;; amdgpu-corpus repo=ROCm/rocBLAS kind=compiled arch=gfx950 opt=O3
	.amdgcn_target "amdgcn-amd-amdhsa--gfx950"
	.amdhsa_code_object_version 6
	.section	.text._ZN12_GLOBAL__N_120geam_ex_scale_kernelILi32ELi32EffPKPKfPKPfEEviiT2_T3_lilT4_lil,"axG",@progbits,_ZN12_GLOBAL__N_120geam_ex_scale_kernelILi32ELi32EffPKPKfPKPfEEviiT2_T3_lilT4_lil,comdat
	.globl	_ZN12_GLOBAL__N_120geam_ex_scale_kernelILi32ELi32EffPKPKfPKPfEEviiT2_T3_lilT4_lil ; -- Begin function _ZN12_GLOBAL__N_120geam_ex_scale_kernelILi32ELi32EffPKPKfPKPfEEviiT2_T3_lilT4_lil
	.p2align	8
	.type	_ZN12_GLOBAL__N_120geam_ex_scale_kernelILi32ELi32EffPKPKfPKPfEEviiT2_T3_lilT4_lil,@function
_ZN12_GLOBAL__N_120geam_ex_scale_kernelILi32ELi32EffPKPKfPKPfEEviiT2_T3_lilT4_lil: ; @_ZN12_GLOBAL__N_120geam_ex_scale_kernelILi32ELi32EffPKPKfPKPfEEviiT2_T3_lilT4_lil
; %bb.0:
	s_load_dwordx4 s[4:7], s[0:1], 0x0
	s_mov_b32 s16, s3
	s_mov_b32 s17, 0
	s_waitcnt lgkmcnt(0)
	v_cmp_eq_f32_e64 s[14:15], s6, 0
	s_and_b64 vcc, exec, s[14:15]
	s_cbranch_vccnz .LBB0_2
; %bb.1:
	s_load_dwordx4 s[8:11], s[0:1], 0x10
	s_lshl_b64 s[12:13], s[16:17], 3
	s_waitcnt lgkmcnt(0)
	s_add_u32 s8, s8, s12
	s_addc_u32 s9, s9, s13
	s_load_dwordx2 s[8:9], s[8:9], 0x0
	s_lshl_b64 s[10:11], s[10:11], 2
	s_waitcnt lgkmcnt(0)
	s_add_u32 s12, s8, s10
	s_addc_u32 s13, s9, s11
	s_branch .LBB0_3
.LBB0_2:
	s_mov_b64 s[12:13], 0
.LBB0_3:
	s_add_i32 s3, s4, -1
	s_ashr_i32 s7, s3, 31
	s_lshr_b32 s7, s7, 27
	s_add_i32 s3, s3, s7
	s_ashr_i32 s3, s3, 5
	s_add_i32 s7, s3, 1
	v_cvt_f32_u32_e32 v1, s7
	s_not_b32 s3, s3
	v_and_b32_e32 v2, 0x3ff, v0
	v_bfe_u32 v0, v0, 10, 10
	v_rcp_iflag_f32_e32 v1, v1
	s_nop 0
	v_mul_f32_e32 v1, 0x4f7ffffe, v1
	v_cvt_u32_f32_e32 v1, v1
	s_nop 0
	v_readfirstlane_b32 s8, v1
	s_mul_i32 s3, s3, s8
	s_mul_hi_u32 s3, s8, s3
	s_add_i32 s8, s8, s3
	s_mul_hi_u32 s3, s2, s8
	s_mul_i32 s8, s3, s7
	s_sub_i32 s8, s2, s8
	s_add_i32 s9, s3, 1
	s_sub_i32 s10, s8, s7
	s_cmp_ge_u32 s8, s7
	s_cselect_b32 s3, s9, s3
	s_cselect_b32 s8, s10, s8
	s_add_i32 s9, s3, 1
	s_cmp_ge_u32 s8, s7
	s_cselect_b32 s3, s9, s3
	s_mul_i32 s7, s3, s7
	s_sub_i32 s2, s2, s7
	v_lshl_add_u32 v4, s3, 5, v0
	v_lshl_add_u32 v0, s2, 5, v2
	v_cmp_gt_u32_e32 vcc, s4, v0
	v_cmp_gt_u32_e64 s[2:3], s5, v4
	s_and_b64 s[2:3], vcc, s[2:3]
	s_and_saveexec_b64 s[4:5], s[2:3]
	s_cbranch_execz .LBB0_9
; %bb.4:
	s_load_dwordx4 s[8:11], s[0:1], 0x30
	s_lshl_b64 s[2:3], s[16:17], 3
	v_mov_b32_e32 v1, 0
	s_waitcnt lgkmcnt(0)
	s_add_u32 s2, s8, s2
	s_addc_u32 s3, s9, s3
	s_load_dwordx2 s[2:3], s[2:3], 0x0
	s_andn2_b64 vcc, exec, s[14:15]
	s_cbranch_vccnz .LBB0_6
; %bb.5:
	v_mov_b32_e32 v3, 0
	v_mov_b32_e32 v2, v0
	s_cbranch_execz .LBB0_7
	s_branch .LBB0_8
.LBB0_6:
	v_mov_b64_e32 v[2:3], v[0:1]
.LBB0_7:
	s_load_dword s4, s[0:1], 0x20
	s_waitcnt lgkmcnt(0)
	s_ashr_i32 s7, s4, 31
	v_mad_u64_u32 v[6:7], s[4:5], v4, s4, 0
	v_mov_b32_e32 v8, v7
	v_mad_u64_u32 v[8:9], s[4:5], v4, s7, v[8:9]
	v_mov_b32_e32 v7, v8
	v_lshl_add_u64 v[6:7], v[6:7], 2, s[12:13]
	v_lshl_add_u64 v[0:1], v[0:1], 2, v[6:7]
	flat_load_dword v0, v[0:1]
	s_waitcnt vmcnt(0) lgkmcnt(0)
	v_mul_f32_e32 v1, s6, v0
.LBB0_8:
	s_load_dword s4, s[0:1], 0x40
	s_lshl_b64 s[0:1], s[10:11], 2
	s_waitcnt lgkmcnt(0)
	s_add_u32 s0, s2, s0
	s_addc_u32 s1, s3, s1
	v_mad_u64_u32 v[6:7], s[2:3], v4, s4, 0
	s_ashr_i32 s5, s4, 31
	v_mov_b32_e32 v0, v7
	v_mad_u64_u32 v[4:5], s[2:3], v4, s5, v[0:1]
	v_mov_b32_e32 v7, v4
	v_lshl_add_u64 v[4:5], v[6:7], 2, s[0:1]
	v_lshl_add_u64 v[2:3], v[2:3], 2, v[4:5]
	flat_store_dword v[2:3], v1
.LBB0_9:
	s_endpgm
	.section	.rodata,"a",@progbits
	.p2align	6, 0x0
	.amdhsa_kernel _ZN12_GLOBAL__N_120geam_ex_scale_kernelILi32ELi32EffPKPKfPKPfEEviiT2_T3_lilT4_lil
		.amdhsa_group_segment_fixed_size 0
		.amdhsa_private_segment_fixed_size 0
		.amdhsa_kernarg_size 80
		.amdhsa_user_sgpr_count 2
		.amdhsa_user_sgpr_dispatch_ptr 0
		.amdhsa_user_sgpr_queue_ptr 0
		.amdhsa_user_sgpr_kernarg_segment_ptr 1
		.amdhsa_user_sgpr_dispatch_id 0
		.amdhsa_user_sgpr_kernarg_preload_length 0
		.amdhsa_user_sgpr_kernarg_preload_offset 0
		.amdhsa_user_sgpr_private_segment_size 0
		.amdhsa_uses_dynamic_stack 0
		.amdhsa_enable_private_segment 0
		.amdhsa_system_sgpr_workgroup_id_x 1
		.amdhsa_system_sgpr_workgroup_id_y 0
		.amdhsa_system_sgpr_workgroup_id_z 1
		.amdhsa_system_sgpr_workgroup_info 0
		.amdhsa_system_vgpr_workitem_id 1
		.amdhsa_next_free_vgpr 10
		.amdhsa_next_free_sgpr 18
		.amdhsa_accum_offset 12
		.amdhsa_reserve_vcc 1
		.amdhsa_float_round_mode_32 0
		.amdhsa_float_round_mode_16_64 0
		.amdhsa_float_denorm_mode_32 3
		.amdhsa_float_denorm_mode_16_64 3
		.amdhsa_dx10_clamp 1
		.amdhsa_ieee_mode 1
		.amdhsa_fp16_overflow 0
		.amdhsa_tg_split 0
		.amdhsa_exception_fp_ieee_invalid_op 0
		.amdhsa_exception_fp_denorm_src 0
		.amdhsa_exception_fp_ieee_div_zero 0
		.amdhsa_exception_fp_ieee_overflow 0
		.amdhsa_exception_fp_ieee_underflow 0
		.amdhsa_exception_fp_ieee_inexact 0
		.amdhsa_exception_int_div_zero 0
	.end_amdhsa_kernel
	.section	.text._ZN12_GLOBAL__N_120geam_ex_scale_kernelILi32ELi32EffPKPKfPKPfEEviiT2_T3_lilT4_lil,"axG",@progbits,_ZN12_GLOBAL__N_120geam_ex_scale_kernelILi32ELi32EffPKPKfPKPfEEviiT2_T3_lilT4_lil,comdat
.Lfunc_end0:
	.size	_ZN12_GLOBAL__N_120geam_ex_scale_kernelILi32ELi32EffPKPKfPKPfEEviiT2_T3_lilT4_lil, .Lfunc_end0-_ZN12_GLOBAL__N_120geam_ex_scale_kernelILi32ELi32EffPKPKfPKPfEEviiT2_T3_lilT4_lil
                                        ; -- End function
	.set _ZN12_GLOBAL__N_120geam_ex_scale_kernelILi32ELi32EffPKPKfPKPfEEviiT2_T3_lilT4_lil.num_vgpr, 10
	.set _ZN12_GLOBAL__N_120geam_ex_scale_kernelILi32ELi32EffPKPKfPKPfEEviiT2_T3_lilT4_lil.num_agpr, 0
	.set _ZN12_GLOBAL__N_120geam_ex_scale_kernelILi32ELi32EffPKPKfPKPfEEviiT2_T3_lilT4_lil.numbered_sgpr, 18
	.set _ZN12_GLOBAL__N_120geam_ex_scale_kernelILi32ELi32EffPKPKfPKPfEEviiT2_T3_lilT4_lil.num_named_barrier, 0
	.set _ZN12_GLOBAL__N_120geam_ex_scale_kernelILi32ELi32EffPKPKfPKPfEEviiT2_T3_lilT4_lil.private_seg_size, 0
	.set _ZN12_GLOBAL__N_120geam_ex_scale_kernelILi32ELi32EffPKPKfPKPfEEviiT2_T3_lilT4_lil.uses_vcc, 1
	.set _ZN12_GLOBAL__N_120geam_ex_scale_kernelILi32ELi32EffPKPKfPKPfEEviiT2_T3_lilT4_lil.uses_flat_scratch, 0
	.set _ZN12_GLOBAL__N_120geam_ex_scale_kernelILi32ELi32EffPKPKfPKPfEEviiT2_T3_lilT4_lil.has_dyn_sized_stack, 0
	.set _ZN12_GLOBAL__N_120geam_ex_scale_kernelILi32ELi32EffPKPKfPKPfEEviiT2_T3_lilT4_lil.has_recursion, 0
	.set _ZN12_GLOBAL__N_120geam_ex_scale_kernelILi32ELi32EffPKPKfPKPfEEviiT2_T3_lilT4_lil.has_indirect_call, 0
	.section	.AMDGPU.csdata,"",@progbits
; Kernel info:
; codeLenInByte = 488
; TotalNumSgprs: 24
; NumVgprs: 10
; NumAgprs: 0
; TotalNumVgprs: 10
; ScratchSize: 0
; MemoryBound: 0
; FloatMode: 240
; IeeeMode: 1
; LDSByteSize: 0 bytes/workgroup (compile time only)
; SGPRBlocks: 2
; VGPRBlocks: 1
; NumSGPRsForWavesPerEU: 24
; NumVGPRsForWavesPerEU: 10
; AccumOffset: 12
; Occupancy: 8
; WaveLimiterHint : 1
; COMPUTE_PGM_RSRC2:SCRATCH_EN: 0
; COMPUTE_PGM_RSRC2:USER_SGPR: 2
; COMPUTE_PGM_RSRC2:TRAP_HANDLER: 0
; COMPUTE_PGM_RSRC2:TGID_X_EN: 1
; COMPUTE_PGM_RSRC2:TGID_Y_EN: 0
; COMPUTE_PGM_RSRC2:TGID_Z_EN: 1
; COMPUTE_PGM_RSRC2:TIDIG_COMP_CNT: 1
; COMPUTE_PGM_RSRC3_GFX90A:ACCUM_OFFSET: 2
; COMPUTE_PGM_RSRC3_GFX90A:TG_SPLIT: 0
	.section	.text._ZN12_GLOBAL__N_120geam_ex_scale_kernelILi32ELi32EfPKfPKS2_PKPfEEviiT2_T3_lilT4_lil,"axG",@progbits,_ZN12_GLOBAL__N_120geam_ex_scale_kernelILi32ELi32EfPKfPKS2_PKPfEEviiT2_T3_lilT4_lil,comdat
	.globl	_ZN12_GLOBAL__N_120geam_ex_scale_kernelILi32ELi32EfPKfPKS2_PKPfEEviiT2_T3_lilT4_lil ; -- Begin function _ZN12_GLOBAL__N_120geam_ex_scale_kernelILi32ELi32EfPKfPKS2_PKPfEEviiT2_T3_lilT4_lil
	.p2align	8
	.type	_ZN12_GLOBAL__N_120geam_ex_scale_kernelILi32ELi32EfPKfPKS2_PKPfEEviiT2_T3_lilT4_lil,@function
_ZN12_GLOBAL__N_120geam_ex_scale_kernelILi32ELi32EfPKfPKS2_PKPfEEviiT2_T3_lilT4_lil: ; @_ZN12_GLOBAL__N_120geam_ex_scale_kernelILi32ELi32EfPKfPKS2_PKPfEEviiT2_T3_lilT4_lil
; %bb.0:
	s_load_dwordx4 s[4:7], s[0:1], 0x8
	s_mov_b32 s12, s3
	s_mov_b32 s13, 0
	s_waitcnt lgkmcnt(0)
	s_load_dword s14, s[4:5], 0x0
	s_waitcnt lgkmcnt(0)
	v_cmp_eq_f32_e64 s[10:11], s14, 0
	s_and_b64 vcc, exec, s[10:11]
	s_cbranch_vccnz .LBB1_2
; %bb.1:
	s_lshl_b64 s[8:9], s[12:13], 3
	s_add_u32 s6, s6, s8
	s_load_dwordx2 s[4:5], s[0:1], 0x18
	s_addc_u32 s7, s7, s9
	s_load_dwordx2 s[6:7], s[6:7], 0x0
	s_waitcnt lgkmcnt(0)
	s_lshl_b64 s[4:5], s[4:5], 2
	s_add_u32 s8, s6, s4
	s_addc_u32 s9, s7, s5
	s_branch .LBB1_3
.LBB1_2:
	s_mov_b64 s[8:9], 0
.LBB1_3:
	s_load_dwordx2 s[4:5], s[0:1], 0x0
	v_and_b32_e32 v2, 0x3ff, v0
	v_bfe_u32 v0, v0, 10, 10
	s_waitcnt lgkmcnt(0)
	s_add_i32 s3, s4, -1
	s_ashr_i32 s6, s3, 31
	s_lshr_b32 s6, s6, 27
	s_add_i32 s3, s3, s6
	s_ashr_i32 s3, s3, 5
	s_add_i32 s6, s3, 1
	v_cvt_f32_u32_e32 v1, s6
	s_not_b32 s3, s3
	v_rcp_iflag_f32_e32 v1, v1
	s_nop 0
	v_mul_f32_e32 v1, 0x4f7ffffe, v1
	v_cvt_u32_f32_e32 v1, v1
	s_nop 0
	v_readfirstlane_b32 s7, v1
	s_mul_i32 s3, s3, s7
	s_mul_hi_u32 s3, s7, s3
	s_add_i32 s7, s7, s3
	s_mul_hi_u32 s3, s2, s7
	s_mul_i32 s7, s3, s6
	s_sub_i32 s7, s2, s7
	s_add_i32 s15, s3, 1
	s_sub_i32 s16, s7, s6
	s_cmp_ge_u32 s7, s6
	s_cselect_b32 s3, s15, s3
	s_cselect_b32 s7, s16, s7
	s_add_i32 s15, s3, 1
	s_cmp_ge_u32 s7, s6
	s_cselect_b32 s3, s15, s3
	s_mul_i32 s6, s3, s6
	s_sub_i32 s2, s2, s6
	v_lshl_add_u32 v4, s3, 5, v0
	v_lshl_add_u32 v0, s2, 5, v2
	v_cmp_gt_u32_e32 vcc, s4, v0
	v_cmp_gt_u32_e64 s[2:3], s5, v4
	s_and_b64 s[2:3], vcc, s[2:3]
	s_and_saveexec_b64 s[4:5], s[2:3]
	s_cbranch_execz .LBB1_9
; %bb.4:
	s_load_dwordx4 s[4:7], s[0:1], 0x30
	s_lshl_b64 s[2:3], s[12:13], 3
	v_mov_b32_e32 v1, 0
	s_waitcnt lgkmcnt(0)
	s_add_u32 s2, s4, s2
	s_addc_u32 s3, s5, s3
	s_load_dwordx2 s[2:3], s[2:3], 0x0
	s_andn2_b64 vcc, exec, s[10:11]
	s_cbranch_vccnz .LBB1_6
; %bb.5:
	v_mov_b32_e32 v3, 0
	v_mov_b32_e32 v2, v0
	s_cbranch_execz .LBB1_7
	s_branch .LBB1_8
.LBB1_6:
	v_mov_b64_e32 v[2:3], v[0:1]
.LBB1_7:
	s_load_dword s4, s[0:1], 0x20
	s_waitcnt lgkmcnt(0)
	s_ashr_i32 s10, s4, 31
	v_mad_u64_u32 v[6:7], s[4:5], v4, s4, 0
	v_mov_b32_e32 v8, v7
	v_mad_u64_u32 v[8:9], s[4:5], v4, s10, v[8:9]
	v_mov_b32_e32 v7, v8
	v_lshl_add_u64 v[6:7], v[6:7], 2, s[8:9]
	v_lshl_add_u64 v[0:1], v[0:1], 2, v[6:7]
	flat_load_dword v0, v[0:1]
	s_waitcnt vmcnt(0) lgkmcnt(0)
	v_mul_f32_e32 v1, s14, v0
.LBB1_8:
	s_load_dword s4, s[0:1], 0x40
	s_lshl_b64 s[0:1], s[6:7], 2
	s_waitcnt lgkmcnt(0)
	s_add_u32 s0, s2, s0
	s_addc_u32 s1, s3, s1
	v_mad_u64_u32 v[6:7], s[2:3], v4, s4, 0
	s_ashr_i32 s5, s4, 31
	v_mov_b32_e32 v0, v7
	v_mad_u64_u32 v[4:5], s[2:3], v4, s5, v[0:1]
	v_mov_b32_e32 v7, v4
	v_lshl_add_u64 v[4:5], v[6:7], 2, s[0:1]
	v_lshl_add_u64 v[2:3], v[2:3], 2, v[4:5]
	flat_store_dword v[2:3], v1
.LBB1_9:
	s_endpgm
	.section	.rodata,"a",@progbits
	.p2align	6, 0x0
	.amdhsa_kernel _ZN12_GLOBAL__N_120geam_ex_scale_kernelILi32ELi32EfPKfPKS2_PKPfEEviiT2_T3_lilT4_lil
		.amdhsa_group_segment_fixed_size 0
		.amdhsa_private_segment_fixed_size 0
		.amdhsa_kernarg_size 80
		.amdhsa_user_sgpr_count 2
		.amdhsa_user_sgpr_dispatch_ptr 0
		.amdhsa_user_sgpr_queue_ptr 0
		.amdhsa_user_sgpr_kernarg_segment_ptr 1
		.amdhsa_user_sgpr_dispatch_id 0
		.amdhsa_user_sgpr_kernarg_preload_length 0
		.amdhsa_user_sgpr_kernarg_preload_offset 0
		.amdhsa_user_sgpr_private_segment_size 0
		.amdhsa_uses_dynamic_stack 0
		.amdhsa_enable_private_segment 0
		.amdhsa_system_sgpr_workgroup_id_x 1
		.amdhsa_system_sgpr_workgroup_id_y 0
		.amdhsa_system_sgpr_workgroup_id_z 1
		.amdhsa_system_sgpr_workgroup_info 0
		.amdhsa_system_vgpr_workitem_id 1
		.amdhsa_next_free_vgpr 10
		.amdhsa_next_free_sgpr 17
		.amdhsa_accum_offset 12
		.amdhsa_reserve_vcc 1
		.amdhsa_float_round_mode_32 0
		.amdhsa_float_round_mode_16_64 0
		.amdhsa_float_denorm_mode_32 3
		.amdhsa_float_denorm_mode_16_64 3
		.amdhsa_dx10_clamp 1
		.amdhsa_ieee_mode 1
		.amdhsa_fp16_overflow 0
		.amdhsa_tg_split 0
		.amdhsa_exception_fp_ieee_invalid_op 0
		.amdhsa_exception_fp_denorm_src 0
		.amdhsa_exception_fp_ieee_div_zero 0
		.amdhsa_exception_fp_ieee_overflow 0
		.amdhsa_exception_fp_ieee_underflow 0
		.amdhsa_exception_fp_ieee_inexact 0
		.amdhsa_exception_int_div_zero 0
	.end_amdhsa_kernel
	.section	.text._ZN12_GLOBAL__N_120geam_ex_scale_kernelILi32ELi32EfPKfPKS2_PKPfEEviiT2_T3_lilT4_lil,"axG",@progbits,_ZN12_GLOBAL__N_120geam_ex_scale_kernelILi32ELi32EfPKfPKS2_PKPfEEviiT2_T3_lilT4_lil,comdat
.Lfunc_end1:
	.size	_ZN12_GLOBAL__N_120geam_ex_scale_kernelILi32ELi32EfPKfPKS2_PKPfEEviiT2_T3_lilT4_lil, .Lfunc_end1-_ZN12_GLOBAL__N_120geam_ex_scale_kernelILi32ELi32EfPKfPKS2_PKPfEEviiT2_T3_lilT4_lil
                                        ; -- End function
	.set _ZN12_GLOBAL__N_120geam_ex_scale_kernelILi32ELi32EfPKfPKS2_PKPfEEviiT2_T3_lilT4_lil.num_vgpr, 10
	.set _ZN12_GLOBAL__N_120geam_ex_scale_kernelILi32ELi32EfPKfPKS2_PKPfEEviiT2_T3_lilT4_lil.num_agpr, 0
	.set _ZN12_GLOBAL__N_120geam_ex_scale_kernelILi32ELi32EfPKfPKS2_PKPfEEviiT2_T3_lilT4_lil.numbered_sgpr, 17
	.set _ZN12_GLOBAL__N_120geam_ex_scale_kernelILi32ELi32EfPKfPKS2_PKPfEEviiT2_T3_lilT4_lil.num_named_barrier, 0
	.set _ZN12_GLOBAL__N_120geam_ex_scale_kernelILi32ELi32EfPKfPKS2_PKPfEEviiT2_T3_lilT4_lil.private_seg_size, 0
	.set _ZN12_GLOBAL__N_120geam_ex_scale_kernelILi32ELi32EfPKfPKS2_PKPfEEviiT2_T3_lilT4_lil.uses_vcc, 1
	.set _ZN12_GLOBAL__N_120geam_ex_scale_kernelILi32ELi32EfPKfPKS2_PKPfEEviiT2_T3_lilT4_lil.uses_flat_scratch, 0
	.set _ZN12_GLOBAL__N_120geam_ex_scale_kernelILi32ELi32EfPKfPKS2_PKPfEEviiT2_T3_lilT4_lil.has_dyn_sized_stack, 0
	.set _ZN12_GLOBAL__N_120geam_ex_scale_kernelILi32ELi32EfPKfPKS2_PKPfEEviiT2_T3_lilT4_lil.has_recursion, 0
	.set _ZN12_GLOBAL__N_120geam_ex_scale_kernelILi32ELi32EfPKfPKS2_PKPfEEviiT2_T3_lilT4_lil.has_indirect_call, 0
	.section	.AMDGPU.csdata,"",@progbits
; Kernel info:
; codeLenInByte = 508
; TotalNumSgprs: 23
; NumVgprs: 10
; NumAgprs: 0
; TotalNumVgprs: 10
; ScratchSize: 0
; MemoryBound: 0
; FloatMode: 240
; IeeeMode: 1
; LDSByteSize: 0 bytes/workgroup (compile time only)
; SGPRBlocks: 2
; VGPRBlocks: 1
; NumSGPRsForWavesPerEU: 23
; NumVGPRsForWavesPerEU: 10
; AccumOffset: 12
; Occupancy: 8
; WaveLimiterHint : 1
; COMPUTE_PGM_RSRC2:SCRATCH_EN: 0
; COMPUTE_PGM_RSRC2:USER_SGPR: 2
; COMPUTE_PGM_RSRC2:TRAP_HANDLER: 0
; COMPUTE_PGM_RSRC2:TGID_X_EN: 1
; COMPUTE_PGM_RSRC2:TGID_Y_EN: 0
; COMPUTE_PGM_RSRC2:TGID_Z_EN: 1
; COMPUTE_PGM_RSRC2:TIDIG_COMP_CNT: 1
; COMPUTE_PGM_RSRC3_GFX90A:ACCUM_OFFSET: 2
; COMPUTE_PGM_RSRC3_GFX90A:TG_SPLIT: 0
	.section	.text._ZN12_GLOBAL__N_120geam_ex_round_kernelILi32ELi32EffPKPKfPKPfEEviiT2_T3_lilT4_lil,"axG",@progbits,_ZN12_GLOBAL__N_120geam_ex_round_kernelILi32ELi32EffPKPKfPKPfEEviiT2_T3_lilT4_lil,comdat
	.globl	_ZN12_GLOBAL__N_120geam_ex_round_kernelILi32ELi32EffPKPKfPKPfEEviiT2_T3_lilT4_lil ; -- Begin function _ZN12_GLOBAL__N_120geam_ex_round_kernelILi32ELi32EffPKPKfPKPfEEviiT2_T3_lilT4_lil
	.p2align	8
	.type	_ZN12_GLOBAL__N_120geam_ex_round_kernelILi32ELi32EffPKPKfPKPfEEviiT2_T3_lilT4_lil,@function
_ZN12_GLOBAL__N_120geam_ex_round_kernelILi32ELi32EffPKPKfPKPfEEviiT2_T3_lilT4_lil: ; @_ZN12_GLOBAL__N_120geam_ex_round_kernelILi32ELi32EffPKPKfPKPfEEviiT2_T3_lilT4_lil
; %bb.0:
	s_load_dwordx4 s[4:7], s[0:1], 0x0
	s_mov_b32 s16, s3
	s_mov_b32 s17, 0
	s_waitcnt lgkmcnt(0)
	v_cmp_eq_f32_e64 s[14:15], s6, 0
	s_and_b64 vcc, exec, s[14:15]
	s_cbranch_vccnz .LBB2_2
; %bb.1:
	s_load_dwordx4 s[8:11], s[0:1], 0x10
	s_lshl_b64 s[12:13], s[16:17], 3
	s_waitcnt lgkmcnt(0)
	s_add_u32 s8, s8, s12
	s_addc_u32 s9, s9, s13
	s_load_dwordx2 s[8:9], s[8:9], 0x0
	s_lshl_b64 s[10:11], s[10:11], 2
	s_waitcnt lgkmcnt(0)
	s_add_u32 s12, s8, s10
	s_addc_u32 s13, s9, s11
	s_branch .LBB2_3
.LBB2_2:
	s_mov_b64 s[12:13], 0
.LBB2_3:
	s_add_i32 s3, s4, -1
	s_ashr_i32 s7, s3, 31
	s_lshr_b32 s7, s7, 27
	s_add_i32 s3, s3, s7
	s_ashr_i32 s3, s3, 5
	s_add_i32 s7, s3, 1
	v_cvt_f32_u32_e32 v1, s7
	s_not_b32 s3, s3
	v_and_b32_e32 v3, 0x3ff, v0
	v_bfe_u32 v0, v0, 10, 10
	v_rcp_iflag_f32_e32 v1, v1
	s_nop 0
	v_mul_f32_e32 v1, 0x4f7ffffe, v1
	v_cvt_u32_f32_e32 v1, v1
	s_nop 0
	v_readfirstlane_b32 s8, v1
	s_mul_i32 s3, s3, s8
	s_mul_hi_u32 s3, s8, s3
	s_add_i32 s8, s8, s3
	s_mul_hi_u32 s3, s2, s8
	s_mul_i32 s8, s3, s7
	s_sub_i32 s8, s2, s8
	s_add_i32 s9, s3, 1
	s_sub_i32 s10, s8, s7
	s_cmp_ge_u32 s8, s7
	s_cselect_b32 s3, s9, s3
	s_cselect_b32 s8, s10, s8
	s_add_i32 s9, s3, 1
	s_cmp_ge_u32 s8, s7
	s_cselect_b32 s3, s9, s3
	s_mul_i32 s7, s3, s7
	s_sub_i32 s2, s2, s7
	v_lshl_add_u32 v2, s3, 5, v0
	v_lshl_add_u32 v0, s2, 5, v3
	v_cmp_gt_u32_e32 vcc, s4, v0
	v_cmp_gt_u32_e64 s[2:3], s5, v2
	s_and_b64 s[2:3], vcc, s[2:3]
	s_and_saveexec_b64 s[4:5], s[2:3]
	s_cbranch_execz .LBB2_9
; %bb.4:
	s_load_dwordx4 s[8:11], s[0:1], 0x30
	s_lshl_b64 s[2:3], s[16:17], 3
	v_mov_b32_e32 v1, 0
	s_waitcnt lgkmcnt(0)
	s_add_u32 s2, s8, s2
	s_addc_u32 s3, s9, s3
	s_load_dwordx2 s[2:3], s[2:3], 0x0
	s_andn2_b64 vcc, exec, s[14:15]
	s_cbranch_vccnz .LBB2_6
; %bb.5:
	v_mov_b32_e32 v5, 0
	v_mov_b32_e32 v4, v0
	s_cbranch_execz .LBB2_7
	s_branch .LBB2_8
.LBB2_6:
	v_mov_b64_e32 v[4:5], v[0:1]
.LBB2_7:
	s_load_dword s4, s[0:1], 0x20
	s_waitcnt lgkmcnt(0)
	s_ashr_i32 s7, s4, 31
	v_mad_u64_u32 v[6:7], s[4:5], v2, s4, 0
	v_mov_b32_e32 v8, v7
	v_mad_u64_u32 v[8:9], s[4:5], v2, s7, v[8:9]
	v_mov_b32_e32 v7, v8
	v_lshl_add_u64 v[6:7], v[6:7], 2, s[12:13]
	v_lshl_add_u64 v[0:1], v[0:1], 2, v[6:7]
	flat_load_dword v0, v[0:1]
	s_waitcnt vmcnt(0) lgkmcnt(0)
	v_mul_f32_e32 v1, s6, v0
.LBB2_8:
	s_load_dword s4, s[0:1], 0x40
	s_lshl_b64 s[0:1], s[10:11], 2
	s_waitcnt lgkmcnt(0)
	s_add_u32 s0, s2, s0
	s_addc_u32 s1, s3, s1
	v_cmp_nlt_f32_e32 vcc, 0, v1
	v_mad_u64_u32 v[6:7], s[2:3], v2, s4, 0
	s_ashr_i32 s5, s4, 31
	v_mov_b32_e32 v0, v7
	v_mad_u64_u32 v[2:3], s[2:3], v2, s5, v[0:1]
	v_mov_b32_e32 v7, v2
	v_lshl_add_u64 v[2:3], v[6:7], 2, s[0:1]
	v_lshl_add_u64 v[2:3], v[4:5], 2, v[2:3]
	v_cndmask_b32_e32 v0, 0, v1, vcc
	flat_store_dword v[2:3], v0
.LBB2_9:
	s_endpgm
	.section	.rodata,"a",@progbits
	.p2align	6, 0x0
	.amdhsa_kernel _ZN12_GLOBAL__N_120geam_ex_round_kernelILi32ELi32EffPKPKfPKPfEEviiT2_T3_lilT4_lil
		.amdhsa_group_segment_fixed_size 0
		.amdhsa_private_segment_fixed_size 0
		.amdhsa_kernarg_size 80
		.amdhsa_user_sgpr_count 2
		.amdhsa_user_sgpr_dispatch_ptr 0
		.amdhsa_user_sgpr_queue_ptr 0
		.amdhsa_user_sgpr_kernarg_segment_ptr 1
		.amdhsa_user_sgpr_dispatch_id 0
		.amdhsa_user_sgpr_kernarg_preload_length 0
		.amdhsa_user_sgpr_kernarg_preload_offset 0
		.amdhsa_user_sgpr_private_segment_size 0
		.amdhsa_uses_dynamic_stack 0
		.amdhsa_enable_private_segment 0
		.amdhsa_system_sgpr_workgroup_id_x 1
		.amdhsa_system_sgpr_workgroup_id_y 0
		.amdhsa_system_sgpr_workgroup_id_z 1
		.amdhsa_system_sgpr_workgroup_info 0
		.amdhsa_system_vgpr_workitem_id 1
		.amdhsa_next_free_vgpr 10
		.amdhsa_next_free_sgpr 18
		.amdhsa_accum_offset 12
		.amdhsa_reserve_vcc 1
		.amdhsa_float_round_mode_32 0
		.amdhsa_float_round_mode_16_64 0
		.amdhsa_float_denorm_mode_32 3
		.amdhsa_float_denorm_mode_16_64 3
		.amdhsa_dx10_clamp 1
		.amdhsa_ieee_mode 1
		.amdhsa_fp16_overflow 0
		.amdhsa_tg_split 0
		.amdhsa_exception_fp_ieee_invalid_op 0
		.amdhsa_exception_fp_denorm_src 0
		.amdhsa_exception_fp_ieee_div_zero 0
		.amdhsa_exception_fp_ieee_overflow 0
		.amdhsa_exception_fp_ieee_underflow 0
		.amdhsa_exception_fp_ieee_inexact 0
		.amdhsa_exception_int_div_zero 0
	.end_amdhsa_kernel
	.section	.text._ZN12_GLOBAL__N_120geam_ex_round_kernelILi32ELi32EffPKPKfPKPfEEviiT2_T3_lilT4_lil,"axG",@progbits,_ZN12_GLOBAL__N_120geam_ex_round_kernelILi32ELi32EffPKPKfPKPfEEviiT2_T3_lilT4_lil,comdat
.Lfunc_end2:
	.size	_ZN12_GLOBAL__N_120geam_ex_round_kernelILi32ELi32EffPKPKfPKPfEEviiT2_T3_lilT4_lil, .Lfunc_end2-_ZN12_GLOBAL__N_120geam_ex_round_kernelILi32ELi32EffPKPKfPKPfEEviiT2_T3_lilT4_lil
                                        ; -- End function
	.set _ZN12_GLOBAL__N_120geam_ex_round_kernelILi32ELi32EffPKPKfPKPfEEviiT2_T3_lilT4_lil.num_vgpr, 10
	.set _ZN12_GLOBAL__N_120geam_ex_round_kernelILi32ELi32EffPKPKfPKPfEEviiT2_T3_lilT4_lil.num_agpr, 0
	.set _ZN12_GLOBAL__N_120geam_ex_round_kernelILi32ELi32EffPKPKfPKPfEEviiT2_T3_lilT4_lil.numbered_sgpr, 18
	.set _ZN12_GLOBAL__N_120geam_ex_round_kernelILi32ELi32EffPKPKfPKPfEEviiT2_T3_lilT4_lil.num_named_barrier, 0
	.set _ZN12_GLOBAL__N_120geam_ex_round_kernelILi32ELi32EffPKPKfPKPfEEviiT2_T3_lilT4_lil.private_seg_size, 0
	.set _ZN12_GLOBAL__N_120geam_ex_round_kernelILi32ELi32EffPKPKfPKPfEEviiT2_T3_lilT4_lil.uses_vcc, 1
	.set _ZN12_GLOBAL__N_120geam_ex_round_kernelILi32ELi32EffPKPKfPKPfEEviiT2_T3_lilT4_lil.uses_flat_scratch, 0
	.set _ZN12_GLOBAL__N_120geam_ex_round_kernelILi32ELi32EffPKPKfPKPfEEviiT2_T3_lilT4_lil.has_dyn_sized_stack, 0
	.set _ZN12_GLOBAL__N_120geam_ex_round_kernelILi32ELi32EffPKPKfPKPfEEviiT2_T3_lilT4_lil.has_recursion, 0
	.set _ZN12_GLOBAL__N_120geam_ex_round_kernelILi32ELi32EffPKPKfPKPfEEviiT2_T3_lilT4_lil.has_indirect_call, 0
	.section	.AMDGPU.csdata,"",@progbits
; Kernel info:
; codeLenInByte = 496
; TotalNumSgprs: 24
; NumVgprs: 10
; NumAgprs: 0
; TotalNumVgprs: 10
; ScratchSize: 0
; MemoryBound: 0
; FloatMode: 240
; IeeeMode: 1
; LDSByteSize: 0 bytes/workgroup (compile time only)
; SGPRBlocks: 2
; VGPRBlocks: 1
; NumSGPRsForWavesPerEU: 24
; NumVGPRsForWavesPerEU: 10
; AccumOffset: 12
; Occupancy: 8
; WaveLimiterHint : 1
; COMPUTE_PGM_RSRC2:SCRATCH_EN: 0
; COMPUTE_PGM_RSRC2:USER_SGPR: 2
; COMPUTE_PGM_RSRC2:TRAP_HANDLER: 0
; COMPUTE_PGM_RSRC2:TGID_X_EN: 1
; COMPUTE_PGM_RSRC2:TGID_Y_EN: 0
; COMPUTE_PGM_RSRC2:TGID_Z_EN: 1
; COMPUTE_PGM_RSRC2:TIDIG_COMP_CNT: 1
; COMPUTE_PGM_RSRC3_GFX90A:ACCUM_OFFSET: 2
; COMPUTE_PGM_RSRC3_GFX90A:TG_SPLIT: 0
	.section	.text._ZN12_GLOBAL__N_120geam_min_plus_kernelIf15HIP_vector_typeIfLj2EEfLi32ELi8ELi256ELi64ELi4ELi64ELi4ELi4ELi64ELc78ELc78ELb0ELb0ELb1EPKfKS4_KPfEEviiiT16_PT17_ilSA_ilS8_SA_ilPT18_ili26rocblas_geam_ex_operation_,"axG",@progbits,_ZN12_GLOBAL__N_120geam_min_plus_kernelIf15HIP_vector_typeIfLj2EEfLi32ELi8ELi256ELi64ELi4ELi64ELi4ELi4ELi64ELc78ELc78ELb0ELb0ELb1EPKfKS4_KPfEEviiiT16_PT17_ilSA_ilS8_SA_ilPT18_ili26rocblas_geam_ex_operation_,comdat
	.globl	_ZN12_GLOBAL__N_120geam_min_plus_kernelIf15HIP_vector_typeIfLj2EEfLi32ELi8ELi256ELi64ELi4ELi64ELi4ELi4ELi64ELc78ELc78ELb0ELb0ELb1EPKfKS4_KPfEEviiiT16_PT17_ilSA_ilS8_SA_ilPT18_ili26rocblas_geam_ex_operation_ ; -- Begin function _ZN12_GLOBAL__N_120geam_min_plus_kernelIf15HIP_vector_typeIfLj2EEfLi32ELi8ELi256ELi64ELi4ELi64ELi4ELi4ELi64ELc78ELc78ELb0ELb0ELb1EPKfKS4_KPfEEviiiT16_PT17_ilSA_ilS8_SA_ilPT18_ili26rocblas_geam_ex_operation_
	.p2align	8
	.type	_ZN12_GLOBAL__N_120geam_min_plus_kernelIf15HIP_vector_typeIfLj2EEfLi32ELi8ELi256ELi64ELi4ELi64ELi4ELi4ELi64ELc78ELc78ELb0ELb0ELb1EPKfKS4_KPfEEviiiT16_PT17_ilSA_ilS8_SA_ilPT18_ili26rocblas_geam_ex_operation_,@function
_ZN12_GLOBAL__N_120geam_min_plus_kernelIf15HIP_vector_typeIfLj2EEfLi32ELi8ELi256ELi64ELi4ELi64ELi4ELi4ELi64ELc78ELc78ELb0ELb0ELb1EPKfKS4_KPfEEviiiT16_PT17_ilSA_ilS8_SA_ilPT18_ili26rocblas_geam_ex_operation_: ; @_ZN12_GLOBAL__N_120geam_min_plus_kernelIf15HIP_vector_typeIfLj2EEfLi32ELi8ELi256ELi64ELi4ELi64ELi4ELi4ELi64ELc78ELc78ELb0ELb0ELb1EPKfKS4_KPfEEviiiT16_PT17_ilSA_ilS8_SA_ilPT18_ili26rocblas_geam_ex_operation_
; %bb.0:
	s_load_dwordx4 s[4:7], s[0:1], 0x10
	s_load_dwordx4 s[12:15], s[0:1], 0x28
	;; [unrolled: 1-line block ×3, first 2 shown]
	s_mov_b32 s22, s3
	s_mov_b32 s23, 0
	s_lshl_b64 s[16:17], s[22:23], 2
	s_waitcnt lgkmcnt(0)
	s_add_u32 s4, s4, s16
	s_addc_u32 s5, s5, s17
	s_load_dword s27, s[4:5], 0x0
	s_load_dwordx2 s[20:21], s[0:1], 0x50
	s_add_u32 s10, s10, s16
	s_addc_u32 s11, s11, s17
	s_mov_b64 s[18:19], 0
	s_waitcnt lgkmcnt(0)
	v_cmp_eq_f32_e64 s[4:5], s27, 0
	s_and_b64 s[4:5], exec, s[4:5]
	v_cmp_neq_f32_e64 s[24:25], s27, 0
	s_mov_b64 s[16:17], 0
	s_mov_b64 vcc, s[4:5]
	s_cbranch_vccnz .LBB3_2
; %bb.1:
	s_lshl_b64 s[16:17], s[22:23], 3
	s_add_u32 s6, s6, s16
	s_addc_u32 s7, s7, s17
	s_load_dwordx2 s[6:7], s[6:7], 0x0
	s_lshl_b64 s[12:13], s[12:13], 2
	s_waitcnt lgkmcnt(0)
	s_add_u32 s16, s6, s12
	s_addc_u32 s17, s7, s13
.LBB3_2:
	s_load_dword s26, s[10:11], 0x0
	v_cndmask_b32_e64 v1, 0, 1, s[24:25]
	v_cmp_ne_u32_e64 s[6:7], 1, v1
	s_andn2_b64 vcc, exec, s[24:25]
	s_cbranch_vccnz .LBB3_4
; %bb.3:
	s_lshl_b64 s[10:11], s[22:23], 3
	s_add_u32 s10, s14, s10
	s_addc_u32 s11, s15, s11
	s_load_dwordx2 s[10:11], s[10:11], 0x0
	s_lshl_b64 s[8:9], s[8:9], 2
	s_waitcnt lgkmcnt(0)
	s_add_u32 s18, s10, s8
	s_addc_u32 s19, s11, s9
.LBB3_4:
	s_load_dwordx4 s[12:15], s[0:1], 0x60
	s_waitcnt lgkmcnt(0)
	v_cmp_eq_f32_e64 s[8:9], s26, 0
	s_and_b64 s[8:9], exec, s[8:9]
	s_mov_b64 vcc, s[8:9]
	s_cbranch_vccnz .LBB3_6
; %bb.5:
	s_lshl_b64 s[10:11], s[22:23], 3
	s_add_u32 s10, s20, s10
	s_addc_u32 s11, s21, s11
	s_load_dwordx2 s[10:11], s[10:11], 0x0
	s_lshl_b64 s[12:13], s[12:13], 2
	s_waitcnt lgkmcnt(0)
	s_add_u32 s10, s10, s12
	s_addc_u32 s11, s11, s13
	s_branch .LBB3_7
.LBB3_6:
	s_mov_b64 s[10:11], 0
.LBB3_7:
	s_load_dword s3, s[0:1], 0x0
	s_load_dword s20, s[0:1], 0x20
	s_lshl_b64 s[12:13], s[22:23], 3
	s_add_u32 s12, s14, s12
	s_addc_u32 s13, s15, s13
	s_waitcnt lgkmcnt(0)
	s_add_i32 s3, s3, -1
	s_ashr_i32 s14, s3, 31
	s_lshr_b32 s14, s14, 24
	s_add_i32 s3, s3, s14
	s_ashr_i32 s3, s3, 8
	s_add_i32 s14, s3, 1
	v_cvt_f32_u32_e32 v1, s14
	v_and_b32_e32 v78, 0x3ff, v0
	v_bfe_u32 v79, v0, 10, 10
	s_not_b32 s3, s3
	v_rcp_iflag_f32_e32 v1, v1
	v_lshl_add_u32 v2, v79, 5, v78
	v_and_b32_e32 v47, 63, v2
	v_lshrrev_b32_e32 v46, 6, v2
	v_mul_f32_e32 v0, 0x4f7ffffe, v1
	v_cvt_u32_f32_e32 v0, v0
	v_mov_b32_e32 v3, 0
	v_mov_b32_e32 v4, 0
	v_readfirstlane_b32 s15, v0
	s_mul_i32 s3, s3, s15
	s_mul_hi_u32 s3, s15, s3
	s_add_i32 s15, s15, s3
	s_mul_hi_u32 s3, s2, s15
	s_mul_i32 s15, s3, s14
	s_sub_i32 s15, s2, s15
	s_add_i32 s21, s3, 1
	s_sub_i32 s22, s15, s14
	s_cmp_ge_u32 s15, s14
	s_cselect_b32 s3, s21, s3
	s_cselect_b32 s15, s22, s15
	s_add_i32 s21, s3, 1
	s_cmp_ge_u32 s15, s14
	s_cselect_b32 s23, s21, s3
	s_mul_i32 s3, s23, s14
	s_sub_i32 s14, s2, s3
	s_lshl_b32 s22, s14, 8
	v_or_b32_e32 v8, s22, v47
	v_mad_i64_i32 v[0:1], s[14:15], s20, v46, 0
	v_lshl_add_u64 v[0:1], v[0:1], 2, s[16:17]
	s_and_b64 vcc, exec, s[6:7]
	v_ashrrev_i32_e32 v9, 31, v8
	s_cbranch_vccnz .LBB3_9
; %bb.8:
	v_lshl_add_u64 v[4:5], v[8:9], 2, v[0:1]
	flat_load_dword v3, v[4:5]
	flat_load_dword v6, v[4:5] offset:256
	s_waitcnt vmcnt(0) lgkmcnt(0)
	v_mul_f32_e32 v4, s27, v3
	v_mul_f32_e32 v3, s27, v6
.LBB3_9:
	s_ashr_i32 s21, s20, 31
	s_mov_b64 vcc, s[4:5]
	s_cbranch_vccz .LBB3_11
; %bb.10:
	s_mov_b32 s14, 0
	v_mov_b32_e32 v6, s14
	v_mov_b32_e32 v5, 0
	;; [unrolled: 1-line block ×3, first 2 shown]
	s_cbranch_execz .LBB3_12
	s_branch .LBB3_13
.LBB3_11:
                                        ; implicit-def: $vgpr6
	v_mov_b32_e32 v5, 0
	v_mov_b32_e32 v7, 0
.LBB3_12:
	v_lshl_add_u64 v[0:1], v[8:9], 2, v[0:1]
	flat_load_dword v6, v[0:1] offset:512
	flat_load_dword v7, v[0:1] offset:768
	s_waitcnt vmcnt(0) lgkmcnt(0)
	v_mul_f32_e32 v6, s27, v6
	v_mul_f32_e32 v7, s27, v7
.LBB3_13:
	s_load_dword s24, s[0:1], 0x38
	v_and_b32_e32 v0, 3, v78
	v_lshrrev_b32_e32 v12, 2, v2
	s_lshl_b32 s23, s23, 6
	s_and_b64 vcc, exec, s[6:7]
	v_add_u32_e32 v48, s23, v12
	v_lshlrev_b32_e32 v44, 2, v0
	s_cbranch_vccnz .LBB3_15
; %bb.14:
	s_waitcnt lgkmcnt(0)
	v_mad_i64_i32 v[0:1], s[14:15], v48, s24, 0
	v_lshl_add_u64 v[0:1], v[0:1], 2, s[18:19]
	v_mov_b32_e32 v45, 0
	v_lshl_add_u64 v[0:1], v[0:1], 0, v[44:45]
	flat_load_dword v0, v[0:1]
	s_waitcnt vmcnt(0) lgkmcnt(0)
	v_mul_f32_e32 v5, s27, v0
.LBB3_15:
	v_add_u32_e32 v0, 4, v46
	v_mad_i64_i32 v[0:1], s[14:15], s20, v0, 0
	v_lshl_add_u64 v[10:11], v[0:1], 2, s[16:17]
	v_mov_b32_e32 v1, 0
	s_and_b64 vcc, exec, s[6:7]
	v_mov_b32_e32 v0, 0
	s_cbranch_vccnz .LBB3_17
; %bb.16:
	v_lshl_add_u64 v[0:1], v[8:9], 2, v[10:11]
	flat_load_dword v2, v[0:1]
	flat_load_dword v13, v[0:1] offset:256
	s_waitcnt vmcnt(0) lgkmcnt(0)
	v_mul_f32_e32 v0, s27, v2
	v_mul_f32_e32 v1, s27, v13
.LBB3_17:
	s_mov_b64 vcc, s[4:5]
	s_cbranch_vccz .LBB3_19
; %bb.18:
	s_mov_b32 s14, 0
	v_mov_b32_e32 v2, s14
	v_mov_b32_e32 v45, 0
	;; [unrolled: 1-line block ×3, first 2 shown]
	s_cbranch_execz .LBB3_20
	s_branch .LBB3_21
.LBB3_19:
                                        ; implicit-def: $vgpr2
	v_mov_b32_e32 v45, 0
	v_mov_b32_e32 v49, 0
.LBB3_20:
	v_lshl_add_u64 v[8:9], v[8:9], 2, v[10:11]
	flat_load_dword v2, v[8:9] offset:512
	flat_load_dword v10, v[8:9] offset:768
	s_waitcnt vmcnt(0) lgkmcnt(0)
	v_mul_f32_e32 v2, s27, v2
	v_mul_f32_e32 v49, s27, v10
.LBB3_21:
	s_and_b64 vcc, exec, s[6:7]
	s_cbranch_vccnz .LBB3_23
; %bb.22:
	s_waitcnt lgkmcnt(0)
	v_mad_i64_i32 v[8:9], s[14:15], v48, s24, 0
	v_lshl_add_u64 v[8:9], v[8:9], 2, s[18:19]
	v_mov_b32_e32 v45, 0
	v_lshl_add_u64 v[8:9], v[8:9], 0, v[44:45]
	flat_load_dword v8, v[8:9] offset:16
	s_waitcnt vmcnt(0) lgkmcnt(0)
	v_mul_f32_e32 v45, s27, v8
.LBB3_23:
	v_lshlrev_b32_e32 v8, 4, v47
	v_lshl_add_u32 v82, v46, 2, v8
	s_load_dwordx2 s[12:13], s[12:13], 0x0
	ds_write2st64_b32 v82, v4, v3 offset1:4
	ds_write2st64_b32 v82, v6, v7 offset0:8 offset1:12
	v_lshl_or_b32 v3, v12, 4, v44
	v_lshlrev_b32_e32 v81, 4, v78
	ds_write_b32 v3, v5 offset:8192
	s_waitcnt lgkmcnt(0)
	s_barrier
	v_lshlrev_b32_e32 v80, 4, v79
	ds_read_b128 v[32:35], v81
	ds_read_b128 v[28:31], v81 offset:512
	ds_read_b128 v[24:27], v81 offset:1024
	;; [unrolled: 1-line block ×12, first 2 shown]
	s_waitcnt lgkmcnt(4)
	v_pk_add_f32 v[62:63], v[32:33], v[50:51]
	s_mov_b32 s14, 0x7f7fffff
	v_min3_f32 v66, v62, v63, s14
	v_pk_add_f32 v[62:63], v[28:29], v[50:51]
	s_load_dword s25, s[0:1], 0x8
	v_min3_f32 v67, v62, v63, s14
	v_pk_add_f32 v[62:63], v[24:25], v[50:51]
	s_waitcnt lgkmcnt(0)
	s_cmp_lt_i32 s25, 9
	v_min3_f32 v68, v62, v63, s14
	v_pk_add_f32 v[62:63], v[20:21], v[50:51]
	s_nop 0
	v_min3_f32 v69, v62, v63, s14
	v_pk_add_f32 v[62:63], v[16:17], v[50:51]
	s_nop 0
	;; [unrolled: 3-line block ×3, first 2 shown]
	v_min3_f32 v71, v62, v63, s14
	v_pk_add_f32 v[62:63], v[8:9], v[50:51]
	v_pk_add_f32 v[50:51], v[4:5], v[50:51]
	v_min3_f32 v72, v62, v63, s14
	v_min3_f32 v73, v50, v51, s14
	v_pk_add_f32 v[50:51], v[32:33], v[54:55]
	ds_read_b128 v[62:65], v80 offset:8832
	v_min3_f32 v74, v50, v51, s14
	v_pk_add_f32 v[50:51], v[28:29], v[54:55]
	s_nop 0
	v_min3_f32 v75, v50, v51, s14
	v_pk_add_f32 v[50:51], v[24:25], v[54:55]
	s_nop 0
	;; [unrolled: 3-line block ×21, first 2 shown]
	v_min3_f32 v102, v50, v51, s14
	v_pk_add_f32 v[50:51], v[8:9], v[40:41]
	v_pk_add_f32 v[40:41], v[4:5], v[40:41]
	v_min3_f32 v50, v50, v51, s14
	v_min3_f32 v51, v40, v41, s14
	v_pk_add_f32 v[40:41], v[32:33], v[36:37]
	s_nop 0
	v_min3_f32 v103, v40, v41, s14
	v_pk_add_f32 v[40:41], v[28:29], v[36:37]
	s_nop 0
	;; [unrolled: 3-line block ×6, first 2 shown]
	v_min3_f32 v108, v40, v41, s14
	v_pk_add_f32 v[40:41], v[8:9], v[36:37]
	v_pk_add_f32 v[36:37], v[4:5], v[36:37]
	v_min3_f32 v109, v40, v41, s14
	v_pk_add_f32 v[40:41], v[34:35], v[52:53]
	s_nop 0
	v_min3_f32 v88, v40, v41, v66
	v_pk_add_f32 v[40:41], v[30:31], v[52:53]
	v_min3_f32 v66, v36, v37, s14
	s_waitcnt lgkmcnt(0)
	v_pk_add_f32 v[36:37], v[32:33], v[62:63]
	v_min3_f32 v149, v40, v41, v67
	v_min3_f32 v67, v36, v37, s14
	v_pk_add_f32 v[36:37], v[6:7], v[56:57]
	v_pk_add_f32 v[40:41], v[26:27], v[52:53]
	v_min3_f32 v140, v36, v37, v54
	v_pk_add_f32 v[36:37], v[34:35], v[60:61]
	v_min3_f32 v87, v40, v41, v68
	v_min3_f32 v139, v36, v37, v55
	v_pk_add_f32 v[36:37], v[30:31], v[60:61]
	v_pk_add_f32 v[40:41], v[22:23], v[52:53]
	v_min3_f32 v138, v36, v37, v92
	;; [unrolled: 6-line block ×5, first 2 shown]
	v_pk_add_f32 v[36:37], v[16:17], v[62:63]
	v_min3_f32 v84, v40, v41, v72
	v_pk_add_f32 v[40:41], v[6:7], v[52:53]
	v_min3_f32 v55, v36, v37, s14
	;; [unrolled: 2-line block ×25, first 2 shown]
	ds_read_b128 v[40:43], v80 offset:8960
	ds_read_b128 v[50:53], v80 offset:9088
	v_min3_f32 v121, v36, v37, v105
	v_pk_add_f32 v[36:37], v[22:23], v[38:39]
	ds_write2st64_b32 v82, v0, v1 offset0:16 offset1:20
	ds_write2st64_b32 v82, v2, v49 offset0:24 offset1:28
	ds_write_b32 v3, v45 offset:9216
	v_min3_f32 v120, v36, v37, v106
	v_pk_add_f32 v[36:37], v[18:19], v[38:39]
	s_waitcnt lgkmcnt(0)
	v_min3_f32 v119, v36, v37, v107
	v_pk_add_f32 v[36:37], v[14:15], v[38:39]
	s_barrier
	v_min3_f32 v116, v36, v37, v108
	v_pk_add_f32 v[36:37], v[10:11], v[38:39]
	s_nop 0
	v_min3_f32 v115, v36, v37, v109
	v_pk_add_f32 v[36:37], v[4:5], v[62:63]
	s_nop 0
	v_min3_f32 v58, v36, v37, s14
	v_pk_add_f32 v[36:37], v[32:33], v[40:41]
	v_pk_add_f32 v[32:33], v[32:33], v[50:51]
	v_min3_f32 v59, v36, v37, s14
	v_pk_add_f32 v[36:37], v[6:7], v[38:39]
	v_pk_add_f32 v[38:39], v[28:29], v[40:41]
	v_min3_f32 v118, v36, v37, v66
	v_pk_add_f32 v[36:37], v[34:35], v[64:65]
	v_min3_f32 v62, v38, v39, s14
	v_min3_f32 v117, v36, v37, v67
	v_pk_add_f32 v[36:37], v[30:31], v[64:65]
	v_pk_add_f32 v[38:39], v[24:25], v[40:41]
	v_min3_f32 v114, v36, v37, v56
	v_pk_add_f32 v[36:37], v[26:27], v[64:65]
	v_min3_f32 v63, v38, v39, s14
	;; [unrolled: 6-line block ×4, first 2 shown]
	v_min3_f32 v109, v36, v37, v61
	v_pk_add_f32 v[36:37], v[20:21], v[40:41]
	v_pk_add_f32 v[24:25], v[24:25], v[50:51]
	v_min3_f32 v54, v36, v37, s14
	v_pk_add_f32 v[36:37], v[16:17], v[40:41]
	v_pk_add_f32 v[8:9], v[8:9], v[50:51]
	v_min3_f32 v55, v36, v37, s14
	v_pk_add_f32 v[36:37], v[6:7], v[64:65]
	v_min3_f32 v24, v24, v25, s14
	v_min3_f32 v108, v36, v37, v58
	v_pk_add_f32 v[36:37], v[34:35], v[42:43]
	v_pk_add_f32 v[20:21], v[20:21], v[50:51]
	v_min3_f32 v107, v36, v37, v59
	v_pk_add_f32 v[36:37], v[30:31], v[42:43]
	v_min3_f32 v8, v8, v9, s14
	v_min3_f32 v106, v36, v37, v62
	v_pk_add_f32 v[36:37], v[26:27], v[42:43]
	v_min3_f32 v20, v20, v21, s14
	v_min3_f32 v105, v36, v37, v63
	v_pk_add_f32 v[36:37], v[22:23], v[42:43]
	v_pk_add_f32 v[16:17], v[16:17], v[50:51]
	v_min3_f32 v104, v36, v37, v54
	v_pk_add_f32 v[36:37], v[18:19], v[42:43]
	v_min3_f32 v21, v16, v17, s14
	v_min3_f32 v103, v36, v37, v55
	v_pk_add_f32 v[36:37], v[14:15], v[42:43]
	v_pk_add_f32 v[12:13], v[12:13], v[50:51]
	;; [unrolled: 6-line block ×3, first 2 shown]
	v_min3_f32 v38, v36, v37, s14
	v_min3_f32 v9, v4, v5, s14
	v_pk_add_f32 v[4:5], v[26:27], v[52:53]
	v_pk_add_f32 v[36:37], v[6:7], v[42:43]
	v_min3_f32 v98, v4, v5, v24
	v_pk_add_f32 v[4:5], v[22:23], v[52:53]
	v_pk_add_f32 v[28:29], v[28:29], v[50:51]
	v_min3_f32 v96, v4, v5, v20
	v_pk_add_f32 v[4:5], v[18:19], v[52:53]
	v_min3_f32 v99, v36, v37, v38
	v_min3_f32 v95, v4, v5, v21
	v_pk_add_f32 v[4:5], v[14:15], v[52:53]
	v_min3_f32 v36, v32, v33, s14
	v_min3_f32 v94, v4, v5, v12
	v_pk_add_f32 v[4:5], v[10:11], v[52:53]
	v_pk_add_f32 v[32:33], v[34:35], v[52:53]
	v_min3_f32 v28, v28, v29, s14
	v_pk_add_f32 v[16:17], v[30:31], v[52:53]
	v_min3_f32 v93, v4, v5, v8
	;; [unrolled: 2-line block ×3, first 2 shown]
	v_min3_f32 v97, v16, v17, v28
	v_min3_f32 v92, v4, v5, v9
	s_cbranch_scc1 .LBB3_46
; %bb.24:
	v_mov_b32_e32 v0, 0x1000
	v_lshl_add_u32 v151, v78, 4, v0
	v_mov_b32_e32 v0, 0x2400
	v_lshl_add_u32 v152, v79, 4, v0
	v_mad_i64_i32 v[0:1], s[14:15], s24, v48, 0
	v_mov_b32_e32 v45, 0
	v_lshl_add_u64 v[0:1], v[0:1], 2, v[44:45]
	v_lshl_add_u64 v[0:1], s[18:19], 0, v[0:1]
	;; [unrolled: 1-line block ×3, first 2 shown]
	v_add_u32_e32 v0, 12, v46
	v_mad_i64_i32 v[0:1], s[14:15], v0, s20, 0
	v_lshlrev_b64 v[70:71], 2, v[0:1]
	v_lshl_or_b32 v0, s2, 8, v47
	s_lshl_b32 s2, s3, 8
	v_subrev_u32_e32 v0, s2, v0
	v_ashrrev_i32_e32 v1, 31, v0
	v_lshl_add_u64 v[72:73], v[0:1], 2, s[16:17]
	v_add_u32_e32 v0, 8, v46
	v_mad_i64_i32 v[0:1], s[14:15], v0, s20, 0
	v_add_u32_e32 v89, 0x2000, v3
	v_add_u32_e32 v90, 0x2000, v80
	;; [unrolled: 1-line block ×4, first 2 shown]
	s_add_i32 s25, s25, -8
	s_lshl_b64 s[2:3], s[20:21], 5
	v_lshlrev_b64 v[74:75], 2, v[0:1]
	s_mov_b32 s16, 0
	s_mov_b32 s17, 0
	s_branch .LBB3_26
.LBB3_25:                               ;   in Loop: Header=BB3_26 Depth=1
	v_pk_add_f32 v[76:77], v[32:33], v[64:65]
	s_add_i32 s17, s17, 8
	v_min3_f32 v88, v76, v77, v88
	v_pk_add_f32 v[76:77], v[28:29], v[64:65]
	v_lshl_add_u64 v[68:69], v[68:69], 0, 32
	v_min3_f32 v149, v76, v77, v149
	v_pk_add_f32 v[76:77], v[24:25], v[64:65]
	s_cmp_ge_i32 s17, s25
	v_min3_f32 v87, v76, v77, v87
	v_pk_add_f32 v[76:77], v[20:21], v[64:65]
	v_lshl_add_u64 v[72:73], v[72:73], 0, s[2:3]
	v_min3_f32 v86, v76, v77, v86
	v_pk_add_f32 v[76:77], v[16:17], v[64:65]
	s_nop 0
	v_min3_f32 v83, v76, v77, v83
	v_pk_add_f32 v[76:77], v[12:13], v[64:65]
	s_nop 0
	v_min3_f32 v85, v76, v77, v85
	v_pk_add_f32 v[76:77], v[8:9], v[64:65]
	v_pk_add_f32 v[64:65], v[4:5], v[64:65]
	v_min3_f32 v76, v76, v77, v84
	v_min3_f32 v77, v64, v65, v148
	v_pk_add_f32 v[64:65], v[32:33], v[60:61]
	s_nop 0
	v_min3_f32 v84, v64, v65, v147
	v_pk_add_f32 v[64:65], v[28:29], v[60:61]
	s_nop 0
	v_min3_f32 v146, v64, v65, v146
	v_pk_add_f32 v[64:65], v[24:25], v[60:61]
	s_nop 0
	v_min3_f32 v145, v64, v65, v145
	v_pk_add_f32 v[64:65], v[20:21], v[60:61]
	s_nop 0
	v_min3_f32 v144, v64, v65, v144
	v_pk_add_f32 v[64:65], v[16:17], v[60:61]
	s_nop 0
	v_min3_f32 v143, v64, v65, v143
	v_pk_add_f32 v[64:65], v[12:13], v[60:61]
	s_nop 0
	v_min3_f32 v142, v64, v65, v142
	v_pk_add_f32 v[64:65], v[8:9], v[60:61]
	v_pk_add_f32 v[60:61], v[4:5], v[60:61]
	v_min3_f32 v64, v64, v65, v141
	v_min3_f32 v65, v60, v61, v140
	v_pk_add_f32 v[60:61], v[32:33], v[56:57]
	s_nop 0
	v_min3_f32 v139, v60, v61, v139
	v_pk_add_f32 v[60:61], v[28:29], v[56:57]
	s_nop 0
	v_min3_f32 v138, v60, v61, v138
	v_pk_add_f32 v[60:61], v[24:25], v[56:57]
	s_nop 0
	v_min3_f32 v137, v60, v61, v137
	v_pk_add_f32 v[60:61], v[20:21], v[56:57]
	s_nop 0
	;; [unrolled: 22-line block ×5, first 2 shown]
	v_min3_f32 v112, v48, v49, v112
	v_pk_add_f32 v[48:49], v[16:17], v[44:45]
	s_nop 0
	v_min3_f32 v111, v48, v49, v111
	v_pk_add_f32 v[48:49], v[12:13], v[44:45]
	s_nop 0
	v_min3_f32 v110, v48, v49, v110
	v_pk_add_f32 v[48:49], v[8:9], v[44:45]
	v_pk_add_f32 v[44:45], v[4:5], v[44:45]
	v_min3_f32 v48, v48, v49, v109
	v_min3_f32 v49, v44, v45, v108
	v_pk_add_f32 v[44:45], v[32:33], v[40:41]
	v_pk_add_f32 v[32:33], v[32:33], v[36:37]
	v_min3_f32 v107, v44, v45, v107
	v_pk_add_f32 v[44:45], v[28:29], v[40:41]
	v_pk_add_f32 v[28:29], v[28:29], v[36:37]
	v_min3_f32 v106, v44, v45, v106
	v_pk_add_f32 v[44:45], v[24:25], v[40:41]
	v_min3_f32 v28, v28, v29, v97
	v_min3_f32 v105, v44, v45, v105
	v_pk_add_f32 v[44:45], v[20:21], v[40:41]
	v_pk_add_f32 v[20:21], v[20:21], v[36:37]
	v_min3_f32 v104, v44, v45, v104
	v_pk_add_f32 v[44:45], v[16:17], v[40:41]
	v_pk_add_f32 v[16:17], v[16:17], v[36:37]
	;; [unrolled: 3-line block ×4, first 2 shown]
	v_pk_add_f32 v[8:9], v[8:9], v[36:37]
	v_pk_add_f32 v[4:5], v[4:5], v[36:37]
	v_min3_f32 v8, v8, v9, v93
	v_min3_f32 v9, v4, v5, v92
	v_pk_add_f32 v[4:5], v[34:35], v[66:67]
	v_min3_f32 v12, v12, v13, v94
	v_min3_f32 v88, v4, v5, v88
	;; [unrolled: 3-line block ×4, first 2 shown]
	v_pk_add_f32 v[4:5], v[22:23], v[66:67]
	v_pk_add_f32 v[24:25], v[24:25], v[36:37]
	v_min3_f32 v86, v4, v5, v86
	v_pk_add_f32 v[4:5], v[18:19], v[66:67]
	v_min3_f32 v24, v24, v25, v98
	v_min3_f32 v83, v4, v5, v83
	v_pk_add_f32 v[4:5], v[14:15], v[66:67]
	v_min3_f32 v40, v40, v41, v99
	;; [unrolled: 3-line block ×4, first 2 shown]
	v_min3_f32 v94, v4, v5, v77
	v_pk_add_f32 v[4:5], v[34:35], v[62:63]
	s_nop 0
	v_min3_f32 v84, v4, v5, v84
	v_pk_add_f32 v[4:5], v[30:31], v[62:63]
	s_nop 0
	;; [unrolled: 3-line block ×56, first 2 shown]
	v_min3_f32 v149, v4, v5, v9
	ds_read_b128 v[4:7], v81
	ds_read_b128 v[8:11], v81 offset:512
	ds_read_b128 v[12:15], v81 offset:1024
	;; [unrolled: 1-line block ×7, first 2 shown]
	ds_read_b128 v[40:43], v90
	ds_read_b128 v[44:47], v90 offset:128
	ds_read_b128 v[48:51], v90 offset:256
	ds_read_b128 v[52:55], v90 offset:384
	ds_read_b128 v[56:59], v90 offset:512
	ds_read_b128 v[60:63], v90 offset:640
	ds_read_b128 v[64:67], v90 offset:768
	ds_read_b128 v[36:39], v90 offset:896
	s_waitcnt lgkmcnt(7)
	v_pk_add_f32 v[76:77], v[4:5], v[40:41]
	ds_write2st64_b32 v91, v0, v1 offset1:4
	ds_write2st64_b32 v91, v2, v153 offset0:8 offset1:12
	ds_write_b32 v150, v3
	v_min3_f32 v88, v76, v77, v88
	v_pk_add_f32 v[76:77], v[8:9], v[40:41]
	s_waitcnt lgkmcnt(0)
	v_min3_f32 v92, v76, v77, v92
	v_pk_add_f32 v[76:77], v[12:13], v[40:41]
	s_barrier
	v_min3_f32 v87, v76, v77, v87
	v_pk_add_f32 v[76:77], v[16:17], v[40:41]
	s_nop 0
	v_min3_f32 v86, v76, v77, v86
	v_pk_add_f32 v[76:77], v[20:21], v[40:41]
	s_nop 0
	;; [unrolled: 3-line block ×3, first 2 shown]
	v_min3_f32 v85, v76, v77, v85
	v_pk_add_f32 v[76:77], v[28:29], v[40:41]
	v_pk_add_f32 v[40:41], v[32:33], v[40:41]
	v_min3_f32 v76, v76, v77, v93
	v_min3_f32 v77, v40, v41, v94
	v_pk_add_f32 v[40:41], v[4:5], v[44:45]
	s_nop 0
	v_min3_f32 v93, v40, v41, v84
	v_pk_add_f32 v[40:41], v[8:9], v[44:45]
	s_nop 0
	;; [unrolled: 3-line block ×40, first 2 shown]
	v_min3_f32 v60, v40, v41, v139
	v_pk_add_f32 v[40:41], v[4:5], v[64:65]
	v_pk_add_f32 v[4:5], v[4:5], v[36:37]
	v_min3_f32 v61, v40, v41, v107
	v_pk_add_f32 v[40:41], v[8:9], v[64:65]
	s_nop 0
	v_min3_f32 v106, v40, v41, v106
	v_pk_add_f32 v[40:41], v[12:13], v[64:65]
	s_nop 0
	;; [unrolled: 3-line block ×7, first 2 shown]
	v_min3_f32 v40, v40, v41, v141
	v_min3_f32 v41, v4, v5, v142
	v_pk_add_f32 v[4:5], v[8:9], v[36:37]
	s_nop 0
	v_min3_f32 v8, v4, v5, v143
	v_pk_add_f32 v[4:5], v[12:13], v[36:37]
	s_nop 0
	;; [unrolled: 3-line block ×71, first 2 shown]
	v_min3_f32 v92, v4, v5, v20
	s_cbranch_scc1 .LBB3_46
.LBB3_26:                               ; =>This Inner Loop Header: Depth=1
	s_mov_b64 s[14:15], -1
	s_mov_b64 vcc, s[4:5]
                                        ; implicit-def: $vgpr0_vgpr1_vgpr2_vgpr3
	s_cbranch_vccnz .LBB3_37
; %bb.27:                               ;   in Loop: Header=BB3_26 Depth=1
	v_mov_b32_e32 v1, 0
	s_andn2_b64 vcc, exec, s[14:15]
	v_lshl_add_u64 v[4:5], v[72:73], 0, v[74:75]
	s_cbranch_vccz .LBB3_38
.LBB3_28:                               ;   in Loop: Header=BB3_26 Depth=1
	s_mov_b64 s[14:15], -1
	s_mov_b64 vcc, s[4:5]
                                        ; implicit-def: $vgpr2
	s_cbranch_vccnz .LBB3_39
.LBB3_29:                               ;   in Loop: Header=BB3_26 Depth=1
	v_mov_b32_e32 v3, 0
	s_andn2_b64 vcc, exec, s[14:15]
	v_mov_b32_e32 v76, 0
	s_cbranch_vccz .LBB3_40
.LBB3_30:                               ;   in Loop: Header=BB3_26 Depth=1
	s_and_b64 vcc, exec, s[6:7]
	s_cbranch_vccnz .LBB3_32
.LBB3_31:                               ;   in Loop: Header=BB3_26 Depth=1
	flat_load_dword v3, v[68:69]
	s_waitcnt vmcnt(0) lgkmcnt(0)
	v_mul_f32_e32 v3, s27, v3
.LBB3_32:                               ;   in Loop: Header=BB3_26 Depth=1
	ds_read_b128 v[32:35], v151
	ds_read_b128 v[28:31], v151 offset:512
	ds_read_b128 v[24:27], v151 offset:1024
	;; [unrolled: 1-line block ×7, first 2 shown]
	ds_read_b128 v[64:67], v152
	ds_read_b128 v[60:63], v152 offset:128
	ds_read_b128 v[56:59], v152 offset:256
	;; [unrolled: 1-line block ×7, first 2 shown]
	s_mov_b64 s[14:15], -1
	s_mov_b64 vcc, s[4:5]
	ds_write2st64_b32 v82, v0, v1 offset1:4
	ds_write2st64_b32 v82, v2, v76 offset0:8 offset1:12
	ds_write_b32 v89, v3
	s_waitcnt lgkmcnt(0)
	s_barrier
                                        ; implicit-def: $vgpr0_vgpr1_vgpr2_vgpr3
	s_cbranch_vccnz .LBB3_41
; %bb.33:                               ;   in Loop: Header=BB3_26 Depth=1
	v_mov_b32_e32 v1, 0
	s_andn2_b64 vcc, exec, s[14:15]
	v_lshl_add_u64 v[76:77], v[72:73], 0, v[70:71]
	s_cbranch_vccz .LBB3_42
.LBB3_34:                               ;   in Loop: Header=BB3_26 Depth=1
	s_mov_b64 s[14:15], -1
	s_mov_b64 vcc, s[4:5]
                                        ; implicit-def: $vgpr2
	s_cbranch_vccnz .LBB3_43
.LBB3_35:                               ;   in Loop: Header=BB3_26 Depth=1
	v_mov_b32_e32 v3, 0
	s_andn2_b64 vcc, exec, s[14:15]
	v_mov_b32_e32 v153, 0
	s_cbranch_vccz .LBB3_44
.LBB3_36:                               ;   in Loop: Header=BB3_26 Depth=1
	s_and_b64 vcc, exec, s[6:7]
	s_cbranch_vccz .LBB3_45
	s_branch .LBB3_25
.LBB3_37:                               ;   in Loop: Header=BB3_26 Depth=1
	v_mov_b32_e32 v0, s16
	v_mov_b32_e32 v1, 0
	v_lshl_add_u64 v[4:5], v[72:73], 0, v[74:75]
	s_cbranch_execnz .LBB3_28
.LBB3_38:                               ;   in Loop: Header=BB3_26 Depth=1
	flat_load_dword v0, v[4:5]
	flat_load_dword v1, v[4:5] offset:256
	s_waitcnt vmcnt(0) lgkmcnt(0)
	v_mul_f32_e32 v0, s27, v0
	v_mul_f32_e32 v1, s27, v1
	s_mov_b64 s[14:15], -1
	s_mov_b64 vcc, s[4:5]
                                        ; implicit-def: $vgpr2
	s_cbranch_vccz .LBB3_29
.LBB3_39:                               ;   in Loop: Header=BB3_26 Depth=1
	v_mov_b32_e32 v2, s16
	v_mov_b32_e32 v3, 0
	;; [unrolled: 1-line block ×3, first 2 shown]
	s_cbranch_execnz .LBB3_30
.LBB3_40:                               ;   in Loop: Header=BB3_26 Depth=1
	flat_load_dword v2, v[4:5] offset:512
	flat_load_dword v6, v[4:5] offset:768
	s_waitcnt vmcnt(0) lgkmcnt(0)
	v_mul_f32_e32 v2, s27, v2
	v_mul_f32_e32 v76, s27, v6
	s_and_b64 vcc, exec, s[6:7]
	s_cbranch_vccz .LBB3_31
	s_branch .LBB3_32
.LBB3_41:                               ;   in Loop: Header=BB3_26 Depth=1
	v_mov_b32_e32 v0, s16
	v_mov_b32_e32 v1, 0
	v_lshl_add_u64 v[76:77], v[72:73], 0, v[70:71]
	s_cbranch_execnz .LBB3_34
.LBB3_42:                               ;   in Loop: Header=BB3_26 Depth=1
	flat_load_dword v0, v[76:77]
	flat_load_dword v1, v[76:77] offset:256
	s_waitcnt vmcnt(0) lgkmcnt(0)
	v_mul_f32_e32 v0, s27, v0
	v_mul_f32_e32 v1, s27, v1
	s_mov_b64 s[14:15], -1
	s_mov_b64 vcc, s[4:5]
                                        ; implicit-def: $vgpr2
	s_cbranch_vccz .LBB3_35
.LBB3_43:                               ;   in Loop: Header=BB3_26 Depth=1
	v_mov_b32_e32 v2, s16
	v_mov_b32_e32 v3, 0
	;; [unrolled: 1-line block ×3, first 2 shown]
	s_cbranch_execnz .LBB3_36
.LBB3_44:                               ;   in Loop: Header=BB3_26 Depth=1
	flat_load_dword v2, v[76:77] offset:512
	s_nop 0
	flat_load_dword v76, v[76:77] offset:768
	s_waitcnt vmcnt(0) lgkmcnt(0)
	v_mul_f32_e32 v2, s27, v2
	v_mul_f32_e32 v153, s27, v76
	s_and_b64 vcc, exec, s[6:7]
	s_cbranch_vccnz .LBB3_25
.LBB3_45:                               ;   in Loop: Header=BB3_26 Depth=1
	flat_load_dword v3, v[68:69] offset:16
	s_waitcnt vmcnt(0) lgkmcnt(0)
	v_mul_f32_e32 v3, s27, v3
	s_branch .LBB3_25
.LBB3_46:
	s_load_dwordx2 s[2:3], s[0:1], 0x78
	s_load_dword s4, s[0:1], 0x58
	s_load_dword s5, s[0:1], 0x70
	ds_read_b128 v[32:35], v81 offset:4096
	ds_read_b128 v[24:27], v81 offset:4608
	;; [unrolled: 1-line block ×16, first 2 shown]
	s_waitcnt lgkmcnt(0)
	s_lshl_b64 s[0:1], s[2:3], 2
	s_add_u32 s0, s12, s0
	v_pk_add_f32 v[64:65], v[32:33], v[60:61]
	v_add_u32_e32 v150, s23, v79
	v_min3_f32 v66, v64, v65, v88
	v_pk_add_f32 v[64:65], v[34:35], v[62:63]
	s_addc_u32 s1, s13, s1
	v_min3_f32 v68, v64, v65, v66
	v_add_u32_e32 v70, s22, v78
	v_mad_i64_i32 v[66:67], s[2:3], v150, s5, 0
	v_add_u32_e32 v64, 32, v70
	v_lshl_add_u64 v[88:89], v[66:67], 2, s[0:1]
	v_mad_i64_i32 v[66:67], s[2:3], v150, s4, 0
	v_ashrrev_i32_e32 v71, 31, v70
	v_ashrrev_i32_e32 v65, 31, v64
	s_mov_b64 s[2:3], -1
	v_max_f32_e32 v68, v68, v68
	s_mov_b64 vcc, s[8:9]
	s_cbranch_vccz .LBB3_48
; %bb.47:
	v_min_f32_e32 v69, 0, v68
	v_lshl_add_u64 v[72:73], v[70:71], 2, v[88:89]
	flat_store_dword v[72:73], v69
	s_mov_b64 s[2:3], 0
.LBB3_48:
	v_lshl_add_u64 v[90:91], v[66:67], 2, s[10:11]
	v_mov_b32_e32 v69, 0
	s_andn2_b64 vcc, exec, s[2:3]
	v_lshlrev_b64 v[76:77], 2, v[70:71]
	s_cbranch_vccnz .LBB3_50
; %bb.49:
	v_lshl_add_u64 v[66:67], v[90:91], 0, v[76:77]
	flat_load_dword v69, v[66:67]
	v_lshl_add_u64 v[66:67], v[88:89], 0, v[76:77]
	s_waitcnt vmcnt(0) lgkmcnt(0)
	v_mul_f32_e32 v69, s26, v69
	v_min_f32_e32 v68, v69, v68
	flat_store_dword v[66:67], v68
	v_lshl_add_u64 v[66:67], v[64:65], 2, v[90:91]
	flat_load_dword v66, v[66:67]
	s_waitcnt vmcnt(0) lgkmcnt(0)
	v_mul_f32_e32 v69, s26, v66
.LBB3_50:
	v_pk_add_f32 v[66:67], v[24:25], v[60:61]
	v_add_u32_e32 v74, 64, v70
	v_min3_f32 v68, v66, v67, v149
	v_pk_add_f32 v[66:67], v[28:29], v[60:61]
	v_ashrrev_i32_e32 v75, 31, v74
	v_min3_f32 v72, v66, v67, v87
	v_pk_add_f32 v[66:67], v[26:27], v[62:63]
	s_mov_b64 s[2:3], -1
	v_min_f32_e32 v73, v66, v67
	v_pk_add_f32 v[66:67], v[30:31], v[62:63]
	v_min3_f32 v73, v69, v73, v68
	v_min3_f32 v72, v66, v67, v72
	v_add_u32_e32 v66, 0x60, v70
	v_lshl_add_u64 v[68:69], v[64:65], 2, v[88:89]
	v_ashrrev_i32_e32 v67, 31, v66
	flat_store_dword v[68:69], v73
	v_max_f32_e32 v68, v72, v72
	s_mov_b64 vcc, s[8:9]
	s_cbranch_vccz .LBB3_52
; %bb.51:
	v_min_f32_e32 v69, 0, v68
	v_lshl_add_u64 v[72:73], v[74:75], 2, v[88:89]
	flat_store_dword v[72:73], v69
	s_mov_b64 s[2:3], 0
.LBB3_52:
	v_mov_b32_e32 v72, 0
	s_andn2_b64 vcc, exec, s[2:3]
	v_lshlrev_b64 v[80:81], 2, v[74:75]
	s_cbranch_vccnz .LBB3_54
; %bb.53:
	v_lshl_add_u64 v[72:73], v[90:91], 0, v[80:81]
	flat_load_dword v69, v[72:73]
	v_lshl_add_u64 v[72:73], v[88:89], 0, v[80:81]
	s_waitcnt vmcnt(0) lgkmcnt(0)
	v_mul_f32_e32 v69, s26, v69
	v_min_f32_e32 v68, v69, v68
	flat_store_dword v[72:73], v68
	v_lshl_add_u64 v[68:69], v[66:67], 2, v[90:91]
	flat_load_dword v68, v[68:69]
	s_waitcnt vmcnt(0) lgkmcnt(0)
	v_mul_f32_e32 v72, s26, v68
.LBB3_54:
	v_pk_add_f32 v[68:69], v[20:21], v[60:61]
	s_mov_b64 s[2:3], -1
	v_min3_f32 v73, v68, v69, v86
	v_pk_add_f32 v[68:69], v[16:17], v[60:61]
	s_mov_b64 vcc, s[8:9]
	v_min3_f32 v78, v68, v69, v83
	v_pk_add_f32 v[68:69], v[22:23], v[62:63]
	s_nop 0
	v_min_f32_e32 v82, v68, v69
	v_pk_add_f32 v[68:69], v[18:19], v[62:63]
	v_min3_f32 v82, v72, v82, v73
	v_min3_f32 v83, v68, v69, v78
	v_add_u32_e32 v78, 0x80, v70
	v_add_u32_e32 v68, 0xa0, v70
	v_lshl_add_u64 v[72:73], v[66:67], 2, v[88:89]
	v_ashrrev_i32_e32 v79, 31, v78
	v_ashrrev_i32_e32 v69, 31, v68
	flat_store_dword v[72:73], v82
	v_max_f32_e32 v72, v83, v83
	s_cbranch_vccz .LBB3_56
; %bb.55:
	v_min_f32_e32 v73, 0, v72
	v_lshl_add_u64 v[82:83], v[78:79], 2, v[88:89]
	flat_store_dword v[82:83], v73
	s_mov_b64 s[2:3], 0
.LBB3_56:
	v_mov_b32_e32 v86, 0
	s_andn2_b64 vcc, exec, s[2:3]
	v_lshlrev_b64 v[82:83], 2, v[78:79]
	s_cbranch_vccnz .LBB3_58
; %bb.57:
	v_lshl_add_u64 v[86:87], v[90:91], 0, v[82:83]
	flat_load_dword v73, v[86:87]
	v_lshl_add_u64 v[86:87], v[88:89], 0, v[82:83]
	s_waitcnt vmcnt(0) lgkmcnt(0)
	v_mul_f32_e32 v73, s26, v73
	v_min_f32_e32 v72, v73, v72
	flat_store_dword v[86:87], v72
	v_lshl_add_u64 v[72:73], v[68:69], 2, v[90:91]
	flat_load_dword v72, v[72:73]
	s_waitcnt vmcnt(0) lgkmcnt(0)
	v_mul_f32_e32 v86, s26, v72
.LBB3_58:
	v_pk_add_f32 v[72:73], v[12:13], v[60:61]
	s_mov_b64 s[2:3], -1
	v_min3_f32 v87, v72, v73, v85
	v_pk_add_f32 v[72:73], v[8:9], v[60:61]
	s_mov_b64 vcc, s[8:9]
	v_min3_f32 v84, v72, v73, v84
	v_pk_add_f32 v[72:73], v[14:15], v[62:63]
	s_nop 0
	v_min_f32_e32 v149, v72, v73
	v_pk_add_f32 v[72:73], v[10:11], v[62:63]
	v_min3_f32 v149, v86, v149, v87
	v_min3_f32 v151, v72, v73, v84
	v_add_u32_e32 v84, 0xc0, v70
	v_add_u32_e32 v72, 0xe0, v70
	v_lshl_add_u64 v[86:87], v[68:69], 2, v[88:89]
	v_ashrrev_i32_e32 v85, 31, v84
	v_ashrrev_i32_e32 v73, 31, v72
	flat_store_dword v[86:87], v149
	v_max_f32_e32 v149, v151, v151
	s_cbranch_vccz .LBB3_60
; %bb.59:
	v_min_f32_e32 v151, 0, v149
	v_lshl_add_u64 v[86:87], v[84:85], 2, v[88:89]
	flat_store_dword v[86:87], v151
	s_mov_b64 s[2:3], 0
.LBB3_60:
	v_mov_b32_e32 v151, 0
	s_andn2_b64 vcc, exec, s[2:3]
	v_lshlrev_b64 v[86:87], 2, v[84:85]
	s_cbranch_vccnz .LBB3_62
; %bb.61:
	v_lshl_add_u64 v[152:153], v[90:91], 0, v[86:87]
	flat_load_dword v151, v[152:153]
	v_lshl_add_u64 v[152:153], v[88:89], 0, v[86:87]
	v_lshl_add_u64 v[90:91], v[72:73], 2, v[90:91]
	s_waitcnt vmcnt(0) lgkmcnt(0)
	v_mul_f32_e32 v151, s26, v151
	v_min_f32_e32 v149, v151, v149
	flat_store_dword v[152:153], v149
	flat_load_dword v90, v[90:91]
	s_waitcnt vmcnt(0) lgkmcnt(0)
	v_mul_f32_e32 v151, s26, v90
.LBB3_62:
	v_pk_add_f32 v[60:61], v[0:1], v[60:61]
	s_mov_b64 vcc, s[8:9]
	v_min3_f32 v90, v60, v61, v148
	v_pk_add_f32 v[60:61], v[32:33], v[56:57]
	s_nop 0
	v_min3_f32 v91, v60, v61, v147
	v_pk_add_f32 v[60:61], v[2:3], v[62:63]
	s_nop 0
	v_min_f32_e32 v62, v60, v61
	v_pk_add_f32 v[60:61], v[34:35], v[58:59]
	v_min3_f32 v62, v151, v62, v90
	v_min3_f32 v91, v60, v61, v91
	v_lshl_add_u64 v[60:61], v[72:73], 2, v[88:89]
	flat_store_dword v[60:61], v62
	v_add_u32_e32 v62, 8, v150
	v_mad_i64_i32 v[60:61], s[2:3], v62, s5, 0
	v_mad_i64_i32 v[62:63], s[2:3], v62, s4, 0
	v_lshl_add_u64 v[60:61], v[60:61], 2, s[0:1]
	s_mov_b64 s[2:3], -1
	v_max_f32_e32 v88, v91, v91
	s_cbranch_vccz .LBB3_64
; %bb.63:
	v_min_f32_e32 v89, 0, v88
	v_lshl_add_u64 v[90:91], v[70:71], 2, v[60:61]
	flat_store_dword v[90:91], v89
	s_mov_b64 s[2:3], 0
.LBB3_64:
	v_lshl_add_u64 v[62:63], v[62:63], 2, s[10:11]
	s_andn2_b64 vcc, exec, s[2:3]
	v_mov_b32_e32 v89, 0
	s_cbranch_vccnz .LBB3_66
; %bb.65:
	v_lshl_add_u64 v[90:91], v[62:63], 0, v[76:77]
	flat_load_dword v89, v[90:91]
	v_lshl_add_u64 v[90:91], v[60:61], 0, v[76:77]
	s_waitcnt vmcnt(0) lgkmcnt(0)
	v_mul_f32_e32 v89, s26, v89
	v_min_f32_e32 v88, v89, v88
	flat_store_dword v[90:91], v88
	v_lshl_add_u64 v[88:89], v[64:65], 2, v[62:63]
	flat_load_dword v88, v[88:89]
	s_waitcnt vmcnt(0) lgkmcnt(0)
	v_mul_f32_e32 v89, s26, v88
.LBB3_66:
	v_pk_add_f32 v[90:91], v[24:25], v[56:57]
	s_mov_b64 s[2:3], -1
	v_min3_f32 v88, v90, v91, v146
	v_pk_add_f32 v[90:91], v[28:29], v[56:57]
	s_mov_b64 vcc, s[8:9]
	v_min3_f32 v145, v90, v91, v145
	v_pk_add_f32 v[90:91], v[26:27], v[58:59]
	s_nop 0
	v_min_f32_e32 v146, v90, v91
	v_pk_add_f32 v[90:91], v[30:31], v[58:59]
	s_nop 0
	v_min3_f32 v90, v90, v91, v145
	v_min3_f32 v91, v89, v146, v88
	v_lshl_add_u64 v[88:89], v[64:65], 2, v[60:61]
	flat_store_dword v[88:89], v91
	v_max_f32_e32 v88, v90, v90
	s_cbranch_vccz .LBB3_68
; %bb.67:
	v_min_f32_e32 v89, 0, v88
	v_lshl_add_u64 v[90:91], v[74:75], 2, v[60:61]
	flat_store_dword v[90:91], v89
	s_mov_b64 s[2:3], 0
.LBB3_68:
	s_andn2_b64 vcc, exec, s[2:3]
	v_mov_b32_e32 v89, 0
	s_cbranch_vccnz .LBB3_70
; %bb.69:
	v_lshl_add_u64 v[90:91], v[62:63], 0, v[80:81]
	flat_load_dword v89, v[90:91]
	v_lshl_add_u64 v[90:91], v[60:61], 0, v[80:81]
	s_waitcnt vmcnt(0) lgkmcnt(0)
	v_mul_f32_e32 v89, s26, v89
	v_min_f32_e32 v88, v89, v88
	flat_store_dword v[90:91], v88
	v_lshl_add_u64 v[88:89], v[66:67], 2, v[62:63]
	flat_load_dword v88, v[88:89]
	s_waitcnt vmcnt(0) lgkmcnt(0)
	v_mul_f32_e32 v89, s26, v88
.LBB3_70:
	v_pk_add_f32 v[90:91], v[20:21], v[56:57]
	s_mov_b64 s[2:3], -1
	v_min3_f32 v88, v90, v91, v144
	v_pk_add_f32 v[90:91], v[16:17], v[56:57]
	s_mov_b64 vcc, s[8:9]
	v_min3_f32 v143, v90, v91, v143
	v_pk_add_f32 v[90:91], v[22:23], v[58:59]
	s_nop 0
	v_min_f32_e32 v144, v90, v91
	v_pk_add_f32 v[90:91], v[18:19], v[58:59]
	s_nop 0
	v_min3_f32 v90, v90, v91, v143
	v_min3_f32 v91, v89, v144, v88
	v_lshl_add_u64 v[88:89], v[66:67], 2, v[60:61]
	flat_store_dword v[88:89], v91
	v_max_f32_e32 v88, v90, v90
	s_cbranch_vccz .LBB3_72
; %bb.71:
	v_min_f32_e32 v89, 0, v88
	v_lshl_add_u64 v[90:91], v[78:79], 2, v[60:61]
	flat_store_dword v[90:91], v89
	s_mov_b64 s[2:3], 0
.LBB3_72:
	;; [unrolled: 39-line block ×3, first 2 shown]
	s_andn2_b64 vcc, exec, s[2:3]
	v_mov_b32_e32 v89, 0
	s_cbranch_vccnz .LBB3_78
; %bb.77:
	v_lshl_add_u64 v[90:91], v[62:63], 0, v[86:87]
	flat_load_dword v89, v[90:91]
	v_lshl_add_u64 v[90:91], v[60:61], 0, v[86:87]
	v_lshl_add_u64 v[62:63], v[72:73], 2, v[62:63]
	s_waitcnt vmcnt(0) lgkmcnt(0)
	v_mul_f32_e32 v89, s26, v89
	v_min_f32_e32 v88, v89, v88
	flat_store_dword v[90:91], v88
	flat_load_dword v62, v[62:63]
	s_waitcnt vmcnt(0) lgkmcnt(0)
	v_mul_f32_e32 v89, s26, v62
.LBB3_78:
	v_pk_add_f32 v[56:57], v[0:1], v[56:57]
	s_mov_b64 vcc, s[8:9]
	v_min3_f32 v62, v56, v57, v140
	v_pk_add_f32 v[56:57], v[32:33], v[52:53]
	s_nop 0
	v_min3_f32 v63, v56, v57, v139
	v_pk_add_f32 v[56:57], v[2:3], v[58:59]
	s_nop 0
	v_min_f32_e32 v58, v56, v57
	v_pk_add_f32 v[56:57], v[34:35], v[54:55]
	v_min3_f32 v58, v89, v58, v62
	v_min3_f32 v63, v56, v57, v63
	v_lshl_add_u64 v[56:57], v[72:73], 2, v[60:61]
	flat_store_dword v[56:57], v58
	v_add_u32_e32 v58, 16, v150
	v_mad_i64_i32 v[56:57], s[2:3], v58, s5, 0
	v_mad_i64_i32 v[58:59], s[2:3], v58, s4, 0
	v_lshl_add_u64 v[56:57], v[56:57], 2, s[0:1]
	s_mov_b64 s[2:3], -1
	v_max_f32_e32 v60, v63, v63
	s_cbranch_vccz .LBB3_80
; %bb.79:
	v_min_f32_e32 v61, 0, v60
	v_lshl_add_u64 v[62:63], v[70:71], 2, v[56:57]
	flat_store_dword v[62:63], v61
	s_mov_b64 s[2:3], 0
.LBB3_80:
	v_lshl_add_u64 v[58:59], v[58:59], 2, s[10:11]
	s_andn2_b64 vcc, exec, s[2:3]
	v_mov_b32_e32 v61, 0
	s_cbranch_vccnz .LBB3_82
; %bb.81:
	v_lshl_add_u64 v[62:63], v[58:59], 0, v[76:77]
	flat_load_dword v61, v[62:63]
	v_lshl_add_u64 v[62:63], v[56:57], 0, v[76:77]
	s_waitcnt vmcnt(0) lgkmcnt(0)
	v_mul_f32_e32 v61, s26, v61
	v_min_f32_e32 v60, v61, v60
	flat_store_dword v[62:63], v60
	v_lshl_add_u64 v[60:61], v[64:65], 2, v[58:59]
	flat_load_dword v60, v[60:61]
	s_waitcnt vmcnt(0) lgkmcnt(0)
	v_mul_f32_e32 v61, s26, v60
.LBB3_82:
	v_pk_add_f32 v[62:63], v[24:25], v[52:53]
	s_mov_b64 s[2:3], -1
	v_min3_f32 v60, v62, v63, v138
	v_pk_add_f32 v[62:63], v[28:29], v[52:53]
	s_mov_b64 vcc, s[8:9]
	v_min3_f32 v88, v62, v63, v137
	v_pk_add_f32 v[62:63], v[26:27], v[54:55]
	s_nop 0
	v_min_f32_e32 v89, v62, v63
	v_pk_add_f32 v[62:63], v[30:31], v[54:55]
	s_nop 0
	v_min3_f32 v62, v62, v63, v88
	v_min3_f32 v63, v61, v89, v60
	v_lshl_add_u64 v[60:61], v[64:65], 2, v[56:57]
	flat_store_dword v[60:61], v63
	v_max_f32_e32 v60, v62, v62
	s_cbranch_vccz .LBB3_84
; %bb.83:
	v_min_f32_e32 v61, 0, v60
	v_lshl_add_u64 v[62:63], v[74:75], 2, v[56:57]
	flat_store_dword v[62:63], v61
	s_mov_b64 s[2:3], 0
.LBB3_84:
	s_andn2_b64 vcc, exec, s[2:3]
	v_mov_b32_e32 v61, 0
	s_cbranch_vccnz .LBB3_86
; %bb.85:
	v_lshl_add_u64 v[62:63], v[58:59], 0, v[80:81]
	flat_load_dword v61, v[62:63]
	v_lshl_add_u64 v[62:63], v[56:57], 0, v[80:81]
	s_waitcnt vmcnt(0) lgkmcnt(0)
	v_mul_f32_e32 v61, s26, v61
	v_min_f32_e32 v60, v61, v60
	flat_store_dword v[62:63], v60
	v_lshl_add_u64 v[60:61], v[66:67], 2, v[58:59]
	flat_load_dword v60, v[60:61]
	s_waitcnt vmcnt(0) lgkmcnt(0)
	v_mul_f32_e32 v61, s26, v60
.LBB3_86:
	v_pk_add_f32 v[62:63], v[20:21], v[52:53]
	s_mov_b64 s[2:3], -1
	v_min3_f32 v60, v62, v63, v136
	v_pk_add_f32 v[62:63], v[16:17], v[52:53]
	s_mov_b64 vcc, s[8:9]
	v_min3_f32 v88, v62, v63, v135
	v_pk_add_f32 v[62:63], v[22:23], v[54:55]
	s_nop 0
	v_min_f32_e32 v89, v62, v63
	v_pk_add_f32 v[62:63], v[18:19], v[54:55]
	s_nop 0
	v_min3_f32 v62, v62, v63, v88
	v_min3_f32 v63, v61, v89, v60
	v_lshl_add_u64 v[60:61], v[66:67], 2, v[56:57]
	flat_store_dword v[60:61], v63
	v_max_f32_e32 v60, v62, v62
	s_cbranch_vccz .LBB3_88
; %bb.87:
	v_min_f32_e32 v61, 0, v60
	v_lshl_add_u64 v[62:63], v[78:79], 2, v[56:57]
	flat_store_dword v[62:63], v61
	s_mov_b64 s[2:3], 0
.LBB3_88:
	;; [unrolled: 39-line block ×3, first 2 shown]
	s_andn2_b64 vcc, exec, s[2:3]
	v_mov_b32_e32 v61, 0
	s_cbranch_vccnz .LBB3_94
; %bb.93:
	v_lshl_add_u64 v[62:63], v[58:59], 0, v[86:87]
	flat_load_dword v61, v[62:63]
	v_lshl_add_u64 v[62:63], v[56:57], 0, v[86:87]
	v_lshl_add_u64 v[58:59], v[72:73], 2, v[58:59]
	s_waitcnt vmcnt(0) lgkmcnt(0)
	v_mul_f32_e32 v61, s26, v61
	v_min_f32_e32 v60, v61, v60
	flat_store_dword v[62:63], v60
	flat_load_dword v58, v[58:59]
	s_waitcnt vmcnt(0) lgkmcnt(0)
	v_mul_f32_e32 v61, s26, v58
.LBB3_94:
	v_pk_add_f32 v[52:53], v[0:1], v[52:53]
	s_mov_b64 vcc, s[8:9]
	v_min3_f32 v58, v52, v53, v132
	v_pk_add_f32 v[52:53], v[32:33], v[48:49]
	s_nop 0
	v_min3_f32 v59, v52, v53, v131
	v_pk_add_f32 v[52:53], v[2:3], v[54:55]
	s_nop 0
	v_min_f32_e32 v54, v52, v53
	v_pk_add_f32 v[52:53], v[34:35], v[50:51]
	v_min3_f32 v54, v61, v54, v58
	v_min3_f32 v59, v52, v53, v59
	v_lshl_add_u64 v[52:53], v[72:73], 2, v[56:57]
	flat_store_dword v[52:53], v54
	v_add_u32_e32 v54, 24, v150
	v_mad_i64_i32 v[52:53], s[2:3], v54, s5, 0
	v_mad_i64_i32 v[54:55], s[2:3], v54, s4, 0
	v_lshl_add_u64 v[52:53], v[52:53], 2, s[0:1]
	s_mov_b64 s[2:3], -1
	v_max_f32_e32 v56, v59, v59
	s_cbranch_vccz .LBB3_96
; %bb.95:
	v_min_f32_e32 v57, 0, v56
	v_lshl_add_u64 v[58:59], v[70:71], 2, v[52:53]
	flat_store_dword v[58:59], v57
	s_mov_b64 s[2:3], 0
.LBB3_96:
	v_lshl_add_u64 v[54:55], v[54:55], 2, s[10:11]
	s_andn2_b64 vcc, exec, s[2:3]
	v_mov_b32_e32 v57, 0
	s_cbranch_vccnz .LBB3_98
; %bb.97:
	v_lshl_add_u64 v[58:59], v[54:55], 0, v[76:77]
	flat_load_dword v57, v[58:59]
	v_lshl_add_u64 v[58:59], v[52:53], 0, v[76:77]
	s_waitcnt vmcnt(0) lgkmcnt(0)
	v_mul_f32_e32 v57, s26, v57
	v_min_f32_e32 v56, v57, v56
	flat_store_dword v[58:59], v56
	v_lshl_add_u64 v[56:57], v[64:65], 2, v[54:55]
	flat_load_dword v56, v[56:57]
	s_waitcnt vmcnt(0) lgkmcnt(0)
	v_mul_f32_e32 v57, s26, v56
.LBB3_98:
	v_pk_add_f32 v[58:59], v[24:25], v[48:49]
	s_mov_b64 s[2:3], -1
	v_min3_f32 v56, v58, v59, v130
	v_pk_add_f32 v[58:59], v[28:29], v[48:49]
	s_mov_b64 vcc, s[8:9]
	v_min3_f32 v60, v58, v59, v129
	v_pk_add_f32 v[58:59], v[26:27], v[50:51]
	s_nop 0
	v_min_f32_e32 v61, v58, v59
	v_pk_add_f32 v[58:59], v[30:31], v[50:51]
	s_nop 0
	v_min3_f32 v58, v58, v59, v60
	v_min3_f32 v59, v57, v61, v56
	v_lshl_add_u64 v[56:57], v[64:65], 2, v[52:53]
	flat_store_dword v[56:57], v59
	v_max_f32_e32 v56, v58, v58
	s_cbranch_vccz .LBB3_100
; %bb.99:
	v_min_f32_e32 v57, 0, v56
	v_lshl_add_u64 v[58:59], v[74:75], 2, v[52:53]
	flat_store_dword v[58:59], v57
	s_mov_b64 s[2:3], 0
.LBB3_100:
	s_andn2_b64 vcc, exec, s[2:3]
	v_mov_b32_e32 v57, 0
	s_cbranch_vccnz .LBB3_102
; %bb.101:
	v_lshl_add_u64 v[58:59], v[54:55], 0, v[80:81]
	flat_load_dword v57, v[58:59]
	v_lshl_add_u64 v[58:59], v[52:53], 0, v[80:81]
	s_waitcnt vmcnt(0) lgkmcnt(0)
	v_mul_f32_e32 v57, s26, v57
	v_min_f32_e32 v56, v57, v56
	flat_store_dword v[58:59], v56
	v_lshl_add_u64 v[56:57], v[66:67], 2, v[54:55]
	flat_load_dword v56, v[56:57]
	s_waitcnt vmcnt(0) lgkmcnt(0)
	v_mul_f32_e32 v57, s26, v56
.LBB3_102:
	v_pk_add_f32 v[58:59], v[20:21], v[48:49]
	s_mov_b64 s[2:3], -1
	v_min3_f32 v56, v58, v59, v128
	v_pk_add_f32 v[58:59], v[16:17], v[48:49]
	s_mov_b64 vcc, s[8:9]
	v_min3_f32 v60, v58, v59, v127
	v_pk_add_f32 v[58:59], v[22:23], v[50:51]
	s_nop 0
	v_min_f32_e32 v61, v58, v59
	v_pk_add_f32 v[58:59], v[18:19], v[50:51]
	s_nop 0
	v_min3_f32 v58, v58, v59, v60
	v_min3_f32 v59, v57, v61, v56
	v_lshl_add_u64 v[56:57], v[66:67], 2, v[52:53]
	flat_store_dword v[56:57], v59
	v_max_f32_e32 v56, v58, v58
	s_cbranch_vccz .LBB3_104
; %bb.103:
	v_min_f32_e32 v57, 0, v56
	v_lshl_add_u64 v[58:59], v[78:79], 2, v[52:53]
	flat_store_dword v[58:59], v57
	s_mov_b64 s[2:3], 0
.LBB3_104:
	;; [unrolled: 39-line block ×3, first 2 shown]
	s_andn2_b64 vcc, exec, s[2:3]
	v_mov_b32_e32 v57, 0
	s_cbranch_vccnz .LBB3_110
; %bb.109:
	v_lshl_add_u64 v[58:59], v[54:55], 0, v[86:87]
	flat_load_dword v57, v[58:59]
	v_lshl_add_u64 v[58:59], v[52:53], 0, v[86:87]
	v_lshl_add_u64 v[54:55], v[72:73], 2, v[54:55]
	s_waitcnt vmcnt(0) lgkmcnt(0)
	v_mul_f32_e32 v57, s26, v57
	v_min_f32_e32 v56, v57, v56
	flat_store_dword v[58:59], v56
	flat_load_dword v54, v[54:55]
	s_waitcnt vmcnt(0) lgkmcnt(0)
	v_mul_f32_e32 v57, s26, v54
.LBB3_110:
	v_pk_add_f32 v[48:49], v[0:1], v[48:49]
	s_mov_b64 vcc, s[8:9]
	v_min3_f32 v54, v48, v49, v124
	v_pk_add_f32 v[48:49], v[32:33], v[44:45]
	s_nop 0
	v_min3_f32 v55, v48, v49, v123
	v_pk_add_f32 v[48:49], v[2:3], v[50:51]
	s_nop 0
	v_min_f32_e32 v50, v48, v49
	v_pk_add_f32 v[48:49], v[34:35], v[46:47]
	v_min3_f32 v50, v57, v50, v54
	v_min3_f32 v55, v48, v49, v55
	v_lshl_add_u64 v[48:49], v[72:73], 2, v[52:53]
	flat_store_dword v[48:49], v50
	v_add_u32_e32 v50, 32, v150
	v_mad_i64_i32 v[48:49], s[2:3], v50, s5, 0
	v_mad_i64_i32 v[50:51], s[2:3], v50, s4, 0
	v_lshl_add_u64 v[48:49], v[48:49], 2, s[0:1]
	s_mov_b64 s[2:3], -1
	v_max_f32_e32 v52, v55, v55
	s_cbranch_vccz .LBB3_112
; %bb.111:
	v_min_f32_e32 v53, 0, v52
	v_lshl_add_u64 v[54:55], v[70:71], 2, v[48:49]
	flat_store_dword v[54:55], v53
	s_mov_b64 s[2:3], 0
.LBB3_112:
	v_lshl_add_u64 v[50:51], v[50:51], 2, s[10:11]
	s_andn2_b64 vcc, exec, s[2:3]
	v_mov_b32_e32 v53, 0
	s_cbranch_vccnz .LBB3_114
; %bb.113:
	v_lshl_add_u64 v[54:55], v[50:51], 0, v[76:77]
	flat_load_dword v53, v[54:55]
	v_lshl_add_u64 v[54:55], v[48:49], 0, v[76:77]
	s_waitcnt vmcnt(0) lgkmcnt(0)
	v_mul_f32_e32 v53, s26, v53
	v_min_f32_e32 v52, v53, v52
	flat_store_dword v[54:55], v52
	v_lshl_add_u64 v[52:53], v[64:65], 2, v[50:51]
	flat_load_dword v52, v[52:53]
	s_waitcnt vmcnt(0) lgkmcnt(0)
	v_mul_f32_e32 v53, s26, v52
.LBB3_114:
	v_pk_add_f32 v[54:55], v[24:25], v[44:45]
	s_mov_b64 s[2:3], -1
	v_min3_f32 v52, v54, v55, v122
	v_pk_add_f32 v[54:55], v[28:29], v[44:45]
	s_mov_b64 vcc, s[8:9]
	v_min3_f32 v56, v54, v55, v121
	v_pk_add_f32 v[54:55], v[26:27], v[46:47]
	s_nop 0
	v_min_f32_e32 v57, v54, v55
	v_pk_add_f32 v[54:55], v[30:31], v[46:47]
	s_nop 0
	v_min3_f32 v54, v54, v55, v56
	v_min3_f32 v55, v53, v57, v52
	v_lshl_add_u64 v[52:53], v[64:65], 2, v[48:49]
	flat_store_dword v[52:53], v55
	v_max_f32_e32 v52, v54, v54
	s_cbranch_vccz .LBB3_116
; %bb.115:
	v_min_f32_e32 v53, 0, v52
	v_lshl_add_u64 v[54:55], v[74:75], 2, v[48:49]
	flat_store_dword v[54:55], v53
	s_mov_b64 s[2:3], 0
.LBB3_116:
	s_andn2_b64 vcc, exec, s[2:3]
	v_mov_b32_e32 v53, 0
	s_cbranch_vccnz .LBB3_118
; %bb.117:
	v_lshl_add_u64 v[54:55], v[50:51], 0, v[80:81]
	flat_load_dword v53, v[54:55]
	v_lshl_add_u64 v[54:55], v[48:49], 0, v[80:81]
	s_waitcnt vmcnt(0) lgkmcnt(0)
	v_mul_f32_e32 v53, s26, v53
	v_min_f32_e32 v52, v53, v52
	flat_store_dword v[54:55], v52
	v_lshl_add_u64 v[52:53], v[66:67], 2, v[50:51]
	flat_load_dword v52, v[52:53]
	s_waitcnt vmcnt(0) lgkmcnt(0)
	v_mul_f32_e32 v53, s26, v52
.LBB3_118:
	v_pk_add_f32 v[54:55], v[20:21], v[44:45]
	s_mov_b64 s[2:3], -1
	v_min3_f32 v52, v54, v55, v120
	v_pk_add_f32 v[54:55], v[16:17], v[44:45]
	s_mov_b64 vcc, s[8:9]
	v_min3_f32 v56, v54, v55, v119
	v_pk_add_f32 v[54:55], v[22:23], v[46:47]
	s_nop 0
	v_min_f32_e32 v57, v54, v55
	v_pk_add_f32 v[54:55], v[18:19], v[46:47]
	s_nop 0
	v_min3_f32 v54, v54, v55, v56
	v_min3_f32 v55, v53, v57, v52
	v_lshl_add_u64 v[52:53], v[66:67], 2, v[48:49]
	flat_store_dword v[52:53], v55
	v_max_f32_e32 v52, v54, v54
	s_cbranch_vccz .LBB3_120
; %bb.119:
	v_min_f32_e32 v53, 0, v52
	v_lshl_add_u64 v[54:55], v[78:79], 2, v[48:49]
	flat_store_dword v[54:55], v53
	s_mov_b64 s[2:3], 0
.LBB3_120:
	;; [unrolled: 39-line block ×3, first 2 shown]
	s_andn2_b64 vcc, exec, s[2:3]
	v_mov_b32_e32 v53, 0
	s_cbranch_vccnz .LBB3_126
; %bb.125:
	v_lshl_add_u64 v[54:55], v[50:51], 0, v[86:87]
	flat_load_dword v53, v[54:55]
	v_lshl_add_u64 v[54:55], v[48:49], 0, v[86:87]
	v_lshl_add_u64 v[50:51], v[72:73], 2, v[50:51]
	s_waitcnt vmcnt(0) lgkmcnt(0)
	v_mul_f32_e32 v53, s26, v53
	v_min_f32_e32 v52, v53, v52
	flat_store_dword v[54:55], v52
	flat_load_dword v50, v[50:51]
	s_waitcnt vmcnt(0) lgkmcnt(0)
	v_mul_f32_e32 v53, s26, v50
.LBB3_126:
	v_pk_add_f32 v[44:45], v[0:1], v[44:45]
	s_mov_b64 vcc, s[8:9]
	v_min3_f32 v50, v44, v45, v118
	v_pk_add_f32 v[44:45], v[32:33], v[40:41]
	s_nop 0
	v_min3_f32 v51, v44, v45, v117
	v_pk_add_f32 v[44:45], v[2:3], v[46:47]
	s_nop 0
	v_min_f32_e32 v46, v44, v45
	v_pk_add_f32 v[44:45], v[34:35], v[42:43]
	v_min3_f32 v46, v53, v46, v50
	v_min3_f32 v51, v44, v45, v51
	v_lshl_add_u64 v[44:45], v[72:73], 2, v[48:49]
	flat_store_dword v[44:45], v46
	v_add_u32_e32 v46, 40, v150
	v_mad_i64_i32 v[44:45], s[2:3], v46, s5, 0
	v_mad_i64_i32 v[46:47], s[2:3], v46, s4, 0
	v_lshl_add_u64 v[44:45], v[44:45], 2, s[0:1]
	s_mov_b64 s[2:3], -1
	v_max_f32_e32 v48, v51, v51
	s_cbranch_vccz .LBB3_128
; %bb.127:
	v_min_f32_e32 v49, 0, v48
	v_lshl_add_u64 v[50:51], v[70:71], 2, v[44:45]
	flat_store_dword v[50:51], v49
	s_mov_b64 s[2:3], 0
.LBB3_128:
	v_lshl_add_u64 v[46:47], v[46:47], 2, s[10:11]
	s_andn2_b64 vcc, exec, s[2:3]
	v_mov_b32_e32 v49, 0
	s_cbranch_vccnz .LBB3_130
; %bb.129:
	v_lshl_add_u64 v[50:51], v[46:47], 0, v[76:77]
	flat_load_dword v49, v[50:51]
	v_lshl_add_u64 v[50:51], v[44:45], 0, v[76:77]
	s_waitcnt vmcnt(0) lgkmcnt(0)
	v_mul_f32_e32 v49, s26, v49
	v_min_f32_e32 v48, v49, v48
	flat_store_dword v[50:51], v48
	v_lshl_add_u64 v[48:49], v[64:65], 2, v[46:47]
	flat_load_dword v48, v[48:49]
	s_waitcnt vmcnt(0) lgkmcnt(0)
	v_mul_f32_e32 v49, s26, v48
.LBB3_130:
	v_pk_add_f32 v[50:51], v[24:25], v[40:41]
	s_mov_b64 s[2:3], -1
	v_min3_f32 v48, v50, v51, v114
	v_pk_add_f32 v[50:51], v[28:29], v[40:41]
	s_mov_b64 vcc, s[8:9]
	v_min3_f32 v52, v50, v51, v113
	v_pk_add_f32 v[50:51], v[26:27], v[42:43]
	s_nop 0
	v_min_f32_e32 v53, v50, v51
	v_pk_add_f32 v[50:51], v[30:31], v[42:43]
	s_nop 0
	v_min3_f32 v50, v50, v51, v52
	v_min3_f32 v51, v49, v53, v48
	v_lshl_add_u64 v[48:49], v[64:65], 2, v[44:45]
	flat_store_dword v[48:49], v51
	v_max_f32_e32 v48, v50, v50
	s_cbranch_vccz .LBB3_132
; %bb.131:
	v_min_f32_e32 v49, 0, v48
	v_lshl_add_u64 v[50:51], v[74:75], 2, v[44:45]
	flat_store_dword v[50:51], v49
	s_mov_b64 s[2:3], 0
.LBB3_132:
	s_andn2_b64 vcc, exec, s[2:3]
	v_mov_b32_e32 v49, 0
	s_cbranch_vccnz .LBB3_134
; %bb.133:
	v_lshl_add_u64 v[50:51], v[46:47], 0, v[80:81]
	flat_load_dword v49, v[50:51]
	v_lshl_add_u64 v[50:51], v[44:45], 0, v[80:81]
	s_waitcnt vmcnt(0) lgkmcnt(0)
	v_mul_f32_e32 v49, s26, v49
	v_min_f32_e32 v48, v49, v48
	flat_store_dword v[50:51], v48
	v_lshl_add_u64 v[48:49], v[66:67], 2, v[46:47]
	flat_load_dword v48, v[48:49]
	s_waitcnt vmcnt(0) lgkmcnt(0)
	v_mul_f32_e32 v49, s26, v48
.LBB3_134:
	v_pk_add_f32 v[50:51], v[20:21], v[40:41]
	s_mov_b64 s[2:3], -1
	v_min3_f32 v48, v50, v51, v112
	v_pk_add_f32 v[50:51], v[16:17], v[40:41]
	s_mov_b64 vcc, s[8:9]
	v_min3_f32 v52, v50, v51, v111
	v_pk_add_f32 v[50:51], v[22:23], v[42:43]
	s_nop 0
	v_min_f32_e32 v53, v50, v51
	v_pk_add_f32 v[50:51], v[18:19], v[42:43]
	s_nop 0
	v_min3_f32 v50, v50, v51, v52
	v_min3_f32 v51, v49, v53, v48
	v_lshl_add_u64 v[48:49], v[66:67], 2, v[44:45]
	flat_store_dword v[48:49], v51
	v_max_f32_e32 v48, v50, v50
	s_cbranch_vccz .LBB3_136
; %bb.135:
	v_min_f32_e32 v49, 0, v48
	v_lshl_add_u64 v[50:51], v[78:79], 2, v[44:45]
	flat_store_dword v[50:51], v49
	s_mov_b64 s[2:3], 0
.LBB3_136:
	;; [unrolled: 39-line block ×3, first 2 shown]
	s_andn2_b64 vcc, exec, s[2:3]
	v_mov_b32_e32 v49, 0
	s_cbranch_vccnz .LBB3_142
; %bb.141:
	v_lshl_add_u64 v[50:51], v[46:47], 0, v[86:87]
	flat_load_dword v49, v[50:51]
	v_lshl_add_u64 v[50:51], v[44:45], 0, v[86:87]
	v_lshl_add_u64 v[46:47], v[72:73], 2, v[46:47]
	s_waitcnt vmcnt(0) lgkmcnt(0)
	v_mul_f32_e32 v49, s26, v49
	v_min_f32_e32 v48, v49, v48
	flat_store_dword v[50:51], v48
	flat_load_dword v46, v[46:47]
	s_waitcnt vmcnt(0) lgkmcnt(0)
	v_mul_f32_e32 v49, s26, v46
.LBB3_142:
	v_pk_add_f32 v[40:41], v[0:1], v[40:41]
	s_mov_b64 vcc, s[8:9]
	v_min3_f32 v46, v40, v41, v108
	v_pk_add_f32 v[40:41], v[32:33], v[36:37]
	s_nop 0
	v_min3_f32 v47, v40, v41, v107
	v_pk_add_f32 v[40:41], v[2:3], v[42:43]
	s_nop 0
	v_min_f32_e32 v42, v40, v41
	v_pk_add_f32 v[40:41], v[34:35], v[38:39]
	v_min3_f32 v42, v49, v42, v46
	v_min3_f32 v47, v40, v41, v47
	v_lshl_add_u64 v[40:41], v[72:73], 2, v[44:45]
	flat_store_dword v[40:41], v42
	v_add_u32_e32 v42, 48, v150
	v_mad_i64_i32 v[40:41], s[2:3], v42, s5, 0
	v_mad_i64_i32 v[42:43], s[2:3], v42, s4, 0
	v_lshl_add_u64 v[40:41], v[40:41], 2, s[0:1]
	s_mov_b64 s[2:3], -1
	v_max_f32_e32 v44, v47, v47
	s_cbranch_vccz .LBB3_144
; %bb.143:
	v_min_f32_e32 v45, 0, v44
	v_lshl_add_u64 v[46:47], v[70:71], 2, v[40:41]
	flat_store_dword v[46:47], v45
	s_mov_b64 s[2:3], 0
.LBB3_144:
	v_lshl_add_u64 v[42:43], v[42:43], 2, s[10:11]
	s_andn2_b64 vcc, exec, s[2:3]
	v_mov_b32_e32 v45, 0
	s_cbranch_vccnz .LBB3_146
; %bb.145:
	v_lshl_add_u64 v[46:47], v[42:43], 0, v[76:77]
	flat_load_dword v45, v[46:47]
	v_lshl_add_u64 v[46:47], v[40:41], 0, v[76:77]
	s_waitcnt vmcnt(0) lgkmcnt(0)
	v_mul_f32_e32 v45, s26, v45
	v_min_f32_e32 v44, v45, v44
	flat_store_dword v[46:47], v44
	v_lshl_add_u64 v[44:45], v[64:65], 2, v[42:43]
	flat_load_dword v44, v[44:45]
	s_waitcnt vmcnt(0) lgkmcnt(0)
	v_mul_f32_e32 v45, s26, v44
.LBB3_146:
	v_pk_add_f32 v[46:47], v[24:25], v[36:37]
	s_mov_b64 s[2:3], -1
	v_min3_f32 v44, v46, v47, v106
	v_pk_add_f32 v[46:47], v[28:29], v[36:37]
	s_mov_b64 vcc, s[8:9]
	v_min3_f32 v48, v46, v47, v105
	v_pk_add_f32 v[46:47], v[26:27], v[38:39]
	s_nop 0
	v_min_f32_e32 v49, v46, v47
	v_pk_add_f32 v[46:47], v[30:31], v[38:39]
	s_nop 0
	v_min3_f32 v46, v46, v47, v48
	v_min3_f32 v47, v45, v49, v44
	v_lshl_add_u64 v[44:45], v[64:65], 2, v[40:41]
	flat_store_dword v[44:45], v47
	v_max_f32_e32 v44, v46, v46
	s_cbranch_vccz .LBB3_148
; %bb.147:
	v_min_f32_e32 v45, 0, v44
	v_lshl_add_u64 v[46:47], v[74:75], 2, v[40:41]
	flat_store_dword v[46:47], v45
	s_mov_b64 s[2:3], 0
.LBB3_148:
	s_andn2_b64 vcc, exec, s[2:3]
	v_mov_b32_e32 v45, 0
	s_cbranch_vccnz .LBB3_150
; %bb.149:
	v_lshl_add_u64 v[46:47], v[42:43], 0, v[80:81]
	flat_load_dword v45, v[46:47]
	v_lshl_add_u64 v[46:47], v[40:41], 0, v[80:81]
	s_waitcnt vmcnt(0) lgkmcnt(0)
	v_mul_f32_e32 v45, s26, v45
	v_min_f32_e32 v44, v45, v44
	flat_store_dword v[46:47], v44
	v_lshl_add_u64 v[44:45], v[66:67], 2, v[42:43]
	flat_load_dword v44, v[44:45]
	s_waitcnt vmcnt(0) lgkmcnt(0)
	v_mul_f32_e32 v45, s26, v44
.LBB3_150:
	v_pk_add_f32 v[46:47], v[20:21], v[36:37]
	s_mov_b64 s[2:3], -1
	v_min3_f32 v44, v46, v47, v104
	v_pk_add_f32 v[46:47], v[16:17], v[36:37]
	s_mov_b64 vcc, s[8:9]
	v_min3_f32 v48, v46, v47, v103
	v_pk_add_f32 v[46:47], v[22:23], v[38:39]
	s_nop 0
	v_min_f32_e32 v49, v46, v47
	v_pk_add_f32 v[46:47], v[18:19], v[38:39]
	s_nop 0
	v_min3_f32 v46, v46, v47, v48
	v_min3_f32 v47, v45, v49, v44
	v_lshl_add_u64 v[44:45], v[66:67], 2, v[40:41]
	flat_store_dword v[44:45], v47
	v_max_f32_e32 v44, v46, v46
	s_cbranch_vccz .LBB3_152
; %bb.151:
	v_min_f32_e32 v45, 0, v44
	v_lshl_add_u64 v[46:47], v[78:79], 2, v[40:41]
	flat_store_dword v[46:47], v45
	s_mov_b64 s[2:3], 0
.LBB3_152:
	;; [unrolled: 39-line block ×3, first 2 shown]
	s_andn2_b64 vcc, exec, s[2:3]
	v_mov_b32_e32 v45, 0
	s_cbranch_vccnz .LBB3_158
; %bb.157:
	v_lshl_add_u64 v[46:47], v[42:43], 0, v[86:87]
	flat_load_dword v45, v[46:47]
	v_lshl_add_u64 v[46:47], v[40:41], 0, v[86:87]
	v_lshl_add_u64 v[42:43], v[72:73], 2, v[42:43]
	s_waitcnt vmcnt(0) lgkmcnt(0)
	v_mul_f32_e32 v45, s26, v45
	v_min_f32_e32 v44, v45, v44
	flat_store_dword v[46:47], v44
	flat_load_dword v42, v[42:43]
	s_waitcnt vmcnt(0) lgkmcnt(0)
	v_mul_f32_e32 v45, s26, v42
.LBB3_158:
	v_pk_add_f32 v[36:37], v[0:1], v[36:37]
	v_pk_add_f32 v[32:33], v[32:33], v[4:5]
	v_min3_f32 v36, v36, v37, v99
	v_min3_f32 v37, v32, v33, v100
	v_pk_add_f32 v[32:33], v[2:3], v[38:39]
	s_mov_b64 vcc, s[8:9]
	v_min_f32_e32 v38, v32, v33
	v_pk_add_f32 v[32:33], v[34:35], v[6:7]
	v_min3_f32 v34, v45, v38, v36
	v_min3_f32 v37, v32, v33, v37
	v_lshl_add_u64 v[32:33], v[72:73], 2, v[40:41]
	flat_store_dword v[32:33], v34
	v_add_u32_e32 v34, 56, v150
	v_mad_i64_i32 v[32:33], s[2:3], v34, s5, 0
	v_lshl_add_u64 v[32:33], v[32:33], 2, s[0:1]
	v_mad_i64_i32 v[34:35], s[0:1], v34, s4, 0
	s_mov_b64 s[0:1], -1
	v_max_f32_e32 v36, v37, v37
	s_cbranch_vccz .LBB3_160
; %bb.159:
	v_min_f32_e32 v37, 0, v36
	v_lshl_add_u64 v[38:39], v[70:71], 2, v[32:33]
	flat_store_dword v[38:39], v37
	s_mov_b64 s[0:1], 0
.LBB3_160:
	v_lshl_add_u64 v[34:35], v[34:35], 2, s[10:11]
	s_andn2_b64 vcc, exec, s[0:1]
	v_mov_b32_e32 v37, 0
	s_cbranch_vccnz .LBB3_162
; %bb.161:
	v_lshl_add_u64 v[38:39], v[34:35], 0, v[76:77]
	flat_load_dword v37, v[38:39]
	v_lshl_add_u64 v[38:39], v[32:33], 0, v[76:77]
	s_waitcnt vmcnt(0) lgkmcnt(0)
	v_mul_f32_e32 v37, s26, v37
	v_min_f32_e32 v36, v37, v36
	flat_store_dword v[38:39], v36
	v_lshl_add_u64 v[36:37], v[64:65], 2, v[34:35]
	flat_load_dword v36, v[36:37]
	s_waitcnt vmcnt(0) lgkmcnt(0)
	v_mul_f32_e32 v37, s26, v36
.LBB3_162:
	v_pk_add_f32 v[24:25], v[24:25], v[4:5]
	s_mov_b64 s[0:1], -1
	v_min3_f32 v36, v24, v25, v97
	v_pk_add_f32 v[24:25], v[28:29], v[4:5]
	s_mov_b64 vcc, s[8:9]
	v_min3_f32 v28, v24, v25, v98
	v_pk_add_f32 v[24:25], v[26:27], v[6:7]
	s_nop 0
	v_min_f32_e32 v26, v24, v25
	v_pk_add_f32 v[24:25], v[30:31], v[6:7]
	v_min3_f32 v26, v37, v26, v36
	v_min3_f32 v27, v24, v25, v28
	v_lshl_add_u64 v[24:25], v[64:65], 2, v[32:33]
	flat_store_dword v[24:25], v26
	v_max_f32_e32 v24, v27, v27
	s_cbranch_vccz .LBB3_164
; %bb.163:
	v_min_f32_e32 v25, 0, v24
	v_lshl_add_u64 v[26:27], v[74:75], 2, v[32:33]
	flat_store_dword v[26:27], v25
	s_mov_b64 s[0:1], 0
.LBB3_164:
	s_andn2_b64 vcc, exec, s[0:1]
	v_mov_b32_e32 v25, 0
	s_cbranch_vccnz .LBB3_166
; %bb.165:
	v_lshl_add_u64 v[26:27], v[34:35], 0, v[80:81]
	flat_load_dword v25, v[26:27]
	v_lshl_add_u64 v[26:27], v[32:33], 0, v[80:81]
	s_waitcnt vmcnt(0) lgkmcnt(0)
	v_mul_f32_e32 v25, s26, v25
	v_min_f32_e32 v24, v25, v24
	flat_store_dword v[26:27], v24
	v_lshl_add_u64 v[24:25], v[66:67], 2, v[34:35]
	flat_load_dword v24, v[24:25]
	s_waitcnt vmcnt(0) lgkmcnt(0)
	v_mul_f32_e32 v25, s26, v24
.LBB3_166:
	v_pk_add_f32 v[20:21], v[20:21], v[4:5]
	v_pk_add_f32 v[16:17], v[16:17], v[4:5]
	v_min3_f32 v20, v20, v21, v96
	v_min3_f32 v21, v16, v17, v95
	v_pk_add_f32 v[16:17], v[22:23], v[6:7]
	s_mov_b64 s[0:1], -1
	v_min_f32_e32 v22, v16, v17
	v_pk_add_f32 v[16:17], v[18:19], v[6:7]
	v_min3_f32 v19, v25, v22, v20
	v_min3_f32 v18, v16, v17, v21
	v_lshl_add_u64 v[16:17], v[66:67], 2, v[32:33]
	flat_store_dword v[16:17], v19
	v_max_f32_e32 v16, v18, v18
	s_mov_b64 vcc, s[8:9]
	s_cbranch_vccz .LBB3_168
; %bb.167:
	v_min_f32_e32 v17, 0, v16
	v_lshl_add_u64 v[18:19], v[78:79], 2, v[32:33]
	flat_store_dword v[18:19], v17
	s_mov_b64 s[0:1], 0
.LBB3_168:
	s_andn2_b64 vcc, exec, s[0:1]
	v_mov_b32_e32 v17, 0
	s_cbranch_vccnz .LBB3_170
; %bb.169:
	v_lshl_add_u64 v[18:19], v[34:35], 0, v[82:83]
	flat_load_dword v17, v[18:19]
	v_lshl_add_u64 v[18:19], v[32:33], 0, v[82:83]
	s_waitcnt vmcnt(0) lgkmcnt(0)
	v_mul_f32_e32 v17, s26, v17
	v_min_f32_e32 v16, v17, v16
	flat_store_dword v[18:19], v16
	v_lshl_add_u64 v[16:17], v[68:69], 2, v[34:35]
	flat_load_dword v16, v[16:17]
	s_waitcnt vmcnt(0) lgkmcnt(0)
	v_mul_f32_e32 v17, s26, v16
.LBB3_170:
	v_pk_add_f32 v[12:13], v[12:13], v[4:5]
	v_pk_add_f32 v[8:9], v[8:9], v[4:5]
	v_min3_f32 v12, v12, v13, v94
	v_min3_f32 v13, v8, v9, v93
	v_pk_add_f32 v[8:9], v[14:15], v[6:7]
	s_mov_b64 s[0:1], -1
	v_min_f32_e32 v14, v8, v9
	v_pk_add_f32 v[8:9], v[10:11], v[6:7]
	v_min3_f32 v11, v17, v14, v12
	v_min3_f32 v10, v8, v9, v13
	v_lshl_add_u64 v[8:9], v[68:69], 2, v[32:33]
	flat_store_dword v[8:9], v11
	v_max_f32_e32 v8, v10, v10
	s_mov_b64 vcc, s[8:9]
	s_cbranch_vccz .LBB3_172
; %bb.171:
	v_min_f32_e32 v9, 0, v8
	v_lshl_add_u64 v[10:11], v[84:85], 2, v[32:33]
	flat_store_dword v[10:11], v9
	s_mov_b64 s[0:1], 0
.LBB3_172:
	s_andn2_b64 vcc, exec, s[0:1]
	v_mov_b32_e32 v9, 0
	s_cbranch_vccnz .LBB3_174
; %bb.173:
	v_lshl_add_u64 v[10:11], v[34:35], 0, v[86:87]
	flat_load_dword v9, v[10:11]
	v_lshl_add_u64 v[10:11], v[32:33], 0, v[86:87]
	s_waitcnt vmcnt(0) lgkmcnt(0)
	v_mul_f32_e32 v9, s26, v9
	v_min_f32_e32 v8, v9, v8
	flat_store_dword v[10:11], v8
	v_lshl_add_u64 v[8:9], v[72:73], 2, v[34:35]
	flat_load_dword v8, v[8:9]
	s_waitcnt vmcnt(0) lgkmcnt(0)
	v_mul_f32_e32 v9, s26, v8
.LBB3_174:
	v_pk_add_f32 v[2:3], v[2:3], v[6:7]
	v_pk_add_f32 v[0:1], v[0:1], v[4:5]
	v_min_f32_e32 v2, v2, v3
	v_min3_f32 v0, v0, v1, v92
	v_min3_f32 v2, v9, v2, v0
	v_lshl_add_u64 v[0:1], v[72:73], 2, v[32:33]
	flat_store_dword v[0:1], v2
	s_endpgm
	.section	.rodata,"a",@progbits
	.p2align	6, 0x0
	.amdhsa_kernel _ZN12_GLOBAL__N_120geam_min_plus_kernelIf15HIP_vector_typeIfLj2EEfLi32ELi8ELi256ELi64ELi4ELi64ELi4ELi4ELi64ELc78ELc78ELb0ELb0ELb1EPKfKS4_KPfEEviiiT16_PT17_ilSA_ilS8_SA_ilPT18_ili26rocblas_geam_ex_operation_
		.amdhsa_group_segment_fixed_size 10240
		.amdhsa_private_segment_fixed_size 0
		.amdhsa_kernarg_size 136
		.amdhsa_user_sgpr_count 2
		.amdhsa_user_sgpr_dispatch_ptr 0
		.amdhsa_user_sgpr_queue_ptr 0
		.amdhsa_user_sgpr_kernarg_segment_ptr 1
		.amdhsa_user_sgpr_dispatch_id 0
		.amdhsa_user_sgpr_kernarg_preload_length 0
		.amdhsa_user_sgpr_kernarg_preload_offset 0
		.amdhsa_user_sgpr_private_segment_size 0
		.amdhsa_uses_dynamic_stack 0
		.amdhsa_enable_private_segment 0
		.amdhsa_system_sgpr_workgroup_id_x 1
		.amdhsa_system_sgpr_workgroup_id_y 0
		.amdhsa_system_sgpr_workgroup_id_z 1
		.amdhsa_system_sgpr_workgroup_info 0
		.amdhsa_system_vgpr_workitem_id 1
		.amdhsa_next_free_vgpr 158
		.amdhsa_next_free_sgpr 28
		.amdhsa_accum_offset 160
		.amdhsa_reserve_vcc 1
		.amdhsa_float_round_mode_32 0
		.amdhsa_float_round_mode_16_64 0
		.amdhsa_float_denorm_mode_32 3
		.amdhsa_float_denorm_mode_16_64 3
		.amdhsa_dx10_clamp 1
		.amdhsa_ieee_mode 1
		.amdhsa_fp16_overflow 0
		.amdhsa_tg_split 0
		.amdhsa_exception_fp_ieee_invalid_op 0
		.amdhsa_exception_fp_denorm_src 0
		.amdhsa_exception_fp_ieee_div_zero 0
		.amdhsa_exception_fp_ieee_overflow 0
		.amdhsa_exception_fp_ieee_underflow 0
		.amdhsa_exception_fp_ieee_inexact 0
		.amdhsa_exception_int_div_zero 0
	.end_amdhsa_kernel
	.section	.text._ZN12_GLOBAL__N_120geam_min_plus_kernelIf15HIP_vector_typeIfLj2EEfLi32ELi8ELi256ELi64ELi4ELi64ELi4ELi4ELi64ELc78ELc78ELb0ELb0ELb1EPKfKS4_KPfEEviiiT16_PT17_ilSA_ilS8_SA_ilPT18_ili26rocblas_geam_ex_operation_,"axG",@progbits,_ZN12_GLOBAL__N_120geam_min_plus_kernelIf15HIP_vector_typeIfLj2EEfLi32ELi8ELi256ELi64ELi4ELi64ELi4ELi4ELi64ELc78ELc78ELb0ELb0ELb1EPKfKS4_KPfEEviiiT16_PT17_ilSA_ilS8_SA_ilPT18_ili26rocblas_geam_ex_operation_,comdat
.Lfunc_end3:
	.size	_ZN12_GLOBAL__N_120geam_min_plus_kernelIf15HIP_vector_typeIfLj2EEfLi32ELi8ELi256ELi64ELi4ELi64ELi4ELi4ELi64ELc78ELc78ELb0ELb0ELb1EPKfKS4_KPfEEviiiT16_PT17_ilSA_ilS8_SA_ilPT18_ili26rocblas_geam_ex_operation_, .Lfunc_end3-_ZN12_GLOBAL__N_120geam_min_plus_kernelIf15HIP_vector_typeIfLj2EEfLi32ELi8ELi256ELi64ELi4ELi64ELi4ELi4ELi64ELc78ELc78ELb0ELb0ELb1EPKfKS4_KPfEEviiiT16_PT17_ilSA_ilS8_SA_ilPT18_ili26rocblas_geam_ex_operation_
                                        ; -- End function
	.set _ZN12_GLOBAL__N_120geam_min_plus_kernelIf15HIP_vector_typeIfLj2EEfLi32ELi8ELi256ELi64ELi4ELi64ELi4ELi4ELi64ELc78ELc78ELb0ELb0ELb1EPKfKS4_KPfEEviiiT16_PT17_ilSA_ilS8_SA_ilPT18_ili26rocblas_geam_ex_operation_.num_vgpr, 158
	.set _ZN12_GLOBAL__N_120geam_min_plus_kernelIf15HIP_vector_typeIfLj2EEfLi32ELi8ELi256ELi64ELi4ELi64ELi4ELi4ELi64ELc78ELc78ELb0ELb0ELb1EPKfKS4_KPfEEviiiT16_PT17_ilSA_ilS8_SA_ilPT18_ili26rocblas_geam_ex_operation_.num_agpr, 0
	.set _ZN12_GLOBAL__N_120geam_min_plus_kernelIf15HIP_vector_typeIfLj2EEfLi32ELi8ELi256ELi64ELi4ELi64ELi4ELi4ELi64ELc78ELc78ELb0ELb0ELb1EPKfKS4_KPfEEviiiT16_PT17_ilSA_ilS8_SA_ilPT18_ili26rocblas_geam_ex_operation_.numbered_sgpr, 28
	.set _ZN12_GLOBAL__N_120geam_min_plus_kernelIf15HIP_vector_typeIfLj2EEfLi32ELi8ELi256ELi64ELi4ELi64ELi4ELi4ELi64ELc78ELc78ELb0ELb0ELb1EPKfKS4_KPfEEviiiT16_PT17_ilSA_ilS8_SA_ilPT18_ili26rocblas_geam_ex_operation_.num_named_barrier, 0
	.set _ZN12_GLOBAL__N_120geam_min_plus_kernelIf15HIP_vector_typeIfLj2EEfLi32ELi8ELi256ELi64ELi4ELi64ELi4ELi4ELi64ELc78ELc78ELb0ELb0ELb1EPKfKS4_KPfEEviiiT16_PT17_ilSA_ilS8_SA_ilPT18_ili26rocblas_geam_ex_operation_.private_seg_size, 0
	.set _ZN12_GLOBAL__N_120geam_min_plus_kernelIf15HIP_vector_typeIfLj2EEfLi32ELi8ELi256ELi64ELi4ELi64ELi4ELi4ELi64ELc78ELc78ELb0ELb0ELb1EPKfKS4_KPfEEviiiT16_PT17_ilSA_ilS8_SA_ilPT18_ili26rocblas_geam_ex_operation_.uses_vcc, 1
	.set _ZN12_GLOBAL__N_120geam_min_plus_kernelIf15HIP_vector_typeIfLj2EEfLi32ELi8ELi256ELi64ELi4ELi64ELi4ELi4ELi64ELc78ELc78ELb0ELb0ELb1EPKfKS4_KPfEEviiiT16_PT17_ilSA_ilS8_SA_ilPT18_ili26rocblas_geam_ex_operation_.uses_flat_scratch, 0
	.set _ZN12_GLOBAL__N_120geam_min_plus_kernelIf15HIP_vector_typeIfLj2EEfLi32ELi8ELi256ELi64ELi4ELi64ELi4ELi4ELi64ELc78ELc78ELb0ELb0ELb1EPKfKS4_KPfEEviiiT16_PT17_ilSA_ilS8_SA_ilPT18_ili26rocblas_geam_ex_operation_.has_dyn_sized_stack, 0
	.set _ZN12_GLOBAL__N_120geam_min_plus_kernelIf15HIP_vector_typeIfLj2EEfLi32ELi8ELi256ELi64ELi4ELi64ELi4ELi4ELi64ELc78ELc78ELb0ELb0ELb1EPKfKS4_KPfEEviiiT16_PT17_ilSA_ilS8_SA_ilPT18_ili26rocblas_geam_ex_operation_.has_recursion, 0
	.set _ZN12_GLOBAL__N_120geam_min_plus_kernelIf15HIP_vector_typeIfLj2EEfLi32ELi8ELi256ELi64ELi4ELi64ELi4ELi4ELi64ELc78ELc78ELb0ELb0ELb1EPKfKS4_KPfEEviiiT16_PT17_ilSA_ilS8_SA_ilPT18_ili26rocblas_geam_ex_operation_.has_indirect_call, 0
	.section	.AMDGPU.csdata,"",@progbits
; Kernel info:
; codeLenInByte = 16552
; TotalNumSgprs: 34
; NumVgprs: 158
; NumAgprs: 0
; TotalNumVgprs: 158
; ScratchSize: 0
; MemoryBound: 0
; FloatMode: 240
; IeeeMode: 1
; LDSByteSize: 10240 bytes/workgroup (compile time only)
; SGPRBlocks: 4
; VGPRBlocks: 19
; NumSGPRsForWavesPerEU: 34
; NumVGPRsForWavesPerEU: 158
; AccumOffset: 160
; Occupancy: 3
; WaveLimiterHint : 1
; COMPUTE_PGM_RSRC2:SCRATCH_EN: 0
; COMPUTE_PGM_RSRC2:USER_SGPR: 2
; COMPUTE_PGM_RSRC2:TRAP_HANDLER: 0
; COMPUTE_PGM_RSRC2:TGID_X_EN: 1
; COMPUTE_PGM_RSRC2:TGID_Y_EN: 0
; COMPUTE_PGM_RSRC2:TGID_Z_EN: 1
; COMPUTE_PGM_RSRC2:TIDIG_COMP_CNT: 1
; COMPUTE_PGM_RSRC3_GFX90A:ACCUM_OFFSET: 39
; COMPUTE_PGM_RSRC3_GFX90A:TG_SPLIT: 0
	.section	.text._ZN12_GLOBAL__N_120geam_min_plus_kernelIf15HIP_vector_typeIfLj2EEfLi32ELi8ELi256ELi64ELi4ELi64ELi4ELi4ELi64ELc78ELc78ELb1ELb0ELb1EfKPKfKPfEEviiiT16_PT17_ilSA_ilS8_SA_ilPT18_ili26rocblas_geam_ex_operation_,"axG",@progbits,_ZN12_GLOBAL__N_120geam_min_plus_kernelIf15HIP_vector_typeIfLj2EEfLi32ELi8ELi256ELi64ELi4ELi64ELi4ELi4ELi64ELc78ELc78ELb1ELb0ELb1EfKPKfKPfEEviiiT16_PT17_ilSA_ilS8_SA_ilPT18_ili26rocblas_geam_ex_operation_,comdat
	.globl	_ZN12_GLOBAL__N_120geam_min_plus_kernelIf15HIP_vector_typeIfLj2EEfLi32ELi8ELi256ELi64ELi4ELi64ELi4ELi4ELi64ELc78ELc78ELb1ELb0ELb1EfKPKfKPfEEviiiT16_PT17_ilSA_ilS8_SA_ilPT18_ili26rocblas_geam_ex_operation_ ; -- Begin function _ZN12_GLOBAL__N_120geam_min_plus_kernelIf15HIP_vector_typeIfLj2EEfLi32ELi8ELi256ELi64ELi4ELi64ELi4ELi4ELi64ELc78ELc78ELb1ELb0ELb1EfKPKfKPfEEviiiT16_PT17_ilSA_ilS8_SA_ilPT18_ili26rocblas_geam_ex_operation_
	.p2align	8
	.type	_ZN12_GLOBAL__N_120geam_min_plus_kernelIf15HIP_vector_typeIfLj2EEfLi32ELi8ELi256ELi64ELi4ELi64ELi4ELi4ELi64ELc78ELc78ELb1ELb0ELb1EfKPKfKPfEEviiiT16_PT17_ilSA_ilS8_SA_ilPT18_ili26rocblas_geam_ex_operation_,@function
_ZN12_GLOBAL__N_120geam_min_plus_kernelIf15HIP_vector_typeIfLj2EEfLi32ELi8ELi256ELi64ELi4ELi64ELi4ELi4ELi64ELc78ELc78ELb1ELb0ELb1EfKPKfKPfEEviiiT16_PT17_ilSA_ilS8_SA_ilPT18_ili26rocblas_geam_ex_operation_: ; @_ZN12_GLOBAL__N_120geam_min_plus_kernelIf15HIP_vector_typeIfLj2EEfLi32ELi8ELi256ELi64ELi4ELi64ELi4ELi4ELi64ELc78ELc78ELb1ELb0ELb1EfKPKfKPfEEviiiT16_PT17_ilSA_ilS8_SA_ilPT18_ili26rocblas_geam_ex_operation_
; %bb.0:
	s_load_dwordx2 s[14:15], s[0:1], 0x8
	s_load_dwordx4 s[4:7], s[0:1], 0x20
	s_mov_b32 s8, s3
	s_mov_b32 s9, 0
	s_waitcnt lgkmcnt(0)
	v_cmp_eq_f32_e64 s[10:11], s15, 0
	s_and_b64 vcc, exec, s[10:11]
	s_cbranch_vccnz .LBB4_3
; %bb.1:
	s_load_dwordx2 s[12:13], s[0:1], 0x10
	s_lshl_b64 s[16:17], s[8:9], 3
	s_waitcnt lgkmcnt(0)
	s_add_u32 s12, s12, s16
	s_addc_u32 s13, s13, s17
	s_load_dwordx2 s[12:13], s[12:13], 0x0
	s_lshl_b64 s[4:5], s[4:5], 2
	s_waitcnt lgkmcnt(0)
	s_add_u32 s16, s12, s4
	s_addc_u32 s17, s13, s5
	s_andn2_b64 vcc, exec, s[10:11]
	s_cbranch_vccnz .LBB4_4
.LBB4_2:
	s_mov_b32 s21, 0
	s_mov_b32 s20, s8
	s_mov_b64 s[12:13], 0
	s_mov_b64 s[18:19], 0
	s_cbranch_execz .LBB4_5
	s_branch .LBB4_6
.LBB4_3:
	s_mov_b64 s[16:17], 0
	s_andn2_b64 vcc, exec, s[10:11]
	s_cbranch_vccz .LBB4_2
.LBB4_4:
	s_mov_b64 s[20:21], s[8:9]
	s_mov_b64 s[12:13], 0
	;; [unrolled: 1-line block ×3, first 2 shown]
.LBB4_5:
	s_lshl_b64 s[8:9], s[8:9], 3
	s_add_u32 s6, s6, s8
	s_load_dwordx2 s[4:5], s[0:1], 0x38
	s_addc_u32 s7, s7, s9
	s_load_dwordx2 s[6:7], s[6:7], 0x0
	s_waitcnt lgkmcnt(0)
	s_lshl_b64 s[4:5], s[4:5], 2
	s_add_u32 s18, s6, s4
	s_addc_u32 s19, s7, s5
.LBB4_6:
	s_load_dword s15, s[0:1], 0x40
	s_load_dwordx4 s[8:11], s[0:1], 0x58
	s_waitcnt lgkmcnt(0)
	v_cmp_eq_f32_e64 s[4:5], s15, 0
	s_and_b64 s[4:5], exec, s[4:5]
	s_mov_b64 vcc, s[4:5]
	s_cbranch_vccnz .LBB4_8
; %bb.7:
	s_load_dwordx2 s[6:7], s[0:1], 0x48
	s_lshl_b64 s[12:13], s[20:21], 3
	s_waitcnt lgkmcnt(0)
	s_add_u32 s6, s6, s12
	s_addc_u32 s7, s7, s13
	s_load_dwordx2 s[6:7], s[6:7], 0x0
	s_lshl_b64 s[8:9], s[8:9], 2
	s_waitcnt lgkmcnt(0)
	s_add_u32 s12, s6, s8
	s_addc_u32 s13, s7, s9
.LBB4_8:
	s_load_dword s3, s[0:1], 0x0
	s_lshl_b64 s[6:7], s[20:21], 3
	s_add_u32 s6, s10, s6
	s_addc_u32 s7, s11, s7
	s_load_dword s8, s[0:1], 0x18
	s_load_dword s9, s[0:1], 0x30
	s_waitcnt lgkmcnt(0)
	s_add_i32 s3, s3, -1
	s_ashr_i32 s10, s3, 31
	s_lshr_b32 s10, s10, 24
	s_add_i32 s3, s3, s10
	s_ashr_i32 s3, s3, 8
	s_add_i32 s10, s3, 1
	v_cvt_f32_u32_e32 v1, s10
	s_not_b32 s3, s3
	v_and_b32_e32 v72, 0x3ff, v0
	v_bfe_u32 v73, v0, 10, 10
	v_rcp_iflag_f32_e32 v1, v1
	v_lshl_add_u32 v2, v73, 5, v72
	v_lshrrev_b32_e32 v9, 2, v2
	v_and_b32_e32 v8, 63, v2
	v_mul_f32_e32 v1, 0x4f7ffffe, v1
	v_cvt_u32_f32_e32 v1, v1
	v_lshrrev_b32_e32 v62, 6, v2
	v_lshlrev_b32_e32 v0, 2, v0
	v_and_b32_e32 v60, 12, v0
	v_readfirstlane_b32 s11, v1
	s_mul_i32 s3, s3, s11
	s_mul_hi_u32 s3, s11, s3
	s_add_i32 s11, s11, s3
	s_mul_hi_u32 s3, s2, s11
	s_mul_i32 s11, s3, s10
	s_sub_i32 s11, s2, s11
	s_add_i32 s20, s3, 1
	s_sub_i32 s21, s11, s10
	s_cmp_ge_u32 s11, s10
	s_cselect_b32 s3, s20, s3
	s_cselect_b32 s11, s21, s11
	s_add_i32 s20, s3, 1
	s_cmp_ge_u32 s11, s10
	s_cselect_b32 s3, s20, s3
	s_mul_i32 s10, s3, s10
	s_sub_i32 s2, s2, s10
	s_lshl_b32 s11, s3, 6
	s_lshl_b32 s10, s2, 8
	v_add_u32_e32 v1, s11, v9
	v_or_b32_e32 v56, s10, v8
	v_mad_i64_i32 v[58:59], s[2:3], v1, s9, 0
	v_mad_i64_i32 v[2:3], s[2:3], s8, v62, 0
	v_ashrrev_i32_e32 v57, 31, v56
	v_lshl_add_u64 v[6:7], v[58:59], 2, s[18:19]
	v_mov_b32_e32 v61, 0
	v_lshl_add_u64 v[2:3], v[2:3], 2, s[16:17]
	v_lshlrev_b64 v[4:5], 2, v[56:57]
	v_lshl_add_u64 v[0:1], v[6:7], 0, v[60:61]
	v_lshl_add_u64 v[2:3], v[2:3], 0, v[4:5]
	flat_load_dword v6, v[0:1]
	flat_load_dword v7, v[2:3]
	flat_load_dword v10, v[2:3] offset:256
	flat_load_dword v11, v[2:3] offset:512
	;; [unrolled: 1-line block ×3, first 2 shown]
	v_add_u32_e32 v2, 4, v62
	v_lshlrev_b32_e32 v3, 4, v8
	s_load_dwordx2 s[2:3], s[6:7], 0x0
	v_lshl_add_u32 v76, v62, 2, v3
	v_mad_i64_i32 v[2:3], s[6:7], s8, v2, 0
	v_lshl_add_u64 v[2:3], v[2:3], 2, s[16:17]
	v_lshlrev_b32_e32 v75, 4, v72
	v_lshl_or_b32 v60, v9, 4, v60
	flat_load_dword v63, v[0:1] offset:16
	v_lshl_add_u64 v[0:1], v[2:3], 0, v[4:5]
	v_lshlrev_b32_e32 v74, 4, v73
	flat_load_dword v64, v[0:1]
	flat_load_dword v65, v[0:1] offset:256
	flat_load_dword v66, v[0:1] offset:512
	;; [unrolled: 1-line block ×3, first 2 shown]
	s_mov_b32 s9, 0x7f7fffff
	s_cmp_lt_i32 s14, 9
	s_waitcnt vmcnt(0) lgkmcnt(0)
	ds_write_b32 v60, v6 offset:8192
	ds_write2st64_b32 v76, v7, v10 offset1:4
	ds_write2st64_b32 v76, v11, v12 offset0:8 offset1:12
	s_waitcnt lgkmcnt(0)
	s_barrier
	ds_read_b128 v[28:31], v75
	ds_read_b128 v[24:27], v75 offset:512
	ds_read_b128 v[20:23], v75 offset:1024
	;; [unrolled: 1-line block ×13, first 2 shown]
	s_waitcnt lgkmcnt(5)
	v_pk_add_f32 v[68:69], v[28:29], v[52:53]
	v_pk_add_f32 v[70:71], v[24:25], v[52:53]
	v_pk_add_f32 v[80:81], v[16:17], v[52:53]
	s_waitcnt lgkmcnt(4)
	v_pk_add_f32 v[88:89], v[28:29], v[48:49]
	v_pk_add_f32 v[90:91], v[24:25], v[48:49]
	;; [unrolled: 1-line block ×8, first 2 shown]
	v_min3_f32 v68, v68, v69, s9
	v_min3_f32 v69, v70, v71, s9
	;; [unrolled: 1-line block ×5, first 2 shown]
	s_waitcnt lgkmcnt(3)
	v_pk_add_f32 v[48:49], v[28:29], v[44:45]
	v_pk_add_f32 v[82:83], v[12:13], v[52:53]
	v_min3_f32 v93, v48, v49, s9
	v_pk_add_f32 v[48:49], v[24:25], v[44:45]
	v_min3_f32 v77, v82, v83, s9
	v_min3_f32 v82, v94, v95, s9
	;; [unrolled: 1-line block ×3, first 2 shown]
	v_pk_add_f32 v[48:49], v[20:21], v[44:45]
	v_pk_add_f32 v[78:79], v[20:21], v[52:53]
	;; [unrolled: 1-line block ×5, first 2 shown]
	v_min3_f32 v95, v48, v49, s9
	v_pk_add_f32 v[48:49], v[16:17], v[44:45]
	v_min3_f32 v52, v52, v53, s9
	v_min3_f32 v53, v88, v89, s9
	;; [unrolled: 1-line block ×4, first 2 shown]
	v_pk_add_f32 v[48:49], v[12:13], v[44:45]
	v_min3_f32 v80, v90, v91, s9
	v_min3_f32 v97, v48, v49, s9
	v_pk_add_f32 v[48:49], v[8:9], v[44:45]
	v_min3_f32 v90, v98, v99, s9
	v_min3_f32 v98, v48, v49, s9
	v_pk_add_f32 v[48:49], v[4:5], v[44:45]
	v_pk_add_f32 v[44:45], v[0:1], v[44:45]
	v_min3_f32 v91, v100, v101, s9
	v_min3_f32 v99, v44, v45, s9
	s_waitcnt lgkmcnt(2)
	v_pk_add_f32 v[44:45], v[28:29], v[40:41]
	v_min3_f32 v70, v78, v79, s9
	v_min3_f32 v100, v44, v45, s9
	v_pk_add_f32 v[44:45], v[24:25], v[40:41]
	v_min3_f32 v79, v86, v87, s9
	v_min3_f32 v101, v44, v45, s9
	;; [unrolled: 3-line block ×4, first 2 shown]
	v_pk_add_f32 v[44:45], v[12:13], v[40:41]
	s_nop 0
	v_min3_f32 v104, v44, v45, s9
	v_pk_add_f32 v[44:45], v[8:9], v[40:41]
	s_nop 0
	v_min3_f32 v105, v44, v45, s9
	v_pk_add_f32 v[44:45], v[4:5], v[40:41]
	v_pk_add_f32 v[40:41], v[0:1], v[40:41]
	v_min3_f32 v106, v44, v45, s9
	v_min3_f32 v107, v40, v41, s9
	s_waitcnt lgkmcnt(1)
	v_pk_add_f32 v[40:41], v[28:29], v[36:37]
	s_nop 0
	v_min3_f32 v108, v40, v41, s9
	v_pk_add_f32 v[40:41], v[24:25], v[36:37]
	s_nop 0
	v_min3_f32 v109, v40, v41, s9
	;; [unrolled: 3-line block ×6, first 2 shown]
	v_pk_add_f32 v[40:41], v[4:5], v[36:37]
	v_pk_add_f32 v[36:37], v[0:1], v[36:37]
	v_min3_f32 v114, v40, v41, s9
	v_min3_f32 v115, v36, v37, s9
	s_waitcnt lgkmcnt(0)
	v_pk_add_f32 v[36:37], v[28:29], v[32:33]
	v_pk_add_f32 v[40:41], v[16:17], v[32:33]
	v_min3_f32 v116, v36, v37, s9
	v_pk_add_f32 v[36:37], v[30:31], v[54:55]
	s_nop 0
	v_min3_f32 v88, v36, v37, v68
	v_pk_add_f32 v[36:37], v[26:27], v[54:55]
	s_nop 0
	;; [unrolled: 3-line block ×9, first 2 shown]
	v_min3_f32 v69, v36, v37, s9
	v_pk_add_f32 v[36:37], v[2:3], v[54:55]
	v_min3_f32 v54, v40, v41, s9
	v_min3_f32 v147, v36, v37, v52
	v_pk_add_f32 v[36:37], v[30:31], v[50:51]
	v_pk_add_f32 v[40:41], v[12:13], v[32:33]
	v_min3_f32 v148, v36, v37, v53
	v_pk_add_f32 v[36:37], v[26:27], v[50:51]
	v_min3_f32 v40, v40, v41, s9
	v_min3_f32 v145, v36, v37, v80
	v_pk_add_f32 v[36:37], v[22:23], v[50:51]
	s_nop 0
	v_min3_f32 v146, v36, v37, v81
	v_pk_add_f32 v[36:37], v[18:19], v[50:51]
	s_nop 0
	;; [unrolled: 3-line block ×6, first 2 shown]
	v_min3_f32 v41, v36, v37, s9
	v_pk_add_f32 v[36:37], v[4:5], v[32:33]
	v_pk_add_f32 v[32:33], v[0:1], v[32:33]
	v_min3_f32 v52, v36, v37, s9
	v_pk_add_f32 v[36:37], v[2:3], v[50:51]
	v_min3_f32 v53, v32, v33, s9
	v_min3_f32 v138, v36, v37, v92
	v_pk_add_f32 v[36:37], v[30:31], v[46:47]
	s_nop 0
	v_min3_f32 v141, v36, v37, v93
	v_pk_add_f32 v[36:37], v[26:27], v[46:47]
	s_nop 0
	v_min3_f32 v136, v36, v37, v94
	v_pk_add_f32 v[36:37], v[22:23], v[46:47]
	s_nop 0
	v_min3_f32 v137, v36, v37, v95
	v_pk_add_f32 v[36:37], v[18:19], v[46:47]
	s_nop 0
	v_min3_f32 v131, v36, v37, v96
	v_pk_add_f32 v[36:37], v[14:15], v[46:47]
	s_nop 0
	v_min3_f32 v132, v36, v37, v97
	v_pk_add_f32 v[36:37], v[10:11], v[46:47]
	s_nop 0
	v_min3_f32 v127, v36, v37, v98
	v_pk_add_f32 v[36:37], v[6:7], v[46:47]
	s_nop 0
	v_min3_f32 v128, v36, v37, v48
	ds_read_b128 v[48:51], v74 offset:8960
	v_pk_add_f32 v[36:37], v[2:3], v[46:47]
	ds_read_b128 v[44:47], v74 offset:9088
	v_min3_f32 v135, v36, v37, v99
	ds_write2st64_b32 v76, v64, v65 offset0:16 offset1:20
	ds_write2st64_b32 v76, v66, v67 offset0:24 offset1:28
	ds_write_b32 v60, v63 offset:9216
	s_waitcnt lgkmcnt(4)
	v_pk_add_f32 v[32:33], v[28:29], v[48:49]
	v_pk_add_f32 v[36:37], v[16:17], v[48:49]
	v_min3_f32 v55, v32, v33, s9
	v_pk_add_f32 v[32:33], v[30:31], v[42:43]
	s_waitcnt lgkmcnt(3)
	v_pk_add_f32 v[28:29], v[28:29], v[44:45]
	v_min3_f32 v139, v32, v33, v100
	v_pk_add_f32 v[32:33], v[26:27], v[42:43]
	v_pk_add_f32 v[16:17], v[16:17], v[44:45]
	v_min3_f32 v133, v32, v33, v101
	v_pk_add_f32 v[32:33], v[22:23], v[42:43]
	v_min3_f32 v16, v16, v17, s9
	v_min3_f32 v134, v32, v33, v102
	v_pk_add_f32 v[32:33], v[18:19], v[42:43]
	s_waitcnt lgkmcnt(0)
	v_min3_f32 v129, v32, v33, v103
	v_pk_add_f32 v[32:33], v[14:15], v[42:43]
	s_barrier
	v_min3_f32 v130, v32, v33, v104
	v_pk_add_f32 v[32:33], v[10:11], v[42:43]
	s_nop 0
	v_min3_f32 v125, v32, v33, v105
	v_pk_add_f32 v[32:33], v[6:7], v[42:43]
	s_nop 0
	v_min3_f32 v126, v32, v33, v106
	v_pk_add_f32 v[32:33], v[24:25], v[48:49]
	v_pk_add_f32 v[24:25], v[24:25], v[44:45]
	v_min3_f32 v70, v32, v33, s9
	v_pk_add_f32 v[32:33], v[20:21], v[48:49]
	v_min3_f32 v24, v24, v25, s9
	v_min3_f32 v71, v32, v33, s9
	v_pk_add_f32 v[32:33], v[2:3], v[42:43]
	v_min3_f32 v42, v36, v37, s9
	v_min3_f32 v123, v32, v33, v107
	v_pk_add_f32 v[32:33], v[30:31], v[38:39]
	v_pk_add_f32 v[36:37], v[12:13], v[48:49]
	v_min3_f32 v124, v32, v33, v108
	v_pk_add_f32 v[32:33], v[26:27], v[38:39]
	v_min3_f32 v36, v36, v37, s9
	v_min3_f32 v121, v32, v33, v109
	v_pk_add_f32 v[32:33], v[22:23], v[38:39]
	v_pk_add_f32 v[12:13], v[12:13], v[44:45]
	v_min3_f32 v122, v32, v33, v110
	v_pk_add_f32 v[32:33], v[18:19], v[38:39]
	v_pk_add_f32 v[20:21], v[20:21], v[44:45]
	v_min3_f32 v119, v32, v33, v111
	v_pk_add_f32 v[32:33], v[14:15], v[38:39]
	v_min3_f32 v12, v12, v13, s9
	v_min3_f32 v120, v32, v33, v112
	v_pk_add_f32 v[32:33], v[10:11], v[38:39]
	v_min3_f32 v25, v20, v21, s9
	v_min3_f32 v117, v32, v33, v113
	v_pk_add_f32 v[32:33], v[6:7], v[38:39]
	v_pk_add_f32 v[20:21], v[2:3], v[50:51]
	v_min3_f32 v118, v32, v33, v114
	v_pk_add_f32 v[32:33], v[8:9], v[48:49]
	v_pk_add_f32 v[8:9], v[8:9], v[44:45]
	v_min3_f32 v37, v32, v33, s9
	v_pk_add_f32 v[32:33], v[4:5], v[48:49]
	v_min3_f32 v8, v8, v9, s9
	v_min3_f32 v43, v32, v33, s9
	v_pk_add_f32 v[32:33], v[2:3], v[38:39]
	v_pk_add_f32 v[4:5], v[4:5], v[44:45]
	v_min3_f32 v115, v32, v33, v115
	v_pk_add_f32 v[32:33], v[30:31], v[34:35]
	v_min3_f32 v9, v4, v5, s9
	v_min3_f32 v116, v32, v33, v116
	v_pk_add_f32 v[32:33], v[26:27], v[34:35]
	v_pk_add_f32 v[4:5], v[30:31], v[46:47]
	v_min3_f32 v113, v32, v33, v68
	v_pk_add_f32 v[32:33], v[22:23], v[34:35]
	s_nop 0
	v_min3_f32 v114, v32, v33, v69
	v_pk_add_f32 v[32:33], v[18:19], v[34:35]
	s_nop 0
	;; [unrolled: 3-line block ×5, first 2 shown]
	v_min3_f32 v109, v32, v33, v52
	v_pk_add_f32 v[32:33], v[2:3], v[34:35]
	v_pk_add_f32 v[34:35], v[0:1], v[48:49]
	;; [unrolled: 1-line block ×3, first 2 shown]
	v_min3_f32 v34, v34, v35, s9
	v_min3_f32 v35, v28, v29, s9
	v_pk_add_f32 v[28:29], v[30:31], v[50:51]
	v_min3_f32 v13, v0, v1, s9
	v_pk_add_f32 v[0:1], v[26:27], v[46:47]
	v_min3_f32 v110, v28, v29, v55
	v_pk_add_f32 v[28:29], v[26:27], v[50:51]
	v_min3_f32 v96, v0, v1, v24
	v_pk_add_f32 v[0:1], v[22:23], v[46:47]
	v_min3_f32 v105, v28, v29, v70
	v_pk_add_f32 v[28:29], v[22:23], v[50:51]
	v_min3_f32 v97, v0, v1, v25
	v_pk_add_f32 v[0:1], v[18:19], v[46:47]
	v_min3_f32 v106, v28, v29, v71
	v_pk_add_f32 v[28:29], v[18:19], v[50:51]
	v_min3_f32 v94, v0, v1, v16
	v_pk_add_f32 v[0:1], v[14:15], v[46:47]
	v_min3_f32 v103, v28, v29, v42
	v_pk_add_f32 v[28:29], v[14:15], v[50:51]
	v_min3_f32 v95, v0, v1, v12
	v_pk_add_f32 v[0:1], v[10:11], v[46:47]
	v_min3_f32 v104, v28, v29, v36
	v_pk_add_f32 v[28:29], v[10:11], v[50:51]
	v_min3_f32 v92, v0, v1, v8
	v_pk_add_f32 v[0:1], v[6:7], v[46:47]
	v_min3_f32 v101, v28, v29, v37
	v_pk_add_f32 v[28:29], v[6:7], v[50:51]
	v_min3_f32 v93, v0, v1, v9
	v_pk_add_f32 v[0:1], v[2:3], v[46:47]
	v_min3_f32 v107, v32, v33, v53
	v_min3_f32 v102, v28, v29, v43
	;; [unrolled: 1-line block ×5, first 2 shown]
	s_cbranch_scc1 .LBB4_11
; %bb.9:
	v_mov_b32_e32 v0, 0x1000
	v_lshl_add_u32 v81, v72, 4, v0
	v_mov_b32_e32 v0, 0x2400
	v_lshl_add_u32 v82, v73, 4, v0
	v_and_b32_e32 v0, 3, v72
	v_add_u32_e32 v77, 0x2000, v60
	v_add_u32_e32 v80, 0x2400, v60
	v_lshlrev_b32_e32 v60, 2, v0
	v_lshl_add_u64 v[0:1], v[58:59], 2, v[60:61]
	v_lshl_add_u64 v[0:1], s[18:19], 0, v[0:1]
	;; [unrolled: 1-line block ×3, first 2 shown]
	v_add_u32_e32 v0, 8, v62
	v_mad_i64_i32 v[0:1], s[6:7], v0, s8, 0
	s_ashr_i32 s9, s8, 31
	v_lshlrev_b64 v[68:69], 2, v[0:1]
	v_add_u32_e32 v0, 12, v62
	s_lshl_b64 s[6:7], s[8:9], 5
	v_mad_i64_i32 v[0:1], s[8:9], v0, s8, 0
	v_add_u32_e32 v78, 0x2000, v74
	v_add_u32_e32 v79, 0x1000, v76
	s_add_i32 s14, s14, -8
	v_lshl_add_u64 v[64:65], v[56:57], 2, s[16:17]
	v_lshlrev_b64 v[70:71], 2, v[0:1]
	s_mov_b32 s8, 0
.LBB4_10:                               ; =>This Inner Loop Header: Depth=1
	v_lshl_add_u64 v[0:1], v[64:65], 0, v[68:69]
	flat_load_dword v89, v[0:1]
	flat_load_dword v90, v[0:1] offset:256
	flat_load_dword v91, v[0:1] offset:512
	;; [unrolled: 1-line block ×3, first 2 shown]
	v_add_co_u32_e32 v0, vcc, -16, v66
	s_add_i32 s8, s8, 8
	s_nop 0
	v_addc_co_u32_e32 v1, vcc, -1, v67, vcc
	flat_load_dword v151, v[0:1]
	ds_read_b128 v[32:35], v81
	ds_read_b128 v[24:27], v81 offset:512
	ds_read_b128 v[20:23], v81 offset:1024
	;; [unrolled: 1-line block ×7, first 2 shown]
	ds_read_b128 v[60:63], v82
	ds_read_b128 v[56:59], v82 offset:128
	ds_read_b128 v[52:55], v82 offset:256
	;; [unrolled: 1-line block ×7, first 2 shown]
	s_waitcnt lgkmcnt(0)
	v_pk_add_f32 v[152:153], v[32:33], v[60:61]
	s_cmp_ge_i32 s8, s14
	v_min3_f32 v88, v152, v153, v88
	v_pk_add_f32 v[152:153], v[24:25], v[60:61]
	s_waitcnt vmcnt(0)
	ds_write2st64_b32 v76, v89, v90 offset1:4
	ds_write2st64_b32 v76, v91, v150 offset0:8 offset1:12
	ds_write_b32 v77, v151
	v_min3_f32 v154, v152, v153, v87
	v_pk_add_f32 v[152:153], v[20:21], v[60:61]
	s_waitcnt lgkmcnt(0)
	v_min3_f32 v149, v152, v153, v149
	v_pk_add_f32 v[152:153], v[16:17], v[60:61]
	s_barrier
	v_min3_f32 v155, v152, v153, v83
	v_pk_add_f32 v[152:153], v[12:13], v[60:61]
	s_nop 0
	v_min3_f32 v152, v152, v153, v86
	v_pk_add_f32 v[86:87], v[8:9], v[60:61]
	s_nop 0
	v_min3_f32 v153, v86, v87, v84
	v_pk_add_f32 v[86:87], v[4:5], v[60:61]
	v_pk_add_f32 v[60:61], v[0:1], v[60:61]
	v_min3_f32 v156, v86, v87, v85
	v_min3_f32 v147, v60, v61, v147
	v_pk_add_f32 v[60:61], v[32:33], v[56:57]
	v_pk_add_f32 v[86:87], v[4:5], v[36:37]
	v_min3_f32 v148, v60, v61, v148
	v_pk_add_f32 v[60:61], v[24:25], v[56:57]
	s_nop 0
	v_min3_f32 v145, v60, v61, v145
	v_pk_add_f32 v[60:61], v[20:21], v[56:57]
	s_nop 0
	v_min3_f32 v146, v60, v61, v146
	v_pk_add_f32 v[60:61], v[16:17], v[56:57]
	s_nop 0
	v_min3_f32 v157, v60, v61, v143
	v_pk_add_f32 v[60:61], v[12:13], v[56:57]
	s_nop 0
	v_min3_f32 v158, v60, v61, v144
	v_pk_add_f32 v[60:61], v[8:9], v[56:57]
	s_nop 0
	v_min3_f32 v159, v60, v61, v140
	v_pk_add_f32 v[60:61], v[4:5], v[56:57]
	v_pk_add_f32 v[56:57], v[0:1], v[56:57]
	v_min3_f32 v160, v60, v61, v142
	v_min3_f32 v161, v56, v57, v138
	v_pk_add_f32 v[56:57], v[32:33], v[52:53]
	s_nop 0
	v_min3_f32 v144, v56, v57, v141
	v_pk_add_f32 v[56:57], v[24:25], v[52:53]
	s_nop 0
	v_min3_f32 v143, v56, v57, v136
	v_pk_add_f32 v[56:57], v[20:21], v[52:53]
	s_nop 0
	v_min3_f32 v142, v56, v57, v137
	v_pk_add_f32 v[56:57], v[16:17], v[52:53]
	s_nop 0
	v_min3_f32 v141, v56, v57, v131
	v_pk_add_f32 v[56:57], v[12:13], v[52:53]
	s_nop 0
	v_min3_f32 v140, v56, v57, v132
	v_pk_add_f32 v[56:57], v[8:9], v[52:53]
	s_nop 0
	v_min3_f32 v138, v56, v57, v127
	v_pk_add_f32 v[56:57], v[4:5], v[52:53]
	v_pk_add_f32 v[52:53], v[0:1], v[52:53]
	v_min3_f32 v137, v56, v57, v128
	v_min3_f32 v136, v52, v53, v135
	v_pk_add_f32 v[52:53], v[32:33], v[48:49]
	s_nop 0
	v_min3_f32 v135, v52, v53, v139
	v_pk_add_f32 v[52:53], v[24:25], v[48:49]
	s_nop 0
	v_min3_f32 v132, v52, v53, v133
	v_pk_add_f32 v[52:53], v[20:21], v[48:49]
	s_nop 0
	v_min3_f32 v131, v52, v53, v134
	v_pk_add_f32 v[52:53], v[16:17], v[48:49]
	s_nop 0
	v_min3_f32 v129, v52, v53, v129
	v_pk_add_f32 v[52:53], v[12:13], v[48:49]
	s_nop 0
	v_min3_f32 v128, v52, v53, v130
	v_pk_add_f32 v[52:53], v[8:9], v[48:49]
	s_nop 0
	v_min3_f32 v127, v52, v53, v125
	v_pk_add_f32 v[52:53], v[4:5], v[48:49]
	v_pk_add_f32 v[48:49], v[0:1], v[48:49]
	v_min3_f32 v126, v52, v53, v126
	v_min3_f32 v125, v48, v49, v123
	v_pk_add_f32 v[48:49], v[32:33], v[44:45]
	s_nop 0
	v_min3_f32 v124, v48, v49, v124
	v_pk_add_f32 v[48:49], v[24:25], v[44:45]
	s_nop 0
	v_min3_f32 v123, v48, v49, v121
	v_pk_add_f32 v[48:49], v[20:21], v[44:45]
	s_nop 0
	v_min3_f32 v122, v48, v49, v122
	v_pk_add_f32 v[48:49], v[16:17], v[44:45]
	s_nop 0
	v_min3_f32 v121, v48, v49, v119
	v_pk_add_f32 v[48:49], v[12:13], v[44:45]
	s_nop 0
	v_min3_f32 v120, v48, v49, v120
	v_pk_add_f32 v[48:49], v[8:9], v[44:45]
	s_nop 0
	v_min3_f32 v119, v48, v49, v117
	v_pk_add_f32 v[48:49], v[4:5], v[44:45]
	v_pk_add_f32 v[44:45], v[0:1], v[44:45]
	v_min3_f32 v117, v48, v49, v118
	v_min3_f32 v115, v44, v45, v115
	v_pk_add_f32 v[44:45], v[32:33], v[40:41]
	s_nop 0
	v_min3_f32 v85, v44, v45, v116
	v_pk_add_f32 v[44:45], v[24:25], v[40:41]
	s_nop 0
	v_min3_f32 v84, v44, v45, v113
	v_pk_add_f32 v[44:45], v[20:21], v[40:41]
	s_nop 0
	;; [unrolled: 3-line block ×5, first 2 shown]
	v_min3_f32 v57, v44, v45, v108
	v_pk_add_f32 v[44:45], v[4:5], v[40:41]
	v_pk_add_f32 v[40:41], v[0:1], v[40:41]
	v_min3_f32 v56, v44, v45, v109
	v_min3_f32 v53, v40, v41, v107
	v_pk_add_f32 v[40:41], v[32:33], v[36:37]
	v_pk_add_f32 v[32:33], v[32:33], v[28:29]
	v_min3_f32 v52, v40, v41, v110
	v_pk_add_f32 v[40:41], v[24:25], v[36:37]
	v_pk_add_f32 v[24:25], v[24:25], v[28:29]
	;; [unrolled: 3-line block ×6, first 2 shown]
	v_pk_add_f32 v[8:9], v[8:9], v[28:29]
	v_pk_add_f32 v[4:5], v[4:5], v[28:29]
	;; [unrolled: 1-line block ×4, first 2 shown]
	v_min3_f32 v36, v36, v37, v99
	v_min3_f32 v99, v28, v29, v88
	v_pk_add_f32 v[28:29], v[26:27], v[62:63]
	v_min3_f32 v0, v0, v1, v98
	v_min3_f32 v98, v28, v29, v154
	v_pk_add_f32 v[28:29], v[22:23], v[62:63]
	;; [unrolled: 3-line block ×11, first 2 shown]
	s_nop 0
	v_min3_f32 v100, v28, v29, v157
	v_pk_add_f32 v[28:29], v[14:15], v[58:59]
	s_nop 0
	v_min3_f32 v101, v28, v29, v158
	v_pk_add_f32 v[28:29], v[10:11], v[58:59]
	;; [unrolled: 3-line block ×38, first 2 shown]
	v_pk_add_f32 v[26:27], v[26:27], v[30:31]
	v_min3_f32 v154, v28, v29, v49
	v_pk_add_f32 v[28:29], v[22:23], v[38:39]
	v_pk_add_f32 v[22:23], v[22:23], v[30:31]
	v_min3_f32 v155, v28, v29, v48
	v_pk_add_f32 v[28:29], v[18:19], v[38:39]
	;; [unrolled: 3-line block ×7, first 2 shown]
	v_min3_f32 v168, v2, v3, v0
	v_lshl_add_u64 v[0:1], v[64:65], 0, v[70:71]
	v_min3_f32 v161, v28, v29, v32
	v_min3_f32 v162, v26, v27, v24
	;; [unrolled: 1-line block ×7, first 2 shown]
	flat_load_dword v89, v[0:1]
	flat_load_dword v90, v[0:1] offset:256
	flat_load_dword v91, v[0:1] offset:512
	;; [unrolled: 1-line block ×3, first 2 shown]
	flat_load_dword v151, v[66:67]
	ds_read_b128 v[28:31], v75
	ds_read_b128 v[24:27], v75 offset:512
	ds_read_b128 v[20:23], v75 offset:1024
	;; [unrolled: 1-line block ×7, first 2 shown]
	ds_read_b128 v[60:63], v78
	ds_read_b128 v[56:59], v78 offset:128
	ds_read_b128 v[52:55], v78 offset:256
	;; [unrolled: 1-line block ×7, first 2 shown]
	s_waitcnt lgkmcnt(0)
	v_pk_add_f32 v[84:85], v[28:29], v[60:61]
	v_lshl_add_u64 v[66:67], v[66:67], 0, 32
	v_min3_f32 v169, v84, v85, v99
	v_pk_add_f32 v[84:85], v[24:25], v[60:61]
	v_lshl_add_u64 v[64:65], v[64:65], 0, s[6:7]
	v_min3_f32 v170, v84, v85, v98
	v_pk_add_f32 v[84:85], v[20:21], v[60:61]
	s_waitcnt vmcnt(0)
	ds_write2st64_b32 v79, v89, v90 offset1:4
	ds_write2st64_b32 v79, v91, v150 offset0:8 offset1:12
	ds_write_b32 v80, v151
	v_min3_f32 v171, v84, v85, v95
	v_pk_add_f32 v[84:85], v[16:17], v[60:61]
	s_waitcnt lgkmcnt(0)
	v_min3_f32 v172, v84, v85, v94
	v_pk_add_f32 v[84:85], v[12:13], v[60:61]
	s_barrier
	v_min3_f32 v173, v84, v85, v92
	v_pk_add_f32 v[84:85], v[8:9], v[60:61]
	s_nop 0
	v_min3_f32 v174, v84, v85, v88
	v_pk_add_f32 v[84:85], v[4:5], v[60:61]
	v_pk_add_f32 v[60:61], v[0:1], v[60:61]
	v_min3_f32 v175, v84, v85, v87
	v_min3_f32 v176, v60, v61, v86
	v_pk_add_f32 v[60:61], v[28:29], v[56:57]
	v_pk_add_f32 v[84:85], v[4:5], v[36:37]
	v_min3_f32 v135, v60, v61, v93
	v_pk_add_f32 v[60:61], v[24:25], v[56:57]
	s_nop 0
	v_min3_f32 v134, v60, v61, v96
	v_pk_add_f32 v[60:61], v[20:21], v[56:57]
	s_nop 0
	v_min3_f32 v133, v60, v61, v97
	v_pk_add_f32 v[60:61], v[16:17], v[56:57]
	s_nop 0
	v_min3_f32 v124, v60, v61, v100
	v_pk_add_f32 v[60:61], v[12:13], v[56:57]
	s_nop 0
	v_min3_f32 v123, v60, v61, v101
	v_pk_add_f32 v[60:61], v[8:9], v[56:57]
	s_nop 0
	v_min3_f32 v122, v60, v61, v102
	v_pk_add_f32 v[60:61], v[4:5], v[56:57]
	v_pk_add_f32 v[56:57], v[0:1], v[56:57]
	v_min3_f32 v121, v60, v61, v103
	v_min3_f32 v120, v56, v57, v104
	v_pk_add_f32 v[56:57], v[28:29], v[52:53]
	s_nop 0
	v_min3_f32 v119, v56, v57, v105
	v_pk_add_f32 v[56:57], v[24:25], v[52:53]
	s_nop 0
	v_min3_f32 v117, v56, v57, v106
	v_pk_add_f32 v[56:57], v[20:21], v[52:53]
	s_nop 0
	v_min3_f32 v116, v56, v57, v107
	v_pk_add_f32 v[56:57], v[16:17], v[52:53]
	s_nop 0
	v_min3_f32 v115, v56, v57, v108
	v_pk_add_f32 v[56:57], v[12:13], v[52:53]
	s_nop 0
	v_min3_f32 v114, v56, v57, v109
	v_pk_add_f32 v[56:57], v[8:9], v[52:53]
	s_nop 0
	v_min3_f32 v113, v56, v57, v110
	v_pk_add_f32 v[56:57], v[4:5], v[52:53]
	v_pk_add_f32 v[52:53], v[0:1], v[52:53]
	v_min3_f32 v112, v56, v57, v111
	v_min3_f32 v111, v52, v53, v118
	v_pk_add_f32 v[52:53], v[28:29], v[48:49]
	s_nop 0
	;; [unrolled: 22-line block ×4, first 2 shown]
	v_min3_f32 v94, v44, v45, v144
	v_pk_add_f32 v[44:45], v[24:25], v[40:41]
	s_nop 0
	v_min3_f32 v93, v44, v45, v145
	v_pk_add_f32 v[44:45], v[20:21], v[40:41]
	s_nop 0
	;; [unrolled: 3-line block ×5, first 2 shown]
	v_min3_f32 v57, v44, v45, v148
	v_pk_add_f32 v[44:45], v[4:5], v[40:41]
	v_pk_add_f32 v[40:41], v[0:1], v[40:41]
	v_min3_f32 v56, v44, v45, v149
	v_min3_f32 v53, v40, v41, v152
	v_pk_add_f32 v[40:41], v[28:29], v[36:37]
	v_pk_add_f32 v[28:29], v[28:29], v[32:33]
	v_min3_f32 v52, v40, v41, v153
	v_pk_add_f32 v[40:41], v[24:25], v[36:37]
	v_pk_add_f32 v[24:25], v[24:25], v[32:33]
	v_min3_f32 v49, v40, v41, v154
	v_pk_add_f32 v[40:41], v[20:21], v[36:37]
	v_pk_add_f32 v[20:21], v[20:21], v[32:33]
	v_min3_f32 v48, v40, v41, v155
	v_pk_add_f32 v[40:41], v[16:17], v[36:37]
	v_pk_add_f32 v[16:17], v[16:17], v[32:33]
	v_min3_f32 v45, v40, v41, v156
	v_pk_add_f32 v[40:41], v[12:13], v[36:37]
	v_pk_add_f32 v[12:13], v[12:13], v[32:33]
	v_min3_f32 v44, v40, v41, v157
	v_pk_add_f32 v[40:41], v[8:9], v[36:37]
	v_pk_add_f32 v[36:37], v[0:1], v[36:37]
	v_pk_add_f32 v[8:9], v[8:9], v[32:33]
	v_pk_add_f32 v[4:5], v[4:5], v[32:33]
	;; [unrolled: 1-line block ×4, first 2 shown]
	v_min3_f32 v41, v40, v41, v158
	v_min3_f32 v88, v32, v33, v169
	v_pk_add_f32 v[32:33], v[26:27], v[62:63]
	v_min3_f32 v40, v84, v85, v159
	v_min3_f32 v87, v32, v33, v170
	v_pk_add_f32 v[32:33], v[22:23], v[62:63]
	;; [unrolled: 3-line block ×11, first 2 shown]
	s_nop 0
	v_min3_f32 v143, v32, v33, v124
	v_pk_add_f32 v[32:33], v[14:15], v[58:59]
	s_nop 0
	v_min3_f32 v144, v32, v33, v123
	v_pk_add_f32 v[32:33], v[10:11], v[58:59]
	;; [unrolled: 3-line block ×37, first 2 shown]
	v_pk_add_f32 v[30:31], v[30:31], v[34:35]
	v_min3_f32 v110, v32, v33, v52
	v_pk_add_f32 v[32:33], v[26:27], v[38:39]
	v_pk_add_f32 v[26:27], v[26:27], v[34:35]
	v_min3_f32 v105, v32, v33, v49
	v_pk_add_f32 v[32:33], v[22:23], v[38:39]
	;; [unrolled: 3-line block ×7, first 2 shown]
	v_pk_add_f32 v[2:3], v[2:3], v[34:35]
	v_min3_f32 v99, v32, v33, v36
	v_min3_f32 v100, v30, v31, v28
	v_min3_f32 v96, v26, v27, v24
	v_min3_f32 v97, v22, v23, v20
	v_min3_f32 v94, v18, v19, v16
	v_min3_f32 v95, v14, v15, v12
	v_min3_f32 v92, v10, v11, v8
	v_min3_f32 v93, v6, v7, v4
	v_min3_f32 v98, v2, v3, v0
	s_cbranch_scc0 .LBB4_10
.LBB4_11:
	s_load_dwordx2 s[8:9], s[0:1], 0x70
	s_load_dword s6, s[0:1], 0x50
	s_load_dword s7, s[0:1], 0x68
	ds_read_b128 v[32:35], v75 offset:4096
	ds_read_b128 v[24:27], v75 offset:4608
	;; [unrolled: 1-line block ×16, first 2 shown]
	s_waitcnt lgkmcnt(0)
	s_lshl_b64 s[0:1], s[8:9], 2
	s_add_u32 s0, s2, s0
	v_pk_add_f32 v[64:65], v[32:33], v[60:61]
	v_add_u32_e32 v150, s11, v73
	v_min3_f32 v66, v64, v65, v88
	v_pk_add_f32 v[64:65], v[34:35], v[62:63]
	s_addc_u32 s1, s3, s1
	v_min3_f32 v68, v64, v65, v66
	v_add_u32_e32 v70, s10, v72
	v_mad_i64_i32 v[66:67], s[2:3], v150, s7, 0
	v_add_u32_e32 v64, 32, v70
	v_lshl_add_u64 v[88:89], v[66:67], 2, s[0:1]
	v_mad_i64_i32 v[66:67], s[2:3], v150, s6, 0
	v_ashrrev_i32_e32 v71, 31, v70
	v_ashrrev_i32_e32 v65, 31, v64
	s_mov_b64 s[2:3], -1
	v_max_f32_e32 v68, v68, v68
	s_mov_b64 vcc, s[4:5]
	s_cbranch_vccz .LBB4_13
; %bb.12:
	v_min_f32_e32 v69, 0, v68
	v_lshl_add_u64 v[72:73], v[70:71], 2, v[88:89]
	flat_store_dword v[72:73], v69
	s_mov_b64 s[2:3], 0
.LBB4_13:
	v_lshl_add_u64 v[90:91], v[66:67], 2, s[12:13]
	v_mov_b32_e32 v69, 0
	s_andn2_b64 vcc, exec, s[2:3]
	v_lshlrev_b64 v[76:77], 2, v[70:71]
	s_cbranch_vccnz .LBB4_15
; %bb.14:
	v_lshl_add_u64 v[66:67], v[90:91], 0, v[76:77]
	flat_load_dword v69, v[66:67]
	v_lshl_add_u64 v[66:67], v[88:89], 0, v[76:77]
	s_waitcnt vmcnt(0) lgkmcnt(0)
	v_mul_f32_e32 v69, s15, v69
	v_min_f32_e32 v68, v69, v68
	flat_store_dword v[66:67], v68
	v_lshl_add_u64 v[66:67], v[64:65], 2, v[90:91]
	flat_load_dword v66, v[66:67]
	s_waitcnt vmcnt(0) lgkmcnt(0)
	v_mul_f32_e32 v69, s15, v66
.LBB4_15:
	v_pk_add_f32 v[66:67], v[24:25], v[60:61]
	v_add_u32_e32 v74, 64, v70
	v_min3_f32 v68, v66, v67, v87
	v_pk_add_f32 v[66:67], v[28:29], v[60:61]
	v_ashrrev_i32_e32 v75, 31, v74
	v_min3_f32 v72, v66, v67, v149
	v_pk_add_f32 v[66:67], v[26:27], v[62:63]
	s_mov_b64 s[2:3], -1
	v_min_f32_e32 v73, v66, v67
	v_pk_add_f32 v[66:67], v[30:31], v[62:63]
	v_min3_f32 v73, v69, v73, v68
	v_min3_f32 v72, v66, v67, v72
	v_add_u32_e32 v66, 0x60, v70
	v_lshl_add_u64 v[68:69], v[64:65], 2, v[88:89]
	v_ashrrev_i32_e32 v67, 31, v66
	flat_store_dword v[68:69], v73
	v_max_f32_e32 v68, v72, v72
	s_mov_b64 vcc, s[4:5]
	s_cbranch_vccz .LBB4_17
; %bb.16:
	v_min_f32_e32 v69, 0, v68
	v_lshl_add_u64 v[72:73], v[74:75], 2, v[88:89]
	flat_store_dword v[72:73], v69
	s_mov_b64 s[2:3], 0
.LBB4_17:
	v_mov_b32_e32 v72, 0
	s_andn2_b64 vcc, exec, s[2:3]
	v_lshlrev_b64 v[80:81], 2, v[74:75]
	s_cbranch_vccnz .LBB4_19
; %bb.18:
	v_lshl_add_u64 v[72:73], v[90:91], 0, v[80:81]
	flat_load_dword v69, v[72:73]
	v_lshl_add_u64 v[72:73], v[88:89], 0, v[80:81]
	s_waitcnt vmcnt(0) lgkmcnt(0)
	v_mul_f32_e32 v69, s15, v69
	v_min_f32_e32 v68, v69, v68
	flat_store_dword v[72:73], v68
	v_lshl_add_u64 v[68:69], v[66:67], 2, v[90:91]
	flat_load_dword v68, v[68:69]
	s_waitcnt vmcnt(0) lgkmcnt(0)
	v_mul_f32_e32 v72, s15, v68
.LBB4_19:
	v_pk_add_f32 v[68:69], v[20:21], v[60:61]
	s_mov_b64 s[2:3], -1
	v_min3_f32 v73, v68, v69, v83
	v_pk_add_f32 v[68:69], v[16:17], v[60:61]
	s_mov_b64 vcc, s[4:5]
	v_min3_f32 v78, v68, v69, v86
	v_pk_add_f32 v[68:69], v[22:23], v[62:63]
	s_nop 0
	v_min_f32_e32 v82, v68, v69
	v_pk_add_f32 v[68:69], v[18:19], v[62:63]
	v_min3_f32 v82, v72, v82, v73
	v_min3_f32 v83, v68, v69, v78
	v_add_u32_e32 v78, 0x80, v70
	v_add_u32_e32 v68, 0xa0, v70
	v_lshl_add_u64 v[72:73], v[66:67], 2, v[88:89]
	v_ashrrev_i32_e32 v79, 31, v78
	v_ashrrev_i32_e32 v69, 31, v68
	flat_store_dword v[72:73], v82
	v_max_f32_e32 v72, v83, v83
	s_cbranch_vccz .LBB4_21
; %bb.20:
	v_min_f32_e32 v73, 0, v72
	v_lshl_add_u64 v[82:83], v[78:79], 2, v[88:89]
	flat_store_dword v[82:83], v73
	s_mov_b64 s[2:3], 0
.LBB4_21:
	v_mov_b32_e32 v86, 0
	s_andn2_b64 vcc, exec, s[2:3]
	v_lshlrev_b64 v[82:83], 2, v[78:79]
	s_cbranch_vccnz .LBB4_23
; %bb.22:
	v_lshl_add_u64 v[86:87], v[90:91], 0, v[82:83]
	flat_load_dword v73, v[86:87]
	v_lshl_add_u64 v[86:87], v[88:89], 0, v[82:83]
	s_waitcnt vmcnt(0) lgkmcnt(0)
	v_mul_f32_e32 v73, s15, v73
	v_min_f32_e32 v72, v73, v72
	flat_store_dword v[86:87], v72
	v_lshl_add_u64 v[72:73], v[68:69], 2, v[90:91]
	flat_load_dword v72, v[72:73]
	s_waitcnt vmcnt(0) lgkmcnt(0)
	v_mul_f32_e32 v86, s15, v72
.LBB4_23:
	v_pk_add_f32 v[72:73], v[12:13], v[60:61]
	s_mov_b64 s[2:3], -1
	v_min3_f32 v87, v72, v73, v84
	v_pk_add_f32 v[72:73], v[8:9], v[60:61]
	s_mov_b64 vcc, s[4:5]
	v_min3_f32 v84, v72, v73, v85
	v_pk_add_f32 v[72:73], v[14:15], v[62:63]
	s_nop 0
	v_min_f32_e32 v149, v72, v73
	v_pk_add_f32 v[72:73], v[10:11], v[62:63]
	v_min3_f32 v149, v86, v149, v87
	v_min3_f32 v151, v72, v73, v84
	v_add_u32_e32 v84, 0xc0, v70
	v_add_u32_e32 v72, 0xe0, v70
	v_lshl_add_u64 v[86:87], v[68:69], 2, v[88:89]
	v_ashrrev_i32_e32 v85, 31, v84
	v_ashrrev_i32_e32 v73, 31, v72
	flat_store_dword v[86:87], v149
	v_max_f32_e32 v149, v151, v151
	s_cbranch_vccz .LBB4_25
; %bb.24:
	v_min_f32_e32 v151, 0, v149
	v_lshl_add_u64 v[86:87], v[84:85], 2, v[88:89]
	flat_store_dword v[86:87], v151
	s_mov_b64 s[2:3], 0
.LBB4_25:
	v_mov_b32_e32 v151, 0
	s_andn2_b64 vcc, exec, s[2:3]
	v_lshlrev_b64 v[86:87], 2, v[84:85]
	s_cbranch_vccnz .LBB4_27
; %bb.26:
	v_lshl_add_u64 v[152:153], v[90:91], 0, v[86:87]
	flat_load_dword v151, v[152:153]
	v_lshl_add_u64 v[152:153], v[88:89], 0, v[86:87]
	v_lshl_add_u64 v[90:91], v[72:73], 2, v[90:91]
	s_waitcnt vmcnt(0) lgkmcnt(0)
	v_mul_f32_e32 v151, s15, v151
	v_min_f32_e32 v149, v151, v149
	flat_store_dword v[152:153], v149
	flat_load_dword v90, v[90:91]
	s_waitcnt vmcnt(0) lgkmcnt(0)
	v_mul_f32_e32 v151, s15, v90
.LBB4_27:
	v_pk_add_f32 v[60:61], v[0:1], v[60:61]
	s_mov_b64 vcc, s[4:5]
	v_min3_f32 v90, v60, v61, v147
	v_pk_add_f32 v[60:61], v[32:33], v[56:57]
	s_nop 0
	v_min3_f32 v91, v60, v61, v148
	v_pk_add_f32 v[60:61], v[2:3], v[62:63]
	s_nop 0
	v_min_f32_e32 v62, v60, v61
	v_pk_add_f32 v[60:61], v[34:35], v[58:59]
	v_min3_f32 v62, v151, v62, v90
	v_min3_f32 v91, v60, v61, v91
	v_lshl_add_u64 v[60:61], v[72:73], 2, v[88:89]
	flat_store_dword v[60:61], v62
	v_add_u32_e32 v62, 8, v150
	v_mad_i64_i32 v[60:61], s[2:3], v62, s7, 0
	v_mad_i64_i32 v[62:63], s[2:3], v62, s6, 0
	v_lshl_add_u64 v[60:61], v[60:61], 2, s[0:1]
	s_mov_b64 s[2:3], -1
	v_max_f32_e32 v88, v91, v91
	s_cbranch_vccz .LBB4_29
; %bb.28:
	v_min_f32_e32 v89, 0, v88
	v_lshl_add_u64 v[90:91], v[70:71], 2, v[60:61]
	flat_store_dword v[90:91], v89
	s_mov_b64 s[2:3], 0
.LBB4_29:
	v_lshl_add_u64 v[62:63], v[62:63], 2, s[12:13]
	s_andn2_b64 vcc, exec, s[2:3]
	v_mov_b32_e32 v89, 0
	s_cbranch_vccnz .LBB4_31
; %bb.30:
	v_lshl_add_u64 v[90:91], v[62:63], 0, v[76:77]
	flat_load_dword v89, v[90:91]
	v_lshl_add_u64 v[90:91], v[60:61], 0, v[76:77]
	s_waitcnt vmcnt(0) lgkmcnt(0)
	v_mul_f32_e32 v89, s15, v89
	v_min_f32_e32 v88, v89, v88
	flat_store_dword v[90:91], v88
	v_lshl_add_u64 v[88:89], v[64:65], 2, v[62:63]
	flat_load_dword v88, v[88:89]
	s_waitcnt vmcnt(0) lgkmcnt(0)
	v_mul_f32_e32 v89, s15, v88
.LBB4_31:
	v_pk_add_f32 v[90:91], v[24:25], v[56:57]
	s_mov_b64 s[2:3], -1
	v_min3_f32 v88, v90, v91, v145
	v_pk_add_f32 v[90:91], v[28:29], v[56:57]
	s_mov_b64 vcc, s[4:5]
	v_min3_f32 v145, v90, v91, v146
	v_pk_add_f32 v[90:91], v[26:27], v[58:59]
	s_nop 0
	v_min_f32_e32 v146, v90, v91
	v_pk_add_f32 v[90:91], v[30:31], v[58:59]
	s_nop 0
	v_min3_f32 v90, v90, v91, v145
	v_min3_f32 v91, v89, v146, v88
	v_lshl_add_u64 v[88:89], v[64:65], 2, v[60:61]
	flat_store_dword v[88:89], v91
	v_max_f32_e32 v88, v90, v90
	s_cbranch_vccz .LBB4_33
; %bb.32:
	v_min_f32_e32 v89, 0, v88
	v_lshl_add_u64 v[90:91], v[74:75], 2, v[60:61]
	flat_store_dword v[90:91], v89
	s_mov_b64 s[2:3], 0
.LBB4_33:
	s_andn2_b64 vcc, exec, s[2:3]
	v_mov_b32_e32 v89, 0
	s_cbranch_vccnz .LBB4_35
; %bb.34:
	v_lshl_add_u64 v[90:91], v[62:63], 0, v[80:81]
	flat_load_dword v89, v[90:91]
	v_lshl_add_u64 v[90:91], v[60:61], 0, v[80:81]
	s_waitcnt vmcnt(0) lgkmcnt(0)
	v_mul_f32_e32 v89, s15, v89
	v_min_f32_e32 v88, v89, v88
	flat_store_dword v[90:91], v88
	v_lshl_add_u64 v[88:89], v[66:67], 2, v[62:63]
	flat_load_dword v88, v[88:89]
	s_waitcnt vmcnt(0) lgkmcnt(0)
	v_mul_f32_e32 v89, s15, v88
.LBB4_35:
	v_pk_add_f32 v[90:91], v[20:21], v[56:57]
	s_mov_b64 s[2:3], -1
	v_min3_f32 v88, v90, v91, v143
	v_pk_add_f32 v[90:91], v[16:17], v[56:57]
	s_mov_b64 vcc, s[4:5]
	v_min3_f32 v143, v90, v91, v144
	v_pk_add_f32 v[90:91], v[22:23], v[58:59]
	s_nop 0
	v_min_f32_e32 v144, v90, v91
	v_pk_add_f32 v[90:91], v[18:19], v[58:59]
	s_nop 0
	v_min3_f32 v90, v90, v91, v143
	v_min3_f32 v91, v89, v144, v88
	v_lshl_add_u64 v[88:89], v[66:67], 2, v[60:61]
	flat_store_dword v[88:89], v91
	v_max_f32_e32 v88, v90, v90
	s_cbranch_vccz .LBB4_37
; %bb.36:
	v_min_f32_e32 v89, 0, v88
	v_lshl_add_u64 v[90:91], v[78:79], 2, v[60:61]
	flat_store_dword v[90:91], v89
	s_mov_b64 s[2:3], 0
.LBB4_37:
	;; [unrolled: 39-line block ×3, first 2 shown]
	s_andn2_b64 vcc, exec, s[2:3]
	v_mov_b32_e32 v89, 0
	s_cbranch_vccnz .LBB4_43
; %bb.42:
	v_lshl_add_u64 v[90:91], v[62:63], 0, v[86:87]
	flat_load_dword v89, v[90:91]
	v_lshl_add_u64 v[90:91], v[60:61], 0, v[86:87]
	v_lshl_add_u64 v[62:63], v[72:73], 2, v[62:63]
	s_waitcnt vmcnt(0) lgkmcnt(0)
	v_mul_f32_e32 v89, s15, v89
	v_min_f32_e32 v88, v89, v88
	flat_store_dword v[90:91], v88
	flat_load_dword v62, v[62:63]
	s_waitcnt vmcnt(0) lgkmcnt(0)
	v_mul_f32_e32 v89, s15, v62
.LBB4_43:
	v_pk_add_f32 v[56:57], v[0:1], v[56:57]
	s_mov_b64 vcc, s[4:5]
	v_min3_f32 v62, v56, v57, v138
	v_pk_add_f32 v[56:57], v[32:33], v[52:53]
	s_nop 0
	v_min3_f32 v63, v56, v57, v141
	v_pk_add_f32 v[56:57], v[2:3], v[58:59]
	s_nop 0
	v_min_f32_e32 v58, v56, v57
	v_pk_add_f32 v[56:57], v[34:35], v[54:55]
	v_min3_f32 v58, v89, v58, v62
	v_min3_f32 v63, v56, v57, v63
	v_lshl_add_u64 v[56:57], v[72:73], 2, v[60:61]
	flat_store_dword v[56:57], v58
	v_add_u32_e32 v58, 16, v150
	v_mad_i64_i32 v[56:57], s[2:3], v58, s7, 0
	v_mad_i64_i32 v[58:59], s[2:3], v58, s6, 0
	v_lshl_add_u64 v[56:57], v[56:57], 2, s[0:1]
	s_mov_b64 s[2:3], -1
	v_max_f32_e32 v60, v63, v63
	s_cbranch_vccz .LBB4_45
; %bb.44:
	v_min_f32_e32 v61, 0, v60
	v_lshl_add_u64 v[62:63], v[70:71], 2, v[56:57]
	flat_store_dword v[62:63], v61
	s_mov_b64 s[2:3], 0
.LBB4_45:
	v_lshl_add_u64 v[58:59], v[58:59], 2, s[12:13]
	s_andn2_b64 vcc, exec, s[2:3]
	v_mov_b32_e32 v61, 0
	s_cbranch_vccnz .LBB4_47
; %bb.46:
	v_lshl_add_u64 v[62:63], v[58:59], 0, v[76:77]
	flat_load_dword v61, v[62:63]
	v_lshl_add_u64 v[62:63], v[56:57], 0, v[76:77]
	s_waitcnt vmcnt(0) lgkmcnt(0)
	v_mul_f32_e32 v61, s15, v61
	v_min_f32_e32 v60, v61, v60
	flat_store_dword v[62:63], v60
	v_lshl_add_u64 v[60:61], v[64:65], 2, v[58:59]
	flat_load_dword v60, v[60:61]
	s_waitcnt vmcnt(0) lgkmcnt(0)
	v_mul_f32_e32 v61, s15, v60
.LBB4_47:
	v_pk_add_f32 v[62:63], v[24:25], v[52:53]
	s_mov_b64 s[2:3], -1
	v_min3_f32 v60, v62, v63, v136
	v_pk_add_f32 v[62:63], v[28:29], v[52:53]
	s_mov_b64 vcc, s[4:5]
	v_min3_f32 v88, v62, v63, v137
	v_pk_add_f32 v[62:63], v[26:27], v[54:55]
	s_nop 0
	v_min_f32_e32 v89, v62, v63
	v_pk_add_f32 v[62:63], v[30:31], v[54:55]
	s_nop 0
	v_min3_f32 v62, v62, v63, v88
	v_min3_f32 v63, v61, v89, v60
	v_lshl_add_u64 v[60:61], v[64:65], 2, v[56:57]
	flat_store_dword v[60:61], v63
	v_max_f32_e32 v60, v62, v62
	s_cbranch_vccz .LBB4_49
; %bb.48:
	v_min_f32_e32 v61, 0, v60
	v_lshl_add_u64 v[62:63], v[74:75], 2, v[56:57]
	flat_store_dword v[62:63], v61
	s_mov_b64 s[2:3], 0
.LBB4_49:
	s_andn2_b64 vcc, exec, s[2:3]
	v_mov_b32_e32 v61, 0
	s_cbranch_vccnz .LBB4_51
; %bb.50:
	v_lshl_add_u64 v[62:63], v[58:59], 0, v[80:81]
	flat_load_dword v61, v[62:63]
	v_lshl_add_u64 v[62:63], v[56:57], 0, v[80:81]
	s_waitcnt vmcnt(0) lgkmcnt(0)
	v_mul_f32_e32 v61, s15, v61
	v_min_f32_e32 v60, v61, v60
	flat_store_dword v[62:63], v60
	v_lshl_add_u64 v[60:61], v[66:67], 2, v[58:59]
	flat_load_dword v60, v[60:61]
	s_waitcnt vmcnt(0) lgkmcnt(0)
	v_mul_f32_e32 v61, s15, v60
.LBB4_51:
	v_pk_add_f32 v[62:63], v[20:21], v[52:53]
	s_mov_b64 s[2:3], -1
	v_min3_f32 v60, v62, v63, v131
	v_pk_add_f32 v[62:63], v[16:17], v[52:53]
	s_mov_b64 vcc, s[4:5]
	v_min3_f32 v88, v62, v63, v132
	v_pk_add_f32 v[62:63], v[22:23], v[54:55]
	s_nop 0
	v_min_f32_e32 v89, v62, v63
	v_pk_add_f32 v[62:63], v[18:19], v[54:55]
	s_nop 0
	v_min3_f32 v62, v62, v63, v88
	v_min3_f32 v63, v61, v89, v60
	v_lshl_add_u64 v[60:61], v[66:67], 2, v[56:57]
	flat_store_dword v[60:61], v63
	v_max_f32_e32 v60, v62, v62
	s_cbranch_vccz .LBB4_53
; %bb.52:
	v_min_f32_e32 v61, 0, v60
	v_lshl_add_u64 v[62:63], v[78:79], 2, v[56:57]
	flat_store_dword v[62:63], v61
	s_mov_b64 s[2:3], 0
.LBB4_53:
	;; [unrolled: 39-line block ×3, first 2 shown]
	s_andn2_b64 vcc, exec, s[2:3]
	v_mov_b32_e32 v61, 0
	s_cbranch_vccnz .LBB4_59
; %bb.58:
	v_lshl_add_u64 v[62:63], v[58:59], 0, v[86:87]
	flat_load_dword v61, v[62:63]
	v_lshl_add_u64 v[62:63], v[56:57], 0, v[86:87]
	v_lshl_add_u64 v[58:59], v[72:73], 2, v[58:59]
	s_waitcnt vmcnt(0) lgkmcnt(0)
	v_mul_f32_e32 v61, s15, v61
	v_min_f32_e32 v60, v61, v60
	flat_store_dword v[62:63], v60
	flat_load_dword v58, v[58:59]
	s_waitcnt vmcnt(0) lgkmcnt(0)
	v_mul_f32_e32 v61, s15, v58
.LBB4_59:
	v_pk_add_f32 v[52:53], v[0:1], v[52:53]
	s_mov_b64 vcc, s[4:5]
	v_min3_f32 v58, v52, v53, v135
	v_pk_add_f32 v[52:53], v[32:33], v[48:49]
	s_nop 0
	v_min3_f32 v59, v52, v53, v139
	v_pk_add_f32 v[52:53], v[2:3], v[54:55]
	s_nop 0
	v_min_f32_e32 v54, v52, v53
	v_pk_add_f32 v[52:53], v[34:35], v[50:51]
	v_min3_f32 v54, v61, v54, v58
	v_min3_f32 v59, v52, v53, v59
	v_lshl_add_u64 v[52:53], v[72:73], 2, v[56:57]
	flat_store_dword v[52:53], v54
	v_add_u32_e32 v54, 24, v150
	v_mad_i64_i32 v[52:53], s[2:3], v54, s7, 0
	v_mad_i64_i32 v[54:55], s[2:3], v54, s6, 0
	v_lshl_add_u64 v[52:53], v[52:53], 2, s[0:1]
	s_mov_b64 s[2:3], -1
	v_max_f32_e32 v56, v59, v59
	s_cbranch_vccz .LBB4_61
; %bb.60:
	v_min_f32_e32 v57, 0, v56
	v_lshl_add_u64 v[58:59], v[70:71], 2, v[52:53]
	flat_store_dword v[58:59], v57
	s_mov_b64 s[2:3], 0
.LBB4_61:
	v_lshl_add_u64 v[54:55], v[54:55], 2, s[12:13]
	s_andn2_b64 vcc, exec, s[2:3]
	v_mov_b32_e32 v57, 0
	s_cbranch_vccnz .LBB4_63
; %bb.62:
	v_lshl_add_u64 v[58:59], v[54:55], 0, v[76:77]
	flat_load_dword v57, v[58:59]
	v_lshl_add_u64 v[58:59], v[52:53], 0, v[76:77]
	s_waitcnt vmcnt(0) lgkmcnt(0)
	v_mul_f32_e32 v57, s15, v57
	v_min_f32_e32 v56, v57, v56
	flat_store_dword v[58:59], v56
	v_lshl_add_u64 v[56:57], v[64:65], 2, v[54:55]
	flat_load_dword v56, v[56:57]
	s_waitcnt vmcnt(0) lgkmcnt(0)
	v_mul_f32_e32 v57, s15, v56
.LBB4_63:
	v_pk_add_f32 v[58:59], v[24:25], v[48:49]
	s_mov_b64 s[2:3], -1
	v_min3_f32 v56, v58, v59, v133
	v_pk_add_f32 v[58:59], v[28:29], v[48:49]
	s_mov_b64 vcc, s[4:5]
	v_min3_f32 v60, v58, v59, v134
	v_pk_add_f32 v[58:59], v[26:27], v[50:51]
	s_nop 0
	v_min_f32_e32 v61, v58, v59
	v_pk_add_f32 v[58:59], v[30:31], v[50:51]
	s_nop 0
	v_min3_f32 v58, v58, v59, v60
	v_min3_f32 v59, v57, v61, v56
	v_lshl_add_u64 v[56:57], v[64:65], 2, v[52:53]
	flat_store_dword v[56:57], v59
	v_max_f32_e32 v56, v58, v58
	s_cbranch_vccz .LBB4_65
; %bb.64:
	v_min_f32_e32 v57, 0, v56
	v_lshl_add_u64 v[58:59], v[74:75], 2, v[52:53]
	flat_store_dword v[58:59], v57
	s_mov_b64 s[2:3], 0
.LBB4_65:
	s_andn2_b64 vcc, exec, s[2:3]
	v_mov_b32_e32 v57, 0
	s_cbranch_vccnz .LBB4_67
; %bb.66:
	v_lshl_add_u64 v[58:59], v[54:55], 0, v[80:81]
	flat_load_dword v57, v[58:59]
	v_lshl_add_u64 v[58:59], v[52:53], 0, v[80:81]
	s_waitcnt vmcnt(0) lgkmcnt(0)
	v_mul_f32_e32 v57, s15, v57
	v_min_f32_e32 v56, v57, v56
	flat_store_dword v[58:59], v56
	v_lshl_add_u64 v[56:57], v[66:67], 2, v[54:55]
	flat_load_dword v56, v[56:57]
	s_waitcnt vmcnt(0) lgkmcnt(0)
	v_mul_f32_e32 v57, s15, v56
.LBB4_67:
	v_pk_add_f32 v[58:59], v[20:21], v[48:49]
	s_mov_b64 s[2:3], -1
	v_min3_f32 v56, v58, v59, v129
	v_pk_add_f32 v[58:59], v[16:17], v[48:49]
	s_mov_b64 vcc, s[4:5]
	v_min3_f32 v60, v58, v59, v130
	v_pk_add_f32 v[58:59], v[22:23], v[50:51]
	s_nop 0
	v_min_f32_e32 v61, v58, v59
	v_pk_add_f32 v[58:59], v[18:19], v[50:51]
	s_nop 0
	v_min3_f32 v58, v58, v59, v60
	v_min3_f32 v59, v57, v61, v56
	v_lshl_add_u64 v[56:57], v[66:67], 2, v[52:53]
	flat_store_dword v[56:57], v59
	v_max_f32_e32 v56, v58, v58
	s_cbranch_vccz .LBB4_69
; %bb.68:
	v_min_f32_e32 v57, 0, v56
	v_lshl_add_u64 v[58:59], v[78:79], 2, v[52:53]
	flat_store_dword v[58:59], v57
	s_mov_b64 s[2:3], 0
.LBB4_69:
	;; [unrolled: 39-line block ×3, first 2 shown]
	s_andn2_b64 vcc, exec, s[2:3]
	v_mov_b32_e32 v57, 0
	s_cbranch_vccnz .LBB4_75
; %bb.74:
	v_lshl_add_u64 v[58:59], v[54:55], 0, v[86:87]
	flat_load_dword v57, v[58:59]
	v_lshl_add_u64 v[58:59], v[52:53], 0, v[86:87]
	v_lshl_add_u64 v[54:55], v[72:73], 2, v[54:55]
	s_waitcnt vmcnt(0) lgkmcnt(0)
	v_mul_f32_e32 v57, s15, v57
	v_min_f32_e32 v56, v57, v56
	flat_store_dword v[58:59], v56
	flat_load_dword v54, v[54:55]
	s_waitcnt vmcnt(0) lgkmcnt(0)
	v_mul_f32_e32 v57, s15, v54
.LBB4_75:
	v_pk_add_f32 v[48:49], v[0:1], v[48:49]
	s_mov_b64 vcc, s[4:5]
	v_min3_f32 v54, v48, v49, v123
	v_pk_add_f32 v[48:49], v[32:33], v[44:45]
	s_nop 0
	v_min3_f32 v55, v48, v49, v124
	v_pk_add_f32 v[48:49], v[2:3], v[50:51]
	s_nop 0
	v_min_f32_e32 v50, v48, v49
	v_pk_add_f32 v[48:49], v[34:35], v[46:47]
	v_min3_f32 v50, v57, v50, v54
	v_min3_f32 v55, v48, v49, v55
	v_lshl_add_u64 v[48:49], v[72:73], 2, v[52:53]
	flat_store_dword v[48:49], v50
	v_add_u32_e32 v50, 32, v150
	v_mad_i64_i32 v[48:49], s[2:3], v50, s7, 0
	v_mad_i64_i32 v[50:51], s[2:3], v50, s6, 0
	v_lshl_add_u64 v[48:49], v[48:49], 2, s[0:1]
	s_mov_b64 s[2:3], -1
	v_max_f32_e32 v52, v55, v55
	s_cbranch_vccz .LBB4_77
; %bb.76:
	v_min_f32_e32 v53, 0, v52
	v_lshl_add_u64 v[54:55], v[70:71], 2, v[48:49]
	flat_store_dword v[54:55], v53
	s_mov_b64 s[2:3], 0
.LBB4_77:
	v_lshl_add_u64 v[50:51], v[50:51], 2, s[12:13]
	s_andn2_b64 vcc, exec, s[2:3]
	v_mov_b32_e32 v53, 0
	s_cbranch_vccnz .LBB4_79
; %bb.78:
	v_lshl_add_u64 v[54:55], v[50:51], 0, v[76:77]
	flat_load_dword v53, v[54:55]
	v_lshl_add_u64 v[54:55], v[48:49], 0, v[76:77]
	s_waitcnt vmcnt(0) lgkmcnt(0)
	v_mul_f32_e32 v53, s15, v53
	v_min_f32_e32 v52, v53, v52
	flat_store_dword v[54:55], v52
	v_lshl_add_u64 v[52:53], v[64:65], 2, v[50:51]
	flat_load_dword v52, v[52:53]
	s_waitcnt vmcnt(0) lgkmcnt(0)
	v_mul_f32_e32 v53, s15, v52
.LBB4_79:
	v_pk_add_f32 v[54:55], v[24:25], v[44:45]
	s_mov_b64 s[2:3], -1
	v_min3_f32 v52, v54, v55, v121
	v_pk_add_f32 v[54:55], v[28:29], v[44:45]
	s_mov_b64 vcc, s[4:5]
	v_min3_f32 v56, v54, v55, v122
	v_pk_add_f32 v[54:55], v[26:27], v[46:47]
	s_nop 0
	v_min_f32_e32 v57, v54, v55
	v_pk_add_f32 v[54:55], v[30:31], v[46:47]
	s_nop 0
	v_min3_f32 v54, v54, v55, v56
	v_min3_f32 v55, v53, v57, v52
	v_lshl_add_u64 v[52:53], v[64:65], 2, v[48:49]
	flat_store_dword v[52:53], v55
	v_max_f32_e32 v52, v54, v54
	s_cbranch_vccz .LBB4_81
; %bb.80:
	v_min_f32_e32 v53, 0, v52
	v_lshl_add_u64 v[54:55], v[74:75], 2, v[48:49]
	flat_store_dword v[54:55], v53
	s_mov_b64 s[2:3], 0
.LBB4_81:
	s_andn2_b64 vcc, exec, s[2:3]
	v_mov_b32_e32 v53, 0
	s_cbranch_vccnz .LBB4_83
; %bb.82:
	v_lshl_add_u64 v[54:55], v[50:51], 0, v[80:81]
	flat_load_dword v53, v[54:55]
	v_lshl_add_u64 v[54:55], v[48:49], 0, v[80:81]
	s_waitcnt vmcnt(0) lgkmcnt(0)
	v_mul_f32_e32 v53, s15, v53
	v_min_f32_e32 v52, v53, v52
	flat_store_dword v[54:55], v52
	v_lshl_add_u64 v[52:53], v[66:67], 2, v[50:51]
	flat_load_dword v52, v[52:53]
	s_waitcnt vmcnt(0) lgkmcnt(0)
	v_mul_f32_e32 v53, s15, v52
.LBB4_83:
	v_pk_add_f32 v[54:55], v[20:21], v[44:45]
	s_mov_b64 s[2:3], -1
	v_min3_f32 v52, v54, v55, v119
	v_pk_add_f32 v[54:55], v[16:17], v[44:45]
	s_mov_b64 vcc, s[4:5]
	v_min3_f32 v56, v54, v55, v120
	v_pk_add_f32 v[54:55], v[22:23], v[46:47]
	s_nop 0
	v_min_f32_e32 v57, v54, v55
	v_pk_add_f32 v[54:55], v[18:19], v[46:47]
	s_nop 0
	v_min3_f32 v54, v54, v55, v56
	v_min3_f32 v55, v53, v57, v52
	v_lshl_add_u64 v[52:53], v[66:67], 2, v[48:49]
	flat_store_dword v[52:53], v55
	v_max_f32_e32 v52, v54, v54
	s_cbranch_vccz .LBB4_85
; %bb.84:
	v_min_f32_e32 v53, 0, v52
	v_lshl_add_u64 v[54:55], v[78:79], 2, v[48:49]
	flat_store_dword v[54:55], v53
	s_mov_b64 s[2:3], 0
.LBB4_85:
	;; [unrolled: 39-line block ×3, first 2 shown]
	s_andn2_b64 vcc, exec, s[2:3]
	v_mov_b32_e32 v53, 0
	s_cbranch_vccnz .LBB4_91
; %bb.90:
	v_lshl_add_u64 v[54:55], v[50:51], 0, v[86:87]
	flat_load_dword v53, v[54:55]
	v_lshl_add_u64 v[54:55], v[48:49], 0, v[86:87]
	v_lshl_add_u64 v[50:51], v[72:73], 2, v[50:51]
	s_waitcnt vmcnt(0) lgkmcnt(0)
	v_mul_f32_e32 v53, s15, v53
	v_min_f32_e32 v52, v53, v52
	flat_store_dword v[54:55], v52
	flat_load_dword v50, v[50:51]
	s_waitcnt vmcnt(0) lgkmcnt(0)
	v_mul_f32_e32 v53, s15, v50
.LBB4_91:
	v_pk_add_f32 v[44:45], v[0:1], v[44:45]
	s_mov_b64 vcc, s[4:5]
	v_min3_f32 v50, v44, v45, v115
	v_pk_add_f32 v[44:45], v[32:33], v[40:41]
	s_nop 0
	v_min3_f32 v51, v44, v45, v116
	v_pk_add_f32 v[44:45], v[2:3], v[46:47]
	s_nop 0
	v_min_f32_e32 v46, v44, v45
	v_pk_add_f32 v[44:45], v[34:35], v[42:43]
	v_min3_f32 v46, v53, v46, v50
	v_min3_f32 v51, v44, v45, v51
	v_lshl_add_u64 v[44:45], v[72:73], 2, v[48:49]
	flat_store_dword v[44:45], v46
	v_add_u32_e32 v46, 40, v150
	v_mad_i64_i32 v[44:45], s[2:3], v46, s7, 0
	v_mad_i64_i32 v[46:47], s[2:3], v46, s6, 0
	v_lshl_add_u64 v[44:45], v[44:45], 2, s[0:1]
	s_mov_b64 s[2:3], -1
	v_max_f32_e32 v48, v51, v51
	s_cbranch_vccz .LBB4_93
; %bb.92:
	v_min_f32_e32 v49, 0, v48
	v_lshl_add_u64 v[50:51], v[70:71], 2, v[44:45]
	flat_store_dword v[50:51], v49
	s_mov_b64 s[2:3], 0
.LBB4_93:
	v_lshl_add_u64 v[46:47], v[46:47], 2, s[12:13]
	s_andn2_b64 vcc, exec, s[2:3]
	v_mov_b32_e32 v49, 0
	s_cbranch_vccnz .LBB4_95
; %bb.94:
	v_lshl_add_u64 v[50:51], v[46:47], 0, v[76:77]
	flat_load_dword v49, v[50:51]
	v_lshl_add_u64 v[50:51], v[44:45], 0, v[76:77]
	s_waitcnt vmcnt(0) lgkmcnt(0)
	v_mul_f32_e32 v49, s15, v49
	v_min_f32_e32 v48, v49, v48
	flat_store_dword v[50:51], v48
	v_lshl_add_u64 v[48:49], v[64:65], 2, v[46:47]
	flat_load_dword v48, v[48:49]
	s_waitcnt vmcnt(0) lgkmcnt(0)
	v_mul_f32_e32 v49, s15, v48
.LBB4_95:
	v_pk_add_f32 v[50:51], v[24:25], v[40:41]
	s_mov_b64 s[2:3], -1
	v_min3_f32 v48, v50, v51, v113
	v_pk_add_f32 v[50:51], v[28:29], v[40:41]
	s_mov_b64 vcc, s[4:5]
	v_min3_f32 v52, v50, v51, v114
	v_pk_add_f32 v[50:51], v[26:27], v[42:43]
	s_nop 0
	v_min_f32_e32 v53, v50, v51
	v_pk_add_f32 v[50:51], v[30:31], v[42:43]
	s_nop 0
	v_min3_f32 v50, v50, v51, v52
	v_min3_f32 v51, v49, v53, v48
	v_lshl_add_u64 v[48:49], v[64:65], 2, v[44:45]
	flat_store_dword v[48:49], v51
	v_max_f32_e32 v48, v50, v50
	s_cbranch_vccz .LBB4_97
; %bb.96:
	v_min_f32_e32 v49, 0, v48
	v_lshl_add_u64 v[50:51], v[74:75], 2, v[44:45]
	flat_store_dword v[50:51], v49
	s_mov_b64 s[2:3], 0
.LBB4_97:
	s_andn2_b64 vcc, exec, s[2:3]
	v_mov_b32_e32 v49, 0
	s_cbranch_vccnz .LBB4_99
; %bb.98:
	v_lshl_add_u64 v[50:51], v[46:47], 0, v[80:81]
	flat_load_dword v49, v[50:51]
	v_lshl_add_u64 v[50:51], v[44:45], 0, v[80:81]
	s_waitcnt vmcnt(0) lgkmcnt(0)
	v_mul_f32_e32 v49, s15, v49
	v_min_f32_e32 v48, v49, v48
	flat_store_dword v[50:51], v48
	v_lshl_add_u64 v[48:49], v[66:67], 2, v[46:47]
	flat_load_dword v48, v[48:49]
	s_waitcnt vmcnt(0) lgkmcnt(0)
	v_mul_f32_e32 v49, s15, v48
.LBB4_99:
	v_pk_add_f32 v[50:51], v[20:21], v[40:41]
	s_mov_b64 s[2:3], -1
	v_min3_f32 v48, v50, v51, v111
	v_pk_add_f32 v[50:51], v[16:17], v[40:41]
	s_mov_b64 vcc, s[4:5]
	v_min3_f32 v52, v50, v51, v112
	v_pk_add_f32 v[50:51], v[22:23], v[42:43]
	s_nop 0
	v_min_f32_e32 v53, v50, v51
	v_pk_add_f32 v[50:51], v[18:19], v[42:43]
	s_nop 0
	v_min3_f32 v50, v50, v51, v52
	v_min3_f32 v51, v49, v53, v48
	v_lshl_add_u64 v[48:49], v[66:67], 2, v[44:45]
	flat_store_dword v[48:49], v51
	v_max_f32_e32 v48, v50, v50
	s_cbranch_vccz .LBB4_101
; %bb.100:
	v_min_f32_e32 v49, 0, v48
	v_lshl_add_u64 v[50:51], v[78:79], 2, v[44:45]
	flat_store_dword v[50:51], v49
	s_mov_b64 s[2:3], 0
.LBB4_101:
	;; [unrolled: 39-line block ×3, first 2 shown]
	s_andn2_b64 vcc, exec, s[2:3]
	v_mov_b32_e32 v49, 0
	s_cbranch_vccnz .LBB4_107
; %bb.106:
	v_lshl_add_u64 v[50:51], v[46:47], 0, v[86:87]
	flat_load_dword v49, v[50:51]
	v_lshl_add_u64 v[50:51], v[44:45], 0, v[86:87]
	v_lshl_add_u64 v[46:47], v[72:73], 2, v[46:47]
	s_waitcnt vmcnt(0) lgkmcnt(0)
	v_mul_f32_e32 v49, s15, v49
	v_min_f32_e32 v48, v49, v48
	flat_store_dword v[50:51], v48
	flat_load_dword v46, v[46:47]
	s_waitcnt vmcnt(0) lgkmcnt(0)
	v_mul_f32_e32 v49, s15, v46
.LBB4_107:
	v_pk_add_f32 v[40:41], v[0:1], v[40:41]
	s_mov_b64 vcc, s[4:5]
	v_min3_f32 v46, v40, v41, v107
	v_pk_add_f32 v[40:41], v[32:33], v[36:37]
	s_nop 0
	v_min3_f32 v47, v40, v41, v110
	v_pk_add_f32 v[40:41], v[2:3], v[42:43]
	s_nop 0
	v_min_f32_e32 v42, v40, v41
	v_pk_add_f32 v[40:41], v[34:35], v[38:39]
	v_min3_f32 v42, v49, v42, v46
	v_min3_f32 v47, v40, v41, v47
	v_lshl_add_u64 v[40:41], v[72:73], 2, v[44:45]
	flat_store_dword v[40:41], v42
	v_add_u32_e32 v42, 48, v150
	v_mad_i64_i32 v[40:41], s[2:3], v42, s7, 0
	v_mad_i64_i32 v[42:43], s[2:3], v42, s6, 0
	v_lshl_add_u64 v[40:41], v[40:41], 2, s[0:1]
	s_mov_b64 s[2:3], -1
	v_max_f32_e32 v44, v47, v47
	s_cbranch_vccz .LBB4_109
; %bb.108:
	v_min_f32_e32 v45, 0, v44
	v_lshl_add_u64 v[46:47], v[70:71], 2, v[40:41]
	flat_store_dword v[46:47], v45
	s_mov_b64 s[2:3], 0
.LBB4_109:
	v_lshl_add_u64 v[42:43], v[42:43], 2, s[12:13]
	s_andn2_b64 vcc, exec, s[2:3]
	v_mov_b32_e32 v45, 0
	s_cbranch_vccnz .LBB4_111
; %bb.110:
	v_lshl_add_u64 v[46:47], v[42:43], 0, v[76:77]
	flat_load_dword v45, v[46:47]
	v_lshl_add_u64 v[46:47], v[40:41], 0, v[76:77]
	s_waitcnt vmcnt(0) lgkmcnt(0)
	v_mul_f32_e32 v45, s15, v45
	v_min_f32_e32 v44, v45, v44
	flat_store_dword v[46:47], v44
	v_lshl_add_u64 v[44:45], v[64:65], 2, v[42:43]
	flat_load_dword v44, v[44:45]
	s_waitcnt vmcnt(0) lgkmcnt(0)
	v_mul_f32_e32 v45, s15, v44
.LBB4_111:
	v_pk_add_f32 v[46:47], v[24:25], v[36:37]
	s_mov_b64 s[2:3], -1
	v_min3_f32 v44, v46, v47, v105
	v_pk_add_f32 v[46:47], v[28:29], v[36:37]
	s_mov_b64 vcc, s[4:5]
	v_min3_f32 v48, v46, v47, v106
	v_pk_add_f32 v[46:47], v[26:27], v[38:39]
	s_nop 0
	v_min_f32_e32 v49, v46, v47
	v_pk_add_f32 v[46:47], v[30:31], v[38:39]
	s_nop 0
	v_min3_f32 v46, v46, v47, v48
	v_min3_f32 v47, v45, v49, v44
	v_lshl_add_u64 v[44:45], v[64:65], 2, v[40:41]
	flat_store_dword v[44:45], v47
	v_max_f32_e32 v44, v46, v46
	s_cbranch_vccz .LBB4_113
; %bb.112:
	v_min_f32_e32 v45, 0, v44
	v_lshl_add_u64 v[46:47], v[74:75], 2, v[40:41]
	flat_store_dword v[46:47], v45
	s_mov_b64 s[2:3], 0
.LBB4_113:
	s_andn2_b64 vcc, exec, s[2:3]
	v_mov_b32_e32 v45, 0
	s_cbranch_vccnz .LBB4_115
; %bb.114:
	v_lshl_add_u64 v[46:47], v[42:43], 0, v[80:81]
	flat_load_dword v45, v[46:47]
	v_lshl_add_u64 v[46:47], v[40:41], 0, v[80:81]
	s_waitcnt vmcnt(0) lgkmcnt(0)
	v_mul_f32_e32 v45, s15, v45
	v_min_f32_e32 v44, v45, v44
	flat_store_dword v[46:47], v44
	v_lshl_add_u64 v[44:45], v[66:67], 2, v[42:43]
	flat_load_dword v44, v[44:45]
	s_waitcnt vmcnt(0) lgkmcnt(0)
	v_mul_f32_e32 v45, s15, v44
.LBB4_115:
	v_pk_add_f32 v[46:47], v[20:21], v[36:37]
	s_mov_b64 s[2:3], -1
	v_min3_f32 v44, v46, v47, v103
	v_pk_add_f32 v[46:47], v[16:17], v[36:37]
	s_mov_b64 vcc, s[4:5]
	v_min3_f32 v48, v46, v47, v104
	v_pk_add_f32 v[46:47], v[22:23], v[38:39]
	s_nop 0
	v_min_f32_e32 v49, v46, v47
	v_pk_add_f32 v[46:47], v[18:19], v[38:39]
	s_nop 0
	v_min3_f32 v46, v46, v47, v48
	v_min3_f32 v47, v45, v49, v44
	v_lshl_add_u64 v[44:45], v[66:67], 2, v[40:41]
	flat_store_dword v[44:45], v47
	v_max_f32_e32 v44, v46, v46
	s_cbranch_vccz .LBB4_117
; %bb.116:
	v_min_f32_e32 v45, 0, v44
	v_lshl_add_u64 v[46:47], v[78:79], 2, v[40:41]
	flat_store_dword v[46:47], v45
	s_mov_b64 s[2:3], 0
.LBB4_117:
	;; [unrolled: 39-line block ×3, first 2 shown]
	s_andn2_b64 vcc, exec, s[2:3]
	v_mov_b32_e32 v45, 0
	s_cbranch_vccnz .LBB4_123
; %bb.122:
	v_lshl_add_u64 v[46:47], v[42:43], 0, v[86:87]
	flat_load_dword v45, v[46:47]
	v_lshl_add_u64 v[46:47], v[40:41], 0, v[86:87]
	v_lshl_add_u64 v[42:43], v[72:73], 2, v[42:43]
	s_waitcnt vmcnt(0) lgkmcnt(0)
	v_mul_f32_e32 v45, s15, v45
	v_min_f32_e32 v44, v45, v44
	flat_store_dword v[46:47], v44
	flat_load_dword v42, v[42:43]
	s_waitcnt vmcnt(0) lgkmcnt(0)
	v_mul_f32_e32 v45, s15, v42
.LBB4_123:
	v_pk_add_f32 v[36:37], v[0:1], v[36:37]
	v_pk_add_f32 v[32:33], v[32:33], v[4:5]
	v_min3_f32 v36, v36, v37, v99
	v_min3_f32 v37, v32, v33, v100
	v_pk_add_f32 v[32:33], v[2:3], v[38:39]
	s_mov_b64 vcc, s[4:5]
	v_min_f32_e32 v38, v32, v33
	v_pk_add_f32 v[32:33], v[34:35], v[6:7]
	v_min3_f32 v34, v45, v38, v36
	v_min3_f32 v37, v32, v33, v37
	v_lshl_add_u64 v[32:33], v[72:73], 2, v[40:41]
	flat_store_dword v[32:33], v34
	v_add_u32_e32 v34, 56, v150
	v_mad_i64_i32 v[32:33], s[2:3], v34, s7, 0
	v_lshl_add_u64 v[32:33], v[32:33], 2, s[0:1]
	v_mad_i64_i32 v[34:35], s[0:1], v34, s6, 0
	s_mov_b64 s[0:1], -1
	v_max_f32_e32 v36, v37, v37
	s_cbranch_vccz .LBB4_125
; %bb.124:
	v_min_f32_e32 v37, 0, v36
	v_lshl_add_u64 v[38:39], v[70:71], 2, v[32:33]
	flat_store_dword v[38:39], v37
	s_mov_b64 s[0:1], 0
.LBB4_125:
	v_lshl_add_u64 v[34:35], v[34:35], 2, s[12:13]
	s_andn2_b64 vcc, exec, s[0:1]
	v_mov_b32_e32 v37, 0
	s_cbranch_vccnz .LBB4_127
; %bb.126:
	v_lshl_add_u64 v[38:39], v[34:35], 0, v[76:77]
	flat_load_dword v37, v[38:39]
	v_lshl_add_u64 v[38:39], v[32:33], 0, v[76:77]
	s_waitcnt vmcnt(0) lgkmcnt(0)
	v_mul_f32_e32 v37, s15, v37
	v_min_f32_e32 v36, v37, v36
	flat_store_dword v[38:39], v36
	v_lshl_add_u64 v[36:37], v[64:65], 2, v[34:35]
	flat_load_dword v36, v[36:37]
	s_waitcnt vmcnt(0) lgkmcnt(0)
	v_mul_f32_e32 v37, s15, v36
.LBB4_127:
	v_pk_add_f32 v[24:25], v[24:25], v[4:5]
	s_mov_b64 s[0:1], -1
	v_min3_f32 v36, v24, v25, v96
	v_pk_add_f32 v[24:25], v[28:29], v[4:5]
	s_mov_b64 vcc, s[4:5]
	v_min3_f32 v28, v24, v25, v97
	v_pk_add_f32 v[24:25], v[26:27], v[6:7]
	s_nop 0
	v_min_f32_e32 v26, v24, v25
	v_pk_add_f32 v[24:25], v[30:31], v[6:7]
	v_min3_f32 v26, v37, v26, v36
	v_min3_f32 v27, v24, v25, v28
	v_lshl_add_u64 v[24:25], v[64:65], 2, v[32:33]
	flat_store_dword v[24:25], v26
	v_max_f32_e32 v24, v27, v27
	s_cbranch_vccz .LBB4_129
; %bb.128:
	v_min_f32_e32 v25, 0, v24
	v_lshl_add_u64 v[26:27], v[74:75], 2, v[32:33]
	flat_store_dword v[26:27], v25
	s_mov_b64 s[0:1], 0
.LBB4_129:
	s_andn2_b64 vcc, exec, s[0:1]
	v_mov_b32_e32 v25, 0
	s_cbranch_vccnz .LBB4_131
; %bb.130:
	v_lshl_add_u64 v[26:27], v[34:35], 0, v[80:81]
	flat_load_dword v25, v[26:27]
	v_lshl_add_u64 v[26:27], v[32:33], 0, v[80:81]
	s_waitcnt vmcnt(0) lgkmcnt(0)
	v_mul_f32_e32 v25, s15, v25
	v_min_f32_e32 v24, v25, v24
	flat_store_dword v[26:27], v24
	v_lshl_add_u64 v[24:25], v[66:67], 2, v[34:35]
	flat_load_dword v24, v[24:25]
	s_waitcnt vmcnt(0) lgkmcnt(0)
	v_mul_f32_e32 v25, s15, v24
.LBB4_131:
	v_pk_add_f32 v[20:21], v[20:21], v[4:5]
	v_pk_add_f32 v[16:17], v[16:17], v[4:5]
	v_min3_f32 v20, v20, v21, v94
	v_min3_f32 v21, v16, v17, v95
	v_pk_add_f32 v[16:17], v[22:23], v[6:7]
	s_mov_b64 s[0:1], -1
	v_min_f32_e32 v22, v16, v17
	v_pk_add_f32 v[16:17], v[18:19], v[6:7]
	v_min3_f32 v19, v25, v22, v20
	v_min3_f32 v18, v16, v17, v21
	v_lshl_add_u64 v[16:17], v[66:67], 2, v[32:33]
	flat_store_dword v[16:17], v19
	v_max_f32_e32 v16, v18, v18
	s_mov_b64 vcc, s[4:5]
	s_cbranch_vccz .LBB4_133
; %bb.132:
	v_min_f32_e32 v17, 0, v16
	v_lshl_add_u64 v[18:19], v[78:79], 2, v[32:33]
	flat_store_dword v[18:19], v17
	s_mov_b64 s[0:1], 0
.LBB4_133:
	s_andn2_b64 vcc, exec, s[0:1]
	v_mov_b32_e32 v17, 0
	s_cbranch_vccnz .LBB4_135
; %bb.134:
	v_lshl_add_u64 v[18:19], v[34:35], 0, v[82:83]
	flat_load_dword v17, v[18:19]
	v_lshl_add_u64 v[18:19], v[32:33], 0, v[82:83]
	s_waitcnt vmcnt(0) lgkmcnt(0)
	v_mul_f32_e32 v17, s15, v17
	v_min_f32_e32 v16, v17, v16
	flat_store_dword v[18:19], v16
	v_lshl_add_u64 v[16:17], v[68:69], 2, v[34:35]
	flat_load_dword v16, v[16:17]
	s_waitcnt vmcnt(0) lgkmcnt(0)
	v_mul_f32_e32 v17, s15, v16
.LBB4_135:
	v_pk_add_f32 v[12:13], v[12:13], v[4:5]
	v_pk_add_f32 v[8:9], v[8:9], v[4:5]
	v_min3_f32 v12, v12, v13, v92
	v_min3_f32 v13, v8, v9, v93
	v_pk_add_f32 v[8:9], v[14:15], v[6:7]
	s_mov_b64 s[0:1], -1
	v_min_f32_e32 v14, v8, v9
	v_pk_add_f32 v[8:9], v[10:11], v[6:7]
	v_min3_f32 v11, v17, v14, v12
	v_min3_f32 v10, v8, v9, v13
	v_lshl_add_u64 v[8:9], v[68:69], 2, v[32:33]
	flat_store_dword v[8:9], v11
	v_max_f32_e32 v8, v10, v10
	s_mov_b64 vcc, s[4:5]
	s_cbranch_vccz .LBB4_137
; %bb.136:
	v_min_f32_e32 v9, 0, v8
	v_lshl_add_u64 v[10:11], v[84:85], 2, v[32:33]
	flat_store_dword v[10:11], v9
	s_mov_b64 s[0:1], 0
.LBB4_137:
	s_andn2_b64 vcc, exec, s[0:1]
	v_mov_b32_e32 v9, 0
	s_cbranch_vccnz .LBB4_139
; %bb.138:
	v_lshl_add_u64 v[10:11], v[34:35], 0, v[86:87]
	flat_load_dword v9, v[10:11]
	v_lshl_add_u64 v[10:11], v[32:33], 0, v[86:87]
	s_waitcnt vmcnt(0) lgkmcnt(0)
	v_mul_f32_e32 v9, s15, v9
	v_min_f32_e32 v8, v9, v8
	flat_store_dword v[10:11], v8
	v_lshl_add_u64 v[8:9], v[72:73], 2, v[34:35]
	flat_load_dword v8, v[8:9]
	s_waitcnt vmcnt(0) lgkmcnt(0)
	v_mul_f32_e32 v9, s15, v8
.LBB4_139:
	v_pk_add_f32 v[2:3], v[2:3], v[6:7]
	v_pk_add_f32 v[0:1], v[0:1], v[4:5]
	v_min_f32_e32 v2, v2, v3
	v_min3_f32 v0, v0, v1, v98
	v_min3_f32 v2, v9, v2, v0
	v_lshl_add_u64 v[0:1], v[72:73], 2, v[32:33]
	flat_store_dword v[0:1], v2
	s_endpgm
	.section	.rodata,"a",@progbits
	.p2align	6, 0x0
	.amdhsa_kernel _ZN12_GLOBAL__N_120geam_min_plus_kernelIf15HIP_vector_typeIfLj2EEfLi32ELi8ELi256ELi64ELi4ELi64ELi4ELi4ELi64ELc78ELc78ELb1ELb0ELb1EfKPKfKPfEEviiiT16_PT17_ilSA_ilS8_SA_ilPT18_ili26rocblas_geam_ex_operation_
		.amdhsa_group_segment_fixed_size 10240
		.amdhsa_private_segment_fixed_size 0
		.amdhsa_kernarg_size 128
		.amdhsa_user_sgpr_count 2
		.amdhsa_user_sgpr_dispatch_ptr 0
		.amdhsa_user_sgpr_queue_ptr 0
		.amdhsa_user_sgpr_kernarg_segment_ptr 1
		.amdhsa_user_sgpr_dispatch_id 0
		.amdhsa_user_sgpr_kernarg_preload_length 0
		.amdhsa_user_sgpr_kernarg_preload_offset 0
		.amdhsa_user_sgpr_private_segment_size 0
		.amdhsa_uses_dynamic_stack 0
		.amdhsa_enable_private_segment 0
		.amdhsa_system_sgpr_workgroup_id_x 1
		.amdhsa_system_sgpr_workgroup_id_y 0
		.amdhsa_system_sgpr_workgroup_id_z 1
		.amdhsa_system_sgpr_workgroup_info 0
		.amdhsa_system_vgpr_workitem_id 1
		.amdhsa_next_free_vgpr 177
		.amdhsa_next_free_sgpr 22
		.amdhsa_accum_offset 180
		.amdhsa_reserve_vcc 1
		.amdhsa_float_round_mode_32 0
		.amdhsa_float_round_mode_16_64 0
		.amdhsa_float_denorm_mode_32 3
		.amdhsa_float_denorm_mode_16_64 3
		.amdhsa_dx10_clamp 1
		.amdhsa_ieee_mode 1
		.amdhsa_fp16_overflow 0
		.amdhsa_tg_split 0
		.amdhsa_exception_fp_ieee_invalid_op 0
		.amdhsa_exception_fp_denorm_src 0
		.amdhsa_exception_fp_ieee_div_zero 0
		.amdhsa_exception_fp_ieee_overflow 0
		.amdhsa_exception_fp_ieee_underflow 0
		.amdhsa_exception_fp_ieee_inexact 0
		.amdhsa_exception_int_div_zero 0
	.end_amdhsa_kernel
	.section	.text._ZN12_GLOBAL__N_120geam_min_plus_kernelIf15HIP_vector_typeIfLj2EEfLi32ELi8ELi256ELi64ELi4ELi64ELi4ELi4ELi64ELc78ELc78ELb1ELb0ELb1EfKPKfKPfEEviiiT16_PT17_ilSA_ilS8_SA_ilPT18_ili26rocblas_geam_ex_operation_,"axG",@progbits,_ZN12_GLOBAL__N_120geam_min_plus_kernelIf15HIP_vector_typeIfLj2EEfLi32ELi8ELi256ELi64ELi4ELi64ELi4ELi4ELi64ELc78ELc78ELb1ELb0ELb1EfKPKfKPfEEviiiT16_PT17_ilSA_ilS8_SA_ilPT18_ili26rocblas_geam_ex_operation_,comdat
.Lfunc_end4:
	.size	_ZN12_GLOBAL__N_120geam_min_plus_kernelIf15HIP_vector_typeIfLj2EEfLi32ELi8ELi256ELi64ELi4ELi64ELi4ELi4ELi64ELc78ELc78ELb1ELb0ELb1EfKPKfKPfEEviiiT16_PT17_ilSA_ilS8_SA_ilPT18_ili26rocblas_geam_ex_operation_, .Lfunc_end4-_ZN12_GLOBAL__N_120geam_min_plus_kernelIf15HIP_vector_typeIfLj2EEfLi32ELi8ELi256ELi64ELi4ELi64ELi4ELi4ELi64ELc78ELc78ELb1ELb0ELb1EfKPKfKPfEEviiiT16_PT17_ilSA_ilS8_SA_ilPT18_ili26rocblas_geam_ex_operation_
                                        ; -- End function
	.set _ZN12_GLOBAL__N_120geam_min_plus_kernelIf15HIP_vector_typeIfLj2EEfLi32ELi8ELi256ELi64ELi4ELi64ELi4ELi4ELi64ELc78ELc78ELb1ELb0ELb1EfKPKfKPfEEviiiT16_PT17_ilSA_ilS8_SA_ilPT18_ili26rocblas_geam_ex_operation_.num_vgpr, 177
	.set _ZN12_GLOBAL__N_120geam_min_plus_kernelIf15HIP_vector_typeIfLj2EEfLi32ELi8ELi256ELi64ELi4ELi64ELi4ELi4ELi64ELc78ELc78ELb1ELb0ELb1EfKPKfKPfEEviiiT16_PT17_ilSA_ilS8_SA_ilPT18_ili26rocblas_geam_ex_operation_.num_agpr, 0
	.set _ZN12_GLOBAL__N_120geam_min_plus_kernelIf15HIP_vector_typeIfLj2EEfLi32ELi8ELi256ELi64ELi4ELi64ELi4ELi4ELi64ELc78ELc78ELb1ELb0ELb1EfKPKfKPfEEviiiT16_PT17_ilSA_ilS8_SA_ilPT18_ili26rocblas_geam_ex_operation_.numbered_sgpr, 22
	.set _ZN12_GLOBAL__N_120geam_min_plus_kernelIf15HIP_vector_typeIfLj2EEfLi32ELi8ELi256ELi64ELi4ELi64ELi4ELi4ELi64ELc78ELc78ELb1ELb0ELb1EfKPKfKPfEEviiiT16_PT17_ilSA_ilS8_SA_ilPT18_ili26rocblas_geam_ex_operation_.num_named_barrier, 0
	.set _ZN12_GLOBAL__N_120geam_min_plus_kernelIf15HIP_vector_typeIfLj2EEfLi32ELi8ELi256ELi64ELi4ELi64ELi4ELi4ELi64ELc78ELc78ELb1ELb0ELb1EfKPKfKPfEEviiiT16_PT17_ilSA_ilS8_SA_ilPT18_ili26rocblas_geam_ex_operation_.private_seg_size, 0
	.set _ZN12_GLOBAL__N_120geam_min_plus_kernelIf15HIP_vector_typeIfLj2EEfLi32ELi8ELi256ELi64ELi4ELi64ELi4ELi4ELi64ELc78ELc78ELb1ELb0ELb1EfKPKfKPfEEviiiT16_PT17_ilSA_ilS8_SA_ilPT18_ili26rocblas_geam_ex_operation_.uses_vcc, 1
	.set _ZN12_GLOBAL__N_120geam_min_plus_kernelIf15HIP_vector_typeIfLj2EEfLi32ELi8ELi256ELi64ELi4ELi64ELi4ELi4ELi64ELc78ELc78ELb1ELb0ELb1EfKPKfKPfEEviiiT16_PT17_ilSA_ilS8_SA_ilPT18_ili26rocblas_geam_ex_operation_.uses_flat_scratch, 0
	.set _ZN12_GLOBAL__N_120geam_min_plus_kernelIf15HIP_vector_typeIfLj2EEfLi32ELi8ELi256ELi64ELi4ELi64ELi4ELi4ELi64ELc78ELc78ELb1ELb0ELb1EfKPKfKPfEEviiiT16_PT17_ilSA_ilS8_SA_ilPT18_ili26rocblas_geam_ex_operation_.has_dyn_sized_stack, 0
	.set _ZN12_GLOBAL__N_120geam_min_plus_kernelIf15HIP_vector_typeIfLj2EEfLi32ELi8ELi256ELi64ELi4ELi64ELi4ELi4ELi64ELc78ELc78ELb1ELb0ELb1EfKPKfKPfEEviiiT16_PT17_ilSA_ilS8_SA_ilPT18_ili26rocblas_geam_ex_operation_.has_recursion, 0
	.set _ZN12_GLOBAL__N_120geam_min_plus_kernelIf15HIP_vector_typeIfLj2EEfLi32ELi8ELi256ELi64ELi4ELi64ELi4ELi4ELi64ELc78ELc78ELb1ELb0ELb1EfKPKfKPfEEviiiT16_PT17_ilSA_ilS8_SA_ilPT18_ili26rocblas_geam_ex_operation_.has_indirect_call, 0
	.section	.AMDGPU.csdata,"",@progbits
; Kernel info:
; codeLenInByte = 15724
; TotalNumSgprs: 28
; NumVgprs: 177
; NumAgprs: 0
; TotalNumVgprs: 177
; ScratchSize: 0
; MemoryBound: 0
; FloatMode: 240
; IeeeMode: 1
; LDSByteSize: 10240 bytes/workgroup (compile time only)
; SGPRBlocks: 3
; VGPRBlocks: 22
; NumSGPRsForWavesPerEU: 28
; NumVGPRsForWavesPerEU: 177
; AccumOffset: 180
; Occupancy: 2
; WaveLimiterHint : 1
; COMPUTE_PGM_RSRC2:SCRATCH_EN: 0
; COMPUTE_PGM_RSRC2:USER_SGPR: 2
; COMPUTE_PGM_RSRC2:TRAP_HANDLER: 0
; COMPUTE_PGM_RSRC2:TGID_X_EN: 1
; COMPUTE_PGM_RSRC2:TGID_Y_EN: 0
; COMPUTE_PGM_RSRC2:TGID_Z_EN: 1
; COMPUTE_PGM_RSRC2:TIDIG_COMP_CNT: 1
; COMPUTE_PGM_RSRC3_GFX90A:ACCUM_OFFSET: 44
; COMPUTE_PGM_RSRC3_GFX90A:TG_SPLIT: 0
	.section	.text._ZN12_GLOBAL__N_120geam_min_plus_kernelIf15HIP_vector_typeIfLj2EEfLi32ELi8ELi256ELi64ELi4ELi64ELi4ELi4ELi64ELc78ELc78ELb0ELb0ELb1EfKPKfKPfEEviiiT16_PT17_ilSA_ilS8_SA_ilPT18_ili26rocblas_geam_ex_operation_,"axG",@progbits,_ZN12_GLOBAL__N_120geam_min_plus_kernelIf15HIP_vector_typeIfLj2EEfLi32ELi8ELi256ELi64ELi4ELi64ELi4ELi4ELi64ELc78ELc78ELb0ELb0ELb1EfKPKfKPfEEviiiT16_PT17_ilSA_ilS8_SA_ilPT18_ili26rocblas_geam_ex_operation_,comdat
	.globl	_ZN12_GLOBAL__N_120geam_min_plus_kernelIf15HIP_vector_typeIfLj2EEfLi32ELi8ELi256ELi64ELi4ELi64ELi4ELi4ELi64ELc78ELc78ELb0ELb0ELb1EfKPKfKPfEEviiiT16_PT17_ilSA_ilS8_SA_ilPT18_ili26rocblas_geam_ex_operation_ ; -- Begin function _ZN12_GLOBAL__N_120geam_min_plus_kernelIf15HIP_vector_typeIfLj2EEfLi32ELi8ELi256ELi64ELi4ELi64ELi4ELi4ELi64ELc78ELc78ELb0ELb0ELb1EfKPKfKPfEEviiiT16_PT17_ilSA_ilS8_SA_ilPT18_ili26rocblas_geam_ex_operation_
	.p2align	8
	.type	_ZN12_GLOBAL__N_120geam_min_plus_kernelIf15HIP_vector_typeIfLj2EEfLi32ELi8ELi256ELi64ELi4ELi64ELi4ELi4ELi64ELc78ELc78ELb0ELb0ELb1EfKPKfKPfEEviiiT16_PT17_ilSA_ilS8_SA_ilPT18_ili26rocblas_geam_ex_operation_,@function
_ZN12_GLOBAL__N_120geam_min_plus_kernelIf15HIP_vector_typeIfLj2EEfLi32ELi8ELi256ELi64ELi4ELi64ELi4ELi4ELi64ELc78ELc78ELb0ELb0ELb1EfKPKfKPfEEviiiT16_PT17_ilSA_ilS8_SA_ilPT18_ili26rocblas_geam_ex_operation_: ; @_ZN12_GLOBAL__N_120geam_min_plus_kernelIf15HIP_vector_typeIfLj2EEfLi32ELi8ELi256ELi64ELi4ELi64ELi4ELi4ELi64ELc78ELc78ELb0ELb0ELb1EfKPKfKPfEEviiiT16_PT17_ilSA_ilS8_SA_ilPT18_ili26rocblas_geam_ex_operation_
; %bb.0:
	s_load_dwordx2 s[18:19], s[0:1], 0x8
	s_load_dwordx4 s[8:11], s[0:1], 0x20
	s_mov_b32 s6, s3
	s_mov_b32 s7, 0
	s_waitcnt lgkmcnt(0)
	v_cmp_eq_f32_e64 s[12:13], s19, 0
	s_and_b64 s[4:5], exec, s[12:13]
	s_mov_b64 vcc, s[4:5]
	s_cbranch_vccnz .LBB5_3
; %bb.1:
	s_load_dwordx2 s[14:15], s[0:1], 0x10
	s_lshl_b64 s[16:17], s[6:7], 3
	s_waitcnt lgkmcnt(0)
	s_add_u32 s14, s14, s16
	s_addc_u32 s15, s15, s17
	s_load_dwordx2 s[14:15], s[14:15], 0x0
	s_lshl_b64 s[8:9], s[8:9], 2
	s_waitcnt lgkmcnt(0)
	s_add_u32 s20, s14, s8
	s_addc_u32 s21, s15, s9
	s_andn2_b64 vcc, exec, s[12:13]
	s_cbranch_vccnz .LBB5_4
.LBB5_2:
	s_mov_b32 s27, 0
	s_mov_b32 s26, s6
	s_mov_b64 s[16:17], 0
	s_mov_b64 s[22:23], 0
	s_cbranch_execz .LBB5_5
	s_branch .LBB5_6
.LBB5_3:
	s_mov_b64 s[20:21], 0
	s_andn2_b64 vcc, exec, s[12:13]
	s_cbranch_vccz .LBB5_2
.LBB5_4:
	s_mov_b64 s[26:27], s[6:7]
	s_mov_b64 s[16:17], 0
	;; [unrolled: 1-line block ×3, first 2 shown]
.LBB5_5:
	s_lshl_b64 s[6:7], s[6:7], 3
	s_add_u32 s6, s10, s6
	s_load_dwordx2 s[8:9], s[0:1], 0x38
	s_addc_u32 s7, s11, s7
	s_load_dwordx2 s[6:7], s[6:7], 0x0
	s_waitcnt lgkmcnt(0)
	s_lshl_b64 s[8:9], s[8:9], 2
	s_add_u32 s22, s6, s8
	s_addc_u32 s23, s7, s9
.LBB5_6:
	s_load_dword s28, s[0:1], 0x40
	s_load_dwordx4 s[12:15], s[0:1], 0x58
	v_cmp_neq_f32_e64 s[24:25], s19, 0
	s_waitcnt lgkmcnt(0)
	v_cmp_eq_f32_e64 s[6:7], s28, 0
	s_and_b64 s[8:9], exec, s[6:7]
	s_mov_b64 vcc, s[8:9]
	s_cbranch_vccnz .LBB5_8
; %bb.7:
	s_load_dwordx2 s[6:7], s[0:1], 0x48
	s_lshl_b64 s[10:11], s[26:27], 3
	s_waitcnt lgkmcnt(0)
	s_add_u32 s6, s6, s10
	s_addc_u32 s7, s7, s11
	s_load_dwordx2 s[6:7], s[6:7], 0x0
	s_lshl_b64 s[10:11], s[12:13], 2
	s_waitcnt lgkmcnt(0)
	s_add_u32 s16, s6, s10
	s_addc_u32 s17, s7, s11
.LBB5_8:
	s_load_dword s3, s[0:1], 0x0
	s_load_dword s12, s[0:1], 0x18
	s_lshl_b64 s[6:7], s[26:27], 3
	s_add_u32 s10, s14, s6
	s_addc_u32 s11, s15, s7
	s_waitcnt lgkmcnt(0)
	s_add_i32 s3, s3, -1
	s_ashr_i32 s6, s3, 31
	s_lshr_b32 s6, s6, 24
	s_add_i32 s3, s3, s6
	s_ashr_i32 s3, s3, 8
	s_add_i32 s6, s3, 1
	v_cvt_f32_u32_e32 v1, s6
	v_and_b32_e32 v78, 0x3ff, v0
	v_bfe_u32 v79, v0, 10, 10
	s_not_b32 s3, s3
	v_rcp_iflag_f32_e32 v1, v1
	v_lshl_add_u32 v2, v79, 5, v78
	v_and_b32_e32 v47, 63, v2
	v_lshrrev_b32_e32 v46, 6, v2
	v_mul_f32_e32 v0, 0x4f7ffffe, v1
	v_cvt_u32_f32_e32 v0, v0
	v_cndmask_b32_e64 v4, 0, 1, s[24:25]
	v_mov_b32_e32 v3, 0
	v_readfirstlane_b32 s7, v0
	s_mul_i32 s3, s3, s7
	s_mul_hi_u32 s3, s7, s3
	s_add_i32 s7, s7, s3
	s_mul_hi_u32 s3, s2, s7
	s_mul_i32 s7, s3, s6
	s_sub_i32 s7, s2, s7
	s_add_i32 s13, s3, 1
	s_sub_i32 s14, s7, s6
	s_cmp_ge_u32 s7, s6
	s_cselect_b32 s3, s13, s3
	s_cselect_b32 s7, s14, s7
	s_add_i32 s13, s3, 1
	s_cmp_ge_u32 s7, s6
	s_cselect_b32 s27, s13, s3
	s_mul_i32 s3, s27, s6
	s_sub_i32 s6, s2, s3
	s_lshl_b32 s26, s6, 8
	v_or_b32_e32 v8, s26, v47
	v_mad_i64_i32 v[0:1], s[6:7], s12, v46, 0
	v_lshl_add_u64 v[0:1], v[0:1], 2, s[20:21]
	v_cmp_ne_u32_e64 s[6:7], 1, v4
	s_andn2_b64 vcc, exec, s[24:25]
	v_ashrrev_i32_e32 v9, 31, v8
	v_mov_b32_e32 v4, 0
	s_cbranch_vccnz .LBB5_10
; %bb.9:
	v_lshl_add_u64 v[4:5], v[8:9], 2, v[0:1]
	flat_load_dword v3, v[4:5]
	flat_load_dword v6, v[4:5] offset:256
	s_waitcnt vmcnt(0) lgkmcnt(0)
	v_mul_f32_e32 v4, s19, v3
	v_mul_f32_e32 v3, s19, v6
.LBB5_10:
	s_ashr_i32 s13, s12, 31
	s_mov_b64 vcc, s[4:5]
	s_cbranch_vccz .LBB5_12
; %bb.11:
	s_mov_b32 s14, 0
	v_mov_b32_e32 v6, s14
	v_mov_b32_e32 v5, 0
	;; [unrolled: 1-line block ×3, first 2 shown]
	s_cbranch_execz .LBB5_13
	s_branch .LBB5_14
.LBB5_12:
                                        ; implicit-def: $vgpr6
	v_mov_b32_e32 v5, 0
	v_mov_b32_e32 v7, 0
.LBB5_13:
	v_lshl_add_u64 v[0:1], v[8:9], 2, v[0:1]
	flat_load_dword v6, v[0:1] offset:512
	flat_load_dword v7, v[0:1] offset:768
	s_waitcnt vmcnt(0) lgkmcnt(0)
	v_mul_f32_e32 v6, s19, v6
	v_mul_f32_e32 v7, s19, v7
.LBB5_14:
	s_load_dword s25, s[0:1], 0x30
	v_and_b32_e32 v0, 3, v78
	v_lshrrev_b32_e32 v12, 2, v2
	s_lshl_b32 s24, s27, 6
	s_and_b64 vcc, exec, s[6:7]
	v_add_u32_e32 v48, s24, v12
	v_lshlrev_b32_e32 v44, 2, v0
	s_cbranch_vccnz .LBB5_16
; %bb.15:
	s_waitcnt lgkmcnt(0)
	v_mad_i64_i32 v[0:1], s[14:15], v48, s25, 0
	v_lshl_add_u64 v[0:1], v[0:1], 2, s[22:23]
	v_mov_b32_e32 v45, 0
	v_lshl_add_u64 v[0:1], v[0:1], 0, v[44:45]
	flat_load_dword v0, v[0:1]
	s_waitcnt vmcnt(0) lgkmcnt(0)
	v_mul_f32_e32 v5, s19, v0
.LBB5_16:
	v_add_u32_e32 v0, 4, v46
	v_mad_i64_i32 v[0:1], s[14:15], s12, v0, 0
	v_lshl_add_u64 v[10:11], v[0:1], 2, s[20:21]
	v_mov_b32_e32 v1, 0
	s_and_b64 vcc, exec, s[6:7]
	v_mov_b32_e32 v0, 0
	s_cbranch_vccnz .LBB5_18
; %bb.17:
	v_lshl_add_u64 v[0:1], v[8:9], 2, v[10:11]
	flat_load_dword v2, v[0:1]
	flat_load_dword v13, v[0:1] offset:256
	s_waitcnt vmcnt(0) lgkmcnt(0)
	v_mul_f32_e32 v0, s19, v2
	v_mul_f32_e32 v1, s19, v13
.LBB5_18:
	s_mov_b64 vcc, s[4:5]
	s_cbranch_vccz .LBB5_20
; %bb.19:
	s_mov_b32 s14, 0
	v_mov_b32_e32 v2, s14
	v_mov_b32_e32 v45, 0
	;; [unrolled: 1-line block ×3, first 2 shown]
	s_cbranch_execz .LBB5_21
	s_branch .LBB5_22
.LBB5_20:
                                        ; implicit-def: $vgpr2
	v_mov_b32_e32 v45, 0
	v_mov_b32_e32 v49, 0
.LBB5_21:
	v_lshl_add_u64 v[8:9], v[8:9], 2, v[10:11]
	flat_load_dword v2, v[8:9] offset:512
	flat_load_dword v10, v[8:9] offset:768
	s_waitcnt vmcnt(0) lgkmcnt(0)
	v_mul_f32_e32 v2, s19, v2
	v_mul_f32_e32 v49, s19, v10
.LBB5_22:
	s_and_b64 vcc, exec, s[6:7]
	s_cbranch_vccnz .LBB5_24
; %bb.23:
	s_waitcnt lgkmcnt(0)
	v_mad_i64_i32 v[8:9], s[14:15], v48, s25, 0
	v_lshl_add_u64 v[8:9], v[8:9], 2, s[22:23]
	v_mov_b32_e32 v45, 0
	v_lshl_add_u64 v[8:9], v[8:9], 0, v[44:45]
	flat_load_dword v8, v[8:9] offset:16
	s_waitcnt vmcnt(0) lgkmcnt(0)
	v_mul_f32_e32 v45, s19, v8
.LBB5_24:
	v_lshlrev_b32_e32 v8, 4, v47
	v_lshl_add_u32 v82, v46, 2, v8
	s_load_dwordx2 s[10:11], s[10:11], 0x0
	ds_write2st64_b32 v82, v4, v3 offset1:4
	ds_write2st64_b32 v82, v6, v7 offset0:8 offset1:12
	v_lshl_or_b32 v3, v12, 4, v44
	v_lshlrev_b32_e32 v81, 4, v78
	ds_write_b32 v3, v5 offset:8192
	s_waitcnt lgkmcnt(0)
	s_barrier
	v_lshlrev_b32_e32 v80, 4, v79
	ds_read_b128 v[32:35], v81
	ds_read_b128 v[28:31], v81 offset:512
	ds_read_b128 v[24:27], v81 offset:1024
	;; [unrolled: 1-line block ×12, first 2 shown]
	s_waitcnt lgkmcnt(4)
	v_pk_add_f32 v[62:63], v[32:33], v[50:51]
	s_mov_b32 s14, 0x7f7fffff
	v_min3_f32 v66, v62, v63, s14
	v_pk_add_f32 v[62:63], v[28:29], v[50:51]
	s_cmp_lt_i32 s18, 9
	v_min3_f32 v67, v62, v63, s14
	v_pk_add_f32 v[62:63], v[24:25], v[50:51]
	s_nop 0
	v_min3_f32 v68, v62, v63, s14
	v_pk_add_f32 v[62:63], v[20:21], v[50:51]
	s_nop 0
	;; [unrolled: 3-line block ×4, first 2 shown]
	v_min3_f32 v71, v62, v63, s14
	v_pk_add_f32 v[62:63], v[8:9], v[50:51]
	v_pk_add_f32 v[50:51], v[4:5], v[50:51]
	v_min3_f32 v72, v62, v63, s14
	v_min3_f32 v73, v50, v51, s14
	s_waitcnt lgkmcnt(3)
	v_pk_add_f32 v[50:51], v[32:33], v[54:55]
	ds_read_b128 v[62:65], v80 offset:8832
	v_min3_f32 v74, v50, v51, s14
	v_pk_add_f32 v[50:51], v[28:29], v[54:55]
	s_nop 0
	v_min3_f32 v75, v50, v51, s14
	v_pk_add_f32 v[50:51], v[24:25], v[54:55]
	s_nop 0
	;; [unrolled: 3-line block ×7, first 2 shown]
	v_min3_f32 v54, v50, v51, s14
	s_waitcnt lgkmcnt(3)
	v_pk_add_f32 v[50:51], v[32:33], v[58:59]
	s_nop 0
	v_min3_f32 v55, v50, v51, s14
	v_pk_add_f32 v[50:51], v[28:29], v[58:59]
	s_nop 0
	v_min3_f32 v92, v50, v51, s14
	;; [unrolled: 3-line block ×8, first 2 shown]
	s_waitcnt lgkmcnt(2)
	v_pk_add_f32 v[50:51], v[32:33], v[40:41]
	s_nop 0
	v_min3_f32 v59, v50, v51, s14
	v_pk_add_f32 v[50:51], v[28:29], v[40:41]
	s_nop 0
	v_min3_f32 v98, v50, v51, s14
	;; [unrolled: 3-line block ×6, first 2 shown]
	v_pk_add_f32 v[50:51], v[8:9], v[40:41]
	v_pk_add_f32 v[40:41], v[4:5], v[40:41]
	v_min3_f32 v50, v50, v51, s14
	v_min3_f32 v51, v40, v41, s14
	s_waitcnt lgkmcnt(1)
	v_pk_add_f32 v[40:41], v[32:33], v[36:37]
	s_nop 0
	v_min3_f32 v103, v40, v41, s14
	v_pk_add_f32 v[40:41], v[28:29], v[36:37]
	s_nop 0
	v_min3_f32 v104, v40, v41, s14
	;; [unrolled: 3-line block ×6, first 2 shown]
	v_pk_add_f32 v[40:41], v[8:9], v[36:37]
	v_pk_add_f32 v[36:37], v[4:5], v[36:37]
	v_min3_f32 v109, v40, v41, s14
	v_pk_add_f32 v[40:41], v[34:35], v[52:53]
	s_nop 0
	v_min3_f32 v88, v40, v41, v66
	v_pk_add_f32 v[40:41], v[30:31], v[52:53]
	v_min3_f32 v66, v36, v37, s14
	s_waitcnt lgkmcnt(0)
	v_pk_add_f32 v[36:37], v[32:33], v[62:63]
	v_min3_f32 v149, v40, v41, v67
	v_min3_f32 v67, v36, v37, s14
	v_pk_add_f32 v[36:37], v[6:7], v[56:57]
	v_pk_add_f32 v[40:41], v[26:27], v[52:53]
	v_min3_f32 v140, v36, v37, v54
	v_pk_add_f32 v[36:37], v[34:35], v[60:61]
	v_min3_f32 v87, v40, v41, v68
	v_min3_f32 v139, v36, v37, v55
	v_pk_add_f32 v[36:37], v[30:31], v[60:61]
	v_pk_add_f32 v[40:41], v[22:23], v[52:53]
	v_min3_f32 v138, v36, v37, v92
	;; [unrolled: 6-line block ×5, first 2 shown]
	v_pk_add_f32 v[36:37], v[16:17], v[62:63]
	v_min3_f32 v84, v40, v41, v72
	v_pk_add_f32 v[40:41], v[6:7], v[52:53]
	v_min3_f32 v55, v36, v37, s14
	;; [unrolled: 2-line block ×25, first 2 shown]
	ds_read_b128 v[40:43], v80 offset:8960
	ds_read_b128 v[50:53], v80 offset:9088
	v_min3_f32 v121, v36, v37, v105
	v_pk_add_f32 v[36:37], v[22:23], v[38:39]
	ds_write2st64_b32 v82, v0, v1 offset0:16 offset1:20
	ds_write2st64_b32 v82, v2, v49 offset0:24 offset1:28
	ds_write_b32 v3, v45 offset:9216
	v_min3_f32 v120, v36, v37, v106
	v_pk_add_f32 v[36:37], v[18:19], v[38:39]
	s_waitcnt lgkmcnt(0)
	v_min3_f32 v119, v36, v37, v107
	v_pk_add_f32 v[36:37], v[14:15], v[38:39]
	s_barrier
	v_min3_f32 v116, v36, v37, v108
	v_pk_add_f32 v[36:37], v[10:11], v[38:39]
	s_nop 0
	v_min3_f32 v115, v36, v37, v109
	v_pk_add_f32 v[36:37], v[4:5], v[62:63]
	s_nop 0
	v_min3_f32 v58, v36, v37, s14
	v_pk_add_f32 v[36:37], v[32:33], v[40:41]
	v_pk_add_f32 v[32:33], v[32:33], v[50:51]
	v_min3_f32 v59, v36, v37, s14
	v_pk_add_f32 v[36:37], v[6:7], v[38:39]
	v_pk_add_f32 v[38:39], v[28:29], v[40:41]
	v_min3_f32 v118, v36, v37, v66
	v_pk_add_f32 v[36:37], v[34:35], v[64:65]
	v_min3_f32 v62, v38, v39, s14
	v_min3_f32 v117, v36, v37, v67
	v_pk_add_f32 v[36:37], v[30:31], v[64:65]
	v_pk_add_f32 v[38:39], v[24:25], v[40:41]
	v_min3_f32 v114, v36, v37, v56
	v_pk_add_f32 v[36:37], v[26:27], v[64:65]
	v_min3_f32 v63, v38, v39, s14
	v_min3_f32 v113, v36, v37, v57
	v_pk_add_f32 v[36:37], v[22:23], v[64:65]
	v_pk_add_f32 v[38:39], v[12:13], v[40:41]
	v_min3_f32 v112, v36, v37, v54
	v_pk_add_f32 v[36:37], v[18:19], v[64:65]
	v_min3_f32 v56, v38, v39, s14
	v_min3_f32 v111, v36, v37, v55
	v_pk_add_f32 v[36:37], v[14:15], v[64:65]
	v_pk_add_f32 v[38:39], v[8:9], v[40:41]
	v_min3_f32 v110, v36, v37, v60
	v_pk_add_f32 v[36:37], v[10:11], v[64:65]
	v_min3_f32 v38, v38, v39, s14
	v_min3_f32 v109, v36, v37, v61
	v_pk_add_f32 v[36:37], v[20:21], v[40:41]
	v_pk_add_f32 v[24:25], v[24:25], v[50:51]
	v_min3_f32 v54, v36, v37, s14
	v_pk_add_f32 v[36:37], v[16:17], v[40:41]
	v_pk_add_f32 v[8:9], v[8:9], v[50:51]
	v_min3_f32 v55, v36, v37, s14
	v_pk_add_f32 v[36:37], v[6:7], v[64:65]
	v_min3_f32 v24, v24, v25, s14
	v_min3_f32 v108, v36, v37, v58
	v_pk_add_f32 v[36:37], v[34:35], v[42:43]
	v_pk_add_f32 v[20:21], v[20:21], v[50:51]
	v_min3_f32 v107, v36, v37, v59
	v_pk_add_f32 v[36:37], v[30:31], v[42:43]
	v_min3_f32 v8, v8, v9, s14
	v_min3_f32 v106, v36, v37, v62
	v_pk_add_f32 v[36:37], v[26:27], v[42:43]
	v_min3_f32 v20, v20, v21, s14
	v_min3_f32 v105, v36, v37, v63
	v_pk_add_f32 v[36:37], v[22:23], v[42:43]
	v_pk_add_f32 v[16:17], v[16:17], v[50:51]
	v_min3_f32 v104, v36, v37, v54
	v_pk_add_f32 v[36:37], v[18:19], v[42:43]
	v_min3_f32 v21, v16, v17, s14
	v_min3_f32 v103, v36, v37, v55
	v_pk_add_f32 v[36:37], v[14:15], v[42:43]
	v_pk_add_f32 v[12:13], v[12:13], v[50:51]
	v_min3_f32 v102, v36, v37, v56
	v_pk_add_f32 v[36:37], v[10:11], v[42:43]
	v_min3_f32 v12, v12, v13, s14
	v_min3_f32 v101, v36, v37, v38
	v_pk_add_f32 v[36:37], v[4:5], v[40:41]
	v_pk_add_f32 v[4:5], v[4:5], v[50:51]
	v_min3_f32 v38, v36, v37, s14
	v_min3_f32 v9, v4, v5, s14
	v_pk_add_f32 v[4:5], v[26:27], v[52:53]
	v_pk_add_f32 v[36:37], v[6:7], v[42:43]
	v_min3_f32 v98, v4, v5, v24
	v_pk_add_f32 v[4:5], v[22:23], v[52:53]
	v_pk_add_f32 v[28:29], v[28:29], v[50:51]
	v_min3_f32 v96, v4, v5, v20
	v_pk_add_f32 v[4:5], v[18:19], v[52:53]
	v_min3_f32 v99, v36, v37, v38
	v_min3_f32 v95, v4, v5, v21
	v_pk_add_f32 v[4:5], v[14:15], v[52:53]
	v_min3_f32 v36, v32, v33, s14
	v_min3_f32 v94, v4, v5, v12
	v_pk_add_f32 v[4:5], v[10:11], v[52:53]
	v_pk_add_f32 v[32:33], v[34:35], v[52:53]
	v_min3_f32 v28, v28, v29, s14
	v_pk_add_f32 v[16:17], v[30:31], v[52:53]
	v_min3_f32 v93, v4, v5, v8
	;; [unrolled: 2-line block ×3, first 2 shown]
	v_min3_f32 v97, v16, v17, v28
	v_min3_f32 v92, v4, v5, v9
	s_cbranch_scc1 .LBB5_47
; %bb.25:
	v_mov_b32_e32 v0, 0x1000
	v_lshl_add_u32 v151, v78, 4, v0
	v_mov_b32_e32 v0, 0x2400
	v_lshl_add_u32 v152, v79, 4, v0
	v_mad_i64_i32 v[0:1], s[30:31], s25, v48, 0
	v_mov_b32_e32 v45, 0
	v_lshl_add_u64 v[0:1], v[0:1], 2, v[44:45]
	v_lshl_add_u64 v[0:1], s[22:23], 0, v[0:1]
	;; [unrolled: 1-line block ×3, first 2 shown]
	v_add_u32_e32 v0, 12, v46
	v_mad_i64_i32 v[0:1], s[22:23], v0, s12, 0
	v_lshlrev_b64 v[70:71], 2, v[0:1]
	v_lshl_or_b32 v0, s2, 8, v47
	s_lshl_b32 s2, s3, 8
	v_subrev_u32_e32 v0, s2, v0
	v_ashrrev_i32_e32 v1, 31, v0
	v_lshl_add_u64 v[72:73], v[0:1], 2, s[20:21]
	v_add_u32_e32 v0, 8, v46
	s_lshl_b64 s[2:3], s[12:13], 5
	v_mad_i64_i32 v[0:1], s[12:13], v0, s12, 0
	v_add_u32_e32 v89, 0x2000, v3
	v_add_u32_e32 v90, 0x2000, v80
	;; [unrolled: 1-line block ×4, first 2 shown]
	s_add_i32 s14, s18, -8
	v_lshlrev_b64 v[74:75], 2, v[0:1]
	s_mov_b32 s15, 0
	s_mov_b32 s18, 0
	s_branch .LBB5_27
.LBB5_26:                               ;   in Loop: Header=BB5_27 Depth=1
	v_pk_add_f32 v[76:77], v[32:33], v[64:65]
	s_add_i32 s18, s18, 8
	v_min3_f32 v88, v76, v77, v88
	v_pk_add_f32 v[76:77], v[28:29], v[64:65]
	v_lshl_add_u64 v[68:69], v[68:69], 0, 32
	v_min3_f32 v149, v76, v77, v149
	v_pk_add_f32 v[76:77], v[24:25], v[64:65]
	s_cmp_ge_i32 s18, s14
	v_min3_f32 v87, v76, v77, v87
	v_pk_add_f32 v[76:77], v[20:21], v[64:65]
	v_lshl_add_u64 v[72:73], v[72:73], 0, s[2:3]
	v_min3_f32 v86, v76, v77, v86
	v_pk_add_f32 v[76:77], v[16:17], v[64:65]
	s_nop 0
	v_min3_f32 v83, v76, v77, v83
	v_pk_add_f32 v[76:77], v[12:13], v[64:65]
	s_nop 0
	v_min3_f32 v85, v76, v77, v85
	v_pk_add_f32 v[76:77], v[8:9], v[64:65]
	v_pk_add_f32 v[64:65], v[4:5], v[64:65]
	v_min3_f32 v76, v76, v77, v84
	v_min3_f32 v77, v64, v65, v148
	v_pk_add_f32 v[64:65], v[32:33], v[60:61]
	s_nop 0
	v_min3_f32 v84, v64, v65, v147
	v_pk_add_f32 v[64:65], v[28:29], v[60:61]
	s_nop 0
	v_min3_f32 v146, v64, v65, v146
	v_pk_add_f32 v[64:65], v[24:25], v[60:61]
	s_nop 0
	v_min3_f32 v145, v64, v65, v145
	v_pk_add_f32 v[64:65], v[20:21], v[60:61]
	s_nop 0
	v_min3_f32 v144, v64, v65, v144
	v_pk_add_f32 v[64:65], v[16:17], v[60:61]
	s_nop 0
	v_min3_f32 v143, v64, v65, v143
	v_pk_add_f32 v[64:65], v[12:13], v[60:61]
	s_nop 0
	v_min3_f32 v142, v64, v65, v142
	v_pk_add_f32 v[64:65], v[8:9], v[60:61]
	v_pk_add_f32 v[60:61], v[4:5], v[60:61]
	v_min3_f32 v64, v64, v65, v141
	v_min3_f32 v65, v60, v61, v140
	v_pk_add_f32 v[60:61], v[32:33], v[56:57]
	s_nop 0
	v_min3_f32 v139, v60, v61, v139
	v_pk_add_f32 v[60:61], v[28:29], v[56:57]
	s_nop 0
	v_min3_f32 v138, v60, v61, v138
	v_pk_add_f32 v[60:61], v[24:25], v[56:57]
	s_nop 0
	v_min3_f32 v137, v60, v61, v137
	v_pk_add_f32 v[60:61], v[20:21], v[56:57]
	s_nop 0
	;; [unrolled: 22-line block ×5, first 2 shown]
	v_min3_f32 v112, v48, v49, v112
	v_pk_add_f32 v[48:49], v[16:17], v[44:45]
	s_nop 0
	v_min3_f32 v111, v48, v49, v111
	v_pk_add_f32 v[48:49], v[12:13], v[44:45]
	s_nop 0
	v_min3_f32 v110, v48, v49, v110
	v_pk_add_f32 v[48:49], v[8:9], v[44:45]
	v_pk_add_f32 v[44:45], v[4:5], v[44:45]
	v_min3_f32 v48, v48, v49, v109
	v_min3_f32 v49, v44, v45, v108
	v_pk_add_f32 v[44:45], v[32:33], v[40:41]
	v_pk_add_f32 v[32:33], v[32:33], v[36:37]
	v_min3_f32 v107, v44, v45, v107
	v_pk_add_f32 v[44:45], v[28:29], v[40:41]
	v_pk_add_f32 v[28:29], v[28:29], v[36:37]
	v_min3_f32 v106, v44, v45, v106
	v_pk_add_f32 v[44:45], v[24:25], v[40:41]
	v_min3_f32 v28, v28, v29, v97
	v_min3_f32 v105, v44, v45, v105
	v_pk_add_f32 v[44:45], v[20:21], v[40:41]
	v_pk_add_f32 v[20:21], v[20:21], v[36:37]
	v_min3_f32 v104, v44, v45, v104
	v_pk_add_f32 v[44:45], v[16:17], v[40:41]
	v_pk_add_f32 v[16:17], v[16:17], v[36:37]
	;; [unrolled: 3-line block ×4, first 2 shown]
	v_pk_add_f32 v[8:9], v[8:9], v[36:37]
	v_pk_add_f32 v[4:5], v[4:5], v[36:37]
	v_min3_f32 v8, v8, v9, v93
	v_min3_f32 v9, v4, v5, v92
	v_pk_add_f32 v[4:5], v[34:35], v[66:67]
	v_min3_f32 v12, v12, v13, v94
	v_min3_f32 v88, v4, v5, v88
	;; [unrolled: 3-line block ×4, first 2 shown]
	v_pk_add_f32 v[4:5], v[22:23], v[66:67]
	v_pk_add_f32 v[24:25], v[24:25], v[36:37]
	v_min3_f32 v86, v4, v5, v86
	v_pk_add_f32 v[4:5], v[18:19], v[66:67]
	v_min3_f32 v24, v24, v25, v98
	v_min3_f32 v83, v4, v5, v83
	v_pk_add_f32 v[4:5], v[14:15], v[66:67]
	v_min3_f32 v40, v40, v41, v99
	;; [unrolled: 3-line block ×4, first 2 shown]
	v_min3_f32 v94, v4, v5, v77
	v_pk_add_f32 v[4:5], v[34:35], v[62:63]
	s_nop 0
	v_min3_f32 v84, v4, v5, v84
	v_pk_add_f32 v[4:5], v[30:31], v[62:63]
	s_nop 0
	;; [unrolled: 3-line block ×56, first 2 shown]
	v_min3_f32 v149, v4, v5, v9
	ds_read_b128 v[4:7], v81
	ds_read_b128 v[8:11], v81 offset:512
	ds_read_b128 v[12:15], v81 offset:1024
	ds_read_b128 v[16:19], v81 offset:1536
	ds_read_b128 v[20:23], v81 offset:2048
	ds_read_b128 v[24:27], v81 offset:2560
	ds_read_b128 v[28:31], v81 offset:3072
	ds_read_b128 v[32:35], v81 offset:3584
	ds_read_b128 v[40:43], v90
	ds_read_b128 v[44:47], v90 offset:128
	ds_read_b128 v[48:51], v90 offset:256
	;; [unrolled: 1-line block ×7, first 2 shown]
	s_waitcnt lgkmcnt(7)
	v_pk_add_f32 v[76:77], v[4:5], v[40:41]
	ds_write2st64_b32 v91, v0, v1 offset1:4
	ds_write2st64_b32 v91, v2, v153 offset0:8 offset1:12
	ds_write_b32 v150, v3
	v_min3_f32 v88, v76, v77, v88
	v_pk_add_f32 v[76:77], v[8:9], v[40:41]
	s_waitcnt lgkmcnt(0)
	v_min3_f32 v92, v76, v77, v92
	v_pk_add_f32 v[76:77], v[12:13], v[40:41]
	s_barrier
	v_min3_f32 v87, v76, v77, v87
	v_pk_add_f32 v[76:77], v[16:17], v[40:41]
	s_nop 0
	v_min3_f32 v86, v76, v77, v86
	v_pk_add_f32 v[76:77], v[20:21], v[40:41]
	s_nop 0
	;; [unrolled: 3-line block ×3, first 2 shown]
	v_min3_f32 v85, v76, v77, v85
	v_pk_add_f32 v[76:77], v[28:29], v[40:41]
	v_pk_add_f32 v[40:41], v[32:33], v[40:41]
	v_min3_f32 v76, v76, v77, v93
	v_min3_f32 v77, v40, v41, v94
	v_pk_add_f32 v[40:41], v[4:5], v[44:45]
	s_nop 0
	v_min3_f32 v93, v40, v41, v84
	v_pk_add_f32 v[40:41], v[8:9], v[44:45]
	s_nop 0
	v_min3_f32 v94, v40, v41, v95
	v_pk_add_f32 v[40:41], v[12:13], v[44:45]
	s_nop 0
	v_min3_f32 v95, v40, v41, v96
	v_pk_add_f32 v[40:41], v[16:17], v[44:45]
	s_nop 0
	v_min3_f32 v96, v40, v41, v97
	v_pk_add_f32 v[40:41], v[20:21], v[44:45]
	s_nop 0
	v_min3_f32 v97, v40, v41, v98
	v_pk_add_f32 v[40:41], v[24:25], v[44:45]
	s_nop 0
	v_min3_f32 v98, v40, v41, v99
	v_pk_add_f32 v[40:41], v[28:29], v[44:45]
	s_nop 0
	v_min3_f32 v99, v40, v41, v100
	v_pk_add_f32 v[40:41], v[32:33], v[44:45]
	s_nop 0
	v_min3_f32 v44, v40, v41, v101
	v_pk_add_f32 v[40:41], v[4:5], v[48:49]
	s_nop 0
	v_min3_f32 v45, v40, v41, v108
	v_pk_add_f32 v[40:41], v[8:9], v[48:49]
	s_nop 0
	v_min3_f32 v100, v40, v41, v109
	v_pk_add_f32 v[40:41], v[12:13], v[48:49]
	s_nop 0
	v_min3_f32 v101, v40, v41, v117
	v_pk_add_f32 v[40:41], v[16:17], v[48:49]
	s_nop 0
	v_min3_f32 v108, v40, v41, v118
	v_pk_add_f32 v[40:41], v[20:21], v[48:49]
	s_nop 0
	v_min3_f32 v109, v40, v41, v124
	v_pk_add_f32 v[40:41], v[24:25], v[48:49]
	s_nop 0
	v_min3_f32 v117, v40, v41, v125
	v_pk_add_f32 v[40:41], v[28:29], v[48:49]
	s_nop 0
	v_min3_f32 v118, v40, v41, v132
	v_pk_add_f32 v[40:41], v[32:33], v[48:49]
	s_nop 0
	v_min3_f32 v48, v40, v41, v133
	v_pk_add_f32 v[40:41], v[4:5], v[52:53]
	s_nop 0
	v_min3_f32 v49, v40, v41, v131
	v_pk_add_f32 v[40:41], v[8:9], v[52:53]
	s_nop 0
	v_min3_f32 v124, v40, v41, v130
	v_pk_add_f32 v[40:41], v[12:13], v[52:53]
	s_nop 0
	v_min3_f32 v125, v40, v41, v129
	v_pk_add_f32 v[40:41], v[16:17], v[52:53]
	s_nop 0
	v_min3_f32 v128, v40, v41, v128
	v_pk_add_f32 v[40:41], v[20:21], v[52:53]
	s_nop 0
	v_min3_f32 v127, v40, v41, v127
	v_pk_add_f32 v[40:41], v[24:25], v[52:53]
	s_nop 0
	v_min3_f32 v126, v40, v41, v126
	v_pk_add_f32 v[40:41], v[28:29], v[52:53]
	s_nop 0
	v_min3_f32 v154, v40, v41, v134
	v_pk_add_f32 v[40:41], v[32:33], v[52:53]
	s_nop 0
	v_min3_f32 v52, v40, v41, v135
	v_pk_add_f32 v[40:41], v[4:5], v[56:57]
	s_nop 0
	v_min3_f32 v53, v40, v41, v123
	v_pk_add_f32 v[40:41], v[8:9], v[56:57]
	s_nop 0
	v_min3_f32 v122, v40, v41, v122
	v_pk_add_f32 v[40:41], v[12:13], v[56:57]
	s_nop 0
	v_min3_f32 v121, v40, v41, v121
	v_pk_add_f32 v[40:41], v[16:17], v[56:57]
	s_nop 0
	v_min3_f32 v120, v40, v41, v120
	v_pk_add_f32 v[40:41], v[20:21], v[56:57]
	s_nop 0
	v_min3_f32 v119, v40, v41, v119
	v_pk_add_f32 v[40:41], v[24:25], v[56:57]
	s_nop 0
	v_min3_f32 v116, v40, v41, v116
	v_pk_add_f32 v[40:41], v[28:29], v[56:57]
	s_nop 0
	v_min3_f32 v155, v40, v41, v136
	v_pk_add_f32 v[40:41], v[32:33], v[56:57]
	s_nop 0
	v_min3_f32 v56, v40, v41, v137
	v_pk_add_f32 v[40:41], v[4:5], v[60:61]
	s_nop 0
	v_min3_f32 v57, v40, v41, v115
	v_pk_add_f32 v[40:41], v[8:9], v[60:61]
	s_nop 0
	v_min3_f32 v114, v40, v41, v114
	v_pk_add_f32 v[40:41], v[12:13], v[60:61]
	s_nop 0
	v_min3_f32 v113, v40, v41, v113
	v_pk_add_f32 v[40:41], v[16:17], v[60:61]
	s_nop 0
	v_min3_f32 v112, v40, v41, v112
	v_pk_add_f32 v[40:41], v[20:21], v[60:61]
	s_nop 0
	v_min3_f32 v111, v40, v41, v111
	v_pk_add_f32 v[40:41], v[24:25], v[60:61]
	s_nop 0
	v_min3_f32 v110, v40, v41, v110
	v_pk_add_f32 v[40:41], v[28:29], v[60:61]
	s_nop 0
	v_min3_f32 v156, v40, v41, v138
	v_pk_add_f32 v[40:41], v[32:33], v[60:61]
	s_nop 0
	v_min3_f32 v60, v40, v41, v139
	v_pk_add_f32 v[40:41], v[4:5], v[64:65]
	v_pk_add_f32 v[4:5], v[4:5], v[36:37]
	v_min3_f32 v61, v40, v41, v107
	v_pk_add_f32 v[40:41], v[8:9], v[64:65]
	s_nop 0
	v_min3_f32 v106, v40, v41, v106
	v_pk_add_f32 v[40:41], v[12:13], v[64:65]
	s_nop 0
	;; [unrolled: 3-line block ×7, first 2 shown]
	v_min3_f32 v40, v40, v41, v141
	v_min3_f32 v41, v4, v5, v142
	v_pk_add_f32 v[4:5], v[8:9], v[36:37]
	s_nop 0
	v_min3_f32 v8, v4, v5, v143
	v_pk_add_f32 v[4:5], v[12:13], v[36:37]
	s_nop 0
	;; [unrolled: 3-line block ×71, first 2 shown]
	v_min3_f32 v92, v4, v5, v20
	s_cbranch_scc1 .LBB5_47
.LBB5_27:                               ; =>This Inner Loop Header: Depth=1
	s_mov_b64 s[12:13], -1
	s_mov_b64 vcc, s[4:5]
                                        ; implicit-def: $vgpr0_vgpr1_vgpr2_vgpr3
	s_cbranch_vccnz .LBB5_38
; %bb.28:                               ;   in Loop: Header=BB5_27 Depth=1
	v_mov_b32_e32 v1, 0
	s_andn2_b64 vcc, exec, s[12:13]
	v_lshl_add_u64 v[4:5], v[72:73], 0, v[74:75]
	s_cbranch_vccz .LBB5_39
.LBB5_29:                               ;   in Loop: Header=BB5_27 Depth=1
	s_mov_b64 s[12:13], -1
	s_mov_b64 vcc, s[4:5]
                                        ; implicit-def: $vgpr2
	s_cbranch_vccnz .LBB5_40
.LBB5_30:                               ;   in Loop: Header=BB5_27 Depth=1
	v_mov_b32_e32 v3, 0
	s_andn2_b64 vcc, exec, s[12:13]
	v_mov_b32_e32 v76, 0
	s_cbranch_vccz .LBB5_41
.LBB5_31:                               ;   in Loop: Header=BB5_27 Depth=1
	s_and_b64 vcc, exec, s[6:7]
	s_cbranch_vccnz .LBB5_33
.LBB5_32:                               ;   in Loop: Header=BB5_27 Depth=1
	flat_load_dword v3, v[68:69]
	s_waitcnt vmcnt(0) lgkmcnt(0)
	v_mul_f32_e32 v3, s19, v3
.LBB5_33:                               ;   in Loop: Header=BB5_27 Depth=1
	ds_read_b128 v[32:35], v151
	ds_read_b128 v[28:31], v151 offset:512
	ds_read_b128 v[24:27], v151 offset:1024
	;; [unrolled: 1-line block ×7, first 2 shown]
	ds_read_b128 v[64:67], v152
	ds_read_b128 v[60:63], v152 offset:128
	ds_read_b128 v[56:59], v152 offset:256
	;; [unrolled: 1-line block ×7, first 2 shown]
	s_mov_b64 s[12:13], -1
	s_mov_b64 vcc, s[4:5]
	ds_write2st64_b32 v82, v0, v1 offset1:4
	ds_write2st64_b32 v82, v2, v76 offset0:8 offset1:12
	ds_write_b32 v89, v3
	s_waitcnt lgkmcnt(0)
	s_barrier
                                        ; implicit-def: $vgpr0_vgpr1_vgpr2_vgpr3
	s_cbranch_vccnz .LBB5_42
; %bb.34:                               ;   in Loop: Header=BB5_27 Depth=1
	v_mov_b32_e32 v1, 0
	s_andn2_b64 vcc, exec, s[12:13]
	v_lshl_add_u64 v[76:77], v[72:73], 0, v[70:71]
	s_cbranch_vccz .LBB5_43
.LBB5_35:                               ;   in Loop: Header=BB5_27 Depth=1
	s_mov_b64 s[12:13], -1
	s_mov_b64 vcc, s[4:5]
                                        ; implicit-def: $vgpr2
	s_cbranch_vccnz .LBB5_44
.LBB5_36:                               ;   in Loop: Header=BB5_27 Depth=1
	v_mov_b32_e32 v3, 0
	s_andn2_b64 vcc, exec, s[12:13]
	v_mov_b32_e32 v153, 0
	s_cbranch_vccz .LBB5_45
.LBB5_37:                               ;   in Loop: Header=BB5_27 Depth=1
	s_and_b64 vcc, exec, s[6:7]
	s_cbranch_vccz .LBB5_46
	s_branch .LBB5_26
.LBB5_38:                               ;   in Loop: Header=BB5_27 Depth=1
	v_mov_b32_e32 v0, s15
	v_mov_b32_e32 v1, 0
	v_lshl_add_u64 v[4:5], v[72:73], 0, v[74:75]
	s_cbranch_execnz .LBB5_29
.LBB5_39:                               ;   in Loop: Header=BB5_27 Depth=1
	flat_load_dword v0, v[4:5]
	flat_load_dword v1, v[4:5] offset:256
	s_waitcnt vmcnt(0) lgkmcnt(0)
	v_mul_f32_e32 v0, s19, v0
	v_mul_f32_e32 v1, s19, v1
	s_mov_b64 s[12:13], -1
	s_mov_b64 vcc, s[4:5]
                                        ; implicit-def: $vgpr2
	s_cbranch_vccz .LBB5_30
.LBB5_40:                               ;   in Loop: Header=BB5_27 Depth=1
	v_mov_b32_e32 v2, s15
	v_mov_b32_e32 v3, 0
	;; [unrolled: 1-line block ×3, first 2 shown]
	s_cbranch_execnz .LBB5_31
.LBB5_41:                               ;   in Loop: Header=BB5_27 Depth=1
	flat_load_dword v2, v[4:5] offset:512
	flat_load_dword v6, v[4:5] offset:768
	s_waitcnt vmcnt(0) lgkmcnt(0)
	v_mul_f32_e32 v2, s19, v2
	v_mul_f32_e32 v76, s19, v6
	s_and_b64 vcc, exec, s[6:7]
	s_cbranch_vccz .LBB5_32
	s_branch .LBB5_33
.LBB5_42:                               ;   in Loop: Header=BB5_27 Depth=1
	v_mov_b32_e32 v0, s15
	v_mov_b32_e32 v1, 0
	v_lshl_add_u64 v[76:77], v[72:73], 0, v[70:71]
	s_cbranch_execnz .LBB5_35
.LBB5_43:                               ;   in Loop: Header=BB5_27 Depth=1
	flat_load_dword v0, v[76:77]
	flat_load_dword v1, v[76:77] offset:256
	s_waitcnt vmcnt(0) lgkmcnt(0)
	v_mul_f32_e32 v0, s19, v0
	v_mul_f32_e32 v1, s19, v1
	s_mov_b64 s[12:13], -1
	s_mov_b64 vcc, s[4:5]
                                        ; implicit-def: $vgpr2
	s_cbranch_vccz .LBB5_36
.LBB5_44:                               ;   in Loop: Header=BB5_27 Depth=1
	v_mov_b32_e32 v2, s15
	v_mov_b32_e32 v3, 0
	;; [unrolled: 1-line block ×3, first 2 shown]
	s_cbranch_execnz .LBB5_37
.LBB5_45:                               ;   in Loop: Header=BB5_27 Depth=1
	flat_load_dword v2, v[76:77] offset:512
	s_nop 0
	flat_load_dword v76, v[76:77] offset:768
	s_waitcnt vmcnt(0) lgkmcnt(0)
	v_mul_f32_e32 v2, s19, v2
	v_mul_f32_e32 v153, s19, v76
	s_and_b64 vcc, exec, s[6:7]
	s_cbranch_vccnz .LBB5_26
.LBB5_46:                               ;   in Loop: Header=BB5_27 Depth=1
	flat_load_dword v3, v[68:69] offset:16
	s_waitcnt vmcnt(0) lgkmcnt(0)
	v_mul_f32_e32 v3, s19, v3
	s_branch .LBB5_26
.LBB5_47:
	s_load_dwordx2 s[2:3], s[0:1], 0x70
	s_load_dword s4, s[0:1], 0x50
	s_load_dword s5, s[0:1], 0x68
	ds_read_b128 v[32:35], v81 offset:4096
	ds_read_b128 v[24:27], v81 offset:4608
	;; [unrolled: 1-line block ×16, first 2 shown]
	s_waitcnt lgkmcnt(0)
	s_lshl_b64 s[0:1], s[2:3], 2
	s_add_u32 s0, s10, s0
	v_pk_add_f32 v[64:65], v[32:33], v[60:61]
	v_add_u32_e32 v150, s24, v79
	v_min3_f32 v66, v64, v65, v88
	v_pk_add_f32 v[64:65], v[34:35], v[62:63]
	s_addc_u32 s1, s11, s1
	v_min3_f32 v68, v64, v65, v66
	v_add_u32_e32 v70, s26, v78
	v_mad_i64_i32 v[66:67], s[2:3], v150, s5, 0
	v_add_u32_e32 v64, 32, v70
	v_lshl_add_u64 v[88:89], v[66:67], 2, s[0:1]
	v_mad_i64_i32 v[66:67], s[2:3], v150, s4, 0
	v_ashrrev_i32_e32 v71, 31, v70
	v_ashrrev_i32_e32 v65, 31, v64
	s_mov_b64 s[2:3], -1
	v_max_f32_e32 v68, v68, v68
	s_mov_b64 vcc, s[8:9]
	s_cbranch_vccz .LBB5_49
; %bb.48:
	v_min_f32_e32 v69, 0, v68
	v_lshl_add_u64 v[72:73], v[70:71], 2, v[88:89]
	flat_store_dword v[72:73], v69
	s_mov_b64 s[2:3], 0
.LBB5_49:
	v_lshl_add_u64 v[90:91], v[66:67], 2, s[16:17]
	v_mov_b32_e32 v69, 0
	s_andn2_b64 vcc, exec, s[2:3]
	v_lshlrev_b64 v[76:77], 2, v[70:71]
	s_cbranch_vccnz .LBB5_51
; %bb.50:
	v_lshl_add_u64 v[66:67], v[90:91], 0, v[76:77]
	flat_load_dword v69, v[66:67]
	v_lshl_add_u64 v[66:67], v[88:89], 0, v[76:77]
	s_waitcnt vmcnt(0) lgkmcnt(0)
	v_mul_f32_e32 v69, s28, v69
	v_min_f32_e32 v68, v69, v68
	flat_store_dword v[66:67], v68
	v_lshl_add_u64 v[66:67], v[64:65], 2, v[90:91]
	flat_load_dword v66, v[66:67]
	s_waitcnt vmcnt(0) lgkmcnt(0)
	v_mul_f32_e32 v69, s28, v66
.LBB5_51:
	v_pk_add_f32 v[66:67], v[24:25], v[60:61]
	v_add_u32_e32 v74, 64, v70
	v_min3_f32 v68, v66, v67, v149
	v_pk_add_f32 v[66:67], v[28:29], v[60:61]
	v_ashrrev_i32_e32 v75, 31, v74
	v_min3_f32 v72, v66, v67, v87
	v_pk_add_f32 v[66:67], v[26:27], v[62:63]
	s_mov_b64 s[2:3], -1
	v_min_f32_e32 v73, v66, v67
	v_pk_add_f32 v[66:67], v[30:31], v[62:63]
	v_min3_f32 v73, v69, v73, v68
	v_min3_f32 v72, v66, v67, v72
	v_add_u32_e32 v66, 0x60, v70
	v_lshl_add_u64 v[68:69], v[64:65], 2, v[88:89]
	v_ashrrev_i32_e32 v67, 31, v66
	flat_store_dword v[68:69], v73
	v_max_f32_e32 v68, v72, v72
	s_mov_b64 vcc, s[8:9]
	s_cbranch_vccz .LBB5_53
; %bb.52:
	v_min_f32_e32 v69, 0, v68
	v_lshl_add_u64 v[72:73], v[74:75], 2, v[88:89]
	flat_store_dword v[72:73], v69
	s_mov_b64 s[2:3], 0
.LBB5_53:
	v_mov_b32_e32 v72, 0
	s_andn2_b64 vcc, exec, s[2:3]
	v_lshlrev_b64 v[80:81], 2, v[74:75]
	s_cbranch_vccnz .LBB5_55
; %bb.54:
	v_lshl_add_u64 v[72:73], v[90:91], 0, v[80:81]
	flat_load_dword v69, v[72:73]
	v_lshl_add_u64 v[72:73], v[88:89], 0, v[80:81]
	s_waitcnt vmcnt(0) lgkmcnt(0)
	v_mul_f32_e32 v69, s28, v69
	v_min_f32_e32 v68, v69, v68
	flat_store_dword v[72:73], v68
	v_lshl_add_u64 v[68:69], v[66:67], 2, v[90:91]
	flat_load_dword v68, v[68:69]
	s_waitcnt vmcnt(0) lgkmcnt(0)
	v_mul_f32_e32 v72, s28, v68
.LBB5_55:
	v_pk_add_f32 v[68:69], v[20:21], v[60:61]
	s_mov_b64 s[2:3], -1
	v_min3_f32 v73, v68, v69, v86
	v_pk_add_f32 v[68:69], v[16:17], v[60:61]
	s_mov_b64 vcc, s[8:9]
	v_min3_f32 v78, v68, v69, v83
	v_pk_add_f32 v[68:69], v[22:23], v[62:63]
	s_nop 0
	v_min_f32_e32 v82, v68, v69
	v_pk_add_f32 v[68:69], v[18:19], v[62:63]
	v_min3_f32 v82, v72, v82, v73
	v_min3_f32 v83, v68, v69, v78
	v_add_u32_e32 v78, 0x80, v70
	v_add_u32_e32 v68, 0xa0, v70
	v_lshl_add_u64 v[72:73], v[66:67], 2, v[88:89]
	v_ashrrev_i32_e32 v79, 31, v78
	v_ashrrev_i32_e32 v69, 31, v68
	flat_store_dword v[72:73], v82
	v_max_f32_e32 v72, v83, v83
	s_cbranch_vccz .LBB5_57
; %bb.56:
	v_min_f32_e32 v73, 0, v72
	v_lshl_add_u64 v[82:83], v[78:79], 2, v[88:89]
	flat_store_dword v[82:83], v73
	s_mov_b64 s[2:3], 0
.LBB5_57:
	v_mov_b32_e32 v86, 0
	s_andn2_b64 vcc, exec, s[2:3]
	v_lshlrev_b64 v[82:83], 2, v[78:79]
	s_cbranch_vccnz .LBB5_59
; %bb.58:
	v_lshl_add_u64 v[86:87], v[90:91], 0, v[82:83]
	flat_load_dword v73, v[86:87]
	v_lshl_add_u64 v[86:87], v[88:89], 0, v[82:83]
	s_waitcnt vmcnt(0) lgkmcnt(0)
	v_mul_f32_e32 v73, s28, v73
	v_min_f32_e32 v72, v73, v72
	flat_store_dword v[86:87], v72
	v_lshl_add_u64 v[72:73], v[68:69], 2, v[90:91]
	flat_load_dword v72, v[72:73]
	s_waitcnt vmcnt(0) lgkmcnt(0)
	v_mul_f32_e32 v86, s28, v72
.LBB5_59:
	v_pk_add_f32 v[72:73], v[12:13], v[60:61]
	s_mov_b64 s[2:3], -1
	v_min3_f32 v87, v72, v73, v85
	v_pk_add_f32 v[72:73], v[8:9], v[60:61]
	s_mov_b64 vcc, s[8:9]
	v_min3_f32 v84, v72, v73, v84
	v_pk_add_f32 v[72:73], v[14:15], v[62:63]
	s_nop 0
	v_min_f32_e32 v149, v72, v73
	v_pk_add_f32 v[72:73], v[10:11], v[62:63]
	v_min3_f32 v149, v86, v149, v87
	v_min3_f32 v151, v72, v73, v84
	v_add_u32_e32 v84, 0xc0, v70
	v_add_u32_e32 v72, 0xe0, v70
	v_lshl_add_u64 v[86:87], v[68:69], 2, v[88:89]
	v_ashrrev_i32_e32 v85, 31, v84
	v_ashrrev_i32_e32 v73, 31, v72
	flat_store_dword v[86:87], v149
	v_max_f32_e32 v149, v151, v151
	s_cbranch_vccz .LBB5_61
; %bb.60:
	v_min_f32_e32 v151, 0, v149
	v_lshl_add_u64 v[86:87], v[84:85], 2, v[88:89]
	flat_store_dword v[86:87], v151
	s_mov_b64 s[2:3], 0
.LBB5_61:
	v_mov_b32_e32 v151, 0
	s_andn2_b64 vcc, exec, s[2:3]
	v_lshlrev_b64 v[86:87], 2, v[84:85]
	s_cbranch_vccnz .LBB5_63
; %bb.62:
	v_lshl_add_u64 v[152:153], v[90:91], 0, v[86:87]
	flat_load_dword v151, v[152:153]
	v_lshl_add_u64 v[152:153], v[88:89], 0, v[86:87]
	v_lshl_add_u64 v[90:91], v[72:73], 2, v[90:91]
	s_waitcnt vmcnt(0) lgkmcnt(0)
	v_mul_f32_e32 v151, s28, v151
	v_min_f32_e32 v149, v151, v149
	flat_store_dword v[152:153], v149
	flat_load_dword v90, v[90:91]
	s_waitcnt vmcnt(0) lgkmcnt(0)
	v_mul_f32_e32 v151, s28, v90
.LBB5_63:
	v_pk_add_f32 v[60:61], v[0:1], v[60:61]
	s_mov_b64 vcc, s[8:9]
	v_min3_f32 v90, v60, v61, v148
	v_pk_add_f32 v[60:61], v[32:33], v[56:57]
	s_nop 0
	v_min3_f32 v91, v60, v61, v147
	v_pk_add_f32 v[60:61], v[2:3], v[62:63]
	s_nop 0
	v_min_f32_e32 v62, v60, v61
	v_pk_add_f32 v[60:61], v[34:35], v[58:59]
	v_min3_f32 v62, v151, v62, v90
	v_min3_f32 v91, v60, v61, v91
	v_lshl_add_u64 v[60:61], v[72:73], 2, v[88:89]
	flat_store_dword v[60:61], v62
	v_add_u32_e32 v62, 8, v150
	v_mad_i64_i32 v[60:61], s[2:3], v62, s5, 0
	v_mad_i64_i32 v[62:63], s[2:3], v62, s4, 0
	v_lshl_add_u64 v[60:61], v[60:61], 2, s[0:1]
	s_mov_b64 s[2:3], -1
	v_max_f32_e32 v88, v91, v91
	s_cbranch_vccz .LBB5_65
; %bb.64:
	v_min_f32_e32 v89, 0, v88
	v_lshl_add_u64 v[90:91], v[70:71], 2, v[60:61]
	flat_store_dword v[90:91], v89
	s_mov_b64 s[2:3], 0
.LBB5_65:
	v_lshl_add_u64 v[62:63], v[62:63], 2, s[16:17]
	s_andn2_b64 vcc, exec, s[2:3]
	v_mov_b32_e32 v89, 0
	s_cbranch_vccnz .LBB5_67
; %bb.66:
	v_lshl_add_u64 v[90:91], v[62:63], 0, v[76:77]
	flat_load_dword v89, v[90:91]
	v_lshl_add_u64 v[90:91], v[60:61], 0, v[76:77]
	s_waitcnt vmcnt(0) lgkmcnt(0)
	v_mul_f32_e32 v89, s28, v89
	v_min_f32_e32 v88, v89, v88
	flat_store_dword v[90:91], v88
	v_lshl_add_u64 v[88:89], v[64:65], 2, v[62:63]
	flat_load_dword v88, v[88:89]
	s_waitcnt vmcnt(0) lgkmcnt(0)
	v_mul_f32_e32 v89, s28, v88
.LBB5_67:
	v_pk_add_f32 v[90:91], v[24:25], v[56:57]
	s_mov_b64 s[2:3], -1
	v_min3_f32 v88, v90, v91, v146
	v_pk_add_f32 v[90:91], v[28:29], v[56:57]
	s_mov_b64 vcc, s[8:9]
	v_min3_f32 v145, v90, v91, v145
	v_pk_add_f32 v[90:91], v[26:27], v[58:59]
	s_nop 0
	v_min_f32_e32 v146, v90, v91
	v_pk_add_f32 v[90:91], v[30:31], v[58:59]
	s_nop 0
	v_min3_f32 v90, v90, v91, v145
	v_min3_f32 v91, v89, v146, v88
	v_lshl_add_u64 v[88:89], v[64:65], 2, v[60:61]
	flat_store_dword v[88:89], v91
	v_max_f32_e32 v88, v90, v90
	s_cbranch_vccz .LBB5_69
; %bb.68:
	v_min_f32_e32 v89, 0, v88
	v_lshl_add_u64 v[90:91], v[74:75], 2, v[60:61]
	flat_store_dword v[90:91], v89
	s_mov_b64 s[2:3], 0
.LBB5_69:
	s_andn2_b64 vcc, exec, s[2:3]
	v_mov_b32_e32 v89, 0
	s_cbranch_vccnz .LBB5_71
; %bb.70:
	v_lshl_add_u64 v[90:91], v[62:63], 0, v[80:81]
	flat_load_dword v89, v[90:91]
	v_lshl_add_u64 v[90:91], v[60:61], 0, v[80:81]
	s_waitcnt vmcnt(0) lgkmcnt(0)
	v_mul_f32_e32 v89, s28, v89
	v_min_f32_e32 v88, v89, v88
	flat_store_dword v[90:91], v88
	v_lshl_add_u64 v[88:89], v[66:67], 2, v[62:63]
	flat_load_dword v88, v[88:89]
	s_waitcnt vmcnt(0) lgkmcnt(0)
	v_mul_f32_e32 v89, s28, v88
.LBB5_71:
	v_pk_add_f32 v[90:91], v[20:21], v[56:57]
	s_mov_b64 s[2:3], -1
	v_min3_f32 v88, v90, v91, v144
	v_pk_add_f32 v[90:91], v[16:17], v[56:57]
	s_mov_b64 vcc, s[8:9]
	v_min3_f32 v143, v90, v91, v143
	v_pk_add_f32 v[90:91], v[22:23], v[58:59]
	s_nop 0
	v_min_f32_e32 v144, v90, v91
	v_pk_add_f32 v[90:91], v[18:19], v[58:59]
	s_nop 0
	v_min3_f32 v90, v90, v91, v143
	v_min3_f32 v91, v89, v144, v88
	v_lshl_add_u64 v[88:89], v[66:67], 2, v[60:61]
	flat_store_dword v[88:89], v91
	v_max_f32_e32 v88, v90, v90
	s_cbranch_vccz .LBB5_73
; %bb.72:
	v_min_f32_e32 v89, 0, v88
	v_lshl_add_u64 v[90:91], v[78:79], 2, v[60:61]
	flat_store_dword v[90:91], v89
	s_mov_b64 s[2:3], 0
.LBB5_73:
	;; [unrolled: 39-line block ×3, first 2 shown]
	s_andn2_b64 vcc, exec, s[2:3]
	v_mov_b32_e32 v89, 0
	s_cbranch_vccnz .LBB5_79
; %bb.78:
	v_lshl_add_u64 v[90:91], v[62:63], 0, v[86:87]
	flat_load_dword v89, v[90:91]
	v_lshl_add_u64 v[90:91], v[60:61], 0, v[86:87]
	v_lshl_add_u64 v[62:63], v[72:73], 2, v[62:63]
	s_waitcnt vmcnt(0) lgkmcnt(0)
	v_mul_f32_e32 v89, s28, v89
	v_min_f32_e32 v88, v89, v88
	flat_store_dword v[90:91], v88
	flat_load_dword v62, v[62:63]
	s_waitcnt vmcnt(0) lgkmcnt(0)
	v_mul_f32_e32 v89, s28, v62
.LBB5_79:
	v_pk_add_f32 v[56:57], v[0:1], v[56:57]
	s_mov_b64 vcc, s[8:9]
	v_min3_f32 v62, v56, v57, v140
	v_pk_add_f32 v[56:57], v[32:33], v[52:53]
	s_nop 0
	v_min3_f32 v63, v56, v57, v139
	v_pk_add_f32 v[56:57], v[2:3], v[58:59]
	s_nop 0
	v_min_f32_e32 v58, v56, v57
	v_pk_add_f32 v[56:57], v[34:35], v[54:55]
	v_min3_f32 v58, v89, v58, v62
	v_min3_f32 v63, v56, v57, v63
	v_lshl_add_u64 v[56:57], v[72:73], 2, v[60:61]
	flat_store_dword v[56:57], v58
	v_add_u32_e32 v58, 16, v150
	v_mad_i64_i32 v[56:57], s[2:3], v58, s5, 0
	v_mad_i64_i32 v[58:59], s[2:3], v58, s4, 0
	v_lshl_add_u64 v[56:57], v[56:57], 2, s[0:1]
	s_mov_b64 s[2:3], -1
	v_max_f32_e32 v60, v63, v63
	s_cbranch_vccz .LBB5_81
; %bb.80:
	v_min_f32_e32 v61, 0, v60
	v_lshl_add_u64 v[62:63], v[70:71], 2, v[56:57]
	flat_store_dword v[62:63], v61
	s_mov_b64 s[2:3], 0
.LBB5_81:
	v_lshl_add_u64 v[58:59], v[58:59], 2, s[16:17]
	s_andn2_b64 vcc, exec, s[2:3]
	v_mov_b32_e32 v61, 0
	s_cbranch_vccnz .LBB5_83
; %bb.82:
	v_lshl_add_u64 v[62:63], v[58:59], 0, v[76:77]
	flat_load_dword v61, v[62:63]
	v_lshl_add_u64 v[62:63], v[56:57], 0, v[76:77]
	s_waitcnt vmcnt(0) lgkmcnt(0)
	v_mul_f32_e32 v61, s28, v61
	v_min_f32_e32 v60, v61, v60
	flat_store_dword v[62:63], v60
	v_lshl_add_u64 v[60:61], v[64:65], 2, v[58:59]
	flat_load_dword v60, v[60:61]
	s_waitcnt vmcnt(0) lgkmcnt(0)
	v_mul_f32_e32 v61, s28, v60
.LBB5_83:
	v_pk_add_f32 v[62:63], v[24:25], v[52:53]
	s_mov_b64 s[2:3], -1
	v_min3_f32 v60, v62, v63, v138
	v_pk_add_f32 v[62:63], v[28:29], v[52:53]
	s_mov_b64 vcc, s[8:9]
	v_min3_f32 v88, v62, v63, v137
	v_pk_add_f32 v[62:63], v[26:27], v[54:55]
	s_nop 0
	v_min_f32_e32 v89, v62, v63
	v_pk_add_f32 v[62:63], v[30:31], v[54:55]
	s_nop 0
	v_min3_f32 v62, v62, v63, v88
	v_min3_f32 v63, v61, v89, v60
	v_lshl_add_u64 v[60:61], v[64:65], 2, v[56:57]
	flat_store_dword v[60:61], v63
	v_max_f32_e32 v60, v62, v62
	s_cbranch_vccz .LBB5_85
; %bb.84:
	v_min_f32_e32 v61, 0, v60
	v_lshl_add_u64 v[62:63], v[74:75], 2, v[56:57]
	flat_store_dword v[62:63], v61
	s_mov_b64 s[2:3], 0
.LBB5_85:
	s_andn2_b64 vcc, exec, s[2:3]
	v_mov_b32_e32 v61, 0
	s_cbranch_vccnz .LBB5_87
; %bb.86:
	v_lshl_add_u64 v[62:63], v[58:59], 0, v[80:81]
	flat_load_dword v61, v[62:63]
	v_lshl_add_u64 v[62:63], v[56:57], 0, v[80:81]
	s_waitcnt vmcnt(0) lgkmcnt(0)
	v_mul_f32_e32 v61, s28, v61
	v_min_f32_e32 v60, v61, v60
	flat_store_dword v[62:63], v60
	v_lshl_add_u64 v[60:61], v[66:67], 2, v[58:59]
	flat_load_dword v60, v[60:61]
	s_waitcnt vmcnt(0) lgkmcnt(0)
	v_mul_f32_e32 v61, s28, v60
.LBB5_87:
	v_pk_add_f32 v[62:63], v[20:21], v[52:53]
	s_mov_b64 s[2:3], -1
	v_min3_f32 v60, v62, v63, v136
	v_pk_add_f32 v[62:63], v[16:17], v[52:53]
	s_mov_b64 vcc, s[8:9]
	v_min3_f32 v88, v62, v63, v135
	v_pk_add_f32 v[62:63], v[22:23], v[54:55]
	s_nop 0
	v_min_f32_e32 v89, v62, v63
	v_pk_add_f32 v[62:63], v[18:19], v[54:55]
	s_nop 0
	v_min3_f32 v62, v62, v63, v88
	v_min3_f32 v63, v61, v89, v60
	v_lshl_add_u64 v[60:61], v[66:67], 2, v[56:57]
	flat_store_dword v[60:61], v63
	v_max_f32_e32 v60, v62, v62
	s_cbranch_vccz .LBB5_89
; %bb.88:
	v_min_f32_e32 v61, 0, v60
	v_lshl_add_u64 v[62:63], v[78:79], 2, v[56:57]
	flat_store_dword v[62:63], v61
	s_mov_b64 s[2:3], 0
.LBB5_89:
	;; [unrolled: 39-line block ×3, first 2 shown]
	s_andn2_b64 vcc, exec, s[2:3]
	v_mov_b32_e32 v61, 0
	s_cbranch_vccnz .LBB5_95
; %bb.94:
	v_lshl_add_u64 v[62:63], v[58:59], 0, v[86:87]
	flat_load_dword v61, v[62:63]
	v_lshl_add_u64 v[62:63], v[56:57], 0, v[86:87]
	v_lshl_add_u64 v[58:59], v[72:73], 2, v[58:59]
	s_waitcnt vmcnt(0) lgkmcnt(0)
	v_mul_f32_e32 v61, s28, v61
	v_min_f32_e32 v60, v61, v60
	flat_store_dword v[62:63], v60
	flat_load_dword v58, v[58:59]
	s_waitcnt vmcnt(0) lgkmcnt(0)
	v_mul_f32_e32 v61, s28, v58
.LBB5_95:
	v_pk_add_f32 v[52:53], v[0:1], v[52:53]
	s_mov_b64 vcc, s[8:9]
	v_min3_f32 v58, v52, v53, v132
	v_pk_add_f32 v[52:53], v[32:33], v[48:49]
	s_nop 0
	v_min3_f32 v59, v52, v53, v131
	v_pk_add_f32 v[52:53], v[2:3], v[54:55]
	s_nop 0
	v_min_f32_e32 v54, v52, v53
	v_pk_add_f32 v[52:53], v[34:35], v[50:51]
	v_min3_f32 v54, v61, v54, v58
	v_min3_f32 v59, v52, v53, v59
	v_lshl_add_u64 v[52:53], v[72:73], 2, v[56:57]
	flat_store_dword v[52:53], v54
	v_add_u32_e32 v54, 24, v150
	v_mad_i64_i32 v[52:53], s[2:3], v54, s5, 0
	v_mad_i64_i32 v[54:55], s[2:3], v54, s4, 0
	v_lshl_add_u64 v[52:53], v[52:53], 2, s[0:1]
	s_mov_b64 s[2:3], -1
	v_max_f32_e32 v56, v59, v59
	s_cbranch_vccz .LBB5_97
; %bb.96:
	v_min_f32_e32 v57, 0, v56
	v_lshl_add_u64 v[58:59], v[70:71], 2, v[52:53]
	flat_store_dword v[58:59], v57
	s_mov_b64 s[2:3], 0
.LBB5_97:
	v_lshl_add_u64 v[54:55], v[54:55], 2, s[16:17]
	s_andn2_b64 vcc, exec, s[2:3]
	v_mov_b32_e32 v57, 0
	s_cbranch_vccnz .LBB5_99
; %bb.98:
	v_lshl_add_u64 v[58:59], v[54:55], 0, v[76:77]
	flat_load_dword v57, v[58:59]
	v_lshl_add_u64 v[58:59], v[52:53], 0, v[76:77]
	s_waitcnt vmcnt(0) lgkmcnt(0)
	v_mul_f32_e32 v57, s28, v57
	v_min_f32_e32 v56, v57, v56
	flat_store_dword v[58:59], v56
	v_lshl_add_u64 v[56:57], v[64:65], 2, v[54:55]
	flat_load_dword v56, v[56:57]
	s_waitcnt vmcnt(0) lgkmcnt(0)
	v_mul_f32_e32 v57, s28, v56
.LBB5_99:
	v_pk_add_f32 v[58:59], v[24:25], v[48:49]
	s_mov_b64 s[2:3], -1
	v_min3_f32 v56, v58, v59, v130
	v_pk_add_f32 v[58:59], v[28:29], v[48:49]
	s_mov_b64 vcc, s[8:9]
	v_min3_f32 v60, v58, v59, v129
	v_pk_add_f32 v[58:59], v[26:27], v[50:51]
	s_nop 0
	v_min_f32_e32 v61, v58, v59
	v_pk_add_f32 v[58:59], v[30:31], v[50:51]
	s_nop 0
	v_min3_f32 v58, v58, v59, v60
	v_min3_f32 v59, v57, v61, v56
	v_lshl_add_u64 v[56:57], v[64:65], 2, v[52:53]
	flat_store_dword v[56:57], v59
	v_max_f32_e32 v56, v58, v58
	s_cbranch_vccz .LBB5_101
; %bb.100:
	v_min_f32_e32 v57, 0, v56
	v_lshl_add_u64 v[58:59], v[74:75], 2, v[52:53]
	flat_store_dword v[58:59], v57
	s_mov_b64 s[2:3], 0
.LBB5_101:
	s_andn2_b64 vcc, exec, s[2:3]
	v_mov_b32_e32 v57, 0
	s_cbranch_vccnz .LBB5_103
; %bb.102:
	v_lshl_add_u64 v[58:59], v[54:55], 0, v[80:81]
	flat_load_dword v57, v[58:59]
	v_lshl_add_u64 v[58:59], v[52:53], 0, v[80:81]
	s_waitcnt vmcnt(0) lgkmcnt(0)
	v_mul_f32_e32 v57, s28, v57
	v_min_f32_e32 v56, v57, v56
	flat_store_dword v[58:59], v56
	v_lshl_add_u64 v[56:57], v[66:67], 2, v[54:55]
	flat_load_dword v56, v[56:57]
	s_waitcnt vmcnt(0) lgkmcnt(0)
	v_mul_f32_e32 v57, s28, v56
.LBB5_103:
	v_pk_add_f32 v[58:59], v[20:21], v[48:49]
	s_mov_b64 s[2:3], -1
	v_min3_f32 v56, v58, v59, v128
	v_pk_add_f32 v[58:59], v[16:17], v[48:49]
	s_mov_b64 vcc, s[8:9]
	v_min3_f32 v60, v58, v59, v127
	v_pk_add_f32 v[58:59], v[22:23], v[50:51]
	s_nop 0
	v_min_f32_e32 v61, v58, v59
	v_pk_add_f32 v[58:59], v[18:19], v[50:51]
	s_nop 0
	v_min3_f32 v58, v58, v59, v60
	v_min3_f32 v59, v57, v61, v56
	v_lshl_add_u64 v[56:57], v[66:67], 2, v[52:53]
	flat_store_dword v[56:57], v59
	v_max_f32_e32 v56, v58, v58
	s_cbranch_vccz .LBB5_105
; %bb.104:
	v_min_f32_e32 v57, 0, v56
	v_lshl_add_u64 v[58:59], v[78:79], 2, v[52:53]
	flat_store_dword v[58:59], v57
	s_mov_b64 s[2:3], 0
.LBB5_105:
	;; [unrolled: 39-line block ×3, first 2 shown]
	s_andn2_b64 vcc, exec, s[2:3]
	v_mov_b32_e32 v57, 0
	s_cbranch_vccnz .LBB5_111
; %bb.110:
	v_lshl_add_u64 v[58:59], v[54:55], 0, v[86:87]
	flat_load_dword v57, v[58:59]
	v_lshl_add_u64 v[58:59], v[52:53], 0, v[86:87]
	v_lshl_add_u64 v[54:55], v[72:73], 2, v[54:55]
	s_waitcnt vmcnt(0) lgkmcnt(0)
	v_mul_f32_e32 v57, s28, v57
	v_min_f32_e32 v56, v57, v56
	flat_store_dword v[58:59], v56
	flat_load_dword v54, v[54:55]
	s_waitcnt vmcnt(0) lgkmcnt(0)
	v_mul_f32_e32 v57, s28, v54
.LBB5_111:
	v_pk_add_f32 v[48:49], v[0:1], v[48:49]
	s_mov_b64 vcc, s[8:9]
	v_min3_f32 v54, v48, v49, v124
	v_pk_add_f32 v[48:49], v[32:33], v[44:45]
	s_nop 0
	v_min3_f32 v55, v48, v49, v123
	v_pk_add_f32 v[48:49], v[2:3], v[50:51]
	s_nop 0
	v_min_f32_e32 v50, v48, v49
	v_pk_add_f32 v[48:49], v[34:35], v[46:47]
	v_min3_f32 v50, v57, v50, v54
	v_min3_f32 v55, v48, v49, v55
	v_lshl_add_u64 v[48:49], v[72:73], 2, v[52:53]
	flat_store_dword v[48:49], v50
	v_add_u32_e32 v50, 32, v150
	v_mad_i64_i32 v[48:49], s[2:3], v50, s5, 0
	v_mad_i64_i32 v[50:51], s[2:3], v50, s4, 0
	v_lshl_add_u64 v[48:49], v[48:49], 2, s[0:1]
	s_mov_b64 s[2:3], -1
	v_max_f32_e32 v52, v55, v55
	s_cbranch_vccz .LBB5_113
; %bb.112:
	v_min_f32_e32 v53, 0, v52
	v_lshl_add_u64 v[54:55], v[70:71], 2, v[48:49]
	flat_store_dword v[54:55], v53
	s_mov_b64 s[2:3], 0
.LBB5_113:
	v_lshl_add_u64 v[50:51], v[50:51], 2, s[16:17]
	s_andn2_b64 vcc, exec, s[2:3]
	v_mov_b32_e32 v53, 0
	s_cbranch_vccnz .LBB5_115
; %bb.114:
	v_lshl_add_u64 v[54:55], v[50:51], 0, v[76:77]
	flat_load_dword v53, v[54:55]
	v_lshl_add_u64 v[54:55], v[48:49], 0, v[76:77]
	s_waitcnt vmcnt(0) lgkmcnt(0)
	v_mul_f32_e32 v53, s28, v53
	v_min_f32_e32 v52, v53, v52
	flat_store_dword v[54:55], v52
	v_lshl_add_u64 v[52:53], v[64:65], 2, v[50:51]
	flat_load_dword v52, v[52:53]
	s_waitcnt vmcnt(0) lgkmcnt(0)
	v_mul_f32_e32 v53, s28, v52
.LBB5_115:
	v_pk_add_f32 v[54:55], v[24:25], v[44:45]
	s_mov_b64 s[2:3], -1
	v_min3_f32 v52, v54, v55, v122
	v_pk_add_f32 v[54:55], v[28:29], v[44:45]
	s_mov_b64 vcc, s[8:9]
	v_min3_f32 v56, v54, v55, v121
	v_pk_add_f32 v[54:55], v[26:27], v[46:47]
	s_nop 0
	v_min_f32_e32 v57, v54, v55
	v_pk_add_f32 v[54:55], v[30:31], v[46:47]
	s_nop 0
	v_min3_f32 v54, v54, v55, v56
	v_min3_f32 v55, v53, v57, v52
	v_lshl_add_u64 v[52:53], v[64:65], 2, v[48:49]
	flat_store_dword v[52:53], v55
	v_max_f32_e32 v52, v54, v54
	s_cbranch_vccz .LBB5_117
; %bb.116:
	v_min_f32_e32 v53, 0, v52
	v_lshl_add_u64 v[54:55], v[74:75], 2, v[48:49]
	flat_store_dword v[54:55], v53
	s_mov_b64 s[2:3], 0
.LBB5_117:
	s_andn2_b64 vcc, exec, s[2:3]
	v_mov_b32_e32 v53, 0
	s_cbranch_vccnz .LBB5_119
; %bb.118:
	v_lshl_add_u64 v[54:55], v[50:51], 0, v[80:81]
	flat_load_dword v53, v[54:55]
	v_lshl_add_u64 v[54:55], v[48:49], 0, v[80:81]
	s_waitcnt vmcnt(0) lgkmcnt(0)
	v_mul_f32_e32 v53, s28, v53
	v_min_f32_e32 v52, v53, v52
	flat_store_dword v[54:55], v52
	v_lshl_add_u64 v[52:53], v[66:67], 2, v[50:51]
	flat_load_dword v52, v[52:53]
	s_waitcnt vmcnt(0) lgkmcnt(0)
	v_mul_f32_e32 v53, s28, v52
.LBB5_119:
	v_pk_add_f32 v[54:55], v[20:21], v[44:45]
	s_mov_b64 s[2:3], -1
	v_min3_f32 v52, v54, v55, v120
	v_pk_add_f32 v[54:55], v[16:17], v[44:45]
	s_mov_b64 vcc, s[8:9]
	v_min3_f32 v56, v54, v55, v119
	v_pk_add_f32 v[54:55], v[22:23], v[46:47]
	s_nop 0
	v_min_f32_e32 v57, v54, v55
	v_pk_add_f32 v[54:55], v[18:19], v[46:47]
	s_nop 0
	v_min3_f32 v54, v54, v55, v56
	v_min3_f32 v55, v53, v57, v52
	v_lshl_add_u64 v[52:53], v[66:67], 2, v[48:49]
	flat_store_dword v[52:53], v55
	v_max_f32_e32 v52, v54, v54
	s_cbranch_vccz .LBB5_121
; %bb.120:
	v_min_f32_e32 v53, 0, v52
	v_lshl_add_u64 v[54:55], v[78:79], 2, v[48:49]
	flat_store_dword v[54:55], v53
	s_mov_b64 s[2:3], 0
.LBB5_121:
	s_andn2_b64 vcc, exec, s[2:3]
	v_mov_b32_e32 v53, 0
	s_cbranch_vccnz .LBB5_123
; %bb.122:
	v_lshl_add_u64 v[54:55], v[50:51], 0, v[82:83]
	flat_load_dword v53, v[54:55]
	v_lshl_add_u64 v[54:55], v[48:49], 0, v[82:83]
	s_waitcnt vmcnt(0) lgkmcnt(0)
	v_mul_f32_e32 v53, s28, v53
	v_min_f32_e32 v52, v53, v52
	flat_store_dword v[54:55], v52
	v_lshl_add_u64 v[52:53], v[68:69], 2, v[50:51]
	flat_load_dword v52, v[52:53]
	s_waitcnt vmcnt(0) lgkmcnt(0)
	v_mul_f32_e32 v53, s28, v52
.LBB5_123:
	v_pk_add_f32 v[54:55], v[12:13], v[44:45]
	s_mov_b64 s[2:3], -1
	v_min3_f32 v52, v54, v55, v116
	v_pk_add_f32 v[54:55], v[8:9], v[44:45]
	s_mov_b64 vcc, s[8:9]
	v_min3_f32 v56, v54, v55, v115
	v_pk_add_f32 v[54:55], v[14:15], v[46:47]
	s_nop 0
	v_min_f32_e32 v57, v54, v55
	v_pk_add_f32 v[54:55], v[10:11], v[46:47]
	s_nop 0
	v_min3_f32 v54, v54, v55, v56
	v_min3_f32 v55, v53, v57, v52
	v_lshl_add_u64 v[52:53], v[68:69], 2, v[48:49]
	flat_store_dword v[52:53], v55
	v_max_f32_e32 v52, v54, v54
	s_cbranch_vccz .LBB5_125
; %bb.124:
	v_min_f32_e32 v53, 0, v52
	v_lshl_add_u64 v[54:55], v[84:85], 2, v[48:49]
	flat_store_dword v[54:55], v53
	s_mov_b64 s[2:3], 0
.LBB5_125:
	s_andn2_b64 vcc, exec, s[2:3]
	v_mov_b32_e32 v53, 0
	s_cbranch_vccnz .LBB5_127
; %bb.126:
	v_lshl_add_u64 v[54:55], v[50:51], 0, v[86:87]
	flat_load_dword v53, v[54:55]
	v_lshl_add_u64 v[54:55], v[48:49], 0, v[86:87]
	v_lshl_add_u64 v[50:51], v[72:73], 2, v[50:51]
	s_waitcnt vmcnt(0) lgkmcnt(0)
	v_mul_f32_e32 v53, s28, v53
	v_min_f32_e32 v52, v53, v52
	flat_store_dword v[54:55], v52
	flat_load_dword v50, v[50:51]
	s_waitcnt vmcnt(0) lgkmcnt(0)
	v_mul_f32_e32 v53, s28, v50
.LBB5_127:
	v_pk_add_f32 v[44:45], v[0:1], v[44:45]
	s_mov_b64 vcc, s[8:9]
	v_min3_f32 v50, v44, v45, v118
	v_pk_add_f32 v[44:45], v[32:33], v[40:41]
	s_nop 0
	v_min3_f32 v51, v44, v45, v117
	v_pk_add_f32 v[44:45], v[2:3], v[46:47]
	s_nop 0
	v_min_f32_e32 v46, v44, v45
	v_pk_add_f32 v[44:45], v[34:35], v[42:43]
	v_min3_f32 v46, v53, v46, v50
	v_min3_f32 v51, v44, v45, v51
	v_lshl_add_u64 v[44:45], v[72:73], 2, v[48:49]
	flat_store_dword v[44:45], v46
	v_add_u32_e32 v46, 40, v150
	v_mad_i64_i32 v[44:45], s[2:3], v46, s5, 0
	v_mad_i64_i32 v[46:47], s[2:3], v46, s4, 0
	v_lshl_add_u64 v[44:45], v[44:45], 2, s[0:1]
	s_mov_b64 s[2:3], -1
	v_max_f32_e32 v48, v51, v51
	s_cbranch_vccz .LBB5_129
; %bb.128:
	v_min_f32_e32 v49, 0, v48
	v_lshl_add_u64 v[50:51], v[70:71], 2, v[44:45]
	flat_store_dword v[50:51], v49
	s_mov_b64 s[2:3], 0
.LBB5_129:
	v_lshl_add_u64 v[46:47], v[46:47], 2, s[16:17]
	s_andn2_b64 vcc, exec, s[2:3]
	v_mov_b32_e32 v49, 0
	s_cbranch_vccnz .LBB5_131
; %bb.130:
	v_lshl_add_u64 v[50:51], v[46:47], 0, v[76:77]
	flat_load_dword v49, v[50:51]
	v_lshl_add_u64 v[50:51], v[44:45], 0, v[76:77]
	s_waitcnt vmcnt(0) lgkmcnt(0)
	v_mul_f32_e32 v49, s28, v49
	v_min_f32_e32 v48, v49, v48
	flat_store_dword v[50:51], v48
	v_lshl_add_u64 v[48:49], v[64:65], 2, v[46:47]
	flat_load_dword v48, v[48:49]
	s_waitcnt vmcnt(0) lgkmcnt(0)
	v_mul_f32_e32 v49, s28, v48
.LBB5_131:
	v_pk_add_f32 v[50:51], v[24:25], v[40:41]
	s_mov_b64 s[2:3], -1
	v_min3_f32 v48, v50, v51, v114
	v_pk_add_f32 v[50:51], v[28:29], v[40:41]
	s_mov_b64 vcc, s[8:9]
	v_min3_f32 v52, v50, v51, v113
	v_pk_add_f32 v[50:51], v[26:27], v[42:43]
	s_nop 0
	v_min_f32_e32 v53, v50, v51
	v_pk_add_f32 v[50:51], v[30:31], v[42:43]
	s_nop 0
	v_min3_f32 v50, v50, v51, v52
	v_min3_f32 v51, v49, v53, v48
	v_lshl_add_u64 v[48:49], v[64:65], 2, v[44:45]
	flat_store_dword v[48:49], v51
	v_max_f32_e32 v48, v50, v50
	s_cbranch_vccz .LBB5_133
; %bb.132:
	v_min_f32_e32 v49, 0, v48
	v_lshl_add_u64 v[50:51], v[74:75], 2, v[44:45]
	flat_store_dword v[50:51], v49
	s_mov_b64 s[2:3], 0
.LBB5_133:
	s_andn2_b64 vcc, exec, s[2:3]
	v_mov_b32_e32 v49, 0
	s_cbranch_vccnz .LBB5_135
; %bb.134:
	v_lshl_add_u64 v[50:51], v[46:47], 0, v[80:81]
	flat_load_dword v49, v[50:51]
	v_lshl_add_u64 v[50:51], v[44:45], 0, v[80:81]
	s_waitcnt vmcnt(0) lgkmcnt(0)
	v_mul_f32_e32 v49, s28, v49
	v_min_f32_e32 v48, v49, v48
	flat_store_dword v[50:51], v48
	v_lshl_add_u64 v[48:49], v[66:67], 2, v[46:47]
	flat_load_dword v48, v[48:49]
	s_waitcnt vmcnt(0) lgkmcnt(0)
	v_mul_f32_e32 v49, s28, v48
.LBB5_135:
	v_pk_add_f32 v[50:51], v[20:21], v[40:41]
	s_mov_b64 s[2:3], -1
	v_min3_f32 v48, v50, v51, v112
	v_pk_add_f32 v[50:51], v[16:17], v[40:41]
	s_mov_b64 vcc, s[8:9]
	v_min3_f32 v52, v50, v51, v111
	v_pk_add_f32 v[50:51], v[22:23], v[42:43]
	s_nop 0
	v_min_f32_e32 v53, v50, v51
	v_pk_add_f32 v[50:51], v[18:19], v[42:43]
	s_nop 0
	v_min3_f32 v50, v50, v51, v52
	v_min3_f32 v51, v49, v53, v48
	v_lshl_add_u64 v[48:49], v[66:67], 2, v[44:45]
	flat_store_dword v[48:49], v51
	v_max_f32_e32 v48, v50, v50
	s_cbranch_vccz .LBB5_137
; %bb.136:
	v_min_f32_e32 v49, 0, v48
	v_lshl_add_u64 v[50:51], v[78:79], 2, v[44:45]
	flat_store_dword v[50:51], v49
	s_mov_b64 s[2:3], 0
.LBB5_137:
	;; [unrolled: 39-line block ×3, first 2 shown]
	s_andn2_b64 vcc, exec, s[2:3]
	v_mov_b32_e32 v49, 0
	s_cbranch_vccnz .LBB5_143
; %bb.142:
	v_lshl_add_u64 v[50:51], v[46:47], 0, v[86:87]
	flat_load_dword v49, v[50:51]
	v_lshl_add_u64 v[50:51], v[44:45], 0, v[86:87]
	v_lshl_add_u64 v[46:47], v[72:73], 2, v[46:47]
	s_waitcnt vmcnt(0) lgkmcnt(0)
	v_mul_f32_e32 v49, s28, v49
	v_min_f32_e32 v48, v49, v48
	flat_store_dword v[50:51], v48
	flat_load_dword v46, v[46:47]
	s_waitcnt vmcnt(0) lgkmcnt(0)
	v_mul_f32_e32 v49, s28, v46
.LBB5_143:
	v_pk_add_f32 v[40:41], v[0:1], v[40:41]
	s_mov_b64 vcc, s[8:9]
	v_min3_f32 v46, v40, v41, v108
	v_pk_add_f32 v[40:41], v[32:33], v[36:37]
	s_nop 0
	v_min3_f32 v47, v40, v41, v107
	v_pk_add_f32 v[40:41], v[2:3], v[42:43]
	s_nop 0
	v_min_f32_e32 v42, v40, v41
	v_pk_add_f32 v[40:41], v[34:35], v[38:39]
	v_min3_f32 v42, v49, v42, v46
	v_min3_f32 v47, v40, v41, v47
	v_lshl_add_u64 v[40:41], v[72:73], 2, v[44:45]
	flat_store_dword v[40:41], v42
	v_add_u32_e32 v42, 48, v150
	v_mad_i64_i32 v[40:41], s[2:3], v42, s5, 0
	v_mad_i64_i32 v[42:43], s[2:3], v42, s4, 0
	v_lshl_add_u64 v[40:41], v[40:41], 2, s[0:1]
	s_mov_b64 s[2:3], -1
	v_max_f32_e32 v44, v47, v47
	s_cbranch_vccz .LBB5_145
; %bb.144:
	v_min_f32_e32 v45, 0, v44
	v_lshl_add_u64 v[46:47], v[70:71], 2, v[40:41]
	flat_store_dword v[46:47], v45
	s_mov_b64 s[2:3], 0
.LBB5_145:
	v_lshl_add_u64 v[42:43], v[42:43], 2, s[16:17]
	s_andn2_b64 vcc, exec, s[2:3]
	v_mov_b32_e32 v45, 0
	s_cbranch_vccnz .LBB5_147
; %bb.146:
	v_lshl_add_u64 v[46:47], v[42:43], 0, v[76:77]
	flat_load_dword v45, v[46:47]
	v_lshl_add_u64 v[46:47], v[40:41], 0, v[76:77]
	s_waitcnt vmcnt(0) lgkmcnt(0)
	v_mul_f32_e32 v45, s28, v45
	v_min_f32_e32 v44, v45, v44
	flat_store_dword v[46:47], v44
	v_lshl_add_u64 v[44:45], v[64:65], 2, v[42:43]
	flat_load_dword v44, v[44:45]
	s_waitcnt vmcnt(0) lgkmcnt(0)
	v_mul_f32_e32 v45, s28, v44
.LBB5_147:
	v_pk_add_f32 v[46:47], v[24:25], v[36:37]
	s_mov_b64 s[2:3], -1
	v_min3_f32 v44, v46, v47, v106
	v_pk_add_f32 v[46:47], v[28:29], v[36:37]
	s_mov_b64 vcc, s[8:9]
	v_min3_f32 v48, v46, v47, v105
	v_pk_add_f32 v[46:47], v[26:27], v[38:39]
	s_nop 0
	v_min_f32_e32 v49, v46, v47
	v_pk_add_f32 v[46:47], v[30:31], v[38:39]
	s_nop 0
	v_min3_f32 v46, v46, v47, v48
	v_min3_f32 v47, v45, v49, v44
	v_lshl_add_u64 v[44:45], v[64:65], 2, v[40:41]
	flat_store_dword v[44:45], v47
	v_max_f32_e32 v44, v46, v46
	s_cbranch_vccz .LBB5_149
; %bb.148:
	v_min_f32_e32 v45, 0, v44
	v_lshl_add_u64 v[46:47], v[74:75], 2, v[40:41]
	flat_store_dword v[46:47], v45
	s_mov_b64 s[2:3], 0
.LBB5_149:
	s_andn2_b64 vcc, exec, s[2:3]
	v_mov_b32_e32 v45, 0
	s_cbranch_vccnz .LBB5_151
; %bb.150:
	v_lshl_add_u64 v[46:47], v[42:43], 0, v[80:81]
	flat_load_dword v45, v[46:47]
	v_lshl_add_u64 v[46:47], v[40:41], 0, v[80:81]
	s_waitcnt vmcnt(0) lgkmcnt(0)
	v_mul_f32_e32 v45, s28, v45
	v_min_f32_e32 v44, v45, v44
	flat_store_dword v[46:47], v44
	v_lshl_add_u64 v[44:45], v[66:67], 2, v[42:43]
	flat_load_dword v44, v[44:45]
	s_waitcnt vmcnt(0) lgkmcnt(0)
	v_mul_f32_e32 v45, s28, v44
.LBB5_151:
	v_pk_add_f32 v[46:47], v[20:21], v[36:37]
	s_mov_b64 s[2:3], -1
	v_min3_f32 v44, v46, v47, v104
	v_pk_add_f32 v[46:47], v[16:17], v[36:37]
	s_mov_b64 vcc, s[8:9]
	v_min3_f32 v48, v46, v47, v103
	v_pk_add_f32 v[46:47], v[22:23], v[38:39]
	s_nop 0
	v_min_f32_e32 v49, v46, v47
	v_pk_add_f32 v[46:47], v[18:19], v[38:39]
	s_nop 0
	v_min3_f32 v46, v46, v47, v48
	v_min3_f32 v47, v45, v49, v44
	v_lshl_add_u64 v[44:45], v[66:67], 2, v[40:41]
	flat_store_dword v[44:45], v47
	v_max_f32_e32 v44, v46, v46
	s_cbranch_vccz .LBB5_153
; %bb.152:
	v_min_f32_e32 v45, 0, v44
	v_lshl_add_u64 v[46:47], v[78:79], 2, v[40:41]
	flat_store_dword v[46:47], v45
	s_mov_b64 s[2:3], 0
.LBB5_153:
	;; [unrolled: 39-line block ×3, first 2 shown]
	s_andn2_b64 vcc, exec, s[2:3]
	v_mov_b32_e32 v45, 0
	s_cbranch_vccnz .LBB5_159
; %bb.158:
	v_lshl_add_u64 v[46:47], v[42:43], 0, v[86:87]
	flat_load_dword v45, v[46:47]
	v_lshl_add_u64 v[46:47], v[40:41], 0, v[86:87]
	v_lshl_add_u64 v[42:43], v[72:73], 2, v[42:43]
	s_waitcnt vmcnt(0) lgkmcnt(0)
	v_mul_f32_e32 v45, s28, v45
	v_min_f32_e32 v44, v45, v44
	flat_store_dword v[46:47], v44
	flat_load_dword v42, v[42:43]
	s_waitcnt vmcnt(0) lgkmcnt(0)
	v_mul_f32_e32 v45, s28, v42
.LBB5_159:
	v_pk_add_f32 v[36:37], v[0:1], v[36:37]
	v_pk_add_f32 v[32:33], v[32:33], v[4:5]
	v_min3_f32 v36, v36, v37, v99
	v_min3_f32 v37, v32, v33, v100
	v_pk_add_f32 v[32:33], v[2:3], v[38:39]
	s_mov_b64 vcc, s[8:9]
	v_min_f32_e32 v38, v32, v33
	v_pk_add_f32 v[32:33], v[34:35], v[6:7]
	v_min3_f32 v34, v45, v38, v36
	v_min3_f32 v37, v32, v33, v37
	v_lshl_add_u64 v[32:33], v[72:73], 2, v[40:41]
	flat_store_dword v[32:33], v34
	v_add_u32_e32 v34, 56, v150
	v_mad_i64_i32 v[32:33], s[2:3], v34, s5, 0
	v_lshl_add_u64 v[32:33], v[32:33], 2, s[0:1]
	v_mad_i64_i32 v[34:35], s[0:1], v34, s4, 0
	s_mov_b64 s[0:1], -1
	v_max_f32_e32 v36, v37, v37
	s_cbranch_vccz .LBB5_161
; %bb.160:
	v_min_f32_e32 v37, 0, v36
	v_lshl_add_u64 v[38:39], v[70:71], 2, v[32:33]
	flat_store_dword v[38:39], v37
	s_mov_b64 s[0:1], 0
.LBB5_161:
	v_lshl_add_u64 v[34:35], v[34:35], 2, s[16:17]
	s_andn2_b64 vcc, exec, s[0:1]
	v_mov_b32_e32 v37, 0
	s_cbranch_vccnz .LBB5_163
; %bb.162:
	v_lshl_add_u64 v[38:39], v[34:35], 0, v[76:77]
	flat_load_dword v37, v[38:39]
	v_lshl_add_u64 v[38:39], v[32:33], 0, v[76:77]
	s_waitcnt vmcnt(0) lgkmcnt(0)
	v_mul_f32_e32 v37, s28, v37
	v_min_f32_e32 v36, v37, v36
	flat_store_dword v[38:39], v36
	v_lshl_add_u64 v[36:37], v[64:65], 2, v[34:35]
	flat_load_dword v36, v[36:37]
	s_waitcnt vmcnt(0) lgkmcnt(0)
	v_mul_f32_e32 v37, s28, v36
.LBB5_163:
	v_pk_add_f32 v[24:25], v[24:25], v[4:5]
	s_mov_b64 s[0:1], -1
	v_min3_f32 v36, v24, v25, v97
	v_pk_add_f32 v[24:25], v[28:29], v[4:5]
	s_mov_b64 vcc, s[8:9]
	v_min3_f32 v28, v24, v25, v98
	v_pk_add_f32 v[24:25], v[26:27], v[6:7]
	s_nop 0
	v_min_f32_e32 v26, v24, v25
	v_pk_add_f32 v[24:25], v[30:31], v[6:7]
	v_min3_f32 v26, v37, v26, v36
	v_min3_f32 v27, v24, v25, v28
	v_lshl_add_u64 v[24:25], v[64:65], 2, v[32:33]
	flat_store_dword v[24:25], v26
	v_max_f32_e32 v24, v27, v27
	s_cbranch_vccz .LBB5_165
; %bb.164:
	v_min_f32_e32 v25, 0, v24
	v_lshl_add_u64 v[26:27], v[74:75], 2, v[32:33]
	flat_store_dword v[26:27], v25
	s_mov_b64 s[0:1], 0
.LBB5_165:
	s_andn2_b64 vcc, exec, s[0:1]
	v_mov_b32_e32 v25, 0
	s_cbranch_vccnz .LBB5_167
; %bb.166:
	v_lshl_add_u64 v[26:27], v[34:35], 0, v[80:81]
	flat_load_dword v25, v[26:27]
	v_lshl_add_u64 v[26:27], v[32:33], 0, v[80:81]
	s_waitcnt vmcnt(0) lgkmcnt(0)
	v_mul_f32_e32 v25, s28, v25
	v_min_f32_e32 v24, v25, v24
	flat_store_dword v[26:27], v24
	v_lshl_add_u64 v[24:25], v[66:67], 2, v[34:35]
	flat_load_dword v24, v[24:25]
	s_waitcnt vmcnt(0) lgkmcnt(0)
	v_mul_f32_e32 v25, s28, v24
.LBB5_167:
	v_pk_add_f32 v[20:21], v[20:21], v[4:5]
	v_pk_add_f32 v[16:17], v[16:17], v[4:5]
	v_min3_f32 v20, v20, v21, v96
	v_min3_f32 v21, v16, v17, v95
	v_pk_add_f32 v[16:17], v[22:23], v[6:7]
	s_mov_b64 s[0:1], -1
	v_min_f32_e32 v22, v16, v17
	v_pk_add_f32 v[16:17], v[18:19], v[6:7]
	v_min3_f32 v19, v25, v22, v20
	v_min3_f32 v18, v16, v17, v21
	v_lshl_add_u64 v[16:17], v[66:67], 2, v[32:33]
	flat_store_dword v[16:17], v19
	v_max_f32_e32 v16, v18, v18
	s_mov_b64 vcc, s[8:9]
	s_cbranch_vccz .LBB5_169
; %bb.168:
	v_min_f32_e32 v17, 0, v16
	v_lshl_add_u64 v[18:19], v[78:79], 2, v[32:33]
	flat_store_dword v[18:19], v17
	s_mov_b64 s[0:1], 0
.LBB5_169:
	s_andn2_b64 vcc, exec, s[0:1]
	v_mov_b32_e32 v17, 0
	s_cbranch_vccnz .LBB5_171
; %bb.170:
	v_lshl_add_u64 v[18:19], v[34:35], 0, v[82:83]
	flat_load_dword v17, v[18:19]
	v_lshl_add_u64 v[18:19], v[32:33], 0, v[82:83]
	s_waitcnt vmcnt(0) lgkmcnt(0)
	v_mul_f32_e32 v17, s28, v17
	v_min_f32_e32 v16, v17, v16
	flat_store_dword v[18:19], v16
	v_lshl_add_u64 v[16:17], v[68:69], 2, v[34:35]
	flat_load_dword v16, v[16:17]
	s_waitcnt vmcnt(0) lgkmcnt(0)
	v_mul_f32_e32 v17, s28, v16
.LBB5_171:
	v_pk_add_f32 v[12:13], v[12:13], v[4:5]
	v_pk_add_f32 v[8:9], v[8:9], v[4:5]
	v_min3_f32 v12, v12, v13, v94
	v_min3_f32 v13, v8, v9, v93
	v_pk_add_f32 v[8:9], v[14:15], v[6:7]
	s_mov_b64 s[0:1], -1
	v_min_f32_e32 v14, v8, v9
	v_pk_add_f32 v[8:9], v[10:11], v[6:7]
	v_min3_f32 v11, v17, v14, v12
	v_min3_f32 v10, v8, v9, v13
	v_lshl_add_u64 v[8:9], v[68:69], 2, v[32:33]
	flat_store_dword v[8:9], v11
	v_max_f32_e32 v8, v10, v10
	s_mov_b64 vcc, s[8:9]
	s_cbranch_vccz .LBB5_173
; %bb.172:
	v_min_f32_e32 v9, 0, v8
	v_lshl_add_u64 v[10:11], v[84:85], 2, v[32:33]
	flat_store_dword v[10:11], v9
	s_mov_b64 s[0:1], 0
.LBB5_173:
	s_andn2_b64 vcc, exec, s[0:1]
	v_mov_b32_e32 v9, 0
	s_cbranch_vccnz .LBB5_175
; %bb.174:
	v_lshl_add_u64 v[10:11], v[34:35], 0, v[86:87]
	flat_load_dword v9, v[10:11]
	v_lshl_add_u64 v[10:11], v[32:33], 0, v[86:87]
	s_waitcnt vmcnt(0) lgkmcnt(0)
	v_mul_f32_e32 v9, s28, v9
	v_min_f32_e32 v8, v9, v8
	flat_store_dword v[10:11], v8
	v_lshl_add_u64 v[8:9], v[72:73], 2, v[34:35]
	flat_load_dword v8, v[8:9]
	s_waitcnt vmcnt(0) lgkmcnt(0)
	v_mul_f32_e32 v9, s28, v8
.LBB5_175:
	v_pk_add_f32 v[2:3], v[2:3], v[6:7]
	v_pk_add_f32 v[0:1], v[0:1], v[4:5]
	v_min_f32_e32 v2, v2, v3
	v_min3_f32 v0, v0, v1, v92
	v_min3_f32 v2, v9, v2, v0
	v_lshl_add_u64 v[0:1], v[72:73], 2, v[32:33]
	flat_store_dword v[0:1], v2
	s_endpgm
	.section	.rodata,"a",@progbits
	.p2align	6, 0x0
	.amdhsa_kernel _ZN12_GLOBAL__N_120geam_min_plus_kernelIf15HIP_vector_typeIfLj2EEfLi32ELi8ELi256ELi64ELi4ELi64ELi4ELi4ELi64ELc78ELc78ELb0ELb0ELb1EfKPKfKPfEEviiiT16_PT17_ilSA_ilS8_SA_ilPT18_ili26rocblas_geam_ex_operation_
		.amdhsa_group_segment_fixed_size 10240
		.amdhsa_private_segment_fixed_size 0
		.amdhsa_kernarg_size 128
		.amdhsa_user_sgpr_count 2
		.amdhsa_user_sgpr_dispatch_ptr 0
		.amdhsa_user_sgpr_queue_ptr 0
		.amdhsa_user_sgpr_kernarg_segment_ptr 1
		.amdhsa_user_sgpr_dispatch_id 0
		.amdhsa_user_sgpr_kernarg_preload_length 0
		.amdhsa_user_sgpr_kernarg_preload_offset 0
		.amdhsa_user_sgpr_private_segment_size 0
		.amdhsa_uses_dynamic_stack 0
		.amdhsa_enable_private_segment 0
		.amdhsa_system_sgpr_workgroup_id_x 1
		.amdhsa_system_sgpr_workgroup_id_y 0
		.amdhsa_system_sgpr_workgroup_id_z 1
		.amdhsa_system_sgpr_workgroup_info 0
		.amdhsa_system_vgpr_workitem_id 1
		.amdhsa_next_free_vgpr 158
		.amdhsa_next_free_sgpr 32
		.amdhsa_accum_offset 160
		.amdhsa_reserve_vcc 1
		.amdhsa_float_round_mode_32 0
		.amdhsa_float_round_mode_16_64 0
		.amdhsa_float_denorm_mode_32 3
		.amdhsa_float_denorm_mode_16_64 3
		.amdhsa_dx10_clamp 1
		.amdhsa_ieee_mode 1
		.amdhsa_fp16_overflow 0
		.amdhsa_tg_split 0
		.amdhsa_exception_fp_ieee_invalid_op 0
		.amdhsa_exception_fp_denorm_src 0
		.amdhsa_exception_fp_ieee_div_zero 0
		.amdhsa_exception_fp_ieee_overflow 0
		.amdhsa_exception_fp_ieee_underflow 0
		.amdhsa_exception_fp_ieee_inexact 0
		.amdhsa_exception_int_div_zero 0
	.end_amdhsa_kernel
	.section	.text._ZN12_GLOBAL__N_120geam_min_plus_kernelIf15HIP_vector_typeIfLj2EEfLi32ELi8ELi256ELi64ELi4ELi64ELi4ELi4ELi64ELc78ELc78ELb0ELb0ELb1EfKPKfKPfEEviiiT16_PT17_ilSA_ilS8_SA_ilPT18_ili26rocblas_geam_ex_operation_,"axG",@progbits,_ZN12_GLOBAL__N_120geam_min_plus_kernelIf15HIP_vector_typeIfLj2EEfLi32ELi8ELi256ELi64ELi4ELi64ELi4ELi4ELi64ELc78ELc78ELb0ELb0ELb1EfKPKfKPfEEviiiT16_PT17_ilSA_ilS8_SA_ilPT18_ili26rocblas_geam_ex_operation_,comdat
.Lfunc_end5:
	.size	_ZN12_GLOBAL__N_120geam_min_plus_kernelIf15HIP_vector_typeIfLj2EEfLi32ELi8ELi256ELi64ELi4ELi64ELi4ELi4ELi64ELc78ELc78ELb0ELb0ELb1EfKPKfKPfEEviiiT16_PT17_ilSA_ilS8_SA_ilPT18_ili26rocblas_geam_ex_operation_, .Lfunc_end5-_ZN12_GLOBAL__N_120geam_min_plus_kernelIf15HIP_vector_typeIfLj2EEfLi32ELi8ELi256ELi64ELi4ELi64ELi4ELi4ELi64ELc78ELc78ELb0ELb0ELb1EfKPKfKPfEEviiiT16_PT17_ilSA_ilS8_SA_ilPT18_ili26rocblas_geam_ex_operation_
                                        ; -- End function
	.set _ZN12_GLOBAL__N_120geam_min_plus_kernelIf15HIP_vector_typeIfLj2EEfLi32ELi8ELi256ELi64ELi4ELi64ELi4ELi4ELi64ELc78ELc78ELb0ELb0ELb1EfKPKfKPfEEviiiT16_PT17_ilSA_ilS8_SA_ilPT18_ili26rocblas_geam_ex_operation_.num_vgpr, 158
	.set _ZN12_GLOBAL__N_120geam_min_plus_kernelIf15HIP_vector_typeIfLj2EEfLi32ELi8ELi256ELi64ELi4ELi64ELi4ELi4ELi64ELc78ELc78ELb0ELb0ELb1EfKPKfKPfEEviiiT16_PT17_ilSA_ilS8_SA_ilPT18_ili26rocblas_geam_ex_operation_.num_agpr, 0
	.set _ZN12_GLOBAL__N_120geam_min_plus_kernelIf15HIP_vector_typeIfLj2EEfLi32ELi8ELi256ELi64ELi4ELi64ELi4ELi4ELi64ELc78ELc78ELb0ELb0ELb1EfKPKfKPfEEviiiT16_PT17_ilSA_ilS8_SA_ilPT18_ili26rocblas_geam_ex_operation_.numbered_sgpr, 32
	.set _ZN12_GLOBAL__N_120geam_min_plus_kernelIf15HIP_vector_typeIfLj2EEfLi32ELi8ELi256ELi64ELi4ELi64ELi4ELi4ELi64ELc78ELc78ELb0ELb0ELb1EfKPKfKPfEEviiiT16_PT17_ilSA_ilS8_SA_ilPT18_ili26rocblas_geam_ex_operation_.num_named_barrier, 0
	.set _ZN12_GLOBAL__N_120geam_min_plus_kernelIf15HIP_vector_typeIfLj2EEfLi32ELi8ELi256ELi64ELi4ELi64ELi4ELi4ELi64ELc78ELc78ELb0ELb0ELb1EfKPKfKPfEEviiiT16_PT17_ilSA_ilS8_SA_ilPT18_ili26rocblas_geam_ex_operation_.private_seg_size, 0
	.set _ZN12_GLOBAL__N_120geam_min_plus_kernelIf15HIP_vector_typeIfLj2EEfLi32ELi8ELi256ELi64ELi4ELi64ELi4ELi4ELi64ELc78ELc78ELb0ELb0ELb1EfKPKfKPfEEviiiT16_PT17_ilSA_ilS8_SA_ilPT18_ili26rocblas_geam_ex_operation_.uses_vcc, 1
	.set _ZN12_GLOBAL__N_120geam_min_plus_kernelIf15HIP_vector_typeIfLj2EEfLi32ELi8ELi256ELi64ELi4ELi64ELi4ELi4ELi64ELc78ELc78ELb0ELb0ELb1EfKPKfKPfEEviiiT16_PT17_ilSA_ilS8_SA_ilPT18_ili26rocblas_geam_ex_operation_.uses_flat_scratch, 0
	.set _ZN12_GLOBAL__N_120geam_min_plus_kernelIf15HIP_vector_typeIfLj2EEfLi32ELi8ELi256ELi64ELi4ELi64ELi4ELi4ELi64ELc78ELc78ELb0ELb0ELb1EfKPKfKPfEEviiiT16_PT17_ilSA_ilS8_SA_ilPT18_ili26rocblas_geam_ex_operation_.has_dyn_sized_stack, 0
	.set _ZN12_GLOBAL__N_120geam_min_plus_kernelIf15HIP_vector_typeIfLj2EEfLi32ELi8ELi256ELi64ELi4ELi64ELi4ELi4ELi64ELc78ELc78ELb0ELb0ELb1EfKPKfKPfEEviiiT16_PT17_ilSA_ilS8_SA_ilPT18_ili26rocblas_geam_ex_operation_.has_recursion, 0
	.set _ZN12_GLOBAL__N_120geam_min_plus_kernelIf15HIP_vector_typeIfLj2EEfLi32ELi8ELi256ELi64ELi4ELi64ELi4ELi4ELi64ELc78ELc78ELb0ELb0ELb1EfKPKfKPfEEviiiT16_PT17_ilSA_ilS8_SA_ilPT18_ili26rocblas_geam_ex_operation_.has_indirect_call, 0
	.section	.AMDGPU.csdata,"",@progbits
; Kernel info:
; codeLenInByte = 16576
; TotalNumSgprs: 38
; NumVgprs: 158
; NumAgprs: 0
; TotalNumVgprs: 158
; ScratchSize: 0
; MemoryBound: 0
; FloatMode: 240
; IeeeMode: 1
; LDSByteSize: 10240 bytes/workgroup (compile time only)
; SGPRBlocks: 4
; VGPRBlocks: 19
; NumSGPRsForWavesPerEU: 38
; NumVGPRsForWavesPerEU: 158
; AccumOffset: 160
; Occupancy: 3
; WaveLimiterHint : 1
; COMPUTE_PGM_RSRC2:SCRATCH_EN: 0
; COMPUTE_PGM_RSRC2:USER_SGPR: 2
; COMPUTE_PGM_RSRC2:TRAP_HANDLER: 0
; COMPUTE_PGM_RSRC2:TGID_X_EN: 1
; COMPUTE_PGM_RSRC2:TGID_Y_EN: 0
; COMPUTE_PGM_RSRC2:TGID_Z_EN: 1
; COMPUTE_PGM_RSRC2:TIDIG_COMP_CNT: 1
; COMPUTE_PGM_RSRC3_GFX90A:ACCUM_OFFSET: 39
; COMPUTE_PGM_RSRC3_GFX90A:TG_SPLIT: 0
	.section	.text._ZN12_GLOBAL__N_120geam_min_plus_kernelIf15HIP_vector_typeIfLj2EEfLi32ELi8ELi256ELi64ELi4ELi64ELi4ELi4ELi64ELc78ELc78ELb0ELb1ELb1EPKfKS4_KPfEEviiiT16_PT17_ilSA_ilS8_SA_ilPT18_ili26rocblas_geam_ex_operation_,"axG",@progbits,_ZN12_GLOBAL__N_120geam_min_plus_kernelIf15HIP_vector_typeIfLj2EEfLi32ELi8ELi256ELi64ELi4ELi64ELi4ELi4ELi64ELc78ELc78ELb0ELb1ELb1EPKfKS4_KPfEEviiiT16_PT17_ilSA_ilS8_SA_ilPT18_ili26rocblas_geam_ex_operation_,comdat
	.globl	_ZN12_GLOBAL__N_120geam_min_plus_kernelIf15HIP_vector_typeIfLj2EEfLi32ELi8ELi256ELi64ELi4ELi64ELi4ELi4ELi64ELc78ELc78ELb0ELb1ELb1EPKfKS4_KPfEEviiiT16_PT17_ilSA_ilS8_SA_ilPT18_ili26rocblas_geam_ex_operation_ ; -- Begin function _ZN12_GLOBAL__N_120geam_min_plus_kernelIf15HIP_vector_typeIfLj2EEfLi32ELi8ELi256ELi64ELi4ELi64ELi4ELi4ELi64ELc78ELc78ELb0ELb1ELb1EPKfKS4_KPfEEviiiT16_PT17_ilSA_ilS8_SA_ilPT18_ili26rocblas_geam_ex_operation_
	.p2align	8
	.type	_ZN12_GLOBAL__N_120geam_min_plus_kernelIf15HIP_vector_typeIfLj2EEfLi32ELi8ELi256ELi64ELi4ELi64ELi4ELi4ELi64ELc78ELc78ELb0ELb1ELb1EPKfKS4_KPfEEviiiT16_PT17_ilSA_ilS8_SA_ilPT18_ili26rocblas_geam_ex_operation_,@function
_ZN12_GLOBAL__N_120geam_min_plus_kernelIf15HIP_vector_typeIfLj2EEfLi32ELi8ELi256ELi64ELi4ELi64ELi4ELi4ELi64ELc78ELc78ELb0ELb1ELb1EPKfKS4_KPfEEviiiT16_PT17_ilSA_ilS8_SA_ilPT18_ili26rocblas_geam_ex_operation_: ; @_ZN12_GLOBAL__N_120geam_min_plus_kernelIf15HIP_vector_typeIfLj2EEfLi32ELi8ELi256ELi64ELi4ELi64ELi4ELi4ELi64ELc78ELc78ELb0ELb1ELb1EPKfKS4_KPfEEviiiT16_PT17_ilSA_ilS8_SA_ilPT18_ili26rocblas_geam_ex_operation_
; %bb.0:
	s_load_dwordx4 s[12:15], s[0:1], 0x10
	s_load_dwordx4 s[8:11], s[0:1], 0x28
	;; [unrolled: 1-line block ×3, first 2 shown]
	s_mov_b32 s18, s3
	s_mov_b32 s19, 0
	s_lshl_b64 s[16:17], s[18:19], 2
	s_waitcnt lgkmcnt(0)
	s_add_u32 s20, s12, s16
	s_addc_u32 s21, s13, s17
	s_load_dword s33, s[20:21], 0x0
	s_load_dwordx2 s[12:13], s[0:1], 0x50
	s_add_u32 s6, s6, s16
	s_addc_u32 s7, s7, s17
	s_mov_b64 s[28:29], 0
	s_waitcnt lgkmcnt(0)
	v_cmp_eq_f32_e64 s[16:17], s33, 0
	v_cmp_neq_f32_e64 s[20:21], s33, 0
	s_and_b64 vcc, exec, s[16:17]
	s_mov_b64 s[16:17], 0
	s_cbranch_vccnz .LBB6_2
; %bb.1:
	s_lshl_b64 s[16:17], s[18:19], 3
	s_add_u32 s14, s14, s16
	s_addc_u32 s15, s15, s17
	s_load_dwordx2 s[14:15], s[14:15], 0x0
	s_lshl_b64 s[8:9], s[8:9], 2
	s_waitcnt lgkmcnt(0)
	s_add_u32 s16, s14, s8
	s_addc_u32 s17, s15, s9
.LBB6_2:
	s_load_dword s30, s[6:7], 0x0
	s_andn2_b64 vcc, exec, s[20:21]
	s_cbranch_vccnz .LBB6_4
; %bb.3:
	s_lshl_b64 s[6:7], s[18:19], 3
	s_add_u32 s6, s10, s6
	s_addc_u32 s7, s11, s7
	s_load_dwordx2 s[6:7], s[6:7], 0x0
	s_lshl_b64 s[4:5], s[4:5], 2
	s_waitcnt lgkmcnt(0)
	s_add_u32 s28, s6, s4
	s_addc_u32 s29, s7, s5
.LBB6_4:
	s_load_dwordx4 s[4:7], s[0:1], 0x60
	s_waitcnt lgkmcnt(0)
	v_cmp_eq_f32_e64 s[8:9], s30, 0
	v_cmp_neq_f32_e64 s[14:15], s30, 0
	s_and_b64 vcc, exec, s[8:9]
	s_cbranch_vccnz .LBB6_6
; %bb.5:
	s_lshl_b64 s[8:9], s[18:19], 3
	s_add_u32 s8, s12, s8
	s_addc_u32 s9, s13, s9
	s_load_dwordx2 s[8:9], s[8:9], 0x0
	s_lshl_b64 s[4:5], s[4:5], 2
	s_waitcnt lgkmcnt(0)
	s_add_u32 s24, s8, s4
	s_addc_u32 s25, s9, s5
	s_branch .LBB6_7
.LBB6_6:
	s_mov_b64 s[24:25], 0
.LBB6_7:
	s_load_dwordx4 s[20:23], s[0:1], 0x0
	s_lshl_b64 s[4:5], s[18:19], 3
	s_add_u32 s26, s6, s4
	s_addc_u32 s27, s7, s5
	v_and_b32_e32 v70, 0x3ff, v0
	s_waitcnt lgkmcnt(0)
	s_add_i32 s3, s20, -1
	s_ashr_i32 s4, s3, 31
	s_lshr_b32 s4, s4, 24
	s_add_i32 s3, s3, s4
	s_ashr_i32 s3, s3, 8
	s_add_i32 s4, s3, 1
	v_cvt_f32_u32_e32 v1, s4
	v_bfe_u32 v71, v0, 10, 10
	s_not_b32 s3, s3
	s_load_dword s23, s[0:1], 0x20
	v_rcp_iflag_f32_e32 v1, v1
	v_lshl_add_u32 v7, v71, 5, v70
	v_and_b32_e32 v2, 63, v7
	v_lshrrev_b32_e32 v72, 6, v7
	v_mul_f32_e32 v0, 0x4f7ffffe, v1
	v_cvt_u32_f32_e32 v0, v0
	v_cmp_le_i32_e64 s[8:9], s22, v72
	v_cmp_eq_f32_e64 s[18:19], s33, 0
	v_mov_b32_e32 v4, 0x7f7fffff
	v_readfirstlane_b32 s5, v0
	s_mul_i32 s3, s3, s5
	s_mul_hi_u32 s3, s5, s3
	s_add_i32 s5, s5, s3
	s_mul_hi_u32 s3, s2, s5
	s_mul_i32 s5, s3, s4
	s_sub_i32 s5, s2, s5
	s_add_i32 s6, s3, 1
	s_sub_i32 s7, s5, s4
	s_cmp_ge_u32 s5, s4
	s_cselect_b32 s3, s6, s3
	s_cselect_b32 s5, s7, s5
	s_add_i32 s6, s3, 1
	s_cmp_ge_u32 s5, s4
	s_cselect_b32 s10, s6, s3
	s_mul_i32 s3, s10, s4
	s_sub_i32 s2, s2, s3
	s_lshl_b32 s31, s2, 8
	s_add_i32 s35, s22, -1
	v_or_b32_e32 v64, s31, v2
	v_min_i32_e32 v0, s35, v72
	s_waitcnt lgkmcnt(0)
	v_mad_i64_i32 v[0:1], s[2:3], s23, v0, 0
	v_cmp_le_i32_e32 vcc, s20, v64
	s_or_b64 s[2:3], vcc, s[8:9]
	v_lshl_add_u64 v[0:1], v[0:1], 2, s[16:17]
	v_cndmask_b32_e64 v3, 0, v4, s[2:3]
	s_nor_b64 s[4:5], s[18:19], s[2:3]
	v_ashrrev_i32_e32 v65, 31, v64
	s_and_saveexec_b64 s[2:3], s[4:5]
	s_cbranch_execz .LBB6_9
; %bb.8:
	v_lshl_add_u64 v[8:9], v[64:65], 2, v[0:1]
	flat_load_dword v3, v[8:9]
	s_waitcnt vmcnt(0) lgkmcnt(0)
	v_mul_f32_e32 v3, s33, v3
.LBB6_9:
	s_or_b64 exec, exec, s[2:3]
	v_or_b32_e32 v5, 64, v64
	v_cmp_le_i32_e64 s[2:3], s20, v5
	s_or_b64 s[4:5], s[2:3], s[8:9]
	v_cndmask_b32_e64 v4, 0, v4, s[4:5]
	s_nor_b64 s[6:7], s[18:19], s[4:5]
	s_and_saveexec_b64 s[4:5], s[6:7]
	s_cbranch_execz .LBB6_11
; %bb.10:
	v_lshl_add_u64 v[4:5], v[64:65], 2, v[0:1]
	flat_load_dword v4, v[4:5] offset:256
	s_waitcnt vmcnt(0) lgkmcnt(0)
	v_mul_f32_e32 v4, s33, v4
.LBB6_11:
	s_or_b64 exec, exec, s[4:5]
	v_or_b32_e32 v5, 0x80, v64
	v_cmp_le_i32_e64 s[4:5], s20, v5
	v_mov_b32_e32 v6, 0x7f7fffff
	s_or_b64 s[6:7], s[4:5], s[8:9]
	v_cndmask_b32_e64 v5, 0, v6, s[6:7]
	s_nor_b64 s[12:13], s[18:19], s[6:7]
	s_and_saveexec_b64 s[6:7], s[12:13]
	s_cbranch_execz .LBB6_13
; %bb.12:
	v_lshl_add_u64 v[8:9], v[64:65], 2, v[0:1]
	flat_load_dword v5, v[8:9] offset:512
	s_waitcnt vmcnt(0) lgkmcnt(0)
	v_mul_f32_e32 v5, s33, v5
.LBB6_13:
	s_or_b64 exec, exec, s[6:7]
	v_or_b32_e32 v8, 0xc0, v64
	v_cmp_le_i32_e64 s[6:7], s20, v8
	s_or_b64 s[8:9], s[6:7], s[8:9]
	v_cndmask_b32_e64 v6, 0, v6, s[8:9]
	s_nor_b64 s[12:13], s[18:19], s[8:9]
	s_and_saveexec_b64 s[8:9], s[12:13]
	s_cbranch_execz .LBB6_15
; %bb.14:
	v_lshl_add_u64 v[0:1], v[64:65], 2, v[0:1]
	flat_load_dword v0, v[0:1] offset:768
	s_waitcnt vmcnt(0) lgkmcnt(0)
	v_mul_f32_e32 v6, s33, v0
.LBB6_15:
	s_or_b64 exec, exec, s[8:9]
	s_load_dword s37, s[0:1], 0x38
	v_lshrrev_b32_e32 v7, 2, v7
	s_lshl_b32 s34, s10, 6
	v_and_b32_e32 v75, 3, v70
	v_add_u32_e32 v57, s34, v7
	v_cmp_le_i32_e64 s[10:11], s22, v75
	v_cmp_le_i32_e64 s[8:9], s21, v57
	v_mov_b32_e32 v9, 0x7f7fffff
	s_or_b64 s[10:11], s[10:11], s[8:9]
	v_cndmask_b32_e64 v8, 0, v9, s[10:11]
	s_nor_b64 s[12:13], s[18:19], s[10:11]
	s_and_saveexec_b64 s[10:11], s[12:13]
	s_cbranch_execz .LBB6_17
; %bb.16:
	s_waitcnt lgkmcnt(0)
	v_mad_i64_i32 v[0:1], s[12:13], v57, s37, 0
	v_min_u32_e32 v8, s35, v75
	v_lshl_add_u64 v[0:1], v[0:1], 2, s[28:29]
	v_lshlrev_b32_e32 v10, 2, v8
	v_mov_b32_e32 v11, 0
	v_lshl_add_u64 v[0:1], v[0:1], 0, v[10:11]
	flat_load_dword v0, v[0:1]
	s_waitcnt vmcnt(0) lgkmcnt(0)
	v_mul_f32_e32 v8, s33, v0
.LBB6_17:
	s_or_b64 exec, exec, s[10:11]
	v_add_u32_e32 v0, 4, v72
	v_cmp_le_i32_e64 s[10:11], s22, v0
	v_min_i32_e32 v0, s35, v0
	v_mad_i64_i32 v[0:1], s[12:13], s23, v0, 0
	s_or_b64 s[12:13], vcc, s[10:11]
	v_lshl_add_u64 v[0:1], v[0:1], 2, s[16:17]
	v_cndmask_b32_e64 v58, 0, v9, s[12:13]
	s_nor_b64 s[38:39], s[18:19], s[12:13]
	s_and_saveexec_b64 s[12:13], s[38:39]
	s_cbranch_execz .LBB6_19
; %bb.18:
	v_lshl_add_u64 v[10:11], v[64:65], 2, v[0:1]
	flat_load_dword v9, v[10:11]
	s_waitcnt vmcnt(0) lgkmcnt(0)
	v_mul_f32_e32 v58, s33, v9
.LBB6_19:
	s_or_b64 exec, exec, s[12:13]
	v_mov_b32_e32 v9, 0x7f7fffff
	s_or_b64 s[12:13], s[2:3], s[10:11]
	v_cndmask_b32_e64 v59, 0, v9, s[12:13]
	s_nor_b64 s[38:39], s[18:19], s[12:13]
	s_and_saveexec_b64 s[12:13], s[38:39]
	s_cbranch_execz .LBB6_21
; %bb.20:
	v_lshl_add_u64 v[10:11], v[64:65], 2, v[0:1]
	flat_load_dword v10, v[10:11] offset:256
	s_waitcnt vmcnt(0) lgkmcnt(0)
	v_mul_f32_e32 v59, s33, v10
.LBB6_21:
	s_or_b64 exec, exec, s[12:13]
	s_or_b64 s[12:13], s[4:5], s[10:11]
	v_cndmask_b32_e64 v60, 0, v9, s[12:13]
	s_nor_b64 s[38:39], s[18:19], s[12:13]
	s_and_saveexec_b64 s[12:13], s[38:39]
	s_cbranch_execz .LBB6_23
; %bb.22:
	v_lshl_add_u64 v[10:11], v[64:65], 2, v[0:1]
	flat_load_dword v9, v[10:11] offset:512
	s_waitcnt vmcnt(0) lgkmcnt(0)
	v_mul_f32_e32 v60, s33, v9
.LBB6_23:
	s_or_b64 exec, exec, s[12:13]
	v_mov_b32_e32 v9, 0x7f7fffff
	s_or_b64 s[10:11], s[6:7], s[10:11]
	v_cndmask_b32_e64 v61, 0, v9, s[10:11]
	s_nor_b64 s[12:13], s[18:19], s[10:11]
	s_and_saveexec_b64 s[10:11], s[12:13]
	s_cbranch_execz .LBB6_25
; %bb.24:
	v_lshl_add_u64 v[0:1], v[64:65], 2, v[0:1]
	flat_load_dword v0, v[0:1] offset:768
	s_waitcnt vmcnt(0) lgkmcnt(0)
	v_mul_f32_e32 v61, s33, v0
.LBB6_25:
	s_or_b64 exec, exec, s[10:11]
	v_or_b32_e32 v0, 4, v75
	v_cmp_le_i32_e64 s[10:11], s22, v0
	s_or_b64 s[10:11], s[10:11], s[8:9]
	s_nor_b64 s[38:39], s[18:19], s[10:11]
	v_cndmask_b32_e64 v62, 0, v9, s[10:11]
	s_mov_b32 s12, 0x7f7fffff
	s_and_saveexec_b64 s[10:11], s[38:39]
	s_cbranch_execz .LBB6_27
; %bb.26:
	s_waitcnt lgkmcnt(0)
	v_mad_i64_i32 v[10:11], s[38:39], v57, s37, 0
	v_min_u32_e32 v0, s35, v0
	v_lshl_add_u64 v[10:11], v[10:11], 2, s[28:29]
	v_lshlrev_b32_e32 v0, 2, v0
	v_mov_b32_e32 v1, 0
	v_lshl_add_u64 v[0:1], v[10:11], 0, v[0:1]
	flat_load_dword v0, v[0:1]
	s_waitcnt vmcnt(0) lgkmcnt(0)
	v_mul_f32_e32 v62, s33, v0
.LBB6_27:
	s_or_b64 exec, exec, s[10:11]
	v_lshlrev_b32_e32 v0, 4, v2
	v_lshlrev_b32_e32 v56, 2, v75
	v_lshl_add_u32 v76, v72, 2, v0
	v_lshl_or_b32 v63, v7, 4, v56
	v_lshlrev_b32_e32 v74, 4, v70
	s_load_dwordx2 s[26:27], s[26:27], 0x0
	ds_write2st64_b32 v76, v3, v4 offset1:4
	ds_write2st64_b32 v76, v5, v6 offset0:8 offset1:12
	ds_write_b32 v63, v8 offset:8192
	s_waitcnt lgkmcnt(0)
	s_barrier
	v_lshlrev_b32_e32 v73, 4, v71
	ds_read_b128 v[28:31], v74
	ds_read_b128 v[24:27], v74 offset:512
	ds_read_b128 v[20:23], v74 offset:1024
	;; [unrolled: 1-line block ×13, first 2 shown]
	s_waitcnt lgkmcnt(5)
	v_pk_add_f32 v[66:67], v[28:29], v[52:53]
	s_cmp_lt_i32 s22, 9
	v_min3_f32 v68, v66, v67, s12
	v_pk_add_f32 v[66:67], v[24:25], v[52:53]
	s_nop 0
	v_min3_f32 v69, v66, v67, s12
	v_pk_add_f32 v[66:67], v[20:21], v[52:53]
	s_nop 0
	v_min3_f32 v77, v66, v67, s12
	v_pk_add_f32 v[66:67], v[16:17], v[52:53]
	s_nop 0
	v_min3_f32 v78, v66, v67, s12
	v_pk_add_f32 v[66:67], v[12:13], v[52:53]
	s_nop 0
	v_min3_f32 v79, v66, v67, s12
	v_pk_add_f32 v[66:67], v[8:9], v[52:53]
	s_nop 0
	v_min3_f32 v80, v66, v67, s12
	v_pk_add_f32 v[66:67], v[4:5], v[52:53]
	v_pk_add_f32 v[52:53], v[0:1], v[52:53]
	v_min3_f32 v66, v66, v67, s12
	v_min3_f32 v67, v52, v53, s12
	s_waitcnt lgkmcnt(4)
	v_pk_add_f32 v[52:53], v[28:29], v[48:49]
	s_nop 0
	v_min3_f32 v81, v52, v53, s12
	v_pk_add_f32 v[52:53], v[24:25], v[48:49]
	s_nop 0
	v_min3_f32 v82, v52, v53, s12
	v_pk_add_f32 v[52:53], v[20:21], v[48:49]
	s_nop 0
	v_min3_f32 v83, v52, v53, s12
	v_pk_add_f32 v[52:53], v[16:17], v[48:49]
	s_nop 0
	v_min3_f32 v84, v52, v53, s12
	v_pk_add_f32 v[52:53], v[12:13], v[48:49]
	s_nop 0
	v_min3_f32 v85, v52, v53, s12
	v_pk_add_f32 v[52:53], v[8:9], v[48:49]
	s_nop 0
	v_min3_f32 v86, v52, v53, s12
	v_pk_add_f32 v[52:53], v[4:5], v[48:49]
	v_pk_add_f32 v[48:49], v[0:1], v[48:49]
	v_min3_f32 v52, v52, v53, s12
	v_min3_f32 v53, v48, v49, s12
	s_waitcnt lgkmcnt(3)
	v_pk_add_f32 v[48:49], v[28:29], v[44:45]
	s_nop 0
	;; [unrolled: 23-line block ×4, first 2 shown]
	v_min3_f32 v101, v40, v41, s12
	v_pk_add_f32 v[40:41], v[24:25], v[36:37]
	s_nop 0
	v_min3_f32 v102, v40, v41, s12
	v_pk_add_f32 v[40:41], v[20:21], v[36:37]
	s_nop 0
	;; [unrolled: 3-line block ×5, first 2 shown]
	v_min3_f32 v106, v40, v41, s12
	v_pk_add_f32 v[40:41], v[4:5], v[36:37]
	v_pk_add_f32 v[36:37], v[0:1], v[36:37]
	v_min3_f32 v107, v40, v41, s12
	v_min3_f32 v108, v36, v37, s12
	s_waitcnt lgkmcnt(0)
	v_pk_add_f32 v[36:37], v[28:29], v[32:33]
	v_pk_add_f32 v[40:41], v[4:5], v[32:33]
	v_min3_f32 v125, v36, v37, s12
	v_pk_add_f32 v[36:37], v[24:25], v[32:33]
	v_min3_f32 v40, v40, v41, s12
	v_min3_f32 v146, v36, v37, s12
	v_pk_add_f32 v[36:37], v[20:21], v[32:33]
	s_nop 0
	v_min3_f32 v147, v36, v37, s12
	v_pk_add_f32 v[36:37], v[16:17], v[32:33]
	s_nop 0
	;; [unrolled: 3-line block ×10, first 2 shown]
	v_min3_f32 v66, v36, v37, s12
	v_pk_add_f32 v[36:37], v[8:9], v[32:33]
	v_pk_add_f32 v[32:33], v[0:1], v[32:33]
	v_min3_f32 v68, v36, v37, s12
	v_min3_f32 v41, v32, v33, s12
	v_pk_add_f32 v[32:33], v[30:31], v[50:51]
	v_pk_add_f32 v[36:37], v[2:3], v[54:55]
	v_min3_f32 v140, v32, v33, v81
	v_pk_add_f32 v[32:33], v[26:27], v[50:51]
	v_min3_f32 v141, v36, v37, v67
	v_min3_f32 v139, v32, v33, v82
	v_pk_add_f32 v[32:33], v[22:23], v[50:51]
	s_nop 0
	v_min3_f32 v138, v32, v33, v83
	v_pk_add_f32 v[32:33], v[18:19], v[50:51]
	s_nop 0
	;; [unrolled: 3-line block ×5, first 2 shown]
	v_min3_f32 v134, v32, v33, v52
	v_pk_add_f32 v[32:33], v[2:3], v[50:51]
	ds_read_b128 v[48:51], v73 offset:8960
	v_min3_f32 v133, v32, v33, v53
	v_pk_add_f32 v[32:33], v[30:31], v[46:47]
	ds_read_b128 v[52:55], v73 offset:9088
	v_min3_f32 v132, v32, v33, v87
	v_pk_add_f32 v[32:33], v[26:27], v[46:47]
	s_waitcnt lgkmcnt(1)
	v_pk_add_f32 v[36:37], v[20:21], v[48:49]
	v_min3_f32 v131, v32, v33, v88
	v_pk_add_f32 v[32:33], v[22:23], v[46:47]
	s_waitcnt lgkmcnt(0)
	v_pk_add_f32 v[20:21], v[20:21], v[52:53]
	v_min3_f32 v130, v32, v33, v89
	v_pk_add_f32 v[32:33], v[18:19], v[46:47]
	v_min3_f32 v20, v20, v21, s12
	v_min3_f32 v129, v32, v33, v90
	v_pk_add_f32 v[32:33], v[14:15], v[46:47]
	ds_write2st64_b32 v76, v58, v59 offset0:16 offset1:20
	ds_write2st64_b32 v76, v60, v61 offset0:24 offset1:28
	ds_write_b32 v63, v62 offset:9216
	v_min3_f32 v128, v32, v33, v91
	v_pk_add_f32 v[32:33], v[10:11], v[46:47]
	s_waitcnt lgkmcnt(0)
	v_min3_f32 v126, v32, v33, v92
	v_pk_add_f32 v[32:33], v[6:7], v[46:47]
	s_barrier
	v_min3_f32 v123, v32, v33, v93
	v_pk_add_f32 v[32:33], v[28:29], v[48:49]
	v_pk_add_f32 v[28:29], v[28:29], v[52:53]
	v_min3_f32 v67, v32, v33, s12
	v_pk_add_f32 v[32:33], v[24:25], v[48:49]
	v_min3_f32 v28, v28, v29, s12
	v_min3_f32 v69, v32, v33, s12
	v_pk_add_f32 v[32:33], v[2:3], v[46:47]
	v_min3_f32 v46, v36, v37, s12
	v_min3_f32 v127, v32, v33, v94
	v_pk_add_f32 v[32:33], v[30:31], v[42:43]
	v_pk_add_f32 v[36:37], v[16:17], v[48:49]
	v_min3_f32 v124, v32, v33, v95
	v_pk_add_f32 v[32:33], v[26:27], v[42:43]
	v_min3_f32 v47, v36, v37, s12
	v_min3_f32 v122, v32, v33, v96
	v_pk_add_f32 v[32:33], v[22:23], v[42:43]
	v_pk_add_f32 v[36:37], v[4:5], v[48:49]
	v_min3_f32 v121, v32, v33, v97
	v_pk_add_f32 v[32:33], v[18:19], v[42:43]
	v_pk_add_f32 v[4:5], v[4:5], v[52:53]
	;; [unrolled: 3-line block ×4, first 2 shown]
	v_min3_f32 v118, v32, v33, v100
	v_pk_add_f32 v[32:33], v[6:7], v[42:43]
	v_min3_f32 v4, v4, v5, s12
	v_min3_f32 v117, v32, v33, v44
	v_pk_add_f32 v[32:33], v[12:13], v[48:49]
	v_min3_f32 v29, v24, v25, s12
	;; [unrolled: 3-line block ×4, first 2 shown]
	v_min3_f32 v116, v32, v33, v45
	v_pk_add_f32 v[32:33], v[30:31], v[38:39]
	v_pk_add_f32 v[36:37], v[0:1], v[48:49]
	v_min3_f32 v115, v32, v33, v101
	v_pk_add_f32 v[32:33], v[26:27], v[38:39]
	v_pk_add_f32 v[0:1], v[0:1], v[52:53]
	v_min3_f32 v114, v32, v33, v102
	v_pk_add_f32 v[32:33], v[22:23], v[38:39]
	v_min3_f32 v5, v0, v1, s12
	v_min3_f32 v113, v32, v33, v103
	v_pk_add_f32 v[32:33], v[18:19], v[38:39]
	v_pk_add_f32 v[0:1], v[30:31], v[54:55]
	v_min3_f32 v112, v32, v33, v104
	v_pk_add_f32 v[32:33], v[14:15], v[38:39]
	v_pk_add_f32 v[16:17], v[30:31], v[50:51]
	v_min3_f32 v111, v32, v33, v105
	v_pk_add_f32 v[32:33], v[10:11], v[38:39]
	v_min3_f32 v91, v0, v1, v28
	v_min3_f32 v110, v32, v33, v106
	v_pk_add_f32 v[32:33], v[6:7], v[38:39]
	v_pk_add_f32 v[0:1], v[26:27], v[54:55]
	v_min3_f32 v109, v32, v33, v107
	v_pk_add_f32 v[32:33], v[2:3], v[38:39]
	v_min3_f32 v99, v16, v17, v67
	;; [unrolled: 6-line block ×3, first 2 shown]
	v_pk_add_f32 v[0:1], v[22:23], v[54:55]
	v_min3_f32 v106, v32, v33, v146
	v_pk_add_f32 v[32:33], v[22:23], v[34:35]
	v_min3_f32 v98, v16, v17, v69
	v_pk_add_f32 v[16:17], v[22:23], v[50:51]
	v_pk_add_f32 v[12:13], v[12:13], v[52:53]
	v_min3_f32 v89, v0, v1, v20
	v_pk_add_f32 v[0:1], v[18:19], v[54:55]
	v_min3_f32 v105, v32, v33, v147
	;; [unrolled: 2-line block ×8, first 2 shown]
	v_min3_f32 v86, v0, v1, v12
	v_pk_add_f32 v[0:1], v[10:11], v[54:55]
	v_min3_f32 v103, v32, v33, v66
	v_pk_add_f32 v[32:33], v[10:11], v[34:35]
	;; [unrolled: 2-line block ×4, first 2 shown]
	v_min3_f32 v36, v36, v37, s12
	v_min3_f32 v102, v32, v33, v68
	v_pk_add_f32 v[32:33], v[6:7], v[34:35]
	v_pk_add_f32 v[24:25], v[2:3], v[34:35]
	v_min3_f32 v94, v16, v17, v80
	v_pk_add_f32 v[16:17], v[6:7], v[50:51]
	v_pk_add_f32 v[8:9], v[2:3], v[50:51]
	v_min3_f32 v84, v0, v1, v4
	v_pk_add_f32 v[0:1], v[2:3], v[54:55]
	v_min3_f32 v101, v32, v33, v40
	v_min3_f32 v100, v24, v25, v41
	;; [unrolled: 1-line block ×5, first 2 shown]
	s_cbranch_scc1 .LBB6_50
; %bb.28:
	v_mov_b32_e32 v0, 0x1000
	v_lshl_add_u32 v125, v70, 4, v0
	v_mov_b32_e32 v0, 0x2400
	v_lshl_add_u32 v146, v71, 4, v0
	v_mad_i64_i32 v[0:1], s[10:11], s37, v57, 0
	v_mov_b32_e32 v57, 0
	v_lshl_add_u64 v[0:1], v[0:1], 2, v[56:57]
	v_lshl_add_u64 v[0:1], s[28:29], 0, v[0:1]
	v_add_u32_e32 v80, 0x2000, v63
	v_add_u32_e32 v81, 0x2000, v73
	;; [unrolled: 1-line block ×4, first 2 shown]
	s_add_i32 s36, s22, -8
	v_lshl_add_u64 v[66:67], v[0:1], 0, 48
	s_mov_b32 s28, 0
	v_mov_b32_e32 v147, 0x7f7fffff
	s_branch .LBB6_30
.LBB6_29:                               ;   in Loop: Header=BB6_30 Depth=1
	s_or_b64 exec, exec, s[10:11]
	v_pk_add_f32 v[152:153], v[28:29], v[60:61]
	s_add_i32 s28, s28, 8
	v_min3_f32 v69, v152, v153, v145
	v_pk_add_f32 v[152:153], v[24:25], v[60:61]
	s_cmp_ge_i32 s28, s36
	v_min3_f32 v152, v152, v153, v144
	v_pk_add_f32 v[144:145], v[20:21], v[60:61]
	v_lshl_add_u64 v[66:67], v[66:67], 0, 32
	v_min3_f32 v153, v144, v145, v143
	v_pk_add_f32 v[144:145], v[16:17], v[60:61]
	s_nop 0
	v_min3_f32 v144, v144, v145, v142
	v_pk_add_f32 v[142:143], v[12:13], v[60:61]
	s_nop 0
	v_min3_f32 v79, v142, v143, v79
	v_pk_add_f32 v[142:143], v[8:9], v[60:61]
	s_nop 0
	v_min3_f32 v77, v142, v143, v77
	v_pk_add_f32 v[142:143], v[4:5], v[60:61]
	v_pk_add_f32 v[60:61], v[0:1], v[60:61]
	v_min3_f32 v78, v142, v143, v78
	v_min3_f32 v141, v60, v61, v141
	v_pk_add_f32 v[60:61], v[28:29], v[56:57]
	s_nop 0
	v_min3_f32 v140, v60, v61, v140
	v_pk_add_f32 v[60:61], v[24:25], v[56:57]
	s_nop 0
	v_min3_f32 v139, v60, v61, v139
	v_pk_add_f32 v[60:61], v[20:21], v[56:57]
	s_nop 0
	v_min3_f32 v138, v60, v61, v138
	v_pk_add_f32 v[60:61], v[16:17], v[56:57]
	s_nop 0
	v_min3_f32 v137, v60, v61, v137
	v_pk_add_f32 v[60:61], v[12:13], v[56:57]
	s_nop 0
	v_min3_f32 v136, v60, v61, v136
	v_pk_add_f32 v[60:61], v[8:9], v[56:57]
	s_nop 0
	v_min3_f32 v135, v60, v61, v135
	v_pk_add_f32 v[60:61], v[4:5], v[56:57]
	v_pk_add_f32 v[56:57], v[0:1], v[56:57]
	v_min3_f32 v60, v60, v61, v134
	v_min3_f32 v61, v56, v57, v133
	v_pk_add_f32 v[56:57], v[28:29], v[52:53]
	s_nop 0
	v_min3_f32 v132, v56, v57, v132
	v_pk_add_f32 v[56:57], v[24:25], v[52:53]
	s_nop 0
	v_min3_f32 v131, v56, v57, v131
	v_pk_add_f32 v[56:57], v[20:21], v[52:53]
	s_nop 0
	;; [unrolled: 22-line block ×5, first 2 shown]
	v_min3_f32 v105, v44, v45, v105
	v_pk_add_f32 v[44:45], v[16:17], v[40:41]
	s_nop 0
	v_min3_f32 v104, v44, v45, v104
	v_pk_add_f32 v[44:45], v[12:13], v[40:41]
	s_nop 0
	;; [unrolled: 3-line block ×3, first 2 shown]
	v_min3_f32 v102, v44, v45, v102
	v_pk_add_f32 v[44:45], v[4:5], v[40:41]
	v_pk_add_f32 v[40:41], v[0:1], v[40:41]
	v_min3_f32 v44, v44, v45, v101
	v_min3_f32 v45, v40, v41, v100
	v_pk_add_f32 v[40:41], v[28:29], v[36:37]
	v_pk_add_f32 v[28:29], v[28:29], v[32:33]
	v_min3_f32 v99, v40, v41, v99
	v_pk_add_f32 v[40:41], v[24:25], v[36:37]
	v_pk_add_f32 v[24:25], v[24:25], v[32:33]
	;; [unrolled: 3-line block ×7, first 2 shown]
	v_pk_add_f32 v[4:5], v[4:5], v[32:33]
	v_pk_add_f32 v[0:1], v[0:1], v[32:33]
	v_min3_f32 v4, v4, v5, v84
	v_min3_f32 v5, v0, v1, v88
	v_pk_add_f32 v[0:1], v[30:31], v[62:63]
	v_min3_f32 v8, v8, v9, v85
	v_min3_f32 v69, v0, v1, v69
	;; [unrolled: 3-line block ×9, first 2 shown]
	v_pk_add_f32 v[0:1], v[30:31], v[58:59]
	s_nop 0
	v_min3_f32 v90, v0, v1, v140
	v_pk_add_f32 v[0:1], v[26:27], v[58:59]
	s_nop 0
	v_min3_f32 v91, v0, v1, v139
	v_pk_add_f32 v[0:1], v[22:23], v[58:59]
	s_nop 0
	v_min3_f32 v92, v0, v1, v138
	v_pk_add_f32 v[0:1], v[18:19], v[58:59]
	s_nop 0
	v_min3_f32 v93, v0, v1, v137
	v_pk_add_f32 v[0:1], v[14:15], v[58:59]
	s_nop 0
	v_min3_f32 v100, v0, v1, v136
	v_pk_add_f32 v[0:1], v[10:11], v[58:59]
	s_nop 0
	v_min3_f32 v101, v0, v1, v135
	v_pk_add_f32 v[0:1], v[6:7], v[58:59]
	s_nop 0
	v_min3_f32 v108, v0, v1, v60
	v_pk_add_f32 v[0:1], v[2:3], v[58:59]
	s_nop 0
	v_min3_f32 v109, v0, v1, v61
	v_pk_add_f32 v[0:1], v[30:31], v[54:55]
	s_nop 0
	v_min3_f32 v116, v0, v1, v132
	v_pk_add_f32 v[0:1], v[26:27], v[54:55]
	s_nop 0
	v_min3_f32 v117, v0, v1, v131
	v_pk_add_f32 v[0:1], v[22:23], v[54:55]
	s_nop 0
	v_min3_f32 v124, v0, v1, v130
	v_pk_add_f32 v[0:1], v[18:19], v[54:55]
	s_nop 0
	v_min3_f32 v127, v0, v1, v129
	v_pk_add_f32 v[0:1], v[14:15], v[54:55]
	s_nop 0
	v_min3_f32 v128, v0, v1, v128
	v_pk_add_f32 v[0:1], v[10:11], v[54:55]
	s_nop 0
	v_min3_f32 v126, v0, v1, v126
	v_pk_add_f32 v[0:1], v[6:7], v[54:55]
	s_nop 0
	v_min3_f32 v129, v0, v1, v56
	v_pk_add_f32 v[0:1], v[2:3], v[54:55]
	s_nop 0
	v_min3_f32 v130, v0, v1, v57
	v_pk_add_f32 v[0:1], v[30:31], v[50:51]
	s_nop 0
	v_min3_f32 v123, v0, v1, v123
	v_pk_add_f32 v[0:1], v[26:27], v[50:51]
	s_nop 0
	v_min3_f32 v122, v0, v1, v122
	v_pk_add_f32 v[0:1], v[22:23], v[50:51]
	s_nop 0
	v_min3_f32 v121, v0, v1, v121
	v_pk_add_f32 v[0:1], v[18:19], v[50:51]
	s_nop 0
	v_min3_f32 v120, v0, v1, v120
	v_pk_add_f32 v[0:1], v[14:15], v[50:51]
	s_nop 0
	v_min3_f32 v119, v0, v1, v119
	v_pk_add_f32 v[0:1], v[10:11], v[50:51]
	s_nop 0
	v_min3_f32 v118, v0, v1, v118
	v_pk_add_f32 v[0:1], v[6:7], v[50:51]
	s_nop 0
	v_min3_f32 v131, v0, v1, v52
	v_pk_add_f32 v[0:1], v[2:3], v[50:51]
	s_nop 0
	v_min3_f32 v132, v0, v1, v53
	v_pk_add_f32 v[0:1], v[30:31], v[46:47]
	s_nop 0
	v_min3_f32 v115, v0, v1, v115
	v_pk_add_f32 v[0:1], v[26:27], v[46:47]
	s_nop 0
	v_min3_f32 v114, v0, v1, v114
	v_pk_add_f32 v[0:1], v[22:23], v[46:47]
	s_nop 0
	v_min3_f32 v113, v0, v1, v113
	v_pk_add_f32 v[0:1], v[18:19], v[46:47]
	s_nop 0
	v_min3_f32 v112, v0, v1, v112
	v_pk_add_f32 v[0:1], v[14:15], v[46:47]
	s_nop 0
	v_min3_f32 v111, v0, v1, v111
	v_pk_add_f32 v[0:1], v[10:11], v[46:47]
	s_nop 0
	v_min3_f32 v110, v0, v1, v110
	v_pk_add_f32 v[0:1], v[6:7], v[46:47]
	s_nop 0
	v_min3_f32 v133, v0, v1, v48
	v_pk_add_f32 v[0:1], v[2:3], v[46:47]
	s_nop 0
	v_min3_f32 v134, v0, v1, v49
	v_pk_add_f32 v[0:1], v[30:31], v[42:43]
	s_nop 0
	v_min3_f32 v107, v0, v1, v107
	v_pk_add_f32 v[0:1], v[26:27], v[42:43]
	s_nop 0
	v_min3_f32 v106, v0, v1, v106
	v_pk_add_f32 v[0:1], v[22:23], v[42:43]
	s_nop 0
	v_min3_f32 v105, v0, v1, v105
	v_pk_add_f32 v[0:1], v[18:19], v[42:43]
	s_nop 0
	v_min3_f32 v104, v0, v1, v104
	v_pk_add_f32 v[0:1], v[14:15], v[42:43]
	s_nop 0
	v_min3_f32 v103, v0, v1, v103
	v_pk_add_f32 v[0:1], v[10:11], v[42:43]
	s_nop 0
	v_min3_f32 v102, v0, v1, v102
	v_pk_add_f32 v[0:1], v[6:7], v[42:43]
	s_nop 0
	v_min3_f32 v135, v0, v1, v44
	v_pk_add_f32 v[0:1], v[2:3], v[42:43]
	s_nop 0
	v_min3_f32 v136, v0, v1, v45
	v_pk_add_f32 v[0:1], v[30:31], v[38:39]
	s_nop 0
	v_min3_f32 v99, v0, v1, v99
	v_pk_add_f32 v[0:1], v[26:27], v[38:39]
	s_nop 0
	v_min3_f32 v98, v0, v1, v98
	v_pk_add_f32 v[0:1], v[22:23], v[38:39]
	s_nop 0
	v_min3_f32 v97, v0, v1, v97
	v_pk_add_f32 v[0:1], v[18:19], v[38:39]
	s_nop 0
	v_min3_f32 v96, v0, v1, v96
	v_pk_add_f32 v[0:1], v[14:15], v[38:39]
	s_nop 0
	v_min3_f32 v95, v0, v1, v95
	v_pk_add_f32 v[0:1], v[10:11], v[38:39]
	s_nop 0
	v_min3_f32 v94, v0, v1, v94
	v_pk_add_f32 v[0:1], v[6:7], v[38:39]
	s_nop 0
	v_min3_f32 v137, v0, v1, v40
	v_pk_add_f32 v[0:1], v[2:3], v[38:39]
	s_nop 0
	v_min3_f32 v138, v0, v1, v36
	v_pk_add_f32 v[0:1], v[30:31], v[34:35]
	s_nop 0
	v_min3_f32 v139, v0, v1, v28
	v_pk_add_f32 v[0:1], v[26:27], v[34:35]
	s_nop 0
	v_min3_f32 v140, v0, v1, v24
	v_pk_add_f32 v[0:1], v[22:23], v[34:35]
	s_nop 0
	v_min3_f32 v141, v0, v1, v20
	v_pk_add_f32 v[0:1], v[18:19], v[34:35]
	s_nop 0
	v_min3_f32 v142, v0, v1, v16
	v_pk_add_f32 v[0:1], v[14:15], v[34:35]
	s_nop 0
	v_min3_f32 v143, v0, v1, v12
	v_pk_add_f32 v[0:1], v[10:11], v[34:35]
	s_nop 0
	v_min3_f32 v144, v0, v1, v8
	v_pk_add_f32 v[0:1], v[6:7], v[34:35]
	s_nop 0
	v_min3_f32 v145, v0, v1, v4
	v_pk_add_f32 v[0:1], v[2:3], v[34:35]
	s_nop 0
	v_min3_f32 v152, v0, v1, v5
	ds_read_b128 v[0:3], v74
	ds_read_b128 v[4:7], v74 offset:512
	ds_read_b128 v[8:11], v74 offset:1024
	;; [unrolled: 1-line block ×7, first 2 shown]
	ds_read_b128 v[36:39], v81
	ds_read_b128 v[40:43], v81 offset:128
	ds_read_b128 v[44:47], v81 offset:256
	;; [unrolled: 1-line block ×7, first 2 shown]
	s_waitcnt lgkmcnt(7)
	v_pk_add_f32 v[78:79], v[0:1], v[36:37]
	ds_write2st64_b32 v82, v148, v149 offset1:4
	ds_write2st64_b32 v82, v150, v151 offset0:8 offset1:12
	ds_write_b32 v83, v68
	v_min3_f32 v69, v78, v79, v69
	v_pk_add_f32 v[78:79], v[4:5], v[36:37]
	s_waitcnt lgkmcnt(0)
	v_min3_f32 v84, v78, v79, v84
	v_pk_add_f32 v[78:79], v[8:9], v[36:37]
	s_barrier
	v_min3_f32 v85, v78, v79, v85
	v_pk_add_f32 v[78:79], v[12:13], v[36:37]
	s_nop 0
	v_min3_f32 v86, v78, v79, v86
	v_pk_add_f32 v[78:79], v[16:17], v[36:37]
	s_nop 0
	;; [unrolled: 3-line block ×3, first 2 shown]
	v_min3_f32 v77, v78, v79, v77
	v_pk_add_f32 v[78:79], v[24:25], v[36:37]
	v_pk_add_f32 v[36:37], v[28:29], v[36:37]
	v_min3_f32 v78, v78, v79, v88
	v_min3_f32 v88, v36, v37, v89
	v_pk_add_f32 v[36:37], v[0:1], v[40:41]
	s_nop 0
	v_min3_f32 v89, v36, v37, v90
	v_pk_add_f32 v[36:37], v[4:5], v[40:41]
	s_nop 0
	;; [unrolled: 3-line block ×40, first 2 shown]
	v_min3_f32 v56, v36, v37, v136
	v_pk_add_f32 v[36:37], v[0:1], v[60:61]
	v_pk_add_f32 v[0:1], v[0:1], v[32:33]
	v_min3_f32 v57, v36, v37, v99
	v_pk_add_f32 v[36:37], v[4:5], v[60:61]
	s_nop 0
	v_min3_f32 v98, v36, v37, v98
	v_pk_add_f32 v[36:37], v[8:9], v[60:61]
	s_nop 0
	;; [unrolled: 3-line block ×7, first 2 shown]
	v_min3_f32 v36, v36, v37, v138
	v_min3_f32 v37, v0, v1, v139
	v_pk_add_f32 v[0:1], v[4:5], v[32:33]
	s_nop 0
	v_min3_f32 v4, v0, v1, v140
	v_pk_add_f32 v[0:1], v[8:9], v[32:33]
	s_nop 0
	;; [unrolled: 3-line block ×71, first 2 shown]
	v_min3_f32 v88, v0, v1, v16
	s_cbranch_scc1 .LBB6_50
.LBB6_30:                               ; =>This Inner Loop Header: Depth=1
	v_add_u32_e32 v68, s28, v72
	v_add_u32_e32 v0, 8, v68
	v_cmp_le_i32_e64 s[10:11], s22, v0
	v_min_i32_e32 v0, s35, v0
	v_mad_i64_i32 v[0:1], s[12:13], v0, s23, 0
	v_lshl_add_u64 v[0:1], v[0:1], 2, s[16:17]
	s_or_b64 s[12:13], vcc, s[10:11]
	v_cndmask_b32_e64 v69, 0, v147, s[12:13]
	s_nor_b64 s[38:39], s[18:19], s[12:13]
	v_lshl_add_u64 v[0:1], v[64:65], 2, v[0:1]
	s_and_saveexec_b64 s[12:13], s[38:39]
	s_cbranch_execz .LBB6_32
; %bb.31:                               ;   in Loop: Header=BB6_30 Depth=1
	flat_load_dword v2, v[0:1]
	s_waitcnt vmcnt(0) lgkmcnt(0)
	v_mul_f32_e32 v69, s33, v2
.LBB6_32:                               ;   in Loop: Header=BB6_30 Depth=1
	s_or_b64 exec, exec, s[12:13]
	s_or_b64 s[12:13], s[2:3], s[10:11]
	v_cndmask_b32_e64 v148, 0, v147, s[12:13]
	s_nor_b64 s[38:39], s[18:19], s[12:13]
	s_and_saveexec_b64 s[12:13], s[38:39]
	s_cbranch_execz .LBB6_34
; %bb.33:                               ;   in Loop: Header=BB6_30 Depth=1
	flat_load_dword v2, v[0:1] offset:256
	s_waitcnt vmcnt(0) lgkmcnt(0)
	v_mul_f32_e32 v148, s33, v2
.LBB6_34:                               ;   in Loop: Header=BB6_30 Depth=1
	s_or_b64 exec, exec, s[12:13]
	s_or_b64 s[12:13], s[4:5], s[10:11]
	v_cndmask_b32_e64 v149, 0, v147, s[12:13]
	s_nor_b64 s[38:39], s[18:19], s[12:13]
	s_and_saveexec_b64 s[12:13], s[38:39]
	s_cbranch_execz .LBB6_36
; %bb.35:                               ;   in Loop: Header=BB6_30 Depth=1
	flat_load_dword v2, v[0:1] offset:512
	s_waitcnt vmcnt(0) lgkmcnt(0)
	v_mul_f32_e32 v149, s33, v2
.LBB6_36:                               ;   in Loop: Header=BB6_30 Depth=1
	s_or_b64 exec, exec, s[12:13]
	s_or_b64 s[10:11], s[6:7], s[10:11]
	v_cndmask_b32_e64 v150, 0, v147, s[10:11]
	s_nor_b64 s[12:13], s[18:19], s[10:11]
	s_and_saveexec_b64 s[10:11], s[12:13]
	s_cbranch_execz .LBB6_38
; %bb.37:                               ;   in Loop: Header=BB6_30 Depth=1
	flat_load_dword v0, v[0:1] offset:768
	s_waitcnt vmcnt(0) lgkmcnt(0)
	v_mul_f32_e32 v150, s33, v0
.LBB6_38:                               ;   in Loop: Header=BB6_30 Depth=1
	s_or_b64 exec, exec, s[10:11]
	v_add_u32_e32 v152, s28, v75
	v_add_u32_e32 v0, 8, v152
	v_cmp_le_i32_e64 s[10:11], s22, v0
	s_or_b64 s[10:11], s[10:11], s[8:9]
	s_nop 0
	v_cndmask_b32_e64 v151, 0, v147, s[10:11]
	s_nor_b64 s[10:11], s[18:19], s[10:11]
	s_and_saveexec_b64 s[12:13], s[10:11]
	s_cbranch_execz .LBB6_40
; %bb.39:                               ;   in Loop: Header=BB6_30 Depth=1
	v_add_co_u32_e64 v0, s[10:11], -16, v66
	s_nop 1
	v_addc_co_u32_e64 v1, s[10:11], -1, v67, s[10:11]
	flat_load_dword v0, v[0:1]
	s_waitcnt vmcnt(0) lgkmcnt(0)
	v_mul_f32_e32 v151, s33, v0
.LBB6_40:                               ;   in Loop: Header=BB6_30 Depth=1
	s_or_b64 exec, exec, s[12:13]
	ds_read_b128 v[28:31], v125
	ds_read_b128 v[24:27], v125 offset:512
	ds_read_b128 v[20:23], v125 offset:1024
	;; [unrolled: 1-line block ×7, first 2 shown]
	ds_read_b128 v[60:63], v146
	ds_read_b128 v[56:59], v146 offset:128
	ds_read_b128 v[52:55], v146 offset:256
	;; [unrolled: 1-line block ×7, first 2 shown]
	v_add_u32_e32 v68, 12, v68
	v_cmp_le_i32_e64 s[10:11], s22, v68
	v_min_i32_e32 v68, s35, v68
	ds_write2st64_b32 v76, v69, v148 offset1:4
	ds_write2st64_b32 v76, v149, v150 offset0:8 offset1:12
	ds_write_b32 v80, v151
	v_mad_i64_i32 v[68:69], s[12:13], v68, s23, 0
	v_lshl_add_u64 v[68:69], v[68:69], 2, s[16:17]
	s_or_b64 s[12:13], vcc, s[10:11]
	v_cndmask_b32_e64 v148, 0, v147, s[12:13]
	s_nor_b64 s[38:39], s[18:19], s[12:13]
	v_lshl_add_u64 v[68:69], v[64:65], 2, v[68:69]
	s_waitcnt lgkmcnt(0)
	s_barrier
	s_and_saveexec_b64 s[12:13], s[38:39]
	s_cbranch_execz .LBB6_42
; %bb.41:                               ;   in Loop: Header=BB6_30 Depth=1
	flat_load_dword v148, v[68:69]
	s_waitcnt vmcnt(0) lgkmcnt(0)
	v_mul_f32_e32 v148, s33, v148
.LBB6_42:                               ;   in Loop: Header=BB6_30 Depth=1
	s_or_b64 exec, exec, s[12:13]
	s_or_b64 s[12:13], s[2:3], s[10:11]
	v_cndmask_b32_e64 v149, 0, v147, s[12:13]
	s_nor_b64 s[38:39], s[18:19], s[12:13]
	s_and_saveexec_b64 s[12:13], s[38:39]
	s_cbranch_execz .LBB6_44
; %bb.43:                               ;   in Loop: Header=BB6_30 Depth=1
	flat_load_dword v149, v[68:69] offset:256
	s_waitcnt vmcnt(0) lgkmcnt(0)
	v_mul_f32_e32 v149, s33, v149
.LBB6_44:                               ;   in Loop: Header=BB6_30 Depth=1
	s_or_b64 exec, exec, s[12:13]
	s_or_b64 s[12:13], s[4:5], s[10:11]
	v_cndmask_b32_e64 v150, 0, v147, s[12:13]
	s_nor_b64 s[38:39], s[18:19], s[12:13]
	s_and_saveexec_b64 s[12:13], s[38:39]
	s_cbranch_execz .LBB6_46
; %bb.45:                               ;   in Loop: Header=BB6_30 Depth=1
	flat_load_dword v150, v[68:69] offset:512
	s_waitcnt vmcnt(0) lgkmcnt(0)
	v_mul_f32_e32 v150, s33, v150
.LBB6_46:                               ;   in Loop: Header=BB6_30 Depth=1
	;; [unrolled: 11-line block ×3, first 2 shown]
	s_or_b64 exec, exec, s[10:11]
	v_add_u32_e32 v68, 12, v152
	v_cmp_le_i32_e64 s[10:11], s22, v68
	s_or_b64 s[10:11], s[10:11], s[8:9]
	s_nor_b64 s[12:13], s[18:19], s[10:11]
	v_cndmask_b32_e64 v68, 0, v147, s[10:11]
	s_and_saveexec_b64 s[10:11], s[12:13]
	s_cbranch_execz .LBB6_29
; %bb.49:                               ;   in Loop: Header=BB6_30 Depth=1
	flat_load_dword v68, v[66:67]
	s_waitcnt vmcnt(0) lgkmcnt(0)
	v_mul_f32_e32 v68, s33, v68
	s_branch .LBB6_29
.LBB6_50:
	s_load_dwordx2 s[2:3], s[0:1], 0x78
	s_load_dword s29, s[0:1], 0x58
	s_load_dword s28, s[0:1], 0x70
	ds_read_b128 v[32:35], v74 offset:4096
	ds_read_b128 v[28:31], v74 offset:4608
	;; [unrolled: 1-line block ×16, first 2 shown]
	s_waitcnt lgkmcnt(0)
	s_lshl_b64 s[0:1], s[2:3], 2
	s_add_u32 s22, s26, s0
	v_add_u32_e32 v125, s34, v71
	s_addc_u32 s23, s27, s1
	v_mad_i64_i32 v[66:67], s[0:1], v125, s29, 0
	v_add_u32_e32 v64, s31, v70
	v_lshl_add_u64 v[82:83], v[66:67], 2, s[24:25]
	v_mad_i64_i32 v[66:67], s[0:1], v125, s28, 0
	v_cmp_gt_i32_e64 s[18:19], s21, v125
	v_lshl_add_u64 v[80:81], v[66:67], 2, s[22:23]
	v_cmp_gt_i32_e64 s[2:3], s20, v64
	v_cndmask_b32_e64 v66, 0, 1, s[14:15]
	s_and_b64 s[6:7], s[2:3], s[18:19]
	v_ashrrev_i32_e32 v65, 31, v64
	v_cmp_ne_u32_e64 s[0:1], 1, v66
	s_and_saveexec_b64 s[4:5], s[6:7]
	s_cbranch_execz .LBB6_55
; %bb.51:
	s_and_b64 vcc, exec, s[0:1]
	s_cbranch_vccnz .LBB6_53
; %bb.52:
	v_lshl_add_u64 v[66:67], v[64:65], 2, v[82:83]
	flat_load_dword v66, v[66:67]
	s_waitcnt vmcnt(0) lgkmcnt(0)
	v_mul_f32_e32 v66, s30, v66
	s_branch .LBB6_54
.LBB6_53:
	v_mov_b32_e32 v66, 0
.LBB6_54:
	v_pk_add_f32 v[68:69], v[32:33], v[60:61]
	s_nop 0
	v_min3_f32 v67, v68, v69, v145
	v_pk_add_f32 v[68:69], v[34:35], v[62:63]
	s_nop 0
	v_min_f32_e32 v68, v68, v69
	v_min3_f32 v68, v66, v68, v67
	v_lshl_add_u64 v[66:67], v[64:65], 2, v[80:81]
	flat_store_dword v[66:67], v68
.LBB6_55:
	s_or_b64 exec, exec, s[4:5]
	v_add_u32_e32 v66, 32, v64
	v_cmp_gt_i32_e64 s[4:5], s20, v66
	s_and_b64 s[8:9], s[4:5], s[18:19]
	v_ashrrev_i32_e32 v67, 31, v66
	s_and_saveexec_b64 s[6:7], s[8:9]
	s_cbranch_execz .LBB6_60
; %bb.56:
	s_and_b64 vcc, exec, s[0:1]
	s_cbranch_vccnz .LBB6_58
; %bb.57:
	v_lshl_add_u64 v[68:69], v[66:67], 2, v[82:83]
	flat_load_dword v68, v[68:69]
	s_waitcnt vmcnt(0) lgkmcnt(0)
	v_mul_f32_e32 v68, s30, v68
	s_branch .LBB6_59
.LBB6_58:
	v_mov_b32_e32 v68, 0
.LBB6_59:
	v_pk_add_f32 v[70:71], v[28:29], v[60:61]
	s_nop 0
	v_min3_f32 v69, v70, v71, v144
	v_pk_add_f32 v[70:71], v[30:31], v[62:63]
	s_nop 0
	v_min_f32_e32 v70, v70, v71
	v_min3_f32 v70, v68, v70, v69
	v_lshl_add_u64 v[68:69], v[66:67], 2, v[80:81]
	flat_store_dword v[68:69], v70
.LBB6_60:
	s_or_b64 exec, exec, s[6:7]
	v_add_u32_e32 v68, 64, v64
	v_cmp_gt_i32_e64 s[6:7], s20, v68
	s_and_b64 s[10:11], s[6:7], s[18:19]
	v_ashrrev_i32_e32 v69, 31, v68
	;; [unrolled: 29-line block ×7, first 2 shown]
	s_and_saveexec_b64 s[18:19], s[26:27]
	s_cbranch_execz .LBB6_90
; %bb.86:
	s_and_b64 vcc, exec, s[0:1]
	s_cbranch_vccnz .LBB6_88
; %bb.87:
	v_lshl_add_u64 v[82:83], v[78:79], 2, v[82:83]
	flat_load_dword v82, v[82:83]
	s_waitcnt vmcnt(0) lgkmcnt(0)
	v_mul_f32_e32 v82, s30, v82
	s_branch .LBB6_89
.LBB6_88:
	v_mov_b32_e32 v82, 0
.LBB6_89:
	v_pk_add_f32 v[60:61], v[0:1], v[60:61]
	s_nop 0
	v_min3_f32 v83, v60, v61, v141
	v_pk_add_f32 v[60:61], v[2:3], v[62:63]
	s_nop 0
	v_min_f32_e32 v60, v60, v61
	v_min3_f32 v62, v82, v60, v83
	v_lshl_add_u64 v[60:61], v[78:79], 2, v[80:81]
	flat_store_dword v[60:61], v62
.LBB6_90:
	s_or_b64 exec, exec, s[18:19]
	v_add_u32_e32 v80, 8, v125
	v_mad_i64_i32 v[60:61], s[26:27], v80, s29, 0
	v_cmp_gt_i32_e64 s[18:19], s21, v80
	v_lshl_add_u64 v[62:63], v[60:61], 2, s[24:25]
	v_mad_i64_i32 v[60:61], s[26:27], v80, s28, 0
	v_lshl_add_u64 v[60:61], v[60:61], 2, s[22:23]
	s_and_b64 s[34:35], s[2:3], s[18:19]
	s_and_saveexec_b64 s[26:27], s[34:35]
	s_cbranch_execnz .LBB6_98
; %bb.91:
	s_or_b64 exec, exec, s[26:27]
	s_and_b64 s[34:35], s[4:5], s[18:19]
	s_and_saveexec_b64 s[26:27], s[34:35]
	s_cbranch_execnz .LBB6_102
.LBB6_92:
	s_or_b64 exec, exec, s[26:27]
	s_and_b64 s[34:35], s[6:7], s[18:19]
	s_and_saveexec_b64 s[26:27], s[34:35]
	s_cbranch_execnz .LBB6_106
.LBB6_93:
	s_or_b64 exec, exec, s[26:27]
	s_and_b64 s[34:35], s[8:9], s[18:19]
	s_and_saveexec_b64 s[26:27], s[34:35]
	s_cbranch_execnz .LBB6_110
.LBB6_94:
	s_or_b64 exec, exec, s[26:27]
	s_and_b64 s[34:35], s[10:11], s[18:19]
	s_and_saveexec_b64 s[26:27], s[34:35]
	s_cbranch_execnz .LBB6_114
.LBB6_95:
	s_or_b64 exec, exec, s[26:27]
	s_and_b64 s[34:35], s[12:13], s[18:19]
	s_and_saveexec_b64 s[26:27], s[34:35]
	s_cbranch_execnz .LBB6_118
.LBB6_96:
	s_or_b64 exec, exec, s[26:27]
	s_and_b64 s[34:35], s[14:15], s[18:19]
	s_and_saveexec_b64 s[26:27], s[34:35]
	s_cbranch_execnz .LBB6_122
.LBB6_97:
	s_or_b64 exec, exec, s[26:27]
	s_and_b64 s[26:27], s[16:17], s[18:19]
	s_and_saveexec_b64 s[18:19], s[26:27]
	s_cbranch_execnz .LBB6_126
	s_branch .LBB6_130
.LBB6_98:
	s_and_b64 vcc, exec, s[0:1]
	s_cbranch_vccnz .LBB6_100
; %bb.99:
	v_lshl_add_u64 v[80:81], v[64:65], 2, v[62:63]
	flat_load_dword v80, v[80:81]
	s_waitcnt vmcnt(0) lgkmcnt(0)
	v_mul_f32_e32 v80, s30, v80
	s_branch .LBB6_101
.LBB6_100:
	v_mov_b32_e32 v80, 0
.LBB6_101:
	v_pk_add_f32 v[82:83], v[32:33], v[56:57]
	s_nop 0
	v_min3_f32 v81, v82, v83, v140
	v_pk_add_f32 v[82:83], v[34:35], v[58:59]
	s_nop 0
	v_min_f32_e32 v82, v82, v83
	v_min3_f32 v82, v80, v82, v81
	v_lshl_add_u64 v[80:81], v[64:65], 2, v[60:61]
	flat_store_dword v[80:81], v82
	s_or_b64 exec, exec, s[26:27]
	s_and_b64 s[34:35], s[4:5], s[18:19]
	s_and_saveexec_b64 s[26:27], s[34:35]
	s_cbranch_execz .LBB6_92
.LBB6_102:
	s_and_b64 vcc, exec, s[0:1]
	s_cbranch_vccnz .LBB6_104
; %bb.103:
	v_lshl_add_u64 v[80:81], v[66:67], 2, v[62:63]
	flat_load_dword v80, v[80:81]
	s_waitcnt vmcnt(0) lgkmcnt(0)
	v_mul_f32_e32 v80, s30, v80
	s_branch .LBB6_105
.LBB6_104:
	v_mov_b32_e32 v80, 0
.LBB6_105:
	v_pk_add_f32 v[82:83], v[28:29], v[56:57]
	s_nop 0
	v_min3_f32 v81, v82, v83, v139
	v_pk_add_f32 v[82:83], v[30:31], v[58:59]
	s_nop 0
	v_min_f32_e32 v82, v82, v83
	v_min3_f32 v82, v80, v82, v81
	v_lshl_add_u64 v[80:81], v[66:67], 2, v[60:61]
	flat_store_dword v[80:81], v82
	s_or_b64 exec, exec, s[26:27]
	s_and_b64 s[34:35], s[6:7], s[18:19]
	s_and_saveexec_b64 s[26:27], s[34:35]
	s_cbranch_execz .LBB6_93
.LBB6_106:
	s_and_b64 vcc, exec, s[0:1]
	s_cbranch_vccnz .LBB6_108
; %bb.107:
	v_lshl_add_u64 v[80:81], v[68:69], 2, v[62:63]
	flat_load_dword v80, v[80:81]
	s_waitcnt vmcnt(0) lgkmcnt(0)
	v_mul_f32_e32 v80, s30, v80
	s_branch .LBB6_109
.LBB6_108:
	v_mov_b32_e32 v80, 0
.LBB6_109:
	v_pk_add_f32 v[82:83], v[24:25], v[56:57]
	s_nop 0
	v_min3_f32 v81, v82, v83, v138
	v_pk_add_f32 v[82:83], v[26:27], v[58:59]
	s_nop 0
	v_min_f32_e32 v82, v82, v83
	v_min3_f32 v82, v80, v82, v81
	v_lshl_add_u64 v[80:81], v[68:69], 2, v[60:61]
	flat_store_dword v[80:81], v82
	s_or_b64 exec, exec, s[26:27]
	s_and_b64 s[34:35], s[8:9], s[18:19]
	s_and_saveexec_b64 s[26:27], s[34:35]
	s_cbranch_execz .LBB6_94
.LBB6_110:
	s_and_b64 vcc, exec, s[0:1]
	s_cbranch_vccnz .LBB6_112
; %bb.111:
	v_lshl_add_u64 v[80:81], v[70:71], 2, v[62:63]
	flat_load_dword v80, v[80:81]
	s_waitcnt vmcnt(0) lgkmcnt(0)
	v_mul_f32_e32 v80, s30, v80
	s_branch .LBB6_113
.LBB6_112:
	v_mov_b32_e32 v80, 0
.LBB6_113:
	v_pk_add_f32 v[82:83], v[20:21], v[56:57]
	s_nop 0
	v_min3_f32 v81, v82, v83, v137
	v_pk_add_f32 v[82:83], v[22:23], v[58:59]
	s_nop 0
	v_min_f32_e32 v82, v82, v83
	v_min3_f32 v82, v80, v82, v81
	v_lshl_add_u64 v[80:81], v[70:71], 2, v[60:61]
	flat_store_dword v[80:81], v82
	s_or_b64 exec, exec, s[26:27]
	s_and_b64 s[34:35], s[10:11], s[18:19]
	s_and_saveexec_b64 s[26:27], s[34:35]
	s_cbranch_execz .LBB6_95
.LBB6_114:
	s_and_b64 vcc, exec, s[0:1]
	s_cbranch_vccnz .LBB6_116
; %bb.115:
	v_lshl_add_u64 v[80:81], v[72:73], 2, v[62:63]
	flat_load_dword v80, v[80:81]
	s_waitcnt vmcnt(0) lgkmcnt(0)
	v_mul_f32_e32 v80, s30, v80
	s_branch .LBB6_117
.LBB6_116:
	v_mov_b32_e32 v80, 0
.LBB6_117:
	v_pk_add_f32 v[82:83], v[16:17], v[56:57]
	s_nop 0
	v_min3_f32 v81, v82, v83, v136
	v_pk_add_f32 v[82:83], v[18:19], v[58:59]
	s_nop 0
	v_min_f32_e32 v82, v82, v83
	v_min3_f32 v82, v80, v82, v81
	v_lshl_add_u64 v[80:81], v[72:73], 2, v[60:61]
	flat_store_dword v[80:81], v82
	s_or_b64 exec, exec, s[26:27]
	s_and_b64 s[34:35], s[12:13], s[18:19]
	s_and_saveexec_b64 s[26:27], s[34:35]
	s_cbranch_execz .LBB6_96
.LBB6_118:
	s_and_b64 vcc, exec, s[0:1]
	s_cbranch_vccnz .LBB6_120
; %bb.119:
	v_lshl_add_u64 v[80:81], v[74:75], 2, v[62:63]
	flat_load_dword v80, v[80:81]
	s_waitcnt vmcnt(0) lgkmcnt(0)
	v_mul_f32_e32 v80, s30, v80
	s_branch .LBB6_121
.LBB6_120:
	v_mov_b32_e32 v80, 0
.LBB6_121:
	v_pk_add_f32 v[82:83], v[12:13], v[56:57]
	s_nop 0
	v_min3_f32 v81, v82, v83, v135
	v_pk_add_f32 v[82:83], v[14:15], v[58:59]
	s_nop 0
	v_min_f32_e32 v82, v82, v83
	v_min3_f32 v82, v80, v82, v81
	v_lshl_add_u64 v[80:81], v[74:75], 2, v[60:61]
	flat_store_dword v[80:81], v82
	s_or_b64 exec, exec, s[26:27]
	s_and_b64 s[34:35], s[14:15], s[18:19]
	s_and_saveexec_b64 s[26:27], s[34:35]
	s_cbranch_execz .LBB6_97
.LBB6_122:
	s_and_b64 vcc, exec, s[0:1]
	s_cbranch_vccnz .LBB6_124
; %bb.123:
	v_lshl_add_u64 v[80:81], v[76:77], 2, v[62:63]
	flat_load_dword v80, v[80:81]
	s_waitcnt vmcnt(0) lgkmcnt(0)
	v_mul_f32_e32 v80, s30, v80
	s_branch .LBB6_125
.LBB6_124:
	v_mov_b32_e32 v80, 0
.LBB6_125:
	v_pk_add_f32 v[82:83], v[8:9], v[56:57]
	s_nop 0
	v_min3_f32 v81, v82, v83, v134
	v_pk_add_f32 v[82:83], v[10:11], v[58:59]
	s_nop 0
	v_min_f32_e32 v82, v82, v83
	v_min3_f32 v82, v80, v82, v81
	v_lshl_add_u64 v[80:81], v[76:77], 2, v[60:61]
	flat_store_dword v[80:81], v82
	s_or_b64 exec, exec, s[26:27]
	s_and_b64 s[26:27], s[16:17], s[18:19]
	s_and_saveexec_b64 s[18:19], s[26:27]
	s_cbranch_execz .LBB6_130
.LBB6_126:
	s_and_b64 vcc, exec, s[0:1]
	s_cbranch_vccnz .LBB6_128
; %bb.127:
	v_lshl_add_u64 v[62:63], v[78:79], 2, v[62:63]
	flat_load_dword v62, v[62:63]
	s_waitcnt vmcnt(0) lgkmcnt(0)
	v_mul_f32_e32 v62, s30, v62
	s_branch .LBB6_129
.LBB6_128:
	v_mov_b32_e32 v62, 0
.LBB6_129:
	v_pk_add_f32 v[56:57], v[0:1], v[56:57]
	s_nop 0
	v_min3_f32 v63, v56, v57, v133
	v_pk_add_f32 v[56:57], v[2:3], v[58:59]
	s_nop 0
	v_min_f32_e32 v56, v56, v57
	v_min3_f32 v58, v62, v56, v63
	v_lshl_add_u64 v[56:57], v[78:79], 2, v[60:61]
	flat_store_dword v[56:57], v58
.LBB6_130:
	s_or_b64 exec, exec, s[18:19]
	v_add_u32_e32 v60, 16, v125
	v_mad_i64_i32 v[56:57], s[26:27], v60, s29, 0
	v_cmp_gt_i32_e64 s[18:19], s21, v60
	v_lshl_add_u64 v[58:59], v[56:57], 2, s[24:25]
	v_mad_i64_i32 v[56:57], s[26:27], v60, s28, 0
	v_lshl_add_u64 v[56:57], v[56:57], 2, s[22:23]
	s_and_b64 s[34:35], s[2:3], s[18:19]
	s_and_saveexec_b64 s[26:27], s[34:35]
	s_cbranch_execnz .LBB6_138
; %bb.131:
	s_or_b64 exec, exec, s[26:27]
	s_and_b64 s[34:35], s[4:5], s[18:19]
	s_and_saveexec_b64 s[26:27], s[34:35]
	s_cbranch_execnz .LBB6_142
.LBB6_132:
	s_or_b64 exec, exec, s[26:27]
	s_and_b64 s[34:35], s[6:7], s[18:19]
	s_and_saveexec_b64 s[26:27], s[34:35]
	s_cbranch_execnz .LBB6_146
.LBB6_133:
	s_or_b64 exec, exec, s[26:27]
	s_and_b64 s[34:35], s[8:9], s[18:19]
	s_and_saveexec_b64 s[26:27], s[34:35]
	s_cbranch_execnz .LBB6_150
.LBB6_134:
	s_or_b64 exec, exec, s[26:27]
	s_and_b64 s[34:35], s[10:11], s[18:19]
	s_and_saveexec_b64 s[26:27], s[34:35]
	s_cbranch_execnz .LBB6_154
.LBB6_135:
	s_or_b64 exec, exec, s[26:27]
	s_and_b64 s[34:35], s[12:13], s[18:19]
	s_and_saveexec_b64 s[26:27], s[34:35]
	s_cbranch_execnz .LBB6_158
.LBB6_136:
	s_or_b64 exec, exec, s[26:27]
	s_and_b64 s[34:35], s[14:15], s[18:19]
	s_and_saveexec_b64 s[26:27], s[34:35]
	s_cbranch_execnz .LBB6_162
.LBB6_137:
	s_or_b64 exec, exec, s[26:27]
	s_and_b64 s[26:27], s[16:17], s[18:19]
	s_and_saveexec_b64 s[18:19], s[26:27]
	s_cbranch_execnz .LBB6_166
	s_branch .LBB6_170
.LBB6_138:
	s_and_b64 vcc, exec, s[0:1]
	s_cbranch_vccnz .LBB6_140
; %bb.139:
	v_lshl_add_u64 v[60:61], v[64:65], 2, v[58:59]
	flat_load_dword v60, v[60:61]
	s_waitcnt vmcnt(0) lgkmcnt(0)
	v_mul_f32_e32 v60, s30, v60
	s_branch .LBB6_141
.LBB6_140:
	v_mov_b32_e32 v60, 0
.LBB6_141:
	v_pk_add_f32 v[62:63], v[32:33], v[52:53]
	s_nop 0
	v_min3_f32 v61, v62, v63, v132
	v_pk_add_f32 v[62:63], v[34:35], v[54:55]
	s_nop 0
	v_min_f32_e32 v62, v62, v63
	v_min3_f32 v62, v60, v62, v61
	v_lshl_add_u64 v[60:61], v[64:65], 2, v[56:57]
	flat_store_dword v[60:61], v62
	s_or_b64 exec, exec, s[26:27]
	s_and_b64 s[34:35], s[4:5], s[18:19]
	s_and_saveexec_b64 s[26:27], s[34:35]
	s_cbranch_execz .LBB6_132
.LBB6_142:
	s_and_b64 vcc, exec, s[0:1]
	s_cbranch_vccnz .LBB6_144
; %bb.143:
	v_lshl_add_u64 v[60:61], v[66:67], 2, v[58:59]
	flat_load_dword v60, v[60:61]
	s_waitcnt vmcnt(0) lgkmcnt(0)
	v_mul_f32_e32 v60, s30, v60
	s_branch .LBB6_145
.LBB6_144:
	v_mov_b32_e32 v60, 0
.LBB6_145:
	v_pk_add_f32 v[62:63], v[28:29], v[52:53]
	s_nop 0
	v_min3_f32 v61, v62, v63, v131
	v_pk_add_f32 v[62:63], v[30:31], v[54:55]
	s_nop 0
	v_min_f32_e32 v62, v62, v63
	v_min3_f32 v62, v60, v62, v61
	v_lshl_add_u64 v[60:61], v[66:67], 2, v[56:57]
	flat_store_dword v[60:61], v62
	s_or_b64 exec, exec, s[26:27]
	s_and_b64 s[34:35], s[6:7], s[18:19]
	s_and_saveexec_b64 s[26:27], s[34:35]
	s_cbranch_execz .LBB6_133
.LBB6_146:
	s_and_b64 vcc, exec, s[0:1]
	s_cbranch_vccnz .LBB6_148
; %bb.147:
	v_lshl_add_u64 v[60:61], v[68:69], 2, v[58:59]
	flat_load_dword v60, v[60:61]
	s_waitcnt vmcnt(0) lgkmcnt(0)
	v_mul_f32_e32 v60, s30, v60
	s_branch .LBB6_149
.LBB6_148:
	v_mov_b32_e32 v60, 0
.LBB6_149:
	v_pk_add_f32 v[62:63], v[24:25], v[52:53]
	s_nop 0
	v_min3_f32 v61, v62, v63, v130
	v_pk_add_f32 v[62:63], v[26:27], v[54:55]
	s_nop 0
	v_min_f32_e32 v62, v62, v63
	v_min3_f32 v62, v60, v62, v61
	v_lshl_add_u64 v[60:61], v[68:69], 2, v[56:57]
	flat_store_dword v[60:61], v62
	s_or_b64 exec, exec, s[26:27]
	s_and_b64 s[34:35], s[8:9], s[18:19]
	s_and_saveexec_b64 s[26:27], s[34:35]
	s_cbranch_execz .LBB6_134
.LBB6_150:
	s_and_b64 vcc, exec, s[0:1]
	s_cbranch_vccnz .LBB6_152
; %bb.151:
	v_lshl_add_u64 v[60:61], v[70:71], 2, v[58:59]
	flat_load_dword v60, v[60:61]
	s_waitcnt vmcnt(0) lgkmcnt(0)
	v_mul_f32_e32 v60, s30, v60
	s_branch .LBB6_153
.LBB6_152:
	v_mov_b32_e32 v60, 0
.LBB6_153:
	v_pk_add_f32 v[62:63], v[20:21], v[52:53]
	s_nop 0
	v_min3_f32 v61, v62, v63, v129
	v_pk_add_f32 v[62:63], v[22:23], v[54:55]
	s_nop 0
	v_min_f32_e32 v62, v62, v63
	v_min3_f32 v62, v60, v62, v61
	v_lshl_add_u64 v[60:61], v[70:71], 2, v[56:57]
	flat_store_dword v[60:61], v62
	s_or_b64 exec, exec, s[26:27]
	s_and_b64 s[34:35], s[10:11], s[18:19]
	s_and_saveexec_b64 s[26:27], s[34:35]
	s_cbranch_execz .LBB6_135
.LBB6_154:
	s_and_b64 vcc, exec, s[0:1]
	s_cbranch_vccnz .LBB6_156
; %bb.155:
	v_lshl_add_u64 v[60:61], v[72:73], 2, v[58:59]
	flat_load_dword v60, v[60:61]
	s_waitcnt vmcnt(0) lgkmcnt(0)
	v_mul_f32_e32 v60, s30, v60
	s_branch .LBB6_157
.LBB6_156:
	v_mov_b32_e32 v60, 0
.LBB6_157:
	v_pk_add_f32 v[62:63], v[16:17], v[52:53]
	s_nop 0
	v_min3_f32 v61, v62, v63, v128
	v_pk_add_f32 v[62:63], v[18:19], v[54:55]
	s_nop 0
	v_min_f32_e32 v62, v62, v63
	v_min3_f32 v62, v60, v62, v61
	v_lshl_add_u64 v[60:61], v[72:73], 2, v[56:57]
	flat_store_dword v[60:61], v62
	s_or_b64 exec, exec, s[26:27]
	s_and_b64 s[34:35], s[12:13], s[18:19]
	s_and_saveexec_b64 s[26:27], s[34:35]
	s_cbranch_execz .LBB6_136
.LBB6_158:
	s_and_b64 vcc, exec, s[0:1]
	s_cbranch_vccnz .LBB6_160
; %bb.159:
	v_lshl_add_u64 v[60:61], v[74:75], 2, v[58:59]
	flat_load_dword v60, v[60:61]
	s_waitcnt vmcnt(0) lgkmcnt(0)
	v_mul_f32_e32 v60, s30, v60
	s_branch .LBB6_161
.LBB6_160:
	v_mov_b32_e32 v60, 0
.LBB6_161:
	v_pk_add_f32 v[62:63], v[12:13], v[52:53]
	s_nop 0
	v_min3_f32 v61, v62, v63, v126
	v_pk_add_f32 v[62:63], v[14:15], v[54:55]
	s_nop 0
	v_min_f32_e32 v62, v62, v63
	v_min3_f32 v62, v60, v62, v61
	v_lshl_add_u64 v[60:61], v[74:75], 2, v[56:57]
	flat_store_dword v[60:61], v62
	s_or_b64 exec, exec, s[26:27]
	s_and_b64 s[34:35], s[14:15], s[18:19]
	s_and_saveexec_b64 s[26:27], s[34:35]
	s_cbranch_execz .LBB6_137
.LBB6_162:
	s_and_b64 vcc, exec, s[0:1]
	s_cbranch_vccnz .LBB6_164
; %bb.163:
	v_lshl_add_u64 v[60:61], v[76:77], 2, v[58:59]
	flat_load_dword v60, v[60:61]
	s_waitcnt vmcnt(0) lgkmcnt(0)
	v_mul_f32_e32 v60, s30, v60
	s_branch .LBB6_165
.LBB6_164:
	v_mov_b32_e32 v60, 0
.LBB6_165:
	v_pk_add_f32 v[62:63], v[8:9], v[52:53]
	s_nop 0
	v_min3_f32 v61, v62, v63, v123
	v_pk_add_f32 v[62:63], v[10:11], v[54:55]
	s_nop 0
	v_min_f32_e32 v62, v62, v63
	v_min3_f32 v62, v60, v62, v61
	v_lshl_add_u64 v[60:61], v[76:77], 2, v[56:57]
	flat_store_dword v[60:61], v62
	s_or_b64 exec, exec, s[26:27]
	s_and_b64 s[26:27], s[16:17], s[18:19]
	s_and_saveexec_b64 s[18:19], s[26:27]
	s_cbranch_execz .LBB6_170
.LBB6_166:
	s_and_b64 vcc, exec, s[0:1]
	s_cbranch_vccnz .LBB6_168
; %bb.167:
	v_lshl_add_u64 v[58:59], v[78:79], 2, v[58:59]
	flat_load_dword v58, v[58:59]
	s_waitcnt vmcnt(0) lgkmcnt(0)
	v_mul_f32_e32 v58, s30, v58
	s_branch .LBB6_169
.LBB6_168:
	v_mov_b32_e32 v58, 0
.LBB6_169:
	v_pk_add_f32 v[52:53], v[0:1], v[52:53]
	s_nop 0
	v_min3_f32 v59, v52, v53, v127
	v_pk_add_f32 v[52:53], v[2:3], v[54:55]
	s_nop 0
	v_min_f32_e32 v52, v52, v53
	v_min3_f32 v54, v58, v52, v59
	v_lshl_add_u64 v[52:53], v[78:79], 2, v[56:57]
	flat_store_dword v[52:53], v54
.LBB6_170:
	s_or_b64 exec, exec, s[18:19]
	v_add_u32_e32 v56, 24, v125
	v_mad_i64_i32 v[52:53], s[26:27], v56, s29, 0
	v_cmp_gt_i32_e64 s[18:19], s21, v56
	v_lshl_add_u64 v[54:55], v[52:53], 2, s[24:25]
	v_mad_i64_i32 v[52:53], s[26:27], v56, s28, 0
	v_lshl_add_u64 v[52:53], v[52:53], 2, s[22:23]
	s_and_b64 s[34:35], s[2:3], s[18:19]
	s_and_saveexec_b64 s[26:27], s[34:35]
	s_cbranch_execnz .LBB6_178
; %bb.171:
	s_or_b64 exec, exec, s[26:27]
	s_and_b64 s[34:35], s[4:5], s[18:19]
	s_and_saveexec_b64 s[26:27], s[34:35]
	s_cbranch_execnz .LBB6_182
.LBB6_172:
	s_or_b64 exec, exec, s[26:27]
	s_and_b64 s[34:35], s[6:7], s[18:19]
	s_and_saveexec_b64 s[26:27], s[34:35]
	s_cbranch_execnz .LBB6_186
.LBB6_173:
	s_or_b64 exec, exec, s[26:27]
	s_and_b64 s[34:35], s[8:9], s[18:19]
	s_and_saveexec_b64 s[26:27], s[34:35]
	s_cbranch_execnz .LBB6_190
.LBB6_174:
	s_or_b64 exec, exec, s[26:27]
	s_and_b64 s[34:35], s[10:11], s[18:19]
	s_and_saveexec_b64 s[26:27], s[34:35]
	s_cbranch_execnz .LBB6_194
.LBB6_175:
	s_or_b64 exec, exec, s[26:27]
	s_and_b64 s[34:35], s[12:13], s[18:19]
	s_and_saveexec_b64 s[26:27], s[34:35]
	s_cbranch_execnz .LBB6_198
.LBB6_176:
	s_or_b64 exec, exec, s[26:27]
	s_and_b64 s[34:35], s[14:15], s[18:19]
	s_and_saveexec_b64 s[26:27], s[34:35]
	s_cbranch_execnz .LBB6_202
.LBB6_177:
	s_or_b64 exec, exec, s[26:27]
	s_and_b64 s[26:27], s[16:17], s[18:19]
	s_and_saveexec_b64 s[18:19], s[26:27]
	s_cbranch_execnz .LBB6_206
	s_branch .LBB6_210
.LBB6_178:
	s_and_b64 vcc, exec, s[0:1]
	s_cbranch_vccnz .LBB6_180
; %bb.179:
	v_lshl_add_u64 v[56:57], v[64:65], 2, v[54:55]
	flat_load_dword v56, v[56:57]
	s_waitcnt vmcnt(0) lgkmcnt(0)
	v_mul_f32_e32 v56, s30, v56
	s_branch .LBB6_181
.LBB6_180:
	v_mov_b32_e32 v56, 0
.LBB6_181:
	v_pk_add_f32 v[58:59], v[32:33], v[48:49]
	s_nop 0
	v_min3_f32 v57, v58, v59, v124
	v_pk_add_f32 v[58:59], v[34:35], v[50:51]
	s_nop 0
	v_min_f32_e32 v58, v58, v59
	v_min3_f32 v58, v56, v58, v57
	v_lshl_add_u64 v[56:57], v[64:65], 2, v[52:53]
	flat_store_dword v[56:57], v58
	s_or_b64 exec, exec, s[26:27]
	s_and_b64 s[34:35], s[4:5], s[18:19]
	s_and_saveexec_b64 s[26:27], s[34:35]
	s_cbranch_execz .LBB6_172
.LBB6_182:
	s_and_b64 vcc, exec, s[0:1]
	s_cbranch_vccnz .LBB6_184
; %bb.183:
	v_lshl_add_u64 v[56:57], v[66:67], 2, v[54:55]
	flat_load_dword v56, v[56:57]
	s_waitcnt vmcnt(0) lgkmcnt(0)
	v_mul_f32_e32 v56, s30, v56
	s_branch .LBB6_185
.LBB6_184:
	v_mov_b32_e32 v56, 0
.LBB6_185:
	v_pk_add_f32 v[58:59], v[28:29], v[48:49]
	s_nop 0
	v_min3_f32 v57, v58, v59, v122
	v_pk_add_f32 v[58:59], v[30:31], v[50:51]
	s_nop 0
	v_min_f32_e32 v58, v58, v59
	v_min3_f32 v58, v56, v58, v57
	v_lshl_add_u64 v[56:57], v[66:67], 2, v[52:53]
	flat_store_dword v[56:57], v58
	s_or_b64 exec, exec, s[26:27]
	s_and_b64 s[34:35], s[6:7], s[18:19]
	s_and_saveexec_b64 s[26:27], s[34:35]
	s_cbranch_execz .LBB6_173
.LBB6_186:
	s_and_b64 vcc, exec, s[0:1]
	s_cbranch_vccnz .LBB6_188
; %bb.187:
	v_lshl_add_u64 v[56:57], v[68:69], 2, v[54:55]
	flat_load_dword v56, v[56:57]
	s_waitcnt vmcnt(0) lgkmcnt(0)
	v_mul_f32_e32 v56, s30, v56
	s_branch .LBB6_189
.LBB6_188:
	v_mov_b32_e32 v56, 0
.LBB6_189:
	v_pk_add_f32 v[58:59], v[24:25], v[48:49]
	s_nop 0
	v_min3_f32 v57, v58, v59, v121
	v_pk_add_f32 v[58:59], v[26:27], v[50:51]
	s_nop 0
	v_min_f32_e32 v58, v58, v59
	v_min3_f32 v58, v56, v58, v57
	v_lshl_add_u64 v[56:57], v[68:69], 2, v[52:53]
	flat_store_dword v[56:57], v58
	s_or_b64 exec, exec, s[26:27]
	s_and_b64 s[34:35], s[8:9], s[18:19]
	s_and_saveexec_b64 s[26:27], s[34:35]
	s_cbranch_execz .LBB6_174
.LBB6_190:
	s_and_b64 vcc, exec, s[0:1]
	s_cbranch_vccnz .LBB6_192
; %bb.191:
	v_lshl_add_u64 v[56:57], v[70:71], 2, v[54:55]
	flat_load_dword v56, v[56:57]
	s_waitcnt vmcnt(0) lgkmcnt(0)
	v_mul_f32_e32 v56, s30, v56
	s_branch .LBB6_193
.LBB6_192:
	v_mov_b32_e32 v56, 0
.LBB6_193:
	v_pk_add_f32 v[58:59], v[20:21], v[48:49]
	s_nop 0
	v_min3_f32 v57, v58, v59, v120
	v_pk_add_f32 v[58:59], v[22:23], v[50:51]
	s_nop 0
	v_min_f32_e32 v58, v58, v59
	v_min3_f32 v58, v56, v58, v57
	v_lshl_add_u64 v[56:57], v[70:71], 2, v[52:53]
	flat_store_dword v[56:57], v58
	s_or_b64 exec, exec, s[26:27]
	s_and_b64 s[34:35], s[10:11], s[18:19]
	s_and_saveexec_b64 s[26:27], s[34:35]
	s_cbranch_execz .LBB6_175
.LBB6_194:
	s_and_b64 vcc, exec, s[0:1]
	s_cbranch_vccnz .LBB6_196
; %bb.195:
	v_lshl_add_u64 v[56:57], v[72:73], 2, v[54:55]
	flat_load_dword v56, v[56:57]
	s_waitcnt vmcnt(0) lgkmcnt(0)
	v_mul_f32_e32 v56, s30, v56
	s_branch .LBB6_197
.LBB6_196:
	v_mov_b32_e32 v56, 0
.LBB6_197:
	v_pk_add_f32 v[58:59], v[16:17], v[48:49]
	s_nop 0
	v_min3_f32 v57, v58, v59, v119
	v_pk_add_f32 v[58:59], v[18:19], v[50:51]
	s_nop 0
	v_min_f32_e32 v58, v58, v59
	v_min3_f32 v58, v56, v58, v57
	v_lshl_add_u64 v[56:57], v[72:73], 2, v[52:53]
	flat_store_dword v[56:57], v58
	s_or_b64 exec, exec, s[26:27]
	s_and_b64 s[34:35], s[12:13], s[18:19]
	s_and_saveexec_b64 s[26:27], s[34:35]
	s_cbranch_execz .LBB6_176
.LBB6_198:
	s_and_b64 vcc, exec, s[0:1]
	s_cbranch_vccnz .LBB6_200
; %bb.199:
	v_lshl_add_u64 v[56:57], v[74:75], 2, v[54:55]
	flat_load_dword v56, v[56:57]
	s_waitcnt vmcnt(0) lgkmcnt(0)
	v_mul_f32_e32 v56, s30, v56
	s_branch .LBB6_201
.LBB6_200:
	v_mov_b32_e32 v56, 0
.LBB6_201:
	v_pk_add_f32 v[58:59], v[12:13], v[48:49]
	s_nop 0
	v_min3_f32 v57, v58, v59, v118
	v_pk_add_f32 v[58:59], v[14:15], v[50:51]
	s_nop 0
	v_min_f32_e32 v58, v58, v59
	v_min3_f32 v58, v56, v58, v57
	v_lshl_add_u64 v[56:57], v[74:75], 2, v[52:53]
	flat_store_dword v[56:57], v58
	s_or_b64 exec, exec, s[26:27]
	s_and_b64 s[34:35], s[14:15], s[18:19]
	s_and_saveexec_b64 s[26:27], s[34:35]
	s_cbranch_execz .LBB6_177
.LBB6_202:
	s_and_b64 vcc, exec, s[0:1]
	s_cbranch_vccnz .LBB6_204
; %bb.203:
	v_lshl_add_u64 v[56:57], v[76:77], 2, v[54:55]
	flat_load_dword v56, v[56:57]
	s_waitcnt vmcnt(0) lgkmcnt(0)
	v_mul_f32_e32 v56, s30, v56
	s_branch .LBB6_205
.LBB6_204:
	v_mov_b32_e32 v56, 0
.LBB6_205:
	v_pk_add_f32 v[58:59], v[8:9], v[48:49]
	s_nop 0
	v_min3_f32 v57, v58, v59, v117
	v_pk_add_f32 v[58:59], v[10:11], v[50:51]
	s_nop 0
	v_min_f32_e32 v58, v58, v59
	v_min3_f32 v58, v56, v58, v57
	v_lshl_add_u64 v[56:57], v[76:77], 2, v[52:53]
	flat_store_dword v[56:57], v58
	s_or_b64 exec, exec, s[26:27]
	s_and_b64 s[26:27], s[16:17], s[18:19]
	s_and_saveexec_b64 s[18:19], s[26:27]
	s_cbranch_execz .LBB6_210
.LBB6_206:
	s_and_b64 vcc, exec, s[0:1]
	s_cbranch_vccnz .LBB6_208
; %bb.207:
	v_lshl_add_u64 v[54:55], v[78:79], 2, v[54:55]
	flat_load_dword v54, v[54:55]
	s_waitcnt vmcnt(0) lgkmcnt(0)
	v_mul_f32_e32 v54, s30, v54
	s_branch .LBB6_209
.LBB6_208:
	v_mov_b32_e32 v54, 0
.LBB6_209:
	v_pk_add_f32 v[48:49], v[0:1], v[48:49]
	s_nop 0
	v_min3_f32 v55, v48, v49, v116
	v_pk_add_f32 v[48:49], v[2:3], v[50:51]
	s_nop 0
	v_min_f32_e32 v48, v48, v49
	v_min3_f32 v50, v54, v48, v55
	v_lshl_add_u64 v[48:49], v[78:79], 2, v[52:53]
	flat_store_dword v[48:49], v50
.LBB6_210:
	s_or_b64 exec, exec, s[18:19]
	v_add_u32_e32 v52, 32, v125
	v_mad_i64_i32 v[48:49], s[26:27], v52, s29, 0
	v_cmp_gt_i32_e64 s[18:19], s21, v52
	v_lshl_add_u64 v[50:51], v[48:49], 2, s[24:25]
	v_mad_i64_i32 v[48:49], s[26:27], v52, s28, 0
	v_lshl_add_u64 v[48:49], v[48:49], 2, s[22:23]
	s_and_b64 s[34:35], s[2:3], s[18:19]
	s_and_saveexec_b64 s[26:27], s[34:35]
	s_cbranch_execnz .LBB6_218
; %bb.211:
	s_or_b64 exec, exec, s[26:27]
	s_and_b64 s[34:35], s[4:5], s[18:19]
	s_and_saveexec_b64 s[26:27], s[34:35]
	s_cbranch_execnz .LBB6_222
.LBB6_212:
	s_or_b64 exec, exec, s[26:27]
	s_and_b64 s[34:35], s[6:7], s[18:19]
	s_and_saveexec_b64 s[26:27], s[34:35]
	s_cbranch_execnz .LBB6_226
.LBB6_213:
	s_or_b64 exec, exec, s[26:27]
	s_and_b64 s[34:35], s[8:9], s[18:19]
	s_and_saveexec_b64 s[26:27], s[34:35]
	s_cbranch_execnz .LBB6_230
.LBB6_214:
	s_or_b64 exec, exec, s[26:27]
	s_and_b64 s[34:35], s[10:11], s[18:19]
	s_and_saveexec_b64 s[26:27], s[34:35]
	s_cbranch_execnz .LBB6_234
.LBB6_215:
	s_or_b64 exec, exec, s[26:27]
	s_and_b64 s[34:35], s[12:13], s[18:19]
	s_and_saveexec_b64 s[26:27], s[34:35]
	s_cbranch_execnz .LBB6_238
.LBB6_216:
	s_or_b64 exec, exec, s[26:27]
	s_and_b64 s[34:35], s[14:15], s[18:19]
	s_and_saveexec_b64 s[26:27], s[34:35]
	s_cbranch_execnz .LBB6_242
.LBB6_217:
	s_or_b64 exec, exec, s[26:27]
	s_and_b64 s[26:27], s[16:17], s[18:19]
	s_and_saveexec_b64 s[18:19], s[26:27]
	s_cbranch_execnz .LBB6_246
	s_branch .LBB6_250
.LBB6_218:
	s_and_b64 vcc, exec, s[0:1]
	s_cbranch_vccnz .LBB6_220
; %bb.219:
	v_lshl_add_u64 v[52:53], v[64:65], 2, v[50:51]
	flat_load_dword v52, v[52:53]
	s_waitcnt vmcnt(0) lgkmcnt(0)
	v_mul_f32_e32 v52, s30, v52
	s_branch .LBB6_221
.LBB6_220:
	v_mov_b32_e32 v52, 0
.LBB6_221:
	v_pk_add_f32 v[54:55], v[32:33], v[44:45]
	s_nop 0
	v_min3_f32 v53, v54, v55, v115
	v_pk_add_f32 v[54:55], v[34:35], v[46:47]
	s_nop 0
	v_min_f32_e32 v54, v54, v55
	v_min3_f32 v54, v52, v54, v53
	v_lshl_add_u64 v[52:53], v[64:65], 2, v[48:49]
	flat_store_dword v[52:53], v54
	s_or_b64 exec, exec, s[26:27]
	s_and_b64 s[34:35], s[4:5], s[18:19]
	s_and_saveexec_b64 s[26:27], s[34:35]
	s_cbranch_execz .LBB6_212
.LBB6_222:
	s_and_b64 vcc, exec, s[0:1]
	s_cbranch_vccnz .LBB6_224
; %bb.223:
	v_lshl_add_u64 v[52:53], v[66:67], 2, v[50:51]
	flat_load_dword v52, v[52:53]
	s_waitcnt vmcnt(0) lgkmcnt(0)
	v_mul_f32_e32 v52, s30, v52
	s_branch .LBB6_225
.LBB6_224:
	v_mov_b32_e32 v52, 0
.LBB6_225:
	v_pk_add_f32 v[54:55], v[28:29], v[44:45]
	s_nop 0
	v_min3_f32 v53, v54, v55, v114
	v_pk_add_f32 v[54:55], v[30:31], v[46:47]
	s_nop 0
	v_min_f32_e32 v54, v54, v55
	v_min3_f32 v54, v52, v54, v53
	v_lshl_add_u64 v[52:53], v[66:67], 2, v[48:49]
	flat_store_dword v[52:53], v54
	s_or_b64 exec, exec, s[26:27]
	s_and_b64 s[34:35], s[6:7], s[18:19]
	s_and_saveexec_b64 s[26:27], s[34:35]
	s_cbranch_execz .LBB6_213
.LBB6_226:
	s_and_b64 vcc, exec, s[0:1]
	s_cbranch_vccnz .LBB6_228
; %bb.227:
	v_lshl_add_u64 v[52:53], v[68:69], 2, v[50:51]
	flat_load_dword v52, v[52:53]
	s_waitcnt vmcnt(0) lgkmcnt(0)
	v_mul_f32_e32 v52, s30, v52
	s_branch .LBB6_229
.LBB6_228:
	v_mov_b32_e32 v52, 0
.LBB6_229:
	v_pk_add_f32 v[54:55], v[24:25], v[44:45]
	s_nop 0
	v_min3_f32 v53, v54, v55, v113
	v_pk_add_f32 v[54:55], v[26:27], v[46:47]
	s_nop 0
	v_min_f32_e32 v54, v54, v55
	v_min3_f32 v54, v52, v54, v53
	v_lshl_add_u64 v[52:53], v[68:69], 2, v[48:49]
	flat_store_dword v[52:53], v54
	s_or_b64 exec, exec, s[26:27]
	s_and_b64 s[34:35], s[8:9], s[18:19]
	s_and_saveexec_b64 s[26:27], s[34:35]
	s_cbranch_execz .LBB6_214
.LBB6_230:
	s_and_b64 vcc, exec, s[0:1]
	s_cbranch_vccnz .LBB6_232
; %bb.231:
	v_lshl_add_u64 v[52:53], v[70:71], 2, v[50:51]
	flat_load_dword v52, v[52:53]
	s_waitcnt vmcnt(0) lgkmcnt(0)
	v_mul_f32_e32 v52, s30, v52
	s_branch .LBB6_233
.LBB6_232:
	v_mov_b32_e32 v52, 0
.LBB6_233:
	v_pk_add_f32 v[54:55], v[20:21], v[44:45]
	s_nop 0
	v_min3_f32 v53, v54, v55, v112
	v_pk_add_f32 v[54:55], v[22:23], v[46:47]
	s_nop 0
	v_min_f32_e32 v54, v54, v55
	v_min3_f32 v54, v52, v54, v53
	v_lshl_add_u64 v[52:53], v[70:71], 2, v[48:49]
	flat_store_dword v[52:53], v54
	s_or_b64 exec, exec, s[26:27]
	s_and_b64 s[34:35], s[10:11], s[18:19]
	s_and_saveexec_b64 s[26:27], s[34:35]
	s_cbranch_execz .LBB6_215
.LBB6_234:
	s_and_b64 vcc, exec, s[0:1]
	s_cbranch_vccnz .LBB6_236
; %bb.235:
	v_lshl_add_u64 v[52:53], v[72:73], 2, v[50:51]
	flat_load_dword v52, v[52:53]
	s_waitcnt vmcnt(0) lgkmcnt(0)
	v_mul_f32_e32 v52, s30, v52
	s_branch .LBB6_237
.LBB6_236:
	v_mov_b32_e32 v52, 0
.LBB6_237:
	v_pk_add_f32 v[54:55], v[16:17], v[44:45]
	s_nop 0
	v_min3_f32 v53, v54, v55, v111
	v_pk_add_f32 v[54:55], v[18:19], v[46:47]
	s_nop 0
	v_min_f32_e32 v54, v54, v55
	v_min3_f32 v54, v52, v54, v53
	v_lshl_add_u64 v[52:53], v[72:73], 2, v[48:49]
	flat_store_dword v[52:53], v54
	s_or_b64 exec, exec, s[26:27]
	s_and_b64 s[34:35], s[12:13], s[18:19]
	s_and_saveexec_b64 s[26:27], s[34:35]
	s_cbranch_execz .LBB6_216
.LBB6_238:
	s_and_b64 vcc, exec, s[0:1]
	s_cbranch_vccnz .LBB6_240
; %bb.239:
	v_lshl_add_u64 v[52:53], v[74:75], 2, v[50:51]
	flat_load_dword v52, v[52:53]
	s_waitcnt vmcnt(0) lgkmcnt(0)
	v_mul_f32_e32 v52, s30, v52
	s_branch .LBB6_241
.LBB6_240:
	v_mov_b32_e32 v52, 0
.LBB6_241:
	v_pk_add_f32 v[54:55], v[12:13], v[44:45]
	s_nop 0
	v_min3_f32 v53, v54, v55, v110
	v_pk_add_f32 v[54:55], v[14:15], v[46:47]
	s_nop 0
	v_min_f32_e32 v54, v54, v55
	v_min3_f32 v54, v52, v54, v53
	v_lshl_add_u64 v[52:53], v[74:75], 2, v[48:49]
	flat_store_dword v[52:53], v54
	s_or_b64 exec, exec, s[26:27]
	s_and_b64 s[34:35], s[14:15], s[18:19]
	s_and_saveexec_b64 s[26:27], s[34:35]
	s_cbranch_execz .LBB6_217
.LBB6_242:
	s_and_b64 vcc, exec, s[0:1]
	s_cbranch_vccnz .LBB6_244
; %bb.243:
	v_lshl_add_u64 v[52:53], v[76:77], 2, v[50:51]
	flat_load_dword v52, v[52:53]
	s_waitcnt vmcnt(0) lgkmcnt(0)
	v_mul_f32_e32 v52, s30, v52
	s_branch .LBB6_245
.LBB6_244:
	v_mov_b32_e32 v52, 0
.LBB6_245:
	v_pk_add_f32 v[54:55], v[8:9], v[44:45]
	s_nop 0
	v_min3_f32 v53, v54, v55, v109
	v_pk_add_f32 v[54:55], v[10:11], v[46:47]
	s_nop 0
	v_min_f32_e32 v54, v54, v55
	v_min3_f32 v54, v52, v54, v53
	v_lshl_add_u64 v[52:53], v[76:77], 2, v[48:49]
	flat_store_dword v[52:53], v54
	s_or_b64 exec, exec, s[26:27]
	s_and_b64 s[26:27], s[16:17], s[18:19]
	s_and_saveexec_b64 s[18:19], s[26:27]
	s_cbranch_execz .LBB6_250
.LBB6_246:
	s_and_b64 vcc, exec, s[0:1]
	s_cbranch_vccnz .LBB6_248
; %bb.247:
	v_lshl_add_u64 v[50:51], v[78:79], 2, v[50:51]
	flat_load_dword v50, v[50:51]
	s_waitcnt vmcnt(0) lgkmcnt(0)
	v_mul_f32_e32 v50, s30, v50
	s_branch .LBB6_249
.LBB6_248:
	v_mov_b32_e32 v50, 0
.LBB6_249:
	v_pk_add_f32 v[44:45], v[0:1], v[44:45]
	s_nop 0
	v_min3_f32 v51, v44, v45, v108
	v_pk_add_f32 v[44:45], v[2:3], v[46:47]
	s_nop 0
	v_min_f32_e32 v44, v44, v45
	v_min3_f32 v46, v50, v44, v51
	v_lshl_add_u64 v[44:45], v[78:79], 2, v[48:49]
	flat_store_dword v[44:45], v46
.LBB6_250:
	s_or_b64 exec, exec, s[18:19]
	v_add_u32_e32 v48, 40, v125
	v_mad_i64_i32 v[44:45], s[26:27], v48, s29, 0
	v_cmp_gt_i32_e64 s[18:19], s21, v48
	v_lshl_add_u64 v[46:47], v[44:45], 2, s[24:25]
	v_mad_i64_i32 v[44:45], s[26:27], v48, s28, 0
	v_lshl_add_u64 v[44:45], v[44:45], 2, s[22:23]
	s_and_b64 s[34:35], s[2:3], s[18:19]
	s_and_saveexec_b64 s[26:27], s[34:35]
	s_cbranch_execnz .LBB6_258
; %bb.251:
	s_or_b64 exec, exec, s[26:27]
	s_and_b64 s[34:35], s[4:5], s[18:19]
	s_and_saveexec_b64 s[26:27], s[34:35]
	s_cbranch_execnz .LBB6_262
.LBB6_252:
	s_or_b64 exec, exec, s[26:27]
	s_and_b64 s[34:35], s[6:7], s[18:19]
	s_and_saveexec_b64 s[26:27], s[34:35]
	s_cbranch_execnz .LBB6_266
.LBB6_253:
	s_or_b64 exec, exec, s[26:27]
	s_and_b64 s[34:35], s[8:9], s[18:19]
	s_and_saveexec_b64 s[26:27], s[34:35]
	s_cbranch_execnz .LBB6_270
.LBB6_254:
	s_or_b64 exec, exec, s[26:27]
	s_and_b64 s[34:35], s[10:11], s[18:19]
	s_and_saveexec_b64 s[26:27], s[34:35]
	s_cbranch_execnz .LBB6_274
.LBB6_255:
	s_or_b64 exec, exec, s[26:27]
	s_and_b64 s[34:35], s[12:13], s[18:19]
	s_and_saveexec_b64 s[26:27], s[34:35]
	s_cbranch_execnz .LBB6_278
.LBB6_256:
	s_or_b64 exec, exec, s[26:27]
	s_and_b64 s[34:35], s[14:15], s[18:19]
	s_and_saveexec_b64 s[26:27], s[34:35]
	s_cbranch_execnz .LBB6_282
.LBB6_257:
	s_or_b64 exec, exec, s[26:27]
	s_and_b64 s[26:27], s[16:17], s[18:19]
	s_and_saveexec_b64 s[18:19], s[26:27]
	s_cbranch_execnz .LBB6_286
	s_branch .LBB6_290
.LBB6_258:
	s_and_b64 vcc, exec, s[0:1]
	s_cbranch_vccnz .LBB6_260
; %bb.259:
	v_lshl_add_u64 v[48:49], v[64:65], 2, v[46:47]
	flat_load_dword v48, v[48:49]
	s_waitcnt vmcnt(0) lgkmcnt(0)
	v_mul_f32_e32 v48, s30, v48
	s_branch .LBB6_261
.LBB6_260:
	v_mov_b32_e32 v48, 0
.LBB6_261:
	v_pk_add_f32 v[50:51], v[32:33], v[40:41]
	s_nop 0
	v_min3_f32 v49, v50, v51, v107
	v_pk_add_f32 v[50:51], v[34:35], v[42:43]
	s_nop 0
	v_min_f32_e32 v50, v50, v51
	v_min3_f32 v50, v48, v50, v49
	v_lshl_add_u64 v[48:49], v[64:65], 2, v[44:45]
	flat_store_dword v[48:49], v50
	s_or_b64 exec, exec, s[26:27]
	s_and_b64 s[34:35], s[4:5], s[18:19]
	s_and_saveexec_b64 s[26:27], s[34:35]
	s_cbranch_execz .LBB6_252
.LBB6_262:
	s_and_b64 vcc, exec, s[0:1]
	s_cbranch_vccnz .LBB6_264
; %bb.263:
	v_lshl_add_u64 v[48:49], v[66:67], 2, v[46:47]
	flat_load_dword v48, v[48:49]
	s_waitcnt vmcnt(0) lgkmcnt(0)
	v_mul_f32_e32 v48, s30, v48
	s_branch .LBB6_265
.LBB6_264:
	v_mov_b32_e32 v48, 0
.LBB6_265:
	v_pk_add_f32 v[50:51], v[28:29], v[40:41]
	s_nop 0
	v_min3_f32 v49, v50, v51, v106
	v_pk_add_f32 v[50:51], v[30:31], v[42:43]
	s_nop 0
	v_min_f32_e32 v50, v50, v51
	v_min3_f32 v50, v48, v50, v49
	v_lshl_add_u64 v[48:49], v[66:67], 2, v[44:45]
	flat_store_dword v[48:49], v50
	s_or_b64 exec, exec, s[26:27]
	s_and_b64 s[34:35], s[6:7], s[18:19]
	s_and_saveexec_b64 s[26:27], s[34:35]
	s_cbranch_execz .LBB6_253
.LBB6_266:
	s_and_b64 vcc, exec, s[0:1]
	s_cbranch_vccnz .LBB6_268
; %bb.267:
	v_lshl_add_u64 v[48:49], v[68:69], 2, v[46:47]
	flat_load_dword v48, v[48:49]
	s_waitcnt vmcnt(0) lgkmcnt(0)
	v_mul_f32_e32 v48, s30, v48
	s_branch .LBB6_269
.LBB6_268:
	v_mov_b32_e32 v48, 0
.LBB6_269:
	v_pk_add_f32 v[50:51], v[24:25], v[40:41]
	s_nop 0
	v_min3_f32 v49, v50, v51, v105
	v_pk_add_f32 v[50:51], v[26:27], v[42:43]
	s_nop 0
	v_min_f32_e32 v50, v50, v51
	v_min3_f32 v50, v48, v50, v49
	v_lshl_add_u64 v[48:49], v[68:69], 2, v[44:45]
	flat_store_dword v[48:49], v50
	s_or_b64 exec, exec, s[26:27]
	s_and_b64 s[34:35], s[8:9], s[18:19]
	s_and_saveexec_b64 s[26:27], s[34:35]
	s_cbranch_execz .LBB6_254
.LBB6_270:
	s_and_b64 vcc, exec, s[0:1]
	s_cbranch_vccnz .LBB6_272
; %bb.271:
	v_lshl_add_u64 v[48:49], v[70:71], 2, v[46:47]
	flat_load_dword v48, v[48:49]
	s_waitcnt vmcnt(0) lgkmcnt(0)
	v_mul_f32_e32 v48, s30, v48
	s_branch .LBB6_273
.LBB6_272:
	v_mov_b32_e32 v48, 0
.LBB6_273:
	v_pk_add_f32 v[50:51], v[20:21], v[40:41]
	s_nop 0
	v_min3_f32 v49, v50, v51, v104
	v_pk_add_f32 v[50:51], v[22:23], v[42:43]
	s_nop 0
	v_min_f32_e32 v50, v50, v51
	v_min3_f32 v50, v48, v50, v49
	v_lshl_add_u64 v[48:49], v[70:71], 2, v[44:45]
	flat_store_dword v[48:49], v50
	s_or_b64 exec, exec, s[26:27]
	s_and_b64 s[34:35], s[10:11], s[18:19]
	s_and_saveexec_b64 s[26:27], s[34:35]
	s_cbranch_execz .LBB6_255
.LBB6_274:
	s_and_b64 vcc, exec, s[0:1]
	s_cbranch_vccnz .LBB6_276
; %bb.275:
	v_lshl_add_u64 v[48:49], v[72:73], 2, v[46:47]
	flat_load_dword v48, v[48:49]
	s_waitcnt vmcnt(0) lgkmcnt(0)
	v_mul_f32_e32 v48, s30, v48
	s_branch .LBB6_277
.LBB6_276:
	v_mov_b32_e32 v48, 0
.LBB6_277:
	v_pk_add_f32 v[50:51], v[16:17], v[40:41]
	s_nop 0
	v_min3_f32 v49, v50, v51, v103
	v_pk_add_f32 v[50:51], v[18:19], v[42:43]
	s_nop 0
	v_min_f32_e32 v50, v50, v51
	v_min3_f32 v50, v48, v50, v49
	v_lshl_add_u64 v[48:49], v[72:73], 2, v[44:45]
	flat_store_dword v[48:49], v50
	s_or_b64 exec, exec, s[26:27]
	s_and_b64 s[34:35], s[12:13], s[18:19]
	s_and_saveexec_b64 s[26:27], s[34:35]
	s_cbranch_execz .LBB6_256
.LBB6_278:
	s_and_b64 vcc, exec, s[0:1]
	s_cbranch_vccnz .LBB6_280
; %bb.279:
	v_lshl_add_u64 v[48:49], v[74:75], 2, v[46:47]
	flat_load_dword v48, v[48:49]
	s_waitcnt vmcnt(0) lgkmcnt(0)
	v_mul_f32_e32 v48, s30, v48
	s_branch .LBB6_281
.LBB6_280:
	v_mov_b32_e32 v48, 0
.LBB6_281:
	v_pk_add_f32 v[50:51], v[12:13], v[40:41]
	s_nop 0
	v_min3_f32 v49, v50, v51, v102
	v_pk_add_f32 v[50:51], v[14:15], v[42:43]
	s_nop 0
	v_min_f32_e32 v50, v50, v51
	v_min3_f32 v50, v48, v50, v49
	v_lshl_add_u64 v[48:49], v[74:75], 2, v[44:45]
	flat_store_dword v[48:49], v50
	s_or_b64 exec, exec, s[26:27]
	s_and_b64 s[34:35], s[14:15], s[18:19]
	s_and_saveexec_b64 s[26:27], s[34:35]
	s_cbranch_execz .LBB6_257
.LBB6_282:
	s_and_b64 vcc, exec, s[0:1]
	s_cbranch_vccnz .LBB6_284
; %bb.283:
	v_lshl_add_u64 v[48:49], v[76:77], 2, v[46:47]
	flat_load_dword v48, v[48:49]
	s_waitcnt vmcnt(0) lgkmcnt(0)
	v_mul_f32_e32 v48, s30, v48
	s_branch .LBB6_285
.LBB6_284:
	v_mov_b32_e32 v48, 0
.LBB6_285:
	v_pk_add_f32 v[50:51], v[8:9], v[40:41]
	s_nop 0
	v_min3_f32 v49, v50, v51, v101
	v_pk_add_f32 v[50:51], v[10:11], v[42:43]
	s_nop 0
	v_min_f32_e32 v50, v50, v51
	v_min3_f32 v50, v48, v50, v49
	v_lshl_add_u64 v[48:49], v[76:77], 2, v[44:45]
	flat_store_dword v[48:49], v50
	s_or_b64 exec, exec, s[26:27]
	s_and_b64 s[26:27], s[16:17], s[18:19]
	s_and_saveexec_b64 s[18:19], s[26:27]
	s_cbranch_execz .LBB6_290
.LBB6_286:
	s_and_b64 vcc, exec, s[0:1]
	s_cbranch_vccnz .LBB6_288
; %bb.287:
	v_lshl_add_u64 v[46:47], v[78:79], 2, v[46:47]
	flat_load_dword v46, v[46:47]
	s_waitcnt vmcnt(0) lgkmcnt(0)
	v_mul_f32_e32 v46, s30, v46
	s_branch .LBB6_289
.LBB6_288:
	v_mov_b32_e32 v46, 0
.LBB6_289:
	v_pk_add_f32 v[40:41], v[0:1], v[40:41]
	s_nop 0
	v_min3_f32 v47, v40, v41, v100
	v_pk_add_f32 v[40:41], v[2:3], v[42:43]
	s_nop 0
	v_min_f32_e32 v40, v40, v41
	v_min3_f32 v42, v46, v40, v47
	v_lshl_add_u64 v[40:41], v[78:79], 2, v[44:45]
	flat_store_dword v[40:41], v42
.LBB6_290:
	s_or_b64 exec, exec, s[18:19]
	v_add_u32_e32 v44, 48, v125
	v_mad_i64_i32 v[40:41], s[26:27], v44, s29, 0
	v_cmp_gt_i32_e64 s[18:19], s21, v44
	v_lshl_add_u64 v[42:43], v[40:41], 2, s[24:25]
	v_mad_i64_i32 v[40:41], s[26:27], v44, s28, 0
	v_lshl_add_u64 v[40:41], v[40:41], 2, s[22:23]
	s_and_b64 s[34:35], s[2:3], s[18:19]
	s_and_saveexec_b64 s[26:27], s[34:35]
	s_cbranch_execnz .LBB6_298
; %bb.291:
	s_or_b64 exec, exec, s[26:27]
	s_and_b64 s[34:35], s[4:5], s[18:19]
	s_and_saveexec_b64 s[26:27], s[34:35]
	s_cbranch_execnz .LBB6_302
.LBB6_292:
	s_or_b64 exec, exec, s[26:27]
	s_and_b64 s[34:35], s[6:7], s[18:19]
	s_and_saveexec_b64 s[26:27], s[34:35]
	s_cbranch_execnz .LBB6_306
.LBB6_293:
	s_or_b64 exec, exec, s[26:27]
	s_and_b64 s[34:35], s[8:9], s[18:19]
	s_and_saveexec_b64 s[26:27], s[34:35]
	s_cbranch_execnz .LBB6_310
.LBB6_294:
	s_or_b64 exec, exec, s[26:27]
	s_and_b64 s[34:35], s[10:11], s[18:19]
	s_and_saveexec_b64 s[26:27], s[34:35]
	s_cbranch_execnz .LBB6_314
.LBB6_295:
	s_or_b64 exec, exec, s[26:27]
	s_and_b64 s[34:35], s[12:13], s[18:19]
	s_and_saveexec_b64 s[26:27], s[34:35]
	s_cbranch_execnz .LBB6_318
.LBB6_296:
	s_or_b64 exec, exec, s[26:27]
	s_and_b64 s[34:35], s[14:15], s[18:19]
	s_and_saveexec_b64 s[26:27], s[34:35]
	s_cbranch_execnz .LBB6_322
.LBB6_297:
	s_or_b64 exec, exec, s[26:27]
	s_and_b64 s[26:27], s[16:17], s[18:19]
	s_and_saveexec_b64 s[18:19], s[26:27]
	s_cbranch_execnz .LBB6_326
	s_branch .LBB6_330
.LBB6_298:
	s_and_b64 vcc, exec, s[0:1]
	s_cbranch_vccnz .LBB6_300
; %bb.299:
	v_lshl_add_u64 v[44:45], v[64:65], 2, v[42:43]
	flat_load_dword v44, v[44:45]
	s_waitcnt vmcnt(0) lgkmcnt(0)
	v_mul_f32_e32 v44, s30, v44
	s_branch .LBB6_301
.LBB6_300:
	v_mov_b32_e32 v44, 0
.LBB6_301:
	v_pk_add_f32 v[46:47], v[32:33], v[36:37]
	s_nop 0
	v_min3_f32 v45, v46, v47, v99
	v_pk_add_f32 v[46:47], v[34:35], v[38:39]
	s_nop 0
	v_min_f32_e32 v46, v46, v47
	v_min3_f32 v46, v44, v46, v45
	v_lshl_add_u64 v[44:45], v[64:65], 2, v[40:41]
	flat_store_dword v[44:45], v46
	s_or_b64 exec, exec, s[26:27]
	s_and_b64 s[34:35], s[4:5], s[18:19]
	s_and_saveexec_b64 s[26:27], s[34:35]
	s_cbranch_execz .LBB6_292
.LBB6_302:
	s_and_b64 vcc, exec, s[0:1]
	s_cbranch_vccnz .LBB6_304
; %bb.303:
	v_lshl_add_u64 v[44:45], v[66:67], 2, v[42:43]
	flat_load_dword v44, v[44:45]
	s_waitcnt vmcnt(0) lgkmcnt(0)
	v_mul_f32_e32 v44, s30, v44
	s_branch .LBB6_305
.LBB6_304:
	v_mov_b32_e32 v44, 0
.LBB6_305:
	v_pk_add_f32 v[46:47], v[28:29], v[36:37]
	s_nop 0
	v_min3_f32 v45, v46, v47, v98
	v_pk_add_f32 v[46:47], v[30:31], v[38:39]
	s_nop 0
	v_min_f32_e32 v46, v46, v47
	v_min3_f32 v46, v44, v46, v45
	v_lshl_add_u64 v[44:45], v[66:67], 2, v[40:41]
	flat_store_dword v[44:45], v46
	s_or_b64 exec, exec, s[26:27]
	s_and_b64 s[34:35], s[6:7], s[18:19]
	s_and_saveexec_b64 s[26:27], s[34:35]
	s_cbranch_execz .LBB6_293
.LBB6_306:
	s_and_b64 vcc, exec, s[0:1]
	s_cbranch_vccnz .LBB6_308
; %bb.307:
	v_lshl_add_u64 v[44:45], v[68:69], 2, v[42:43]
	flat_load_dword v44, v[44:45]
	s_waitcnt vmcnt(0) lgkmcnt(0)
	v_mul_f32_e32 v44, s30, v44
	s_branch .LBB6_309
.LBB6_308:
	v_mov_b32_e32 v44, 0
.LBB6_309:
	v_pk_add_f32 v[46:47], v[24:25], v[36:37]
	s_nop 0
	v_min3_f32 v45, v46, v47, v97
	v_pk_add_f32 v[46:47], v[26:27], v[38:39]
	s_nop 0
	v_min_f32_e32 v46, v46, v47
	v_min3_f32 v46, v44, v46, v45
	v_lshl_add_u64 v[44:45], v[68:69], 2, v[40:41]
	flat_store_dword v[44:45], v46
	s_or_b64 exec, exec, s[26:27]
	s_and_b64 s[34:35], s[8:9], s[18:19]
	s_and_saveexec_b64 s[26:27], s[34:35]
	s_cbranch_execz .LBB6_294
.LBB6_310:
	s_and_b64 vcc, exec, s[0:1]
	s_cbranch_vccnz .LBB6_312
; %bb.311:
	v_lshl_add_u64 v[44:45], v[70:71], 2, v[42:43]
	flat_load_dword v44, v[44:45]
	s_waitcnt vmcnt(0) lgkmcnt(0)
	v_mul_f32_e32 v44, s30, v44
	s_branch .LBB6_313
.LBB6_312:
	v_mov_b32_e32 v44, 0
.LBB6_313:
	v_pk_add_f32 v[46:47], v[20:21], v[36:37]
	s_nop 0
	v_min3_f32 v45, v46, v47, v96
	v_pk_add_f32 v[46:47], v[22:23], v[38:39]
	s_nop 0
	v_min_f32_e32 v46, v46, v47
	v_min3_f32 v46, v44, v46, v45
	v_lshl_add_u64 v[44:45], v[70:71], 2, v[40:41]
	flat_store_dword v[44:45], v46
	s_or_b64 exec, exec, s[26:27]
	s_and_b64 s[34:35], s[10:11], s[18:19]
	s_and_saveexec_b64 s[26:27], s[34:35]
	s_cbranch_execz .LBB6_295
.LBB6_314:
	s_and_b64 vcc, exec, s[0:1]
	s_cbranch_vccnz .LBB6_316
; %bb.315:
	v_lshl_add_u64 v[44:45], v[72:73], 2, v[42:43]
	flat_load_dword v44, v[44:45]
	s_waitcnt vmcnt(0) lgkmcnt(0)
	v_mul_f32_e32 v44, s30, v44
	s_branch .LBB6_317
.LBB6_316:
	v_mov_b32_e32 v44, 0
.LBB6_317:
	v_pk_add_f32 v[46:47], v[16:17], v[36:37]
	s_nop 0
	v_min3_f32 v45, v46, v47, v95
	v_pk_add_f32 v[46:47], v[18:19], v[38:39]
	s_nop 0
	v_min_f32_e32 v46, v46, v47
	v_min3_f32 v46, v44, v46, v45
	v_lshl_add_u64 v[44:45], v[72:73], 2, v[40:41]
	flat_store_dword v[44:45], v46
	s_or_b64 exec, exec, s[26:27]
	s_and_b64 s[34:35], s[12:13], s[18:19]
	s_and_saveexec_b64 s[26:27], s[34:35]
	s_cbranch_execz .LBB6_296
.LBB6_318:
	s_and_b64 vcc, exec, s[0:1]
	s_cbranch_vccnz .LBB6_320
; %bb.319:
	v_lshl_add_u64 v[44:45], v[74:75], 2, v[42:43]
	flat_load_dword v44, v[44:45]
	s_waitcnt vmcnt(0) lgkmcnt(0)
	v_mul_f32_e32 v44, s30, v44
	s_branch .LBB6_321
.LBB6_320:
	v_mov_b32_e32 v44, 0
.LBB6_321:
	v_pk_add_f32 v[46:47], v[12:13], v[36:37]
	s_nop 0
	v_min3_f32 v45, v46, v47, v94
	v_pk_add_f32 v[46:47], v[14:15], v[38:39]
	s_nop 0
	v_min_f32_e32 v46, v46, v47
	v_min3_f32 v46, v44, v46, v45
	v_lshl_add_u64 v[44:45], v[74:75], 2, v[40:41]
	flat_store_dword v[44:45], v46
	s_or_b64 exec, exec, s[26:27]
	s_and_b64 s[34:35], s[14:15], s[18:19]
	s_and_saveexec_b64 s[26:27], s[34:35]
	s_cbranch_execz .LBB6_297
.LBB6_322:
	s_and_b64 vcc, exec, s[0:1]
	s_cbranch_vccnz .LBB6_324
; %bb.323:
	v_lshl_add_u64 v[44:45], v[76:77], 2, v[42:43]
	flat_load_dword v44, v[44:45]
	s_waitcnt vmcnt(0) lgkmcnt(0)
	v_mul_f32_e32 v44, s30, v44
	s_branch .LBB6_325
.LBB6_324:
	v_mov_b32_e32 v44, 0
.LBB6_325:
	v_pk_add_f32 v[46:47], v[8:9], v[36:37]
	s_nop 0
	v_min3_f32 v45, v46, v47, v93
	v_pk_add_f32 v[46:47], v[10:11], v[38:39]
	s_nop 0
	v_min_f32_e32 v46, v46, v47
	v_min3_f32 v46, v44, v46, v45
	v_lshl_add_u64 v[44:45], v[76:77], 2, v[40:41]
	flat_store_dword v[44:45], v46
	s_or_b64 exec, exec, s[26:27]
	s_and_b64 s[26:27], s[16:17], s[18:19]
	s_and_saveexec_b64 s[18:19], s[26:27]
	s_cbranch_execz .LBB6_330
.LBB6_326:
	s_and_b64 vcc, exec, s[0:1]
	s_cbranch_vccnz .LBB6_328
; %bb.327:
	v_lshl_add_u64 v[42:43], v[78:79], 2, v[42:43]
	flat_load_dword v42, v[42:43]
	s_waitcnt vmcnt(0) lgkmcnt(0)
	v_mul_f32_e32 v42, s30, v42
	s_branch .LBB6_329
.LBB6_328:
	v_mov_b32_e32 v42, 0
.LBB6_329:
	v_pk_add_f32 v[36:37], v[0:1], v[36:37]
	s_nop 0
	v_min3_f32 v43, v36, v37, v92
	v_pk_add_f32 v[36:37], v[2:3], v[38:39]
	s_nop 0
	v_min_f32_e32 v36, v36, v37
	v_min3_f32 v38, v42, v36, v43
	v_lshl_add_u64 v[36:37], v[78:79], 2, v[40:41]
	flat_store_dword v[36:37], v38
.LBB6_330:
	s_or_b64 exec, exec, s[18:19]
	v_add_u32_e32 v40, 56, v125
	v_cmp_gt_i32_e64 s[18:19], s21, v40
	v_mad_i64_i32 v[36:37], s[20:21], v40, s29, 0
	v_lshl_add_u64 v[38:39], v[36:37], 2, s[24:25]
	v_mad_i64_i32 v[36:37], s[20:21], v40, s28, 0
	v_lshl_add_u64 v[36:37], v[36:37], 2, s[22:23]
	s_and_b64 s[20:21], s[2:3], s[18:19]
	s_and_saveexec_b64 s[2:3], s[20:21]
	s_cbranch_execnz .LBB6_339
; %bb.331:
	s_or_b64 exec, exec, s[2:3]
	s_and_b64 s[4:5], s[4:5], s[18:19]
	s_and_saveexec_b64 s[2:3], s[4:5]
	s_cbranch_execnz .LBB6_343
.LBB6_332:
	s_or_b64 exec, exec, s[2:3]
	s_and_b64 s[4:5], s[6:7], s[18:19]
	s_and_saveexec_b64 s[2:3], s[4:5]
	s_cbranch_execnz .LBB6_347
.LBB6_333:
	s_or_b64 exec, exec, s[2:3]
	s_and_b64 s[4:5], s[8:9], s[18:19]
	s_and_saveexec_b64 s[2:3], s[4:5]
	s_cbranch_execnz .LBB6_351
.LBB6_334:
	s_or_b64 exec, exec, s[2:3]
	s_and_b64 s[4:5], s[10:11], s[18:19]
	s_and_saveexec_b64 s[2:3], s[4:5]
	s_cbranch_execnz .LBB6_355
.LBB6_335:
	s_or_b64 exec, exec, s[2:3]
	s_and_b64 s[4:5], s[12:13], s[18:19]
	s_and_saveexec_b64 s[2:3], s[4:5]
	s_cbranch_execnz .LBB6_359
.LBB6_336:
	s_or_b64 exec, exec, s[2:3]
	s_and_b64 s[4:5], s[14:15], s[18:19]
	s_and_saveexec_b64 s[2:3], s[4:5]
	s_cbranch_execnz .LBB6_363
.LBB6_337:
	s_or_b64 exec, exec, s[2:3]
	s_and_b64 s[2:3], s[16:17], s[18:19]
	s_and_saveexec_b64 s[4:5], s[2:3]
	s_cbranch_execnz .LBB6_367
.LBB6_338:
	s_endpgm
.LBB6_339:
	s_and_b64 vcc, exec, s[0:1]
	s_cbranch_vccnz .LBB6_341
; %bb.340:
	v_lshl_add_u64 v[40:41], v[64:65], 2, v[38:39]
	flat_load_dword v40, v[40:41]
	s_waitcnt vmcnt(0) lgkmcnt(0)
	v_mul_f32_e32 v40, s30, v40
	s_branch .LBB6_342
.LBB6_341:
	v_mov_b32_e32 v40, 0
.LBB6_342:
	v_pk_add_f32 v[32:33], v[32:33], v[4:5]
	s_nop 0
	v_min3_f32 v41, v32, v33, v91
	v_pk_add_f32 v[32:33], v[34:35], v[6:7]
	s_nop 0
	v_min_f32_e32 v32, v32, v33
	v_min3_f32 v34, v40, v32, v41
	v_lshl_add_u64 v[32:33], v[64:65], 2, v[36:37]
	flat_store_dword v[32:33], v34
	s_or_b64 exec, exec, s[2:3]
	s_and_b64 s[4:5], s[4:5], s[18:19]
	s_and_saveexec_b64 s[2:3], s[4:5]
	s_cbranch_execz .LBB6_332
.LBB6_343:
	s_and_b64 vcc, exec, s[0:1]
	s_cbranch_vccnz .LBB6_345
; %bb.344:
	v_lshl_add_u64 v[32:33], v[66:67], 2, v[38:39]
	flat_load_dword v32, v[32:33]
	s_waitcnt vmcnt(0) lgkmcnt(0)
	v_mul_f32_e32 v32, s30, v32
	s_branch .LBB6_346
.LBB6_345:
	v_mov_b32_e32 v32, 0
.LBB6_346:
	v_pk_add_f32 v[28:29], v[28:29], v[4:5]
	s_nop 0
	v_min3_f32 v33, v28, v29, v90
	v_pk_add_f32 v[28:29], v[30:31], v[6:7]
	s_nop 0
	v_min_f32_e32 v28, v28, v29
	v_min3_f32 v30, v32, v28, v33
	v_lshl_add_u64 v[28:29], v[66:67], 2, v[36:37]
	flat_store_dword v[28:29], v30
	s_or_b64 exec, exec, s[2:3]
	s_and_b64 s[4:5], s[6:7], s[18:19]
	s_and_saveexec_b64 s[2:3], s[4:5]
	s_cbranch_execz .LBB6_333
.LBB6_347:
	s_and_b64 vcc, exec, s[0:1]
	s_cbranch_vccnz .LBB6_349
; %bb.348:
	v_lshl_add_u64 v[28:29], v[68:69], 2, v[38:39]
	flat_load_dword v28, v[28:29]
	s_waitcnt vmcnt(0) lgkmcnt(0)
	v_mul_f32_e32 v28, s30, v28
	s_branch .LBB6_350
.LBB6_349:
	v_mov_b32_e32 v28, 0
.LBB6_350:
	v_pk_add_f32 v[24:25], v[24:25], v[4:5]
	s_nop 0
	v_min3_f32 v29, v24, v25, v89
	v_pk_add_f32 v[24:25], v[26:27], v[6:7]
	s_nop 0
	v_min_f32_e32 v24, v24, v25
	v_min3_f32 v26, v28, v24, v29
	v_lshl_add_u64 v[24:25], v[68:69], 2, v[36:37]
	flat_store_dword v[24:25], v26
	s_or_b64 exec, exec, s[2:3]
	s_and_b64 s[4:5], s[8:9], s[18:19]
	s_and_saveexec_b64 s[2:3], s[4:5]
	s_cbranch_execz .LBB6_334
.LBB6_351:
	s_and_b64 vcc, exec, s[0:1]
	s_cbranch_vccnz .LBB6_353
; %bb.352:
	v_lshl_add_u64 v[24:25], v[70:71], 2, v[38:39]
	flat_load_dword v24, v[24:25]
	s_waitcnt vmcnt(0) lgkmcnt(0)
	v_mul_f32_e32 v24, s30, v24
	s_branch .LBB6_354
.LBB6_353:
	v_mov_b32_e32 v24, 0
.LBB6_354:
	v_pk_add_f32 v[20:21], v[20:21], v[4:5]
	s_nop 0
	v_min3_f32 v25, v20, v21, v87
	v_pk_add_f32 v[20:21], v[22:23], v[6:7]
	s_nop 0
	v_min_f32_e32 v20, v20, v21
	v_min3_f32 v22, v24, v20, v25
	v_lshl_add_u64 v[20:21], v[70:71], 2, v[36:37]
	flat_store_dword v[20:21], v22
	s_or_b64 exec, exec, s[2:3]
	s_and_b64 s[4:5], s[10:11], s[18:19]
	s_and_saveexec_b64 s[2:3], s[4:5]
	s_cbranch_execz .LBB6_335
.LBB6_355:
	s_and_b64 vcc, exec, s[0:1]
	s_cbranch_vccnz .LBB6_357
; %bb.356:
	v_lshl_add_u64 v[20:21], v[72:73], 2, v[38:39]
	flat_load_dword v20, v[20:21]
	s_waitcnt vmcnt(0) lgkmcnt(0)
	v_mul_f32_e32 v20, s30, v20
	s_branch .LBB6_358
.LBB6_357:
	v_mov_b32_e32 v20, 0
.LBB6_358:
	v_pk_add_f32 v[16:17], v[16:17], v[4:5]
	s_nop 0
	v_min3_f32 v21, v16, v17, v86
	v_pk_add_f32 v[16:17], v[18:19], v[6:7]
	s_nop 0
	v_min_f32_e32 v16, v16, v17
	v_min3_f32 v18, v20, v16, v21
	v_lshl_add_u64 v[16:17], v[72:73], 2, v[36:37]
	flat_store_dword v[16:17], v18
	s_or_b64 exec, exec, s[2:3]
	s_and_b64 s[4:5], s[12:13], s[18:19]
	s_and_saveexec_b64 s[2:3], s[4:5]
	s_cbranch_execz .LBB6_336
.LBB6_359:
	s_and_b64 vcc, exec, s[0:1]
	s_cbranch_vccnz .LBB6_361
; %bb.360:
	v_lshl_add_u64 v[16:17], v[74:75], 2, v[38:39]
	flat_load_dword v16, v[16:17]
	s_waitcnt vmcnt(0) lgkmcnt(0)
	v_mul_f32_e32 v16, s30, v16
	s_branch .LBB6_362
.LBB6_361:
	v_mov_b32_e32 v16, 0
.LBB6_362:
	v_pk_add_f32 v[12:13], v[12:13], v[4:5]
	s_nop 0
	v_min3_f32 v17, v12, v13, v85
	v_pk_add_f32 v[12:13], v[14:15], v[6:7]
	s_nop 0
	v_min_f32_e32 v12, v12, v13
	v_min3_f32 v14, v16, v12, v17
	v_lshl_add_u64 v[12:13], v[74:75], 2, v[36:37]
	flat_store_dword v[12:13], v14
	s_or_b64 exec, exec, s[2:3]
	s_and_b64 s[4:5], s[14:15], s[18:19]
	s_and_saveexec_b64 s[2:3], s[4:5]
	s_cbranch_execz .LBB6_337
.LBB6_363:
	s_and_b64 vcc, exec, s[0:1]
	s_cbranch_vccnz .LBB6_365
; %bb.364:
	v_lshl_add_u64 v[12:13], v[76:77], 2, v[38:39]
	flat_load_dword v12, v[12:13]
	s_waitcnt vmcnt(0) lgkmcnt(0)
	v_mul_f32_e32 v12, s30, v12
	s_branch .LBB6_366
.LBB6_365:
	v_mov_b32_e32 v12, 0
.LBB6_366:
	v_pk_add_f32 v[8:9], v[8:9], v[4:5]
	s_nop 0
	v_min3_f32 v13, v8, v9, v84
	v_pk_add_f32 v[8:9], v[10:11], v[6:7]
	s_nop 0
	v_min_f32_e32 v8, v8, v9
	v_min3_f32 v10, v12, v8, v13
	v_lshl_add_u64 v[8:9], v[76:77], 2, v[36:37]
	flat_store_dword v[8:9], v10
	s_or_b64 exec, exec, s[2:3]
	s_and_b64 s[2:3], s[16:17], s[18:19]
	s_and_saveexec_b64 s[4:5], s[2:3]
	s_cbranch_execz .LBB6_338
.LBB6_367:
	s_and_b64 vcc, exec, s[0:1]
	s_cbranch_vccnz .LBB6_369
; %bb.368:
	v_lshl_add_u64 v[8:9], v[78:79], 2, v[38:39]
	flat_load_dword v8, v[8:9]
	s_waitcnt vmcnt(0) lgkmcnt(0)
	v_mul_f32_e32 v8, s30, v8
	s_branch .LBB6_370
.LBB6_369:
	v_mov_b32_e32 v8, 0
.LBB6_370:
	v_pk_add_f32 v[0:1], v[0:1], v[4:5]
	s_nop 0
	v_min3_f32 v4, v0, v1, v88
	v_pk_add_f32 v[0:1], v[2:3], v[6:7]
	s_nop 0
	v_min_f32_e32 v0, v0, v1
	v_min3_f32 v2, v8, v0, v4
	v_lshl_add_u64 v[0:1], v[78:79], 2, v[36:37]
	flat_store_dword v[0:1], v2
	s_endpgm
	.section	.rodata,"a",@progbits
	.p2align	6, 0x0
	.amdhsa_kernel _ZN12_GLOBAL__N_120geam_min_plus_kernelIf15HIP_vector_typeIfLj2EEfLi32ELi8ELi256ELi64ELi4ELi64ELi4ELi4ELi64ELc78ELc78ELb0ELb1ELb1EPKfKS4_KPfEEviiiT16_PT17_ilSA_ilS8_SA_ilPT18_ili26rocblas_geam_ex_operation_
		.amdhsa_group_segment_fixed_size 10240
		.amdhsa_private_segment_fixed_size 0
		.amdhsa_kernarg_size 136
		.amdhsa_user_sgpr_count 2
		.amdhsa_user_sgpr_dispatch_ptr 0
		.amdhsa_user_sgpr_queue_ptr 0
		.amdhsa_user_sgpr_kernarg_segment_ptr 1
		.amdhsa_user_sgpr_dispatch_id 0
		.amdhsa_user_sgpr_kernarg_preload_length 0
		.amdhsa_user_sgpr_kernarg_preload_offset 0
		.amdhsa_user_sgpr_private_segment_size 0
		.amdhsa_uses_dynamic_stack 0
		.amdhsa_enable_private_segment 0
		.amdhsa_system_sgpr_workgroup_id_x 1
		.amdhsa_system_sgpr_workgroup_id_y 0
		.amdhsa_system_sgpr_workgroup_id_z 1
		.amdhsa_system_sgpr_workgroup_info 0
		.amdhsa_system_vgpr_workitem_id 1
		.amdhsa_next_free_vgpr 157
		.amdhsa_next_free_sgpr 40
		.amdhsa_accum_offset 160
		.amdhsa_reserve_vcc 1
		.amdhsa_float_round_mode_32 0
		.amdhsa_float_round_mode_16_64 0
		.amdhsa_float_denorm_mode_32 3
		.amdhsa_float_denorm_mode_16_64 3
		.amdhsa_dx10_clamp 1
		.amdhsa_ieee_mode 1
		.amdhsa_fp16_overflow 0
		.amdhsa_tg_split 0
		.amdhsa_exception_fp_ieee_invalid_op 0
		.amdhsa_exception_fp_denorm_src 0
		.amdhsa_exception_fp_ieee_div_zero 0
		.amdhsa_exception_fp_ieee_overflow 0
		.amdhsa_exception_fp_ieee_underflow 0
		.amdhsa_exception_fp_ieee_inexact 0
		.amdhsa_exception_int_div_zero 0
	.end_amdhsa_kernel
	.section	.text._ZN12_GLOBAL__N_120geam_min_plus_kernelIf15HIP_vector_typeIfLj2EEfLi32ELi8ELi256ELi64ELi4ELi64ELi4ELi4ELi64ELc78ELc78ELb0ELb1ELb1EPKfKS4_KPfEEviiiT16_PT17_ilSA_ilS8_SA_ilPT18_ili26rocblas_geam_ex_operation_,"axG",@progbits,_ZN12_GLOBAL__N_120geam_min_plus_kernelIf15HIP_vector_typeIfLj2EEfLi32ELi8ELi256ELi64ELi4ELi64ELi4ELi4ELi64ELc78ELc78ELb0ELb1ELb1EPKfKS4_KPfEEviiiT16_PT17_ilSA_ilS8_SA_ilPT18_ili26rocblas_geam_ex_operation_,comdat
.Lfunc_end6:
	.size	_ZN12_GLOBAL__N_120geam_min_plus_kernelIf15HIP_vector_typeIfLj2EEfLi32ELi8ELi256ELi64ELi4ELi64ELi4ELi4ELi64ELc78ELc78ELb0ELb1ELb1EPKfKS4_KPfEEviiiT16_PT17_ilSA_ilS8_SA_ilPT18_ili26rocblas_geam_ex_operation_, .Lfunc_end6-_ZN12_GLOBAL__N_120geam_min_plus_kernelIf15HIP_vector_typeIfLj2EEfLi32ELi8ELi256ELi64ELi4ELi64ELi4ELi4ELi64ELc78ELc78ELb0ELb1ELb1EPKfKS4_KPfEEviiiT16_PT17_ilSA_ilS8_SA_ilPT18_ili26rocblas_geam_ex_operation_
                                        ; -- End function
	.set _ZN12_GLOBAL__N_120geam_min_plus_kernelIf15HIP_vector_typeIfLj2EEfLi32ELi8ELi256ELi64ELi4ELi64ELi4ELi4ELi64ELc78ELc78ELb0ELb1ELb1EPKfKS4_KPfEEviiiT16_PT17_ilSA_ilS8_SA_ilPT18_ili26rocblas_geam_ex_operation_.num_vgpr, 157
	.set _ZN12_GLOBAL__N_120geam_min_plus_kernelIf15HIP_vector_typeIfLj2EEfLi32ELi8ELi256ELi64ELi4ELi64ELi4ELi4ELi64ELc78ELc78ELb0ELb1ELb1EPKfKS4_KPfEEviiiT16_PT17_ilSA_ilS8_SA_ilPT18_ili26rocblas_geam_ex_operation_.num_agpr, 0
	.set _ZN12_GLOBAL__N_120geam_min_plus_kernelIf15HIP_vector_typeIfLj2EEfLi32ELi8ELi256ELi64ELi4ELi64ELi4ELi4ELi64ELc78ELc78ELb0ELb1ELb1EPKfKS4_KPfEEviiiT16_PT17_ilSA_ilS8_SA_ilPT18_ili26rocblas_geam_ex_operation_.numbered_sgpr, 40
	.set _ZN12_GLOBAL__N_120geam_min_plus_kernelIf15HIP_vector_typeIfLj2EEfLi32ELi8ELi256ELi64ELi4ELi64ELi4ELi4ELi64ELc78ELc78ELb0ELb1ELb1EPKfKS4_KPfEEviiiT16_PT17_ilSA_ilS8_SA_ilPT18_ili26rocblas_geam_ex_operation_.num_named_barrier, 0
	.set _ZN12_GLOBAL__N_120geam_min_plus_kernelIf15HIP_vector_typeIfLj2EEfLi32ELi8ELi256ELi64ELi4ELi64ELi4ELi4ELi64ELc78ELc78ELb0ELb1ELb1EPKfKS4_KPfEEviiiT16_PT17_ilSA_ilS8_SA_ilPT18_ili26rocblas_geam_ex_operation_.private_seg_size, 0
	.set _ZN12_GLOBAL__N_120geam_min_plus_kernelIf15HIP_vector_typeIfLj2EEfLi32ELi8ELi256ELi64ELi4ELi64ELi4ELi4ELi64ELc78ELc78ELb0ELb1ELb1EPKfKS4_KPfEEviiiT16_PT17_ilSA_ilS8_SA_ilPT18_ili26rocblas_geam_ex_operation_.uses_vcc, 1
	.set _ZN12_GLOBAL__N_120geam_min_plus_kernelIf15HIP_vector_typeIfLj2EEfLi32ELi8ELi256ELi64ELi4ELi64ELi4ELi4ELi64ELc78ELc78ELb0ELb1ELb1EPKfKS4_KPfEEviiiT16_PT17_ilSA_ilS8_SA_ilPT18_ili26rocblas_geam_ex_operation_.uses_flat_scratch, 0
	.set _ZN12_GLOBAL__N_120geam_min_plus_kernelIf15HIP_vector_typeIfLj2EEfLi32ELi8ELi256ELi64ELi4ELi64ELi4ELi4ELi64ELc78ELc78ELb0ELb1ELb1EPKfKS4_KPfEEviiiT16_PT17_ilSA_ilS8_SA_ilPT18_ili26rocblas_geam_ex_operation_.has_dyn_sized_stack, 0
	.set _ZN12_GLOBAL__N_120geam_min_plus_kernelIf15HIP_vector_typeIfLj2EEfLi32ELi8ELi256ELi64ELi4ELi64ELi4ELi4ELi64ELc78ELc78ELb0ELb1ELb1EPKfKS4_KPfEEviiiT16_PT17_ilSA_ilS8_SA_ilPT18_ili26rocblas_geam_ex_operation_.has_recursion, 0
	.set _ZN12_GLOBAL__N_120geam_min_plus_kernelIf15HIP_vector_typeIfLj2EEfLi32ELi8ELi256ELi64ELi4ELi64ELi4ELi4ELi64ELc78ELc78ELb0ELb1ELb1EPKfKS4_KPfEEviiiT16_PT17_ilSA_ilS8_SA_ilPT18_ili26rocblas_geam_ex_operation_.has_indirect_call, 0
	.section	.AMDGPU.csdata,"",@progbits
; Kernel info:
; codeLenInByte = 18672
; TotalNumSgprs: 46
; NumVgprs: 157
; NumAgprs: 0
; TotalNumVgprs: 157
; ScratchSize: 0
; MemoryBound: 0
; FloatMode: 240
; IeeeMode: 1
; LDSByteSize: 10240 bytes/workgroup (compile time only)
; SGPRBlocks: 5
; VGPRBlocks: 19
; NumSGPRsForWavesPerEU: 46
; NumVGPRsForWavesPerEU: 157
; AccumOffset: 160
; Occupancy: 3
; WaveLimiterHint : 1
; COMPUTE_PGM_RSRC2:SCRATCH_EN: 0
; COMPUTE_PGM_RSRC2:USER_SGPR: 2
; COMPUTE_PGM_RSRC2:TRAP_HANDLER: 0
; COMPUTE_PGM_RSRC2:TGID_X_EN: 1
; COMPUTE_PGM_RSRC2:TGID_Y_EN: 0
; COMPUTE_PGM_RSRC2:TGID_Z_EN: 1
; COMPUTE_PGM_RSRC2:TIDIG_COMP_CNT: 1
; COMPUTE_PGM_RSRC3_GFX90A:ACCUM_OFFSET: 39
; COMPUTE_PGM_RSRC3_GFX90A:TG_SPLIT: 0
	.section	.text._ZN12_GLOBAL__N_120geam_min_plus_kernelIf15HIP_vector_typeIfLj2EEfLi32ELi8ELi256ELi64ELi4ELi64ELi4ELi4ELi64ELc78ELc78ELb1ELb1ELb1EfKPKfKPfEEviiiT16_PT17_ilSA_ilS8_SA_ilPT18_ili26rocblas_geam_ex_operation_,"axG",@progbits,_ZN12_GLOBAL__N_120geam_min_plus_kernelIf15HIP_vector_typeIfLj2EEfLi32ELi8ELi256ELi64ELi4ELi64ELi4ELi4ELi64ELc78ELc78ELb1ELb1ELb1EfKPKfKPfEEviiiT16_PT17_ilSA_ilS8_SA_ilPT18_ili26rocblas_geam_ex_operation_,comdat
	.globl	_ZN12_GLOBAL__N_120geam_min_plus_kernelIf15HIP_vector_typeIfLj2EEfLi32ELi8ELi256ELi64ELi4ELi64ELi4ELi4ELi64ELc78ELc78ELb1ELb1ELb1EfKPKfKPfEEviiiT16_PT17_ilSA_ilS8_SA_ilPT18_ili26rocblas_geam_ex_operation_ ; -- Begin function _ZN12_GLOBAL__N_120geam_min_plus_kernelIf15HIP_vector_typeIfLj2EEfLi32ELi8ELi256ELi64ELi4ELi64ELi4ELi4ELi64ELc78ELc78ELb1ELb1ELb1EfKPKfKPfEEviiiT16_PT17_ilSA_ilS8_SA_ilPT18_ili26rocblas_geam_ex_operation_
	.p2align	8
	.type	_ZN12_GLOBAL__N_120geam_min_plus_kernelIf15HIP_vector_typeIfLj2EEfLi32ELi8ELi256ELi64ELi4ELi64ELi4ELi4ELi64ELc78ELc78ELb1ELb1ELb1EfKPKfKPfEEviiiT16_PT17_ilSA_ilS8_SA_ilPT18_ili26rocblas_geam_ex_operation_,@function
_ZN12_GLOBAL__N_120geam_min_plus_kernelIf15HIP_vector_typeIfLj2EEfLi32ELi8ELi256ELi64ELi4ELi64ELi4ELi4ELi64ELc78ELc78ELb1ELb1ELb1EfKPKfKPfEEviiiT16_PT17_ilSA_ilS8_SA_ilPT18_ili26rocblas_geam_ex_operation_: ; @_ZN12_GLOBAL__N_120geam_min_plus_kernelIf15HIP_vector_typeIfLj2EEfLi32ELi8ELi256ELi64ELi4ELi64ELi4ELi4ELi64ELc78ELc78ELb1ELb1ELb1EfKPKfKPfEEviiiT16_PT17_ilSA_ilS8_SA_ilPT18_ili26rocblas_geam_ex_operation_
; %bb.0:
	s_load_dwordx4 s[20:23], s[0:1], 0x0
	s_load_dwordx4 s[4:7], s[0:1], 0x20
	s_mov_b32 s8, s3
	s_mov_b32 s9, 0
	s_waitcnt lgkmcnt(0)
	v_cmp_eq_f32_e64 s[10:11], s23, 0
	s_and_b64 vcc, exec, s[10:11]
	s_cbranch_vccnz .LBB7_3
; %bb.1:
	s_load_dwordx2 s[12:13], s[0:1], 0x10
	s_lshl_b64 s[14:15], s[8:9], 3
	s_waitcnt lgkmcnt(0)
	s_add_u32 s12, s12, s14
	s_addc_u32 s13, s13, s15
	s_load_dwordx2 s[12:13], s[12:13], 0x0
	s_lshl_b64 s[4:5], s[4:5], 2
	s_waitcnt lgkmcnt(0)
	s_add_u32 s16, s12, s4
	s_addc_u32 s17, s13, s5
	s_andn2_b64 vcc, exec, s[10:11]
	s_cbranch_vccnz .LBB7_4
.LBB7_2:
	s_mov_b32 s11, 0
	s_mov_b32 s10, s8
	s_mov_b64 s[24:25], 0
	s_mov_b64 s[18:19], 0
	s_cbranch_execz .LBB7_5
	s_branch .LBB7_6
.LBB7_3:
	s_mov_b64 s[16:17], 0
	s_andn2_b64 vcc, exec, s[10:11]
	s_cbranch_vccz .LBB7_2
.LBB7_4:
	s_mov_b64 s[10:11], s[8:9]
	s_mov_b64 s[24:25], 0
	;; [unrolled: 1-line block ×3, first 2 shown]
.LBB7_5:
	s_lshl_b64 s[8:9], s[8:9], 3
	s_add_u32 s6, s6, s8
	s_load_dwordx2 s[4:5], s[0:1], 0x38
	s_addc_u32 s7, s7, s9
	s_load_dwordx2 s[6:7], s[6:7], 0x0
	s_waitcnt lgkmcnt(0)
	s_lshl_b64 s[4:5], s[4:5], 2
	s_add_u32 s18, s6, s4
	s_addc_u32 s19, s7, s5
.LBB7_6:
	s_load_dword s30, s[0:1], 0x40
	s_load_dwordx4 s[4:7], s[0:1], 0x58
	s_waitcnt lgkmcnt(0)
	v_cmp_eq_f32_e64 s[8:9], s30, 0
	v_cmp_neq_f32_e64 s[14:15], s30, 0
	s_and_b64 vcc, exec, s[8:9]
	s_cbranch_vccnz .LBB7_8
; %bb.7:
	s_load_dwordx2 s[8:9], s[0:1], 0x48
	s_lshl_b64 s[12:13], s[10:11], 3
	s_waitcnt lgkmcnt(0)
	s_add_u32 s8, s8, s12
	s_addc_u32 s9, s9, s13
	s_load_dwordx2 s[8:9], s[8:9], 0x0
	s_lshl_b64 s[4:5], s[4:5], 2
	s_waitcnt lgkmcnt(0)
	s_add_u32 s24, s8, s4
	s_addc_u32 s25, s9, s5
.LBB7_8:
	s_lshl_b64 s[4:5], s[10:11], 3
	s_add_u32 s28, s6, s4
	s_addc_u32 s29, s7, s5
	s_add_i32 s3, s20, -1
	s_ashr_i32 s4, s3, 31
	s_lshr_b32 s4, s4, 24
	s_add_i32 s3, s3, s4
	s_ashr_i32 s3, s3, 8
	s_add_i32 s4, s3, 1
	v_cvt_f32_u32_e32 v1, s4
	v_and_b32_e32 v74, 0x3ff, v0
	v_bfe_u32 v75, v0, 10, 10
	s_not_b32 s3, s3
	v_rcp_iflag_f32_e32 v1, v1
	s_load_dword s26, s[0:1], 0x18
	v_lshl_add_u32 v7, v75, 5, v74
	v_and_b32_e32 v2, 63, v7
	v_mul_f32_e32 v0, 0x4f7ffffe, v1
	v_cvt_u32_f32_e32 v0, v0
	v_lshrrev_b32_e32 v78, 6, v7
	v_cmp_le_i32_e64 s[8:9], s22, v78
	v_mov_b32_e32 v3, 0x7f7fffff
	v_readfirstlane_b32 s5, v0
	s_mul_i32 s3, s3, s5
	s_mul_hi_u32 s3, s5, s3
	s_add_i32 s5, s5, s3
	s_mul_hi_u32 s3, s2, s5
	s_mul_i32 s5, s3, s4
	s_sub_i32 s5, s2, s5
	s_add_i32 s6, s3, 1
	s_sub_i32 s7, s5, s4
	s_cmp_ge_u32 s5, s4
	s_cselect_b32 s3, s6, s3
	s_cselect_b32 s5, s7, s5
	s_add_i32 s6, s3, 1
	s_cmp_ge_u32 s5, s4
	s_cselect_b32 s10, s6, s3
	s_mul_i32 s3, s10, s4
	s_sub_i32 s2, s2, s3
	s_lshl_b32 s31, s2, 8
	v_or_b32_e32 v56, s31, v2
	s_waitcnt lgkmcnt(0)
	v_mad_i64_i32 v[0:1], s[2:3], s26, v78, 0
	v_cmp_le_i32_e32 vcc, s20, v56
	v_lshl_add_u64 v[0:1], v[0:1], 2, s[16:17]
	s_nor_b64 s[4:5], vcc, s[8:9]
	v_ashrrev_i32_e32 v57, 31, v56
	v_mov_b32_e32 v4, 0x7f7fffff
	s_and_saveexec_b64 s[2:3], s[4:5]
	s_cbranch_execz .LBB7_10
; %bb.9:
	v_lshl_add_u64 v[4:5], v[56:57], 2, v[0:1]
	flat_load_dword v4, v[4:5]
.LBB7_10:
	s_or_b64 exec, exec, s[2:3]
	v_or_b32_e32 v5, 64, v56
	v_cmp_le_i32_e64 s[2:3], s20, v5
	s_nor_b64 s[6:7], s[2:3], s[8:9]
	s_and_saveexec_b64 s[4:5], s[6:7]
	s_cbranch_execz .LBB7_12
; %bb.11:
	v_lshl_add_u64 v[8:9], v[56:57], 2, v[0:1]
	flat_load_dword v3, v[8:9] offset:256
.LBB7_12:
	s_or_b64 exec, exec, s[4:5]
	v_or_b32_e32 v5, 0x80, v56
	v_cmp_le_i32_e64 s[4:5], s20, v5
	s_ashr_i32 s27, s26, 31
	s_nor_b64 s[12:13], s[4:5], s[8:9]
	v_mov_b32_e32 v5, 0x7f7fffff
	v_mov_b32_e32 v6, 0x7f7fffff
	s_and_saveexec_b64 s[6:7], s[12:13]
	s_cbranch_execz .LBB7_14
; %bb.13:
	v_lshl_add_u64 v[8:9], v[56:57], 2, v[0:1]
	flat_load_dword v6, v[8:9] offset:512
.LBB7_14:
	s_or_b64 exec, exec, s[6:7]
	v_or_b32_e32 v8, 0xc0, v56
	v_cmp_le_i32_e64 s[6:7], s20, v8
	s_nor_b64 s[12:13], s[6:7], s[8:9]
	s_and_saveexec_b64 s[8:9], s[12:13]
	s_cbranch_execz .LBB7_16
; %bb.15:
	v_lshl_add_u64 v[0:1], v[56:57], 2, v[0:1]
	flat_load_dword v5, v[0:1] offset:768
.LBB7_16:
	s_or_b64 exec, exec, s[8:9]
	s_load_dword s34, s[0:1], 0x30
	v_lshrrev_b32_e32 v7, 2, v7
	s_lshl_b32 s33, s10, 6
	v_and_b32_e32 v79, 3, v74
	v_add_u32_e32 v60, s33, v7
	v_cmp_gt_i32_e64 s[10:11], s22, v79
	v_cmp_gt_i32_e64 s[12:13], s21, v60
	v_cmp_le_i32_e64 s[8:9], s21, v60
	s_and_b64 s[12:13], s[10:11], s[12:13]
	v_mov_b32_e32 v61, 0x7f7fffff
	v_lshlrev_b32_e32 v58, 2, v79
	v_mov_b32_e32 v8, 0x7f7fffff
	s_and_saveexec_b64 s[10:11], s[12:13]
	s_cbranch_execz .LBB7_18
; %bb.17:
	s_waitcnt lgkmcnt(0)
	v_mad_i64_i32 v[0:1], s[12:13], v60, s34, 0
	v_lshl_add_u64 v[0:1], v[0:1], 2, s[18:19]
	v_mov_b32_e32 v59, 0
	v_lshl_add_u64 v[0:1], v[0:1], 0, v[58:59]
	flat_load_dword v8, v[0:1]
.LBB7_18:
	s_or_b64 exec, exec, s[10:11]
	v_add_u32_e32 v0, 4, v78
	v_cmp_le_i32_e64 s[10:11], s22, v0
	v_mad_i64_i32 v[0:1], s[12:13], s26, v0, 0
	v_lshl_add_u64 v[0:1], v[0:1], 2, s[16:17]
	s_nor_b64 s[36:37], vcc, s[10:11]
	s_and_saveexec_b64 s[12:13], s[36:37]
	s_cbranch_execz .LBB7_20
; %bb.19:
	v_lshl_add_u64 v[10:11], v[56:57], 2, v[0:1]
	flat_load_dword v61, v[10:11]
.LBB7_20:
	s_or_b64 exec, exec, s[12:13]
	s_nor_b64 s[36:37], s[2:3], s[10:11]
	v_mov_b32_e32 v62, 0x7f7fffff
	v_mov_b32_e32 v63, 0x7f7fffff
	s_and_saveexec_b64 s[12:13], s[36:37]
	s_cbranch_execz .LBB7_22
; %bb.21:
	v_lshl_add_u64 v[10:11], v[56:57], 2, v[0:1]
	flat_load_dword v63, v[10:11] offset:256
.LBB7_22:
	s_or_b64 exec, exec, s[12:13]
	s_nor_b64 s[36:37], s[4:5], s[10:11]
	s_and_saveexec_b64 s[12:13], s[36:37]
	s_cbranch_execz .LBB7_24
; %bb.23:
	v_lshl_add_u64 v[10:11], v[56:57], 2, v[0:1]
	flat_load_dword v62, v[10:11] offset:512
.LBB7_24:
	s_or_b64 exec, exec, s[12:13]
	s_nor_b64 s[12:13], s[6:7], s[10:11]
	v_mov_b32_e32 v59, 0x7f7fffff
	v_mov_b32_e32 v64, 0x7f7fffff
	s_and_saveexec_b64 s[10:11], s[12:13]
	s_cbranch_execz .LBB7_26
; %bb.25:
	v_lshl_add_u64 v[0:1], v[56:57], 2, v[0:1]
	flat_load_dword v64, v[0:1] offset:768
.LBB7_26:
	s_or_b64 exec, exec, s[10:11]
	v_or_b32_e32 v0, 4, v79
	v_cmp_gt_i32_e64 s[10:11], s22, v0
	s_xor_b64 s[12:13], s[8:9], -1
	s_and_b64 s[10:11], s[10:11], s[12:13]
	s_and_saveexec_b64 s[8:9], s[10:11]
	s_cbranch_execz .LBB7_28
; %bb.27:
	s_waitcnt lgkmcnt(0)
	v_mad_i64_i32 v[0:1], s[10:11], v60, s34, 0
	v_lshl_add_u64 v[0:1], v[0:1], 2, s[18:19]
	v_mov_b32_e32 v59, 0
	v_lshl_add_u64 v[0:1], v[0:1], 0, v[58:59]
	flat_load_dword v59, v[0:1] offset:16
.LBB7_28:
	s_or_b64 exec, exec, s[8:9]
	v_lshlrev_b32_e32 v0, 4, v2
	v_lshl_add_u32 v80, v78, 2, v0
	v_lshl_or_b32 v65, v7, 4, v58
	v_lshlrev_b32_e32 v77, 4, v74
	s_load_dwordx2 s[10:11], s[28:29], 0x0
	s_waitcnt vmcnt(0) lgkmcnt(0)
	ds_write2st64_b32 v80, v4, v3 offset1:4
	ds_write2st64_b32 v80, v6, v5 offset0:8 offset1:12
	ds_write_b32 v65, v8 offset:8192
	s_waitcnt lgkmcnt(0)
	s_barrier
	v_lshlrev_b32_e32 v76, 4, v75
	ds_read_b128 v[28:31], v77
	ds_read_b128 v[24:27], v77 offset:512
	ds_read_b128 v[20:23], v77 offset:1024
	;; [unrolled: 1-line block ×13, first 2 shown]
	s_waitcnt lgkmcnt(5)
	v_pk_add_f32 v[66:67], v[28:29], v[52:53]
	s_mov_b32 s8, 0x7f7fffff
	v_min3_f32 v68, v66, v67, s8
	v_pk_add_f32 v[66:67], v[24:25], v[52:53]
	s_cmp_lt_i32 s22, 9
	v_min3_f32 v69, v66, v67, s8
	v_pk_add_f32 v[66:67], v[20:21], v[52:53]
	s_nop 0
	v_min3_f32 v70, v66, v67, s8
	v_pk_add_f32 v[66:67], v[16:17], v[52:53]
	s_nop 0
	v_min3_f32 v71, v66, v67, s8
	v_pk_add_f32 v[66:67], v[12:13], v[52:53]
	s_nop 0
	v_min3_f32 v72, v66, v67, s8
	v_pk_add_f32 v[66:67], v[8:9], v[52:53]
	s_nop 0
	v_min3_f32 v73, v66, v67, s8
	v_pk_add_f32 v[66:67], v[4:5], v[52:53]
	v_pk_add_f32 v[52:53], v[0:1], v[52:53]
	v_min3_f32 v66, v66, v67, s8
	v_min3_f32 v67, v52, v53, s8
	s_waitcnt lgkmcnt(4)
	v_pk_add_f32 v[52:53], v[28:29], v[48:49]
	s_nop 0
	v_min3_f32 v81, v52, v53, s8
	v_pk_add_f32 v[52:53], v[24:25], v[48:49]
	s_nop 0
	v_min3_f32 v82, v52, v53, s8
	v_pk_add_f32 v[52:53], v[20:21], v[48:49]
	s_nop 0
	v_min3_f32 v83, v52, v53, s8
	v_pk_add_f32 v[52:53], v[16:17], v[48:49]
	s_nop 0
	v_min3_f32 v84, v52, v53, s8
	v_pk_add_f32 v[52:53], v[12:13], v[48:49]
	s_nop 0
	v_min3_f32 v85, v52, v53, s8
	v_pk_add_f32 v[52:53], v[8:9], v[48:49]
	s_nop 0
	v_min3_f32 v86, v52, v53, s8
	v_pk_add_f32 v[52:53], v[4:5], v[48:49]
	v_pk_add_f32 v[48:49], v[0:1], v[48:49]
	v_min3_f32 v52, v52, v53, s8
	v_min3_f32 v87, v48, v49, s8
	s_waitcnt lgkmcnt(3)
	v_pk_add_f32 v[48:49], v[28:29], v[44:45]
	s_nop 0
	v_min3_f32 v88, v48, v49, s8
	v_pk_add_f32 v[48:49], v[24:25], v[44:45]
	s_nop 0
	v_min3_f32 v89, v48, v49, s8
	v_pk_add_f32 v[48:49], v[20:21], v[44:45]
	s_nop 0
	v_min3_f32 v90, v48, v49, s8
	v_pk_add_f32 v[48:49], v[16:17], v[44:45]
	s_nop 0
	v_min3_f32 v91, v48, v49, s8
	v_pk_add_f32 v[48:49], v[12:13], v[44:45]
	s_nop 0
	v_min3_f32 v92, v48, v49, s8
	v_pk_add_f32 v[48:49], v[8:9], v[44:45]
	s_nop 0
	v_min3_f32 v93, v48, v49, s8
	v_pk_add_f32 v[48:49], v[4:5], v[44:45]
	v_pk_add_f32 v[44:45], v[0:1], v[44:45]
	v_min3_f32 v94, v48, v49, s8
	v_min3_f32 v95, v44, v45, s8
	s_waitcnt lgkmcnt(2)
	v_pk_add_f32 v[44:45], v[28:29], v[40:41]
	s_nop 0
	v_min3_f32 v96, v44, v45, s8
	v_pk_add_f32 v[44:45], v[24:25], v[40:41]
	s_nop 0
	v_min3_f32 v97, v44, v45, s8
	v_pk_add_f32 v[44:45], v[20:21], v[40:41]
	s_nop 0
	v_min3_f32 v98, v44, v45, s8
	v_pk_add_f32 v[44:45], v[16:17], v[40:41]
	s_nop 0
	v_min3_f32 v99, v44, v45, s8
	v_pk_add_f32 v[44:45], v[12:13], v[40:41]
	s_nop 0
	v_min3_f32 v100, v44, v45, s8
	v_pk_add_f32 v[44:45], v[8:9], v[40:41]
	s_nop 0
	v_min3_f32 v101, v44, v45, s8
	v_pk_add_f32 v[44:45], v[4:5], v[40:41]
	v_pk_add_f32 v[40:41], v[0:1], v[40:41]
	v_min3_f32 v44, v44, v45, s8
	v_min3_f32 v45, v40, v41, s8
	s_waitcnt lgkmcnt(1)
	v_pk_add_f32 v[40:41], v[28:29], v[36:37]
	s_nop 0
	v_min3_f32 v102, v40, v41, s8
	v_pk_add_f32 v[40:41], v[24:25], v[36:37]
	s_nop 0
	v_min3_f32 v103, v40, v41, s8
	v_pk_add_f32 v[40:41], v[20:21], v[36:37]
	s_nop 0
	v_min3_f32 v104, v40, v41, s8
	v_pk_add_f32 v[40:41], v[16:17], v[36:37]
	s_nop 0
	v_min3_f32 v105, v40, v41, s8
	v_pk_add_f32 v[40:41], v[12:13], v[36:37]
	s_nop 0
	v_min3_f32 v106, v40, v41, s8
	v_pk_add_f32 v[40:41], v[8:9], v[36:37]
	s_nop 0
	v_min3_f32 v107, v40, v41, s8
	v_pk_add_f32 v[40:41], v[4:5], v[36:37]
	v_pk_add_f32 v[36:37], v[0:1], v[36:37]
	v_min3_f32 v40, v40, v41, s8
	v_min3_f32 v41, v36, v37, s8
	s_waitcnt lgkmcnt(0)
	v_pk_add_f32 v[36:37], v[28:29], v[32:33]
	s_nop 0
	v_min3_f32 v123, v36, v37, s8
	v_pk_add_f32 v[36:37], v[24:25], v[32:33]
	s_nop 0
	v_min3_f32 v149, v36, v37, s8
	v_pk_add_f32 v[36:37], v[20:21], v[32:33]
	s_nop 0
	v_min3_f32 v150, v36, v37, s8
	v_pk_add_f32 v[36:37], v[16:17], v[32:33]
	s_nop 0
	v_min3_f32 v151, v36, v37, s8
	v_pk_add_f32 v[36:37], v[12:13], v[32:33]
	s_nop 0
	v_min3_f32 v152, v36, v37, s8
	v_pk_add_f32 v[36:37], v[30:31], v[54:55]
	s_nop 0
	v_min3_f32 v148, v36, v37, v68
	v_pk_add_f32 v[36:37], v[26:27], v[54:55]
	s_nop 0
	v_min3_f32 v147, v36, v37, v69
	v_pk_add_f32 v[36:37], v[22:23], v[54:55]
	s_nop 0
	v_min3_f32 v146, v36, v37, v70
	v_pk_add_f32 v[36:37], v[18:19], v[54:55]
	s_nop 0
	v_min3_f32 v145, v36, v37, v71
	v_pk_add_f32 v[36:37], v[14:15], v[54:55]
	s_nop 0
	v_min3_f32 v144, v36, v37, v72
	v_pk_add_f32 v[36:37], v[10:11], v[54:55]
	s_nop 0
	v_min3_f32 v143, v36, v37, v73
	v_pk_add_f32 v[36:37], v[6:7], v[54:55]
	s_nop 0
	v_min3_f32 v142, v36, v37, v66
	v_pk_add_f32 v[36:37], v[8:9], v[32:33]
	s_nop 0
	v_min3_f32 v66, v36, v37, s8
	v_pk_add_f32 v[36:37], v[4:5], v[32:33]
	v_pk_add_f32 v[32:33], v[0:1], v[32:33]
	v_min3_f32 v68, v36, v37, s8
	v_pk_add_f32 v[36:37], v[2:3], v[54:55]
	s_nop 0
	v_min3_f32 v141, v36, v37, v67
	v_pk_add_f32 v[36:37], v[30:31], v[50:51]
	v_min3_f32 v67, v32, v33, s8
	v_min3_f32 v140, v36, v37, v81
	v_pk_add_f32 v[36:37], v[26:27], v[50:51]
	s_nop 0
	v_min3_f32 v139, v36, v37, v82
	v_pk_add_f32 v[36:37], v[22:23], v[50:51]
	s_nop 0
	;; [unrolled: 3-line block ×6, first 2 shown]
	v_min3_f32 v131, v36, v37, v52
	ds_read_b128 v[52:55], v76 offset:8960
	v_pk_add_f32 v[36:37], v[2:3], v[50:51]
	ds_read_b128 v[48:51], v76 offset:9088
	v_min3_f32 v136, v36, v37, v87
	ds_write2st64_b32 v80, v61, v63 offset0:16 offset1:20
	ds_write2st64_b32 v80, v62, v64 offset0:24 offset1:28
	ds_write_b32 v65, v59 offset:9216
	s_waitcnt lgkmcnt(4)
	v_pk_add_f32 v[32:33], v[28:29], v[52:53]
	v_pk_add_f32 v[36:37], v[16:17], v[52:53]
	v_min3_f32 v69, v32, v33, s8
	v_pk_add_f32 v[32:33], v[30:31], v[46:47]
	s_waitcnt lgkmcnt(3)
	v_pk_add_f32 v[16:17], v[16:17], v[48:49]
	v_min3_f32 v134, v32, v33, v88
	v_pk_add_f32 v[32:33], v[26:27], v[46:47]
	v_min3_f32 v16, v16, v17, s8
	v_min3_f32 v132, v32, v33, v89
	v_pk_add_f32 v[32:33], v[22:23], v[46:47]
	v_pk_add_f32 v[28:29], v[28:29], v[48:49]
	v_min3_f32 v130, v32, v33, v90
	v_pk_add_f32 v[32:33], v[18:19], v[46:47]
	s_waitcnt lgkmcnt(0)
	v_min3_f32 v129, v32, v33, v91
	v_pk_add_f32 v[32:33], v[14:15], v[46:47]
	s_barrier
	v_min3_f32 v128, v32, v33, v92
	v_pk_add_f32 v[32:33], v[10:11], v[46:47]
	s_nop 0
	v_min3_f32 v127, v32, v33, v93
	v_pk_add_f32 v[32:33], v[6:7], v[46:47]
	s_nop 0
	v_min3_f32 v126, v32, v33, v94
	v_pk_add_f32 v[32:33], v[24:25], v[52:53]
	v_pk_add_f32 v[24:25], v[24:25], v[48:49]
	v_min3_f32 v70, v32, v33, s8
	v_pk_add_f32 v[32:33], v[20:21], v[52:53]
	v_min3_f32 v24, v24, v25, s8
	v_min3_f32 v71, v32, v33, s8
	v_pk_add_f32 v[32:33], v[2:3], v[46:47]
	v_min3_f32 v46, v36, v37, s8
	v_min3_f32 v125, v32, v33, v95
	v_pk_add_f32 v[32:33], v[30:31], v[42:43]
	v_pk_add_f32 v[36:37], v[12:13], v[52:53]
	v_min3_f32 v124, v32, v33, v96
	v_pk_add_f32 v[32:33], v[26:27], v[42:43]
	v_pk_add_f32 v[12:13], v[12:13], v[48:49]
	v_min3_f32 v122, v32, v33, v97
	v_pk_add_f32 v[32:33], v[22:23], v[42:43]
	v_min3_f32 v17, v12, v13, s8
	v_min3_f32 v121, v32, v33, v98
	v_pk_add_f32 v[32:33], v[18:19], v[42:43]
	v_pk_add_f32 v[12:13], v[30:31], v[54:55]
	v_min3_f32 v120, v32, v33, v99
	v_pk_add_f32 v[32:33], v[14:15], v[42:43]
	v_min3_f32 v99, v12, v13, v69
	;; [unrolled: 6-line block ×5, first 2 shown]
	v_min3_f32 v115, v32, v33, v102
	v_pk_add_f32 v[32:33], v[26:27], v[38:39]
	v_min3_f32 v96, v12, v13, v46
	v_pk_add_f32 v[12:13], v[14:15], v[54:55]
	;; [unrolled: 2-line block ×5, first 2 shown]
	v_pk_add_f32 v[36:37], v[0:1], v[52:53]
	v_min3_f32 v94, v12, v13, v44
	v_pk_add_f32 v[12:13], v[6:7], v[54:55]
	v_pk_add_f32 v[0:1], v[0:1], v[48:49]
	v_min3_f32 v112, v32, v33, v105
	v_pk_add_f32 v[32:33], v[14:15], v[38:39]
	v_min3_f32 v36, v36, v37, s8
	v_min3_f32 v37, v28, v29, s8
	;; [unrolled: 1-line block ×4, first 2 shown]
	v_pk_add_f32 v[0:1], v[30:31], v[50:51]
	v_min3_f32 v111, v32, v33, v106
	v_pk_add_f32 v[32:33], v[10:11], v[38:39]
	v_pk_add_f32 v[28:29], v[30:31], v[34:35]
	;; [unrolled: 1-line block ×3, first 2 shown]
	v_min3_f32 v91, v0, v1, v37
	v_pk_add_f32 v[0:1], v[26:27], v[50:51]
	v_min3_f32 v110, v32, v33, v107
	v_min3_f32 v107, v28, v29, v123
	v_pk_add_f32 v[28:29], v[26:27], v[34:35]
	v_min3_f32 v25, v20, v21, s8
	;; [unrolled: 3-line block ×3, first 2 shown]
	v_pk_add_f32 v[28:29], v[22:23], v[34:35]
	v_min3_f32 v89, v0, v1, v25
	v_pk_add_f32 v[0:1], v[18:19], v[50:51]
	v_min3_f32 v105, v28, v29, v150
	v_pk_add_f32 v[28:29], v[18:19], v[34:35]
	v_pk_add_f32 v[8:9], v[8:9], v[48:49]
	v_min3_f32 v87, v0, v1, v16
	v_pk_add_f32 v[0:1], v[14:15], v[50:51]
	v_min3_f32 v104, v28, v29, v151
	;; [unrolled: 2-line block ×4, first 2 shown]
	v_pk_add_f32 v[0:1], v[10:11], v[50:51]
	v_pk_add_f32 v[32:33], v[6:7], v[38:39]
	v_min3_f32 v103, v28, v29, v152
	v_pk_add_f32 v[28:29], v[10:11], v[34:35]
	v_min3_f32 v9, v4, v5, s8
	v_min3_f32 v85, v0, v1, v8
	v_pk_add_f32 v[0:1], v[6:7], v[50:51]
	v_min3_f32 v109, v32, v33, v40
	v_pk_add_f32 v[32:33], v[2:3], v[38:39]
	v_min3_f32 v102, v28, v29, v66
	v_pk_add_f32 v[28:29], v[6:7], v[34:35]
	v_pk_add_f32 v[20:21], v[2:3], v[34:35]
	v_pk_add_f32 v[4:5], v[2:3], v[54:55]
	v_min3_f32 v84, v0, v1, v9
	v_pk_add_f32 v[0:1], v[2:3], v[50:51]
	v_min3_f32 v108, v32, v33, v41
	v_min3_f32 v101, v28, v29, v68
	;; [unrolled: 1-line block ×5, first 2 shown]
	s_cbranch_scc1 .LBB7_51
; %bb.29:
	v_mov_b32_e32 v0, 0x1000
	v_lshl_add_u32 v149, v74, 4, v0
	v_mov_b32_e32 v0, 0x2400
	v_lshl_add_u32 v150, v75, 4, v0
	v_mad_i64_i32 v[0:1], s[8:9], s34, v60, 0
	v_mov_b32_e32 v59, 0
	v_lshl_add_u64 v[0:1], v[0:1], 2, v[58:59]
	v_lshl_add_u64 v[0:1], s[18:19], 0, v[0:1]
	v_add_u32_e32 v81, 0x2000, v65
	v_add_u32_e32 v123, 0x2400, v65
	v_lshl_add_u64 v[64:65], v[0:1], 0, 48
	v_add_u32_e32 v0, 8, v78
	v_mad_i64_i32 v[0:1], s[8:9], v0, s26, 0
	v_lshlrev_b64 v[66:67], 2, v[0:1]
	v_add_u32_e32 v0, 12, v78
	v_mad_i64_i32 v[0:1], s[8:9], v0, s26, 0
	v_add_u32_e32 v82, 0x2000, v76
	v_add_u32_e32 v83, 0x1000, v80
	s_add_i32 s23, s22, -8
	v_lshl_add_u64 v[68:69], v[56:57], 2, s[16:17]
	s_lshl_b64 s[16:17], s[26:27], 5
	v_lshlrev_b64 v[70:71], 2, v[0:1]
	s_mov_b32 s26, 0
	s_branch .LBB7_31
.LBB7_30:                               ;   in Loop: Header=BB7_31 Depth=1
	s_or_b64 exec, exec, s[8:9]
	v_pk_add_f32 v[72:73], v[28:29], v[60:61]
	s_add_i32 s26, s26, 8
	v_min3_f32 v148, v72, v73, v148
	v_pk_add_f32 v[72:73], v[24:25], v[60:61]
	v_lshl_add_u64 v[64:65], v[64:65], 0, 32
	v_min3_f32 v147, v72, v73, v147
	v_pk_add_f32 v[72:73], v[20:21], v[60:61]
	s_cmp_ge_i32 s26, s23
	v_min3_f32 v146, v72, v73, v146
	v_pk_add_f32 v[72:73], v[16:17], v[60:61]
	v_lshl_add_u64 v[68:69], v[68:69], 0, s[16:17]
	v_min3_f32 v145, v72, v73, v145
	v_pk_add_f32 v[72:73], v[12:13], v[60:61]
	s_nop 0
	v_min3_f32 v144, v72, v73, v144
	v_pk_add_f32 v[72:73], v[8:9], v[60:61]
	s_nop 0
	v_min3_f32 v143, v72, v73, v143
	v_pk_add_f32 v[72:73], v[4:5], v[60:61]
	v_pk_add_f32 v[60:61], v[0:1], v[60:61]
	v_min3_f32 v72, v72, v73, v142
	v_min3_f32 v73, v60, v61, v141
	v_pk_add_f32 v[60:61], v[28:29], v[56:57]
	s_nop 0
	v_min3_f32 v140, v60, v61, v140
	v_pk_add_f32 v[60:61], v[24:25], v[56:57]
	s_nop 0
	v_min3_f32 v139, v60, v61, v139
	v_pk_add_f32 v[60:61], v[20:21], v[56:57]
	s_nop 0
	v_min3_f32 v138, v60, v61, v138
	v_pk_add_f32 v[60:61], v[16:17], v[56:57]
	s_nop 0
	v_min3_f32 v137, v60, v61, v137
	v_pk_add_f32 v[60:61], v[12:13], v[56:57]
	s_nop 0
	v_min3_f32 v135, v60, v61, v135
	v_pk_add_f32 v[60:61], v[8:9], v[56:57]
	s_nop 0
	v_min3_f32 v133, v60, v61, v133
	v_pk_add_f32 v[60:61], v[4:5], v[56:57]
	v_pk_add_f32 v[56:57], v[0:1], v[56:57]
	v_min3_f32 v60, v60, v61, v131
	v_min3_f32 v61, v56, v57, v136
	v_pk_add_f32 v[56:57], v[28:29], v[52:53]
	s_nop 0
	v_min3_f32 v131, v56, v57, v134
	v_pk_add_f32 v[56:57], v[24:25], v[52:53]
	s_nop 0
	v_min3_f32 v132, v56, v57, v132
	v_pk_add_f32 v[56:57], v[20:21], v[52:53]
	s_nop 0
	v_min3_f32 v130, v56, v57, v130
	v_pk_add_f32 v[56:57], v[16:17], v[52:53]
	s_nop 0
	;; [unrolled: 22-line block ×5, first 2 shown]
	v_min3_f32 v104, v44, v45, v104
	v_pk_add_f32 v[44:45], v[12:13], v[40:41]
	s_nop 0
	v_min3_f32 v103, v44, v45, v103
	v_pk_add_f32 v[44:45], v[8:9], v[40:41]
	s_nop 0
	v_min3_f32 v102, v44, v45, v102
	v_pk_add_f32 v[44:45], v[4:5], v[40:41]
	v_pk_add_f32 v[40:41], v[0:1], v[40:41]
	v_min3_f32 v44, v44, v45, v101
	v_min3_f32 v45, v40, v41, v100
	v_pk_add_f32 v[40:41], v[28:29], v[36:37]
	v_pk_add_f32 v[28:29], v[28:29], v[32:33]
	v_min3_f32 v99, v40, v41, v99
	v_pk_add_f32 v[40:41], v[24:25], v[36:37]
	v_pk_add_f32 v[24:25], v[24:25], v[32:33]
	;; [unrolled: 3-line block ×7, first 2 shown]
	v_pk_add_f32 v[4:5], v[4:5], v[32:33]
	v_pk_add_f32 v[0:1], v[0:1], v[32:33]
	v_min3_f32 v4, v4, v5, v84
	v_min3_f32 v5, v0, v1, v88
	v_pk_add_f32 v[0:1], v[30:31], v[62:63]
	v_min3_f32 v8, v8, v9, v85
	v_min3_f32 v84, v0, v1, v148
	v_pk_add_f32 v[0:1], v[26:27], v[62:63]
	v_min3_f32 v12, v12, v13, v86
	v_min3_f32 v85, v0, v1, v147
	v_pk_add_f32 v[0:1], v[22:23], v[62:63]
	v_min3_f32 v16, v16, v17, v87
	v_min3_f32 v86, v0, v1, v146
	v_pk_add_f32 v[0:1], v[18:19], v[62:63]
	v_min3_f32 v20, v20, v21, v89
	v_min3_f32 v87, v0, v1, v145
	v_pk_add_f32 v[0:1], v[14:15], v[62:63]
	v_min3_f32 v24, v24, v25, v90
	v_min3_f32 v88, v0, v1, v144
	v_pk_add_f32 v[0:1], v[10:11], v[62:63]
	v_min3_f32 v28, v28, v29, v91
	v_min3_f32 v89, v0, v1, v143
	v_pk_add_f32 v[0:1], v[6:7], v[62:63]
	v_min3_f32 v36, v36, v37, v92
	v_min3_f32 v90, v0, v1, v72
	v_pk_add_f32 v[0:1], v[2:3], v[62:63]
	v_min3_f32 v40, v40, v41, v93
	v_min3_f32 v91, v0, v1, v73
	v_pk_add_f32 v[0:1], v[30:31], v[58:59]
	s_nop 0
	v_min3_f32 v92, v0, v1, v140
	v_pk_add_f32 v[0:1], v[26:27], v[58:59]
	s_nop 0
	v_min3_f32 v93, v0, v1, v139
	;; [unrolled: 3-line block ×56, first 2 shown]
	ds_read_b128 v[0:3], v77
	ds_read_b128 v[4:7], v77 offset:512
	ds_read_b128 v[8:11], v77 offset:1024
	;; [unrolled: 1-line block ×7, first 2 shown]
	ds_read_b128 v[36:39], v82
	ds_read_b128 v[40:43], v82 offset:128
	ds_read_b128 v[44:47], v82 offset:256
	;; [unrolled: 1-line block ×7, first 2 shown]
	s_waitcnt lgkmcnt(0)
	v_pk_add_f32 v[72:73], v[0:1], v[36:37]
	s_waitcnt vmcnt(0)
	ds_write2st64_b32 v83, v151, v153 offset1:4
	ds_write2st64_b32 v83, v152, v155 offset0:8 offset1:12
	ds_write_b32 v123, v154
	v_min3_f32 v84, v72, v73, v84
	v_pk_add_f32 v[72:73], v[4:5], v[36:37]
	s_waitcnt lgkmcnt(0)
	v_min3_f32 v85, v72, v73, v85
	v_pk_add_f32 v[72:73], v[8:9], v[36:37]
	s_barrier
	v_min3_f32 v86, v72, v73, v86
	v_pk_add_f32 v[72:73], v[12:13], v[36:37]
	s_nop 0
	v_min3_f32 v87, v72, v73, v87
	v_pk_add_f32 v[72:73], v[16:17], v[36:37]
	s_nop 0
	;; [unrolled: 3-line block ×3, first 2 shown]
	v_min3_f32 v89, v72, v73, v89
	v_pk_add_f32 v[72:73], v[24:25], v[36:37]
	v_pk_add_f32 v[36:37], v[28:29], v[36:37]
	v_min3_f32 v72, v72, v73, v90
	v_min3_f32 v73, v36, v37, v91
	v_pk_add_f32 v[36:37], v[0:1], v[40:41]
	s_nop 0
	v_min3_f32 v90, v36, v37, v92
	v_pk_add_f32 v[36:37], v[4:5], v[40:41]
	s_nop 0
	;; [unrolled: 3-line block ×40, first 2 shown]
	v_min3_f32 v56, v36, v37, v138
	v_pk_add_f32 v[36:37], v[0:1], v[60:61]
	v_pk_add_f32 v[0:1], v[0:1], v[32:33]
	v_min3_f32 v57, v36, v37, v99
	v_pk_add_f32 v[36:37], v[4:5], v[60:61]
	s_nop 0
	v_min3_f32 v98, v36, v37, v98
	v_pk_add_f32 v[36:37], v[8:9], v[60:61]
	s_nop 0
	v_min3_f32 v97, v36, v37, v97
	v_pk_add_f32 v[36:37], v[12:13], v[60:61]
	s_nop 0
	v_min3_f32 v96, v36, v37, v96
	v_pk_add_f32 v[36:37], v[16:17], v[60:61]
	s_nop 0
	v_min3_f32 v95, v36, v37, v95
	v_pk_add_f32 v[36:37], v[20:21], v[60:61]
	s_nop 0
	v_min3_f32 v94, v36, v37, v94
	v_pk_add_f32 v[36:37], v[24:25], v[60:61]
	s_nop 0
	v_min3_f32 v160, v36, v37, v139
	v_pk_add_f32 v[36:37], v[28:29], v[60:61]
	s_nop 0
	v_min3_f32 v36, v36, v37, v140
	v_min3_f32 v37, v0, v1, v141
	v_pk_add_f32 v[0:1], v[4:5], v[32:33]
	s_nop 0
	v_min3_f32 v4, v0, v1, v142
	v_pk_add_f32 v[0:1], v[8:9], v[32:33]
	s_nop 0
	;; [unrolled: 3-line block ×71, first 2 shown]
	v_min3_f32 v88, v0, v1, v16
	s_cbranch_scc1 .LBB7_51
.LBB7_31:                               ; =>This Inner Loop Header: Depth=1
	v_add_u32_e32 v72, s26, v78
	v_add_u32_e32 v0, 8, v72
	v_cmp_le_i32_e64 s[8:9], s22, v0
	s_nor_b64 s[28:29], vcc, s[8:9]
	v_mov_b32_e32 v73, 0x7f7fffff
	v_lshl_add_u64 v[0:1], v[68:69], 0, v[66:67]
	v_mov_b32_e32 v152, 0x7f7fffff
	s_and_saveexec_b64 s[18:19], s[28:29]
	s_cbranch_execz .LBB7_33
; %bb.32:                               ;   in Loop: Header=BB7_31 Depth=1
	flat_load_dword v152, v[0:1]
.LBB7_33:                               ;   in Loop: Header=BB7_31 Depth=1
	s_or_b64 exec, exec, s[18:19]
	s_nor_b64 s[28:29], s[2:3], s[8:9]
	s_and_saveexec_b64 s[18:19], s[28:29]
	s_cbranch_execz .LBB7_35
; %bb.34:                               ;   in Loop: Header=BB7_31 Depth=1
	flat_load_dword v73, v[0:1] offset:256
.LBB7_35:                               ;   in Loop: Header=BB7_31 Depth=1
	s_or_b64 exec, exec, s[18:19]
	s_nor_b64 s[28:29], s[4:5], s[8:9]
	v_mov_b32_e32 v153, 0x7f7fffff
	v_mov_b32_e32 v154, 0x7f7fffff
	s_and_saveexec_b64 s[18:19], s[28:29]
	s_cbranch_execz .LBB7_37
; %bb.36:                               ;   in Loop: Header=BB7_31 Depth=1
	flat_load_dword v154, v[0:1] offset:512
.LBB7_37:                               ;   in Loop: Header=BB7_31 Depth=1
	s_or_b64 exec, exec, s[18:19]
	s_nor_b64 s[18:19], s[6:7], s[8:9]
	s_and_saveexec_b64 s[8:9], s[18:19]
	s_cbranch_execz .LBB7_39
; %bb.38:                               ;   in Loop: Header=BB7_31 Depth=1
	flat_load_dword v153, v[0:1] offset:768
.LBB7_39:                               ;   in Loop: Header=BB7_31 Depth=1
	s_or_b64 exec, exec, s[8:9]
	v_add_u32_e32 v156, s26, v79
	v_add_u32_e32 v0, 8, v156
	v_cmp_gt_i32_e64 s[8:9], s22, v0
	s_and_b64 s[8:9], s[8:9], s[12:13]
	v_mov_b32_e32 v151, 0x7f7fffff
	v_mov_b32_e32 v155, 0x7f7fffff
	s_and_saveexec_b64 s[18:19], s[8:9]
	s_cbranch_execz .LBB7_41
; %bb.40:                               ;   in Loop: Header=BB7_31 Depth=1
	v_add_co_u32_e64 v0, s[8:9], -16, v64
	s_nop 1
	v_addc_co_u32_e64 v1, s[8:9], -1, v65, s[8:9]
	flat_load_dword v155, v[0:1]
.LBB7_41:                               ;   in Loop: Header=BB7_31 Depth=1
	s_or_b64 exec, exec, s[18:19]
	ds_read_b128 v[28:31], v149
	ds_read_b128 v[24:27], v149 offset:512
	ds_read_b128 v[20:23], v149 offset:1024
	;; [unrolled: 1-line block ×7, first 2 shown]
	ds_read_b128 v[60:63], v150
	ds_read_b128 v[56:59], v150 offset:128
	ds_read_b128 v[52:55], v150 offset:256
	;; [unrolled: 1-line block ×7, first 2 shown]
	v_add_u32_e32 v72, 12, v72
	v_cmp_le_i32_e64 s[8:9], s22, v72
	s_waitcnt vmcnt(0) lgkmcnt(0)
	ds_write2st64_b32 v80, v152, v73 offset1:4
	ds_write2st64_b32 v80, v154, v153 offset0:8 offset1:12
	ds_write_b32 v81, v155
	s_nor_b64 s[28:29], vcc, s[8:9]
	v_lshl_add_u64 v[72:73], v[68:69], 0, v[70:71]
	s_waitcnt lgkmcnt(0)
	s_barrier
	s_and_saveexec_b64 s[18:19], s[28:29]
	s_cbranch_execz .LBB7_43
; %bb.42:                               ;   in Loop: Header=BB7_31 Depth=1
	flat_load_dword v151, v[72:73]
.LBB7_43:                               ;   in Loop: Header=BB7_31 Depth=1
	s_or_b64 exec, exec, s[18:19]
	s_nor_b64 s[28:29], s[2:3], s[8:9]
	v_mov_b32_e32 v152, 0x7f7fffff
	v_mov_b32_e32 v153, 0x7f7fffff
	s_and_saveexec_b64 s[18:19], s[28:29]
	s_cbranch_execz .LBB7_45
; %bb.44:                               ;   in Loop: Header=BB7_31 Depth=1
	flat_load_dword v153, v[72:73] offset:256
.LBB7_45:                               ;   in Loop: Header=BB7_31 Depth=1
	s_or_b64 exec, exec, s[18:19]
	s_nor_b64 s[28:29], s[4:5], s[8:9]
	s_and_saveexec_b64 s[18:19], s[28:29]
	s_cbranch_execz .LBB7_47
; %bb.46:                               ;   in Loop: Header=BB7_31 Depth=1
	flat_load_dword v152, v[72:73] offset:512
.LBB7_47:                               ;   in Loop: Header=BB7_31 Depth=1
	s_or_b64 exec, exec, s[18:19]
	s_nor_b64 s[18:19], s[6:7], s[8:9]
	v_mov_b32_e32 v154, 0x7f7fffff
	v_mov_b32_e32 v155, 0x7f7fffff
	s_and_saveexec_b64 s[8:9], s[18:19]
	s_cbranch_execz .LBB7_49
; %bb.48:                               ;   in Loop: Header=BB7_31 Depth=1
	flat_load_dword v155, v[72:73] offset:768
.LBB7_49:                               ;   in Loop: Header=BB7_31 Depth=1
	s_or_b64 exec, exec, s[8:9]
	v_add_u32_e32 v72, 12, v156
	v_cmp_gt_i32_e64 s[8:9], s22, v72
	s_and_b64 s[18:19], s[8:9], s[12:13]
	s_and_saveexec_b64 s[8:9], s[18:19]
	s_cbranch_execz .LBB7_30
; %bb.50:                               ;   in Loop: Header=BB7_31 Depth=1
	flat_load_dword v154, v[64:65]
	s_branch .LBB7_30
.LBB7_51:
	s_load_dwordx2 s[2:3], s[0:1], 0x70
	s_load_dword s29, s[0:1], 0x50
	s_load_dword s28, s[0:1], 0x68
	ds_read_b128 v[32:35], v77 offset:4096
	ds_read_b128 v[28:31], v77 offset:4608
	;; [unrolled: 1-line block ×16, first 2 shown]
	s_waitcnt lgkmcnt(0)
	s_lshl_b64 s[0:1], s[2:3], 2
	s_add_u32 s22, s10, s0
	v_add_u32_e32 v123, s33, v75
	s_addc_u32 s23, s11, s1
	v_mad_i64_i32 v[66:67], s[0:1], v123, s29, 0
	v_add_u32_e32 v64, s31, v74
	v_lshl_add_u64 v[82:83], v[66:67], 2, s[24:25]
	v_mad_i64_i32 v[66:67], s[0:1], v123, s28, 0
	v_cmp_gt_i32_e64 s[18:19], s21, v123
	v_lshl_add_u64 v[80:81], v[66:67], 2, s[22:23]
	v_cmp_gt_i32_e64 s[2:3], s20, v64
	v_cndmask_b32_e64 v66, 0, 1, s[14:15]
	s_and_b64 s[6:7], s[2:3], s[18:19]
	v_ashrrev_i32_e32 v65, 31, v64
	v_cmp_ne_u32_e64 s[0:1], 1, v66
	s_and_saveexec_b64 s[4:5], s[6:7]
	s_cbranch_execz .LBB7_56
; %bb.52:
	s_and_b64 vcc, exec, s[0:1]
	s_cbranch_vccnz .LBB7_54
; %bb.53:
	v_lshl_add_u64 v[66:67], v[64:65], 2, v[82:83]
	flat_load_dword v66, v[66:67]
	s_waitcnt vmcnt(0) lgkmcnt(0)
	v_mul_f32_e32 v66, s30, v66
	s_branch .LBB7_55
.LBB7_54:
	v_mov_b32_e32 v66, 0
.LBB7_55:
	v_pk_add_f32 v[68:69], v[32:33], v[60:61]
	s_nop 0
	v_min3_f32 v67, v68, v69, v148
	v_pk_add_f32 v[68:69], v[34:35], v[62:63]
	s_nop 0
	v_min_f32_e32 v68, v68, v69
	v_min3_f32 v68, v66, v68, v67
	v_lshl_add_u64 v[66:67], v[64:65], 2, v[80:81]
	flat_store_dword v[66:67], v68
.LBB7_56:
	s_or_b64 exec, exec, s[4:5]
	v_add_u32_e32 v66, 32, v64
	v_cmp_gt_i32_e64 s[4:5], s20, v66
	s_and_b64 s[8:9], s[4:5], s[18:19]
	v_ashrrev_i32_e32 v67, 31, v66
	s_and_saveexec_b64 s[6:7], s[8:9]
	s_cbranch_execz .LBB7_61
; %bb.57:
	s_and_b64 vcc, exec, s[0:1]
	s_cbranch_vccnz .LBB7_59
; %bb.58:
	v_lshl_add_u64 v[68:69], v[66:67], 2, v[82:83]
	flat_load_dword v68, v[68:69]
	s_waitcnt vmcnt(0) lgkmcnt(0)
	v_mul_f32_e32 v68, s30, v68
	s_branch .LBB7_60
.LBB7_59:
	v_mov_b32_e32 v68, 0
.LBB7_60:
	v_pk_add_f32 v[70:71], v[28:29], v[60:61]
	s_nop 0
	v_min3_f32 v69, v70, v71, v147
	v_pk_add_f32 v[70:71], v[30:31], v[62:63]
	s_nop 0
	v_min_f32_e32 v70, v70, v71
	v_min3_f32 v70, v68, v70, v69
	v_lshl_add_u64 v[68:69], v[66:67], 2, v[80:81]
	flat_store_dword v[68:69], v70
.LBB7_61:
	s_or_b64 exec, exec, s[6:7]
	v_add_u32_e32 v68, 64, v64
	v_cmp_gt_i32_e64 s[6:7], s20, v68
	s_and_b64 s[10:11], s[6:7], s[18:19]
	v_ashrrev_i32_e32 v69, 31, v68
	;; [unrolled: 29-line block ×7, first 2 shown]
	s_and_saveexec_b64 s[18:19], s[26:27]
	s_cbranch_execz .LBB7_91
; %bb.87:
	s_and_b64 vcc, exec, s[0:1]
	s_cbranch_vccnz .LBB7_89
; %bb.88:
	v_lshl_add_u64 v[82:83], v[78:79], 2, v[82:83]
	flat_load_dword v82, v[82:83]
	s_waitcnt vmcnt(0) lgkmcnt(0)
	v_mul_f32_e32 v82, s30, v82
	s_branch .LBB7_90
.LBB7_89:
	v_mov_b32_e32 v82, 0
.LBB7_90:
	v_pk_add_f32 v[60:61], v[0:1], v[60:61]
	s_nop 0
	v_min3_f32 v83, v60, v61, v141
	v_pk_add_f32 v[60:61], v[2:3], v[62:63]
	s_nop 0
	v_min_f32_e32 v60, v60, v61
	v_min3_f32 v62, v82, v60, v83
	v_lshl_add_u64 v[60:61], v[78:79], 2, v[80:81]
	flat_store_dword v[60:61], v62
.LBB7_91:
	s_or_b64 exec, exec, s[18:19]
	v_add_u32_e32 v80, 8, v123
	v_mad_i64_i32 v[60:61], s[26:27], v80, s29, 0
	v_cmp_gt_i32_e64 s[18:19], s21, v80
	v_lshl_add_u64 v[62:63], v[60:61], 2, s[24:25]
	v_mad_i64_i32 v[60:61], s[26:27], v80, s28, 0
	v_lshl_add_u64 v[60:61], v[60:61], 2, s[22:23]
	s_and_b64 s[34:35], s[2:3], s[18:19]
	s_and_saveexec_b64 s[26:27], s[34:35]
	s_cbranch_execnz .LBB7_99
; %bb.92:
	s_or_b64 exec, exec, s[26:27]
	s_and_b64 s[34:35], s[4:5], s[18:19]
	s_and_saveexec_b64 s[26:27], s[34:35]
	s_cbranch_execnz .LBB7_103
.LBB7_93:
	s_or_b64 exec, exec, s[26:27]
	s_and_b64 s[34:35], s[6:7], s[18:19]
	s_and_saveexec_b64 s[26:27], s[34:35]
	s_cbranch_execnz .LBB7_107
.LBB7_94:
	s_or_b64 exec, exec, s[26:27]
	s_and_b64 s[34:35], s[8:9], s[18:19]
	s_and_saveexec_b64 s[26:27], s[34:35]
	s_cbranch_execnz .LBB7_111
.LBB7_95:
	s_or_b64 exec, exec, s[26:27]
	s_and_b64 s[34:35], s[10:11], s[18:19]
	s_and_saveexec_b64 s[26:27], s[34:35]
	s_cbranch_execnz .LBB7_115
.LBB7_96:
	s_or_b64 exec, exec, s[26:27]
	s_and_b64 s[34:35], s[12:13], s[18:19]
	s_and_saveexec_b64 s[26:27], s[34:35]
	s_cbranch_execnz .LBB7_119
.LBB7_97:
	s_or_b64 exec, exec, s[26:27]
	s_and_b64 s[34:35], s[14:15], s[18:19]
	s_and_saveexec_b64 s[26:27], s[34:35]
	s_cbranch_execnz .LBB7_123
.LBB7_98:
	s_or_b64 exec, exec, s[26:27]
	s_and_b64 s[26:27], s[16:17], s[18:19]
	s_and_saveexec_b64 s[18:19], s[26:27]
	s_cbranch_execnz .LBB7_127
	s_branch .LBB7_131
.LBB7_99:
	s_and_b64 vcc, exec, s[0:1]
	s_cbranch_vccnz .LBB7_101
; %bb.100:
	v_lshl_add_u64 v[80:81], v[64:65], 2, v[62:63]
	flat_load_dword v80, v[80:81]
	s_waitcnt vmcnt(0) lgkmcnt(0)
	v_mul_f32_e32 v80, s30, v80
	s_branch .LBB7_102
.LBB7_101:
	v_mov_b32_e32 v80, 0
.LBB7_102:
	v_pk_add_f32 v[82:83], v[32:33], v[56:57]
	s_nop 0
	v_min3_f32 v81, v82, v83, v140
	v_pk_add_f32 v[82:83], v[34:35], v[58:59]
	s_nop 0
	v_min_f32_e32 v82, v82, v83
	v_min3_f32 v82, v80, v82, v81
	v_lshl_add_u64 v[80:81], v[64:65], 2, v[60:61]
	flat_store_dword v[80:81], v82
	s_or_b64 exec, exec, s[26:27]
	s_and_b64 s[34:35], s[4:5], s[18:19]
	s_and_saveexec_b64 s[26:27], s[34:35]
	s_cbranch_execz .LBB7_93
.LBB7_103:
	s_and_b64 vcc, exec, s[0:1]
	s_cbranch_vccnz .LBB7_105
; %bb.104:
	v_lshl_add_u64 v[80:81], v[66:67], 2, v[62:63]
	flat_load_dword v80, v[80:81]
	s_waitcnt vmcnt(0) lgkmcnt(0)
	v_mul_f32_e32 v80, s30, v80
	s_branch .LBB7_106
.LBB7_105:
	v_mov_b32_e32 v80, 0
.LBB7_106:
	v_pk_add_f32 v[82:83], v[28:29], v[56:57]
	s_nop 0
	v_min3_f32 v81, v82, v83, v139
	v_pk_add_f32 v[82:83], v[30:31], v[58:59]
	s_nop 0
	v_min_f32_e32 v82, v82, v83
	v_min3_f32 v82, v80, v82, v81
	v_lshl_add_u64 v[80:81], v[66:67], 2, v[60:61]
	flat_store_dword v[80:81], v82
	s_or_b64 exec, exec, s[26:27]
	s_and_b64 s[34:35], s[6:7], s[18:19]
	s_and_saveexec_b64 s[26:27], s[34:35]
	s_cbranch_execz .LBB7_94
.LBB7_107:
	s_and_b64 vcc, exec, s[0:1]
	s_cbranch_vccnz .LBB7_109
; %bb.108:
	v_lshl_add_u64 v[80:81], v[68:69], 2, v[62:63]
	flat_load_dword v80, v[80:81]
	s_waitcnt vmcnt(0) lgkmcnt(0)
	v_mul_f32_e32 v80, s30, v80
	s_branch .LBB7_110
.LBB7_109:
	v_mov_b32_e32 v80, 0
.LBB7_110:
	v_pk_add_f32 v[82:83], v[24:25], v[56:57]
	s_nop 0
	v_min3_f32 v81, v82, v83, v138
	v_pk_add_f32 v[82:83], v[26:27], v[58:59]
	s_nop 0
	v_min_f32_e32 v82, v82, v83
	v_min3_f32 v82, v80, v82, v81
	v_lshl_add_u64 v[80:81], v[68:69], 2, v[60:61]
	flat_store_dword v[80:81], v82
	s_or_b64 exec, exec, s[26:27]
	s_and_b64 s[34:35], s[8:9], s[18:19]
	s_and_saveexec_b64 s[26:27], s[34:35]
	s_cbranch_execz .LBB7_95
.LBB7_111:
	s_and_b64 vcc, exec, s[0:1]
	s_cbranch_vccnz .LBB7_113
; %bb.112:
	v_lshl_add_u64 v[80:81], v[70:71], 2, v[62:63]
	flat_load_dword v80, v[80:81]
	s_waitcnt vmcnt(0) lgkmcnt(0)
	v_mul_f32_e32 v80, s30, v80
	s_branch .LBB7_114
.LBB7_113:
	v_mov_b32_e32 v80, 0
.LBB7_114:
	v_pk_add_f32 v[82:83], v[20:21], v[56:57]
	s_nop 0
	v_min3_f32 v81, v82, v83, v137
	v_pk_add_f32 v[82:83], v[22:23], v[58:59]
	s_nop 0
	v_min_f32_e32 v82, v82, v83
	v_min3_f32 v82, v80, v82, v81
	v_lshl_add_u64 v[80:81], v[70:71], 2, v[60:61]
	flat_store_dword v[80:81], v82
	s_or_b64 exec, exec, s[26:27]
	s_and_b64 s[34:35], s[10:11], s[18:19]
	s_and_saveexec_b64 s[26:27], s[34:35]
	s_cbranch_execz .LBB7_96
.LBB7_115:
	s_and_b64 vcc, exec, s[0:1]
	s_cbranch_vccnz .LBB7_117
; %bb.116:
	v_lshl_add_u64 v[80:81], v[72:73], 2, v[62:63]
	flat_load_dword v80, v[80:81]
	s_waitcnt vmcnt(0) lgkmcnt(0)
	v_mul_f32_e32 v80, s30, v80
	s_branch .LBB7_118
.LBB7_117:
	v_mov_b32_e32 v80, 0
.LBB7_118:
	v_pk_add_f32 v[82:83], v[16:17], v[56:57]
	s_nop 0
	v_min3_f32 v81, v82, v83, v135
	v_pk_add_f32 v[82:83], v[18:19], v[58:59]
	s_nop 0
	v_min_f32_e32 v82, v82, v83
	v_min3_f32 v82, v80, v82, v81
	v_lshl_add_u64 v[80:81], v[72:73], 2, v[60:61]
	flat_store_dword v[80:81], v82
	s_or_b64 exec, exec, s[26:27]
	s_and_b64 s[34:35], s[12:13], s[18:19]
	s_and_saveexec_b64 s[26:27], s[34:35]
	s_cbranch_execz .LBB7_97
.LBB7_119:
	s_and_b64 vcc, exec, s[0:1]
	s_cbranch_vccnz .LBB7_121
; %bb.120:
	v_lshl_add_u64 v[80:81], v[74:75], 2, v[62:63]
	flat_load_dword v80, v[80:81]
	s_waitcnt vmcnt(0) lgkmcnt(0)
	v_mul_f32_e32 v80, s30, v80
	s_branch .LBB7_122
.LBB7_121:
	v_mov_b32_e32 v80, 0
.LBB7_122:
	v_pk_add_f32 v[82:83], v[12:13], v[56:57]
	s_nop 0
	v_min3_f32 v81, v82, v83, v133
	v_pk_add_f32 v[82:83], v[14:15], v[58:59]
	s_nop 0
	v_min_f32_e32 v82, v82, v83
	v_min3_f32 v82, v80, v82, v81
	v_lshl_add_u64 v[80:81], v[74:75], 2, v[60:61]
	flat_store_dword v[80:81], v82
	s_or_b64 exec, exec, s[26:27]
	s_and_b64 s[34:35], s[14:15], s[18:19]
	s_and_saveexec_b64 s[26:27], s[34:35]
	s_cbranch_execz .LBB7_98
.LBB7_123:
	s_and_b64 vcc, exec, s[0:1]
	s_cbranch_vccnz .LBB7_125
; %bb.124:
	v_lshl_add_u64 v[80:81], v[76:77], 2, v[62:63]
	flat_load_dword v80, v[80:81]
	s_waitcnt vmcnt(0) lgkmcnt(0)
	v_mul_f32_e32 v80, s30, v80
	s_branch .LBB7_126
.LBB7_125:
	v_mov_b32_e32 v80, 0
.LBB7_126:
	v_pk_add_f32 v[82:83], v[8:9], v[56:57]
	s_nop 0
	v_min3_f32 v81, v82, v83, v131
	v_pk_add_f32 v[82:83], v[10:11], v[58:59]
	s_nop 0
	v_min_f32_e32 v82, v82, v83
	v_min3_f32 v82, v80, v82, v81
	v_lshl_add_u64 v[80:81], v[76:77], 2, v[60:61]
	flat_store_dword v[80:81], v82
	s_or_b64 exec, exec, s[26:27]
	s_and_b64 s[26:27], s[16:17], s[18:19]
	s_and_saveexec_b64 s[18:19], s[26:27]
	s_cbranch_execz .LBB7_131
.LBB7_127:
	s_and_b64 vcc, exec, s[0:1]
	s_cbranch_vccnz .LBB7_129
; %bb.128:
	v_lshl_add_u64 v[62:63], v[78:79], 2, v[62:63]
	flat_load_dword v62, v[62:63]
	s_waitcnt vmcnt(0) lgkmcnt(0)
	v_mul_f32_e32 v62, s30, v62
	s_branch .LBB7_130
.LBB7_129:
	v_mov_b32_e32 v62, 0
.LBB7_130:
	v_pk_add_f32 v[56:57], v[0:1], v[56:57]
	s_nop 0
	v_min3_f32 v63, v56, v57, v136
	v_pk_add_f32 v[56:57], v[2:3], v[58:59]
	s_nop 0
	v_min_f32_e32 v56, v56, v57
	v_min3_f32 v58, v62, v56, v63
	v_lshl_add_u64 v[56:57], v[78:79], 2, v[60:61]
	flat_store_dword v[56:57], v58
.LBB7_131:
	s_or_b64 exec, exec, s[18:19]
	v_add_u32_e32 v60, 16, v123
	v_mad_i64_i32 v[56:57], s[26:27], v60, s29, 0
	v_cmp_gt_i32_e64 s[18:19], s21, v60
	v_lshl_add_u64 v[58:59], v[56:57], 2, s[24:25]
	v_mad_i64_i32 v[56:57], s[26:27], v60, s28, 0
	v_lshl_add_u64 v[56:57], v[56:57], 2, s[22:23]
	s_and_b64 s[34:35], s[2:3], s[18:19]
	s_and_saveexec_b64 s[26:27], s[34:35]
	s_cbranch_execnz .LBB7_139
; %bb.132:
	s_or_b64 exec, exec, s[26:27]
	s_and_b64 s[34:35], s[4:5], s[18:19]
	s_and_saveexec_b64 s[26:27], s[34:35]
	s_cbranch_execnz .LBB7_143
.LBB7_133:
	s_or_b64 exec, exec, s[26:27]
	s_and_b64 s[34:35], s[6:7], s[18:19]
	s_and_saveexec_b64 s[26:27], s[34:35]
	s_cbranch_execnz .LBB7_147
.LBB7_134:
	s_or_b64 exec, exec, s[26:27]
	s_and_b64 s[34:35], s[8:9], s[18:19]
	s_and_saveexec_b64 s[26:27], s[34:35]
	s_cbranch_execnz .LBB7_151
.LBB7_135:
	s_or_b64 exec, exec, s[26:27]
	s_and_b64 s[34:35], s[10:11], s[18:19]
	s_and_saveexec_b64 s[26:27], s[34:35]
	s_cbranch_execnz .LBB7_155
.LBB7_136:
	s_or_b64 exec, exec, s[26:27]
	s_and_b64 s[34:35], s[12:13], s[18:19]
	s_and_saveexec_b64 s[26:27], s[34:35]
	s_cbranch_execnz .LBB7_159
.LBB7_137:
	s_or_b64 exec, exec, s[26:27]
	s_and_b64 s[34:35], s[14:15], s[18:19]
	s_and_saveexec_b64 s[26:27], s[34:35]
	s_cbranch_execnz .LBB7_163
.LBB7_138:
	s_or_b64 exec, exec, s[26:27]
	s_and_b64 s[26:27], s[16:17], s[18:19]
	s_and_saveexec_b64 s[18:19], s[26:27]
	s_cbranch_execnz .LBB7_167
	s_branch .LBB7_171
.LBB7_139:
	s_and_b64 vcc, exec, s[0:1]
	s_cbranch_vccnz .LBB7_141
; %bb.140:
	v_lshl_add_u64 v[60:61], v[64:65], 2, v[58:59]
	flat_load_dword v60, v[60:61]
	s_waitcnt vmcnt(0) lgkmcnt(0)
	v_mul_f32_e32 v60, s30, v60
	s_branch .LBB7_142
.LBB7_141:
	v_mov_b32_e32 v60, 0
.LBB7_142:
	v_pk_add_f32 v[62:63], v[32:33], v[52:53]
	s_nop 0
	v_min3_f32 v61, v62, v63, v134
	v_pk_add_f32 v[62:63], v[34:35], v[54:55]
	s_nop 0
	v_min_f32_e32 v62, v62, v63
	v_min3_f32 v62, v60, v62, v61
	v_lshl_add_u64 v[60:61], v[64:65], 2, v[56:57]
	flat_store_dword v[60:61], v62
	s_or_b64 exec, exec, s[26:27]
	s_and_b64 s[34:35], s[4:5], s[18:19]
	s_and_saveexec_b64 s[26:27], s[34:35]
	s_cbranch_execz .LBB7_133
.LBB7_143:
	s_and_b64 vcc, exec, s[0:1]
	s_cbranch_vccnz .LBB7_145
; %bb.144:
	v_lshl_add_u64 v[60:61], v[66:67], 2, v[58:59]
	flat_load_dword v60, v[60:61]
	s_waitcnt vmcnt(0) lgkmcnt(0)
	v_mul_f32_e32 v60, s30, v60
	s_branch .LBB7_146
.LBB7_145:
	v_mov_b32_e32 v60, 0
.LBB7_146:
	v_pk_add_f32 v[62:63], v[28:29], v[52:53]
	s_nop 0
	v_min3_f32 v61, v62, v63, v132
	v_pk_add_f32 v[62:63], v[30:31], v[54:55]
	s_nop 0
	v_min_f32_e32 v62, v62, v63
	v_min3_f32 v62, v60, v62, v61
	v_lshl_add_u64 v[60:61], v[66:67], 2, v[56:57]
	flat_store_dword v[60:61], v62
	s_or_b64 exec, exec, s[26:27]
	s_and_b64 s[34:35], s[6:7], s[18:19]
	s_and_saveexec_b64 s[26:27], s[34:35]
	s_cbranch_execz .LBB7_134
.LBB7_147:
	s_and_b64 vcc, exec, s[0:1]
	s_cbranch_vccnz .LBB7_149
; %bb.148:
	v_lshl_add_u64 v[60:61], v[68:69], 2, v[58:59]
	flat_load_dword v60, v[60:61]
	s_waitcnt vmcnt(0) lgkmcnt(0)
	v_mul_f32_e32 v60, s30, v60
	s_branch .LBB7_150
.LBB7_149:
	v_mov_b32_e32 v60, 0
.LBB7_150:
	v_pk_add_f32 v[62:63], v[24:25], v[52:53]
	s_nop 0
	v_min3_f32 v61, v62, v63, v130
	v_pk_add_f32 v[62:63], v[26:27], v[54:55]
	s_nop 0
	v_min_f32_e32 v62, v62, v63
	v_min3_f32 v62, v60, v62, v61
	v_lshl_add_u64 v[60:61], v[68:69], 2, v[56:57]
	flat_store_dword v[60:61], v62
	s_or_b64 exec, exec, s[26:27]
	s_and_b64 s[34:35], s[8:9], s[18:19]
	s_and_saveexec_b64 s[26:27], s[34:35]
	s_cbranch_execz .LBB7_135
.LBB7_151:
	s_and_b64 vcc, exec, s[0:1]
	s_cbranch_vccnz .LBB7_153
; %bb.152:
	v_lshl_add_u64 v[60:61], v[70:71], 2, v[58:59]
	flat_load_dword v60, v[60:61]
	s_waitcnt vmcnt(0) lgkmcnt(0)
	v_mul_f32_e32 v60, s30, v60
	s_branch .LBB7_154
.LBB7_153:
	v_mov_b32_e32 v60, 0
.LBB7_154:
	v_pk_add_f32 v[62:63], v[20:21], v[52:53]
	s_nop 0
	v_min3_f32 v61, v62, v63, v129
	v_pk_add_f32 v[62:63], v[22:23], v[54:55]
	s_nop 0
	v_min_f32_e32 v62, v62, v63
	v_min3_f32 v62, v60, v62, v61
	v_lshl_add_u64 v[60:61], v[70:71], 2, v[56:57]
	flat_store_dword v[60:61], v62
	s_or_b64 exec, exec, s[26:27]
	s_and_b64 s[34:35], s[10:11], s[18:19]
	s_and_saveexec_b64 s[26:27], s[34:35]
	s_cbranch_execz .LBB7_136
.LBB7_155:
	s_and_b64 vcc, exec, s[0:1]
	s_cbranch_vccnz .LBB7_157
; %bb.156:
	v_lshl_add_u64 v[60:61], v[72:73], 2, v[58:59]
	flat_load_dword v60, v[60:61]
	s_waitcnt vmcnt(0) lgkmcnt(0)
	v_mul_f32_e32 v60, s30, v60
	s_branch .LBB7_158
.LBB7_157:
	v_mov_b32_e32 v60, 0
.LBB7_158:
	v_pk_add_f32 v[62:63], v[16:17], v[52:53]
	s_nop 0
	v_min3_f32 v61, v62, v63, v128
	v_pk_add_f32 v[62:63], v[18:19], v[54:55]
	s_nop 0
	v_min_f32_e32 v62, v62, v63
	v_min3_f32 v62, v60, v62, v61
	v_lshl_add_u64 v[60:61], v[72:73], 2, v[56:57]
	flat_store_dword v[60:61], v62
	s_or_b64 exec, exec, s[26:27]
	s_and_b64 s[34:35], s[12:13], s[18:19]
	s_and_saveexec_b64 s[26:27], s[34:35]
	s_cbranch_execz .LBB7_137
.LBB7_159:
	s_and_b64 vcc, exec, s[0:1]
	s_cbranch_vccnz .LBB7_161
; %bb.160:
	v_lshl_add_u64 v[60:61], v[74:75], 2, v[58:59]
	flat_load_dword v60, v[60:61]
	s_waitcnt vmcnt(0) lgkmcnt(0)
	v_mul_f32_e32 v60, s30, v60
	s_branch .LBB7_162
.LBB7_161:
	v_mov_b32_e32 v60, 0
.LBB7_162:
	v_pk_add_f32 v[62:63], v[12:13], v[52:53]
	s_nop 0
	v_min3_f32 v61, v62, v63, v127
	v_pk_add_f32 v[62:63], v[14:15], v[54:55]
	s_nop 0
	v_min_f32_e32 v62, v62, v63
	v_min3_f32 v62, v60, v62, v61
	v_lshl_add_u64 v[60:61], v[74:75], 2, v[56:57]
	flat_store_dword v[60:61], v62
	s_or_b64 exec, exec, s[26:27]
	s_and_b64 s[34:35], s[14:15], s[18:19]
	s_and_saveexec_b64 s[26:27], s[34:35]
	s_cbranch_execz .LBB7_138
.LBB7_163:
	s_and_b64 vcc, exec, s[0:1]
	s_cbranch_vccnz .LBB7_165
; %bb.164:
	v_lshl_add_u64 v[60:61], v[76:77], 2, v[58:59]
	flat_load_dword v60, v[60:61]
	s_waitcnt vmcnt(0) lgkmcnt(0)
	v_mul_f32_e32 v60, s30, v60
	s_branch .LBB7_166
.LBB7_165:
	v_mov_b32_e32 v60, 0
.LBB7_166:
	v_pk_add_f32 v[62:63], v[8:9], v[52:53]
	s_nop 0
	v_min3_f32 v61, v62, v63, v126
	v_pk_add_f32 v[62:63], v[10:11], v[54:55]
	s_nop 0
	v_min_f32_e32 v62, v62, v63
	v_min3_f32 v62, v60, v62, v61
	v_lshl_add_u64 v[60:61], v[76:77], 2, v[56:57]
	flat_store_dword v[60:61], v62
	s_or_b64 exec, exec, s[26:27]
	s_and_b64 s[26:27], s[16:17], s[18:19]
	s_and_saveexec_b64 s[18:19], s[26:27]
	s_cbranch_execz .LBB7_171
.LBB7_167:
	s_and_b64 vcc, exec, s[0:1]
	s_cbranch_vccnz .LBB7_169
; %bb.168:
	v_lshl_add_u64 v[58:59], v[78:79], 2, v[58:59]
	flat_load_dword v58, v[58:59]
	s_waitcnt vmcnt(0) lgkmcnt(0)
	v_mul_f32_e32 v58, s30, v58
	s_branch .LBB7_170
.LBB7_169:
	v_mov_b32_e32 v58, 0
.LBB7_170:
	v_pk_add_f32 v[52:53], v[0:1], v[52:53]
	s_nop 0
	v_min3_f32 v59, v52, v53, v125
	v_pk_add_f32 v[52:53], v[2:3], v[54:55]
	s_nop 0
	v_min_f32_e32 v52, v52, v53
	v_min3_f32 v54, v58, v52, v59
	v_lshl_add_u64 v[52:53], v[78:79], 2, v[56:57]
	flat_store_dword v[52:53], v54
.LBB7_171:
	s_or_b64 exec, exec, s[18:19]
	v_add_u32_e32 v56, 24, v123
	v_mad_i64_i32 v[52:53], s[26:27], v56, s29, 0
	v_cmp_gt_i32_e64 s[18:19], s21, v56
	v_lshl_add_u64 v[54:55], v[52:53], 2, s[24:25]
	v_mad_i64_i32 v[52:53], s[26:27], v56, s28, 0
	v_lshl_add_u64 v[52:53], v[52:53], 2, s[22:23]
	s_and_b64 s[34:35], s[2:3], s[18:19]
	s_and_saveexec_b64 s[26:27], s[34:35]
	s_cbranch_execnz .LBB7_179
; %bb.172:
	s_or_b64 exec, exec, s[26:27]
	s_and_b64 s[34:35], s[4:5], s[18:19]
	s_and_saveexec_b64 s[26:27], s[34:35]
	s_cbranch_execnz .LBB7_183
.LBB7_173:
	s_or_b64 exec, exec, s[26:27]
	s_and_b64 s[34:35], s[6:7], s[18:19]
	s_and_saveexec_b64 s[26:27], s[34:35]
	s_cbranch_execnz .LBB7_187
.LBB7_174:
	s_or_b64 exec, exec, s[26:27]
	s_and_b64 s[34:35], s[8:9], s[18:19]
	s_and_saveexec_b64 s[26:27], s[34:35]
	s_cbranch_execnz .LBB7_191
.LBB7_175:
	s_or_b64 exec, exec, s[26:27]
	s_and_b64 s[34:35], s[10:11], s[18:19]
	s_and_saveexec_b64 s[26:27], s[34:35]
	s_cbranch_execnz .LBB7_195
.LBB7_176:
	s_or_b64 exec, exec, s[26:27]
	s_and_b64 s[34:35], s[12:13], s[18:19]
	s_and_saveexec_b64 s[26:27], s[34:35]
	s_cbranch_execnz .LBB7_199
.LBB7_177:
	s_or_b64 exec, exec, s[26:27]
	s_and_b64 s[34:35], s[14:15], s[18:19]
	s_and_saveexec_b64 s[26:27], s[34:35]
	s_cbranch_execnz .LBB7_203
.LBB7_178:
	s_or_b64 exec, exec, s[26:27]
	s_and_b64 s[26:27], s[16:17], s[18:19]
	s_and_saveexec_b64 s[18:19], s[26:27]
	s_cbranch_execnz .LBB7_207
	s_branch .LBB7_211
.LBB7_179:
	s_and_b64 vcc, exec, s[0:1]
	s_cbranch_vccnz .LBB7_181
; %bb.180:
	v_lshl_add_u64 v[56:57], v[64:65], 2, v[54:55]
	flat_load_dword v56, v[56:57]
	s_waitcnt vmcnt(0) lgkmcnt(0)
	v_mul_f32_e32 v56, s30, v56
	s_branch .LBB7_182
.LBB7_181:
	v_mov_b32_e32 v56, 0
.LBB7_182:
	v_pk_add_f32 v[58:59], v[32:33], v[48:49]
	s_nop 0
	v_min3_f32 v57, v58, v59, v124
	v_pk_add_f32 v[58:59], v[34:35], v[50:51]
	s_nop 0
	v_min_f32_e32 v58, v58, v59
	v_min3_f32 v58, v56, v58, v57
	v_lshl_add_u64 v[56:57], v[64:65], 2, v[52:53]
	flat_store_dword v[56:57], v58
	s_or_b64 exec, exec, s[26:27]
	s_and_b64 s[34:35], s[4:5], s[18:19]
	s_and_saveexec_b64 s[26:27], s[34:35]
	s_cbranch_execz .LBB7_173
.LBB7_183:
	s_and_b64 vcc, exec, s[0:1]
	s_cbranch_vccnz .LBB7_185
; %bb.184:
	v_lshl_add_u64 v[56:57], v[66:67], 2, v[54:55]
	flat_load_dword v56, v[56:57]
	s_waitcnt vmcnt(0) lgkmcnt(0)
	v_mul_f32_e32 v56, s30, v56
	s_branch .LBB7_186
.LBB7_185:
	v_mov_b32_e32 v56, 0
.LBB7_186:
	v_pk_add_f32 v[58:59], v[28:29], v[48:49]
	s_nop 0
	v_min3_f32 v57, v58, v59, v122
	v_pk_add_f32 v[58:59], v[30:31], v[50:51]
	s_nop 0
	v_min_f32_e32 v58, v58, v59
	v_min3_f32 v58, v56, v58, v57
	v_lshl_add_u64 v[56:57], v[66:67], 2, v[52:53]
	flat_store_dword v[56:57], v58
	s_or_b64 exec, exec, s[26:27]
	s_and_b64 s[34:35], s[6:7], s[18:19]
	s_and_saveexec_b64 s[26:27], s[34:35]
	s_cbranch_execz .LBB7_174
.LBB7_187:
	s_and_b64 vcc, exec, s[0:1]
	s_cbranch_vccnz .LBB7_189
; %bb.188:
	v_lshl_add_u64 v[56:57], v[68:69], 2, v[54:55]
	flat_load_dword v56, v[56:57]
	s_waitcnt vmcnt(0) lgkmcnt(0)
	v_mul_f32_e32 v56, s30, v56
	s_branch .LBB7_190
.LBB7_189:
	v_mov_b32_e32 v56, 0
.LBB7_190:
	v_pk_add_f32 v[58:59], v[24:25], v[48:49]
	s_nop 0
	v_min3_f32 v57, v58, v59, v121
	v_pk_add_f32 v[58:59], v[26:27], v[50:51]
	s_nop 0
	v_min_f32_e32 v58, v58, v59
	v_min3_f32 v58, v56, v58, v57
	v_lshl_add_u64 v[56:57], v[68:69], 2, v[52:53]
	flat_store_dword v[56:57], v58
	s_or_b64 exec, exec, s[26:27]
	s_and_b64 s[34:35], s[8:9], s[18:19]
	s_and_saveexec_b64 s[26:27], s[34:35]
	s_cbranch_execz .LBB7_175
.LBB7_191:
	s_and_b64 vcc, exec, s[0:1]
	s_cbranch_vccnz .LBB7_193
; %bb.192:
	v_lshl_add_u64 v[56:57], v[70:71], 2, v[54:55]
	flat_load_dword v56, v[56:57]
	s_waitcnt vmcnt(0) lgkmcnt(0)
	v_mul_f32_e32 v56, s30, v56
	s_branch .LBB7_194
.LBB7_193:
	v_mov_b32_e32 v56, 0
.LBB7_194:
	v_pk_add_f32 v[58:59], v[20:21], v[48:49]
	s_nop 0
	v_min3_f32 v57, v58, v59, v120
	v_pk_add_f32 v[58:59], v[22:23], v[50:51]
	s_nop 0
	v_min_f32_e32 v58, v58, v59
	v_min3_f32 v58, v56, v58, v57
	v_lshl_add_u64 v[56:57], v[70:71], 2, v[52:53]
	flat_store_dword v[56:57], v58
	s_or_b64 exec, exec, s[26:27]
	s_and_b64 s[34:35], s[10:11], s[18:19]
	s_and_saveexec_b64 s[26:27], s[34:35]
	s_cbranch_execz .LBB7_176
.LBB7_195:
	s_and_b64 vcc, exec, s[0:1]
	s_cbranch_vccnz .LBB7_197
; %bb.196:
	v_lshl_add_u64 v[56:57], v[72:73], 2, v[54:55]
	flat_load_dword v56, v[56:57]
	s_waitcnt vmcnt(0) lgkmcnt(0)
	v_mul_f32_e32 v56, s30, v56
	s_branch .LBB7_198
.LBB7_197:
	v_mov_b32_e32 v56, 0
.LBB7_198:
	v_pk_add_f32 v[58:59], v[16:17], v[48:49]
	s_nop 0
	v_min3_f32 v57, v58, v59, v119
	v_pk_add_f32 v[58:59], v[18:19], v[50:51]
	s_nop 0
	v_min_f32_e32 v58, v58, v59
	v_min3_f32 v58, v56, v58, v57
	v_lshl_add_u64 v[56:57], v[72:73], 2, v[52:53]
	flat_store_dword v[56:57], v58
	s_or_b64 exec, exec, s[26:27]
	s_and_b64 s[34:35], s[12:13], s[18:19]
	s_and_saveexec_b64 s[26:27], s[34:35]
	s_cbranch_execz .LBB7_177
.LBB7_199:
	s_and_b64 vcc, exec, s[0:1]
	s_cbranch_vccnz .LBB7_201
; %bb.200:
	v_lshl_add_u64 v[56:57], v[74:75], 2, v[54:55]
	flat_load_dword v56, v[56:57]
	s_waitcnt vmcnt(0) lgkmcnt(0)
	v_mul_f32_e32 v56, s30, v56
	s_branch .LBB7_202
.LBB7_201:
	v_mov_b32_e32 v56, 0
.LBB7_202:
	v_pk_add_f32 v[58:59], v[12:13], v[48:49]
	s_nop 0
	v_min3_f32 v57, v58, v59, v118
	v_pk_add_f32 v[58:59], v[14:15], v[50:51]
	s_nop 0
	v_min_f32_e32 v58, v58, v59
	v_min3_f32 v58, v56, v58, v57
	v_lshl_add_u64 v[56:57], v[74:75], 2, v[52:53]
	flat_store_dword v[56:57], v58
	s_or_b64 exec, exec, s[26:27]
	s_and_b64 s[34:35], s[14:15], s[18:19]
	s_and_saveexec_b64 s[26:27], s[34:35]
	s_cbranch_execz .LBB7_178
.LBB7_203:
	s_and_b64 vcc, exec, s[0:1]
	s_cbranch_vccnz .LBB7_205
; %bb.204:
	v_lshl_add_u64 v[56:57], v[76:77], 2, v[54:55]
	flat_load_dword v56, v[56:57]
	s_waitcnt vmcnt(0) lgkmcnt(0)
	v_mul_f32_e32 v56, s30, v56
	s_branch .LBB7_206
.LBB7_205:
	v_mov_b32_e32 v56, 0
.LBB7_206:
	v_pk_add_f32 v[58:59], v[8:9], v[48:49]
	s_nop 0
	v_min3_f32 v57, v58, v59, v117
	v_pk_add_f32 v[58:59], v[10:11], v[50:51]
	s_nop 0
	v_min_f32_e32 v58, v58, v59
	v_min3_f32 v58, v56, v58, v57
	v_lshl_add_u64 v[56:57], v[76:77], 2, v[52:53]
	flat_store_dword v[56:57], v58
	s_or_b64 exec, exec, s[26:27]
	s_and_b64 s[26:27], s[16:17], s[18:19]
	s_and_saveexec_b64 s[18:19], s[26:27]
	s_cbranch_execz .LBB7_211
.LBB7_207:
	s_and_b64 vcc, exec, s[0:1]
	s_cbranch_vccnz .LBB7_209
; %bb.208:
	v_lshl_add_u64 v[54:55], v[78:79], 2, v[54:55]
	flat_load_dword v54, v[54:55]
	s_waitcnt vmcnt(0) lgkmcnt(0)
	v_mul_f32_e32 v54, s30, v54
	s_branch .LBB7_210
.LBB7_209:
	v_mov_b32_e32 v54, 0
.LBB7_210:
	v_pk_add_f32 v[48:49], v[0:1], v[48:49]
	s_nop 0
	v_min3_f32 v55, v48, v49, v116
	v_pk_add_f32 v[48:49], v[2:3], v[50:51]
	s_nop 0
	v_min_f32_e32 v48, v48, v49
	v_min3_f32 v50, v54, v48, v55
	v_lshl_add_u64 v[48:49], v[78:79], 2, v[52:53]
	flat_store_dword v[48:49], v50
.LBB7_211:
	s_or_b64 exec, exec, s[18:19]
	v_add_u32_e32 v52, 32, v123
	v_mad_i64_i32 v[48:49], s[26:27], v52, s29, 0
	v_cmp_gt_i32_e64 s[18:19], s21, v52
	v_lshl_add_u64 v[50:51], v[48:49], 2, s[24:25]
	v_mad_i64_i32 v[48:49], s[26:27], v52, s28, 0
	v_lshl_add_u64 v[48:49], v[48:49], 2, s[22:23]
	s_and_b64 s[34:35], s[2:3], s[18:19]
	s_and_saveexec_b64 s[26:27], s[34:35]
	s_cbranch_execnz .LBB7_219
; %bb.212:
	s_or_b64 exec, exec, s[26:27]
	s_and_b64 s[34:35], s[4:5], s[18:19]
	s_and_saveexec_b64 s[26:27], s[34:35]
	s_cbranch_execnz .LBB7_223
.LBB7_213:
	s_or_b64 exec, exec, s[26:27]
	s_and_b64 s[34:35], s[6:7], s[18:19]
	s_and_saveexec_b64 s[26:27], s[34:35]
	s_cbranch_execnz .LBB7_227
.LBB7_214:
	s_or_b64 exec, exec, s[26:27]
	s_and_b64 s[34:35], s[8:9], s[18:19]
	s_and_saveexec_b64 s[26:27], s[34:35]
	s_cbranch_execnz .LBB7_231
.LBB7_215:
	s_or_b64 exec, exec, s[26:27]
	s_and_b64 s[34:35], s[10:11], s[18:19]
	s_and_saveexec_b64 s[26:27], s[34:35]
	s_cbranch_execnz .LBB7_235
.LBB7_216:
	s_or_b64 exec, exec, s[26:27]
	s_and_b64 s[34:35], s[12:13], s[18:19]
	s_and_saveexec_b64 s[26:27], s[34:35]
	s_cbranch_execnz .LBB7_239
.LBB7_217:
	s_or_b64 exec, exec, s[26:27]
	s_and_b64 s[34:35], s[14:15], s[18:19]
	s_and_saveexec_b64 s[26:27], s[34:35]
	s_cbranch_execnz .LBB7_243
.LBB7_218:
	s_or_b64 exec, exec, s[26:27]
	s_and_b64 s[26:27], s[16:17], s[18:19]
	s_and_saveexec_b64 s[18:19], s[26:27]
	s_cbranch_execnz .LBB7_247
	s_branch .LBB7_251
.LBB7_219:
	s_and_b64 vcc, exec, s[0:1]
	s_cbranch_vccnz .LBB7_221
; %bb.220:
	v_lshl_add_u64 v[52:53], v[64:65], 2, v[50:51]
	flat_load_dword v52, v[52:53]
	s_waitcnt vmcnt(0) lgkmcnt(0)
	v_mul_f32_e32 v52, s30, v52
	s_branch .LBB7_222
.LBB7_221:
	v_mov_b32_e32 v52, 0
.LBB7_222:
	v_pk_add_f32 v[54:55], v[32:33], v[44:45]
	s_nop 0
	v_min3_f32 v53, v54, v55, v115
	v_pk_add_f32 v[54:55], v[34:35], v[46:47]
	s_nop 0
	v_min_f32_e32 v54, v54, v55
	v_min3_f32 v54, v52, v54, v53
	v_lshl_add_u64 v[52:53], v[64:65], 2, v[48:49]
	flat_store_dword v[52:53], v54
	s_or_b64 exec, exec, s[26:27]
	s_and_b64 s[34:35], s[4:5], s[18:19]
	s_and_saveexec_b64 s[26:27], s[34:35]
	s_cbranch_execz .LBB7_213
.LBB7_223:
	s_and_b64 vcc, exec, s[0:1]
	s_cbranch_vccnz .LBB7_225
; %bb.224:
	v_lshl_add_u64 v[52:53], v[66:67], 2, v[50:51]
	flat_load_dword v52, v[52:53]
	s_waitcnt vmcnt(0) lgkmcnt(0)
	v_mul_f32_e32 v52, s30, v52
	s_branch .LBB7_226
.LBB7_225:
	v_mov_b32_e32 v52, 0
.LBB7_226:
	v_pk_add_f32 v[54:55], v[28:29], v[44:45]
	s_nop 0
	v_min3_f32 v53, v54, v55, v114
	v_pk_add_f32 v[54:55], v[30:31], v[46:47]
	s_nop 0
	v_min_f32_e32 v54, v54, v55
	v_min3_f32 v54, v52, v54, v53
	v_lshl_add_u64 v[52:53], v[66:67], 2, v[48:49]
	flat_store_dword v[52:53], v54
	s_or_b64 exec, exec, s[26:27]
	s_and_b64 s[34:35], s[6:7], s[18:19]
	s_and_saveexec_b64 s[26:27], s[34:35]
	s_cbranch_execz .LBB7_214
.LBB7_227:
	s_and_b64 vcc, exec, s[0:1]
	s_cbranch_vccnz .LBB7_229
; %bb.228:
	v_lshl_add_u64 v[52:53], v[68:69], 2, v[50:51]
	flat_load_dword v52, v[52:53]
	s_waitcnt vmcnt(0) lgkmcnt(0)
	v_mul_f32_e32 v52, s30, v52
	s_branch .LBB7_230
.LBB7_229:
	v_mov_b32_e32 v52, 0
.LBB7_230:
	v_pk_add_f32 v[54:55], v[24:25], v[44:45]
	s_nop 0
	v_min3_f32 v53, v54, v55, v113
	v_pk_add_f32 v[54:55], v[26:27], v[46:47]
	s_nop 0
	v_min_f32_e32 v54, v54, v55
	v_min3_f32 v54, v52, v54, v53
	v_lshl_add_u64 v[52:53], v[68:69], 2, v[48:49]
	flat_store_dword v[52:53], v54
	s_or_b64 exec, exec, s[26:27]
	s_and_b64 s[34:35], s[8:9], s[18:19]
	s_and_saveexec_b64 s[26:27], s[34:35]
	s_cbranch_execz .LBB7_215
.LBB7_231:
	s_and_b64 vcc, exec, s[0:1]
	s_cbranch_vccnz .LBB7_233
; %bb.232:
	v_lshl_add_u64 v[52:53], v[70:71], 2, v[50:51]
	flat_load_dword v52, v[52:53]
	s_waitcnt vmcnt(0) lgkmcnt(0)
	v_mul_f32_e32 v52, s30, v52
	s_branch .LBB7_234
.LBB7_233:
	v_mov_b32_e32 v52, 0
.LBB7_234:
	v_pk_add_f32 v[54:55], v[20:21], v[44:45]
	s_nop 0
	v_min3_f32 v53, v54, v55, v112
	v_pk_add_f32 v[54:55], v[22:23], v[46:47]
	s_nop 0
	v_min_f32_e32 v54, v54, v55
	v_min3_f32 v54, v52, v54, v53
	v_lshl_add_u64 v[52:53], v[70:71], 2, v[48:49]
	flat_store_dword v[52:53], v54
	s_or_b64 exec, exec, s[26:27]
	s_and_b64 s[34:35], s[10:11], s[18:19]
	s_and_saveexec_b64 s[26:27], s[34:35]
	s_cbranch_execz .LBB7_216
.LBB7_235:
	s_and_b64 vcc, exec, s[0:1]
	s_cbranch_vccnz .LBB7_237
; %bb.236:
	v_lshl_add_u64 v[52:53], v[72:73], 2, v[50:51]
	flat_load_dword v52, v[52:53]
	s_waitcnt vmcnt(0) lgkmcnt(0)
	v_mul_f32_e32 v52, s30, v52
	s_branch .LBB7_238
.LBB7_237:
	v_mov_b32_e32 v52, 0
.LBB7_238:
	v_pk_add_f32 v[54:55], v[16:17], v[44:45]
	s_nop 0
	v_min3_f32 v53, v54, v55, v111
	v_pk_add_f32 v[54:55], v[18:19], v[46:47]
	s_nop 0
	v_min_f32_e32 v54, v54, v55
	v_min3_f32 v54, v52, v54, v53
	v_lshl_add_u64 v[52:53], v[72:73], 2, v[48:49]
	flat_store_dword v[52:53], v54
	s_or_b64 exec, exec, s[26:27]
	s_and_b64 s[34:35], s[12:13], s[18:19]
	s_and_saveexec_b64 s[26:27], s[34:35]
	s_cbranch_execz .LBB7_217
.LBB7_239:
	s_and_b64 vcc, exec, s[0:1]
	s_cbranch_vccnz .LBB7_241
; %bb.240:
	v_lshl_add_u64 v[52:53], v[74:75], 2, v[50:51]
	flat_load_dword v52, v[52:53]
	s_waitcnt vmcnt(0) lgkmcnt(0)
	v_mul_f32_e32 v52, s30, v52
	s_branch .LBB7_242
.LBB7_241:
	v_mov_b32_e32 v52, 0
.LBB7_242:
	v_pk_add_f32 v[54:55], v[12:13], v[44:45]
	s_nop 0
	v_min3_f32 v53, v54, v55, v110
	v_pk_add_f32 v[54:55], v[14:15], v[46:47]
	s_nop 0
	v_min_f32_e32 v54, v54, v55
	v_min3_f32 v54, v52, v54, v53
	v_lshl_add_u64 v[52:53], v[74:75], 2, v[48:49]
	flat_store_dword v[52:53], v54
	s_or_b64 exec, exec, s[26:27]
	s_and_b64 s[34:35], s[14:15], s[18:19]
	s_and_saveexec_b64 s[26:27], s[34:35]
	s_cbranch_execz .LBB7_218
.LBB7_243:
	s_and_b64 vcc, exec, s[0:1]
	s_cbranch_vccnz .LBB7_245
; %bb.244:
	v_lshl_add_u64 v[52:53], v[76:77], 2, v[50:51]
	flat_load_dword v52, v[52:53]
	s_waitcnt vmcnt(0) lgkmcnt(0)
	v_mul_f32_e32 v52, s30, v52
	s_branch .LBB7_246
.LBB7_245:
	v_mov_b32_e32 v52, 0
.LBB7_246:
	v_pk_add_f32 v[54:55], v[8:9], v[44:45]
	s_nop 0
	v_min3_f32 v53, v54, v55, v109
	v_pk_add_f32 v[54:55], v[10:11], v[46:47]
	s_nop 0
	v_min_f32_e32 v54, v54, v55
	v_min3_f32 v54, v52, v54, v53
	v_lshl_add_u64 v[52:53], v[76:77], 2, v[48:49]
	flat_store_dword v[52:53], v54
	s_or_b64 exec, exec, s[26:27]
	s_and_b64 s[26:27], s[16:17], s[18:19]
	s_and_saveexec_b64 s[18:19], s[26:27]
	s_cbranch_execz .LBB7_251
.LBB7_247:
	s_and_b64 vcc, exec, s[0:1]
	s_cbranch_vccnz .LBB7_249
; %bb.248:
	v_lshl_add_u64 v[50:51], v[78:79], 2, v[50:51]
	flat_load_dword v50, v[50:51]
	s_waitcnt vmcnt(0) lgkmcnt(0)
	v_mul_f32_e32 v50, s30, v50
	s_branch .LBB7_250
.LBB7_249:
	v_mov_b32_e32 v50, 0
.LBB7_250:
	v_pk_add_f32 v[44:45], v[0:1], v[44:45]
	s_nop 0
	v_min3_f32 v51, v44, v45, v108
	v_pk_add_f32 v[44:45], v[2:3], v[46:47]
	s_nop 0
	v_min_f32_e32 v44, v44, v45
	v_min3_f32 v46, v50, v44, v51
	v_lshl_add_u64 v[44:45], v[78:79], 2, v[48:49]
	flat_store_dword v[44:45], v46
.LBB7_251:
	s_or_b64 exec, exec, s[18:19]
	v_add_u32_e32 v48, 40, v123
	v_mad_i64_i32 v[44:45], s[26:27], v48, s29, 0
	v_cmp_gt_i32_e64 s[18:19], s21, v48
	v_lshl_add_u64 v[46:47], v[44:45], 2, s[24:25]
	v_mad_i64_i32 v[44:45], s[26:27], v48, s28, 0
	v_lshl_add_u64 v[44:45], v[44:45], 2, s[22:23]
	s_and_b64 s[34:35], s[2:3], s[18:19]
	s_and_saveexec_b64 s[26:27], s[34:35]
	s_cbranch_execnz .LBB7_259
; %bb.252:
	s_or_b64 exec, exec, s[26:27]
	s_and_b64 s[34:35], s[4:5], s[18:19]
	s_and_saveexec_b64 s[26:27], s[34:35]
	s_cbranch_execnz .LBB7_263
.LBB7_253:
	s_or_b64 exec, exec, s[26:27]
	s_and_b64 s[34:35], s[6:7], s[18:19]
	s_and_saveexec_b64 s[26:27], s[34:35]
	s_cbranch_execnz .LBB7_267
.LBB7_254:
	s_or_b64 exec, exec, s[26:27]
	s_and_b64 s[34:35], s[8:9], s[18:19]
	s_and_saveexec_b64 s[26:27], s[34:35]
	s_cbranch_execnz .LBB7_271
.LBB7_255:
	s_or_b64 exec, exec, s[26:27]
	s_and_b64 s[34:35], s[10:11], s[18:19]
	s_and_saveexec_b64 s[26:27], s[34:35]
	s_cbranch_execnz .LBB7_275
.LBB7_256:
	s_or_b64 exec, exec, s[26:27]
	s_and_b64 s[34:35], s[12:13], s[18:19]
	s_and_saveexec_b64 s[26:27], s[34:35]
	s_cbranch_execnz .LBB7_279
.LBB7_257:
	s_or_b64 exec, exec, s[26:27]
	s_and_b64 s[34:35], s[14:15], s[18:19]
	s_and_saveexec_b64 s[26:27], s[34:35]
	s_cbranch_execnz .LBB7_283
.LBB7_258:
	s_or_b64 exec, exec, s[26:27]
	s_and_b64 s[26:27], s[16:17], s[18:19]
	s_and_saveexec_b64 s[18:19], s[26:27]
	s_cbranch_execnz .LBB7_287
	s_branch .LBB7_291
.LBB7_259:
	s_and_b64 vcc, exec, s[0:1]
	s_cbranch_vccnz .LBB7_261
; %bb.260:
	v_lshl_add_u64 v[48:49], v[64:65], 2, v[46:47]
	flat_load_dword v48, v[48:49]
	s_waitcnt vmcnt(0) lgkmcnt(0)
	v_mul_f32_e32 v48, s30, v48
	s_branch .LBB7_262
.LBB7_261:
	v_mov_b32_e32 v48, 0
.LBB7_262:
	v_pk_add_f32 v[50:51], v[32:33], v[40:41]
	s_nop 0
	v_min3_f32 v49, v50, v51, v107
	v_pk_add_f32 v[50:51], v[34:35], v[42:43]
	s_nop 0
	v_min_f32_e32 v50, v50, v51
	v_min3_f32 v50, v48, v50, v49
	v_lshl_add_u64 v[48:49], v[64:65], 2, v[44:45]
	flat_store_dword v[48:49], v50
	s_or_b64 exec, exec, s[26:27]
	s_and_b64 s[34:35], s[4:5], s[18:19]
	s_and_saveexec_b64 s[26:27], s[34:35]
	s_cbranch_execz .LBB7_253
.LBB7_263:
	s_and_b64 vcc, exec, s[0:1]
	s_cbranch_vccnz .LBB7_265
; %bb.264:
	v_lshl_add_u64 v[48:49], v[66:67], 2, v[46:47]
	flat_load_dword v48, v[48:49]
	s_waitcnt vmcnt(0) lgkmcnt(0)
	v_mul_f32_e32 v48, s30, v48
	s_branch .LBB7_266
.LBB7_265:
	v_mov_b32_e32 v48, 0
.LBB7_266:
	v_pk_add_f32 v[50:51], v[28:29], v[40:41]
	s_nop 0
	v_min3_f32 v49, v50, v51, v106
	v_pk_add_f32 v[50:51], v[30:31], v[42:43]
	s_nop 0
	v_min_f32_e32 v50, v50, v51
	v_min3_f32 v50, v48, v50, v49
	v_lshl_add_u64 v[48:49], v[66:67], 2, v[44:45]
	flat_store_dword v[48:49], v50
	s_or_b64 exec, exec, s[26:27]
	s_and_b64 s[34:35], s[6:7], s[18:19]
	s_and_saveexec_b64 s[26:27], s[34:35]
	s_cbranch_execz .LBB7_254
.LBB7_267:
	s_and_b64 vcc, exec, s[0:1]
	s_cbranch_vccnz .LBB7_269
; %bb.268:
	v_lshl_add_u64 v[48:49], v[68:69], 2, v[46:47]
	flat_load_dword v48, v[48:49]
	s_waitcnt vmcnt(0) lgkmcnt(0)
	v_mul_f32_e32 v48, s30, v48
	s_branch .LBB7_270
.LBB7_269:
	v_mov_b32_e32 v48, 0
.LBB7_270:
	v_pk_add_f32 v[50:51], v[24:25], v[40:41]
	s_nop 0
	v_min3_f32 v49, v50, v51, v105
	v_pk_add_f32 v[50:51], v[26:27], v[42:43]
	s_nop 0
	v_min_f32_e32 v50, v50, v51
	v_min3_f32 v50, v48, v50, v49
	v_lshl_add_u64 v[48:49], v[68:69], 2, v[44:45]
	flat_store_dword v[48:49], v50
	s_or_b64 exec, exec, s[26:27]
	s_and_b64 s[34:35], s[8:9], s[18:19]
	s_and_saveexec_b64 s[26:27], s[34:35]
	s_cbranch_execz .LBB7_255
.LBB7_271:
	s_and_b64 vcc, exec, s[0:1]
	s_cbranch_vccnz .LBB7_273
; %bb.272:
	v_lshl_add_u64 v[48:49], v[70:71], 2, v[46:47]
	flat_load_dword v48, v[48:49]
	s_waitcnt vmcnt(0) lgkmcnt(0)
	v_mul_f32_e32 v48, s30, v48
	s_branch .LBB7_274
.LBB7_273:
	v_mov_b32_e32 v48, 0
.LBB7_274:
	v_pk_add_f32 v[50:51], v[20:21], v[40:41]
	s_nop 0
	v_min3_f32 v49, v50, v51, v104
	v_pk_add_f32 v[50:51], v[22:23], v[42:43]
	s_nop 0
	v_min_f32_e32 v50, v50, v51
	v_min3_f32 v50, v48, v50, v49
	v_lshl_add_u64 v[48:49], v[70:71], 2, v[44:45]
	flat_store_dword v[48:49], v50
	s_or_b64 exec, exec, s[26:27]
	s_and_b64 s[34:35], s[10:11], s[18:19]
	s_and_saveexec_b64 s[26:27], s[34:35]
	s_cbranch_execz .LBB7_256
.LBB7_275:
	s_and_b64 vcc, exec, s[0:1]
	s_cbranch_vccnz .LBB7_277
; %bb.276:
	v_lshl_add_u64 v[48:49], v[72:73], 2, v[46:47]
	flat_load_dword v48, v[48:49]
	s_waitcnt vmcnt(0) lgkmcnt(0)
	v_mul_f32_e32 v48, s30, v48
	s_branch .LBB7_278
.LBB7_277:
	v_mov_b32_e32 v48, 0
.LBB7_278:
	v_pk_add_f32 v[50:51], v[16:17], v[40:41]
	s_nop 0
	v_min3_f32 v49, v50, v51, v103
	v_pk_add_f32 v[50:51], v[18:19], v[42:43]
	s_nop 0
	v_min_f32_e32 v50, v50, v51
	v_min3_f32 v50, v48, v50, v49
	v_lshl_add_u64 v[48:49], v[72:73], 2, v[44:45]
	flat_store_dword v[48:49], v50
	s_or_b64 exec, exec, s[26:27]
	s_and_b64 s[34:35], s[12:13], s[18:19]
	s_and_saveexec_b64 s[26:27], s[34:35]
	s_cbranch_execz .LBB7_257
.LBB7_279:
	s_and_b64 vcc, exec, s[0:1]
	s_cbranch_vccnz .LBB7_281
; %bb.280:
	v_lshl_add_u64 v[48:49], v[74:75], 2, v[46:47]
	flat_load_dword v48, v[48:49]
	s_waitcnt vmcnt(0) lgkmcnt(0)
	v_mul_f32_e32 v48, s30, v48
	s_branch .LBB7_282
.LBB7_281:
	v_mov_b32_e32 v48, 0
.LBB7_282:
	v_pk_add_f32 v[50:51], v[12:13], v[40:41]
	s_nop 0
	v_min3_f32 v49, v50, v51, v102
	v_pk_add_f32 v[50:51], v[14:15], v[42:43]
	s_nop 0
	v_min_f32_e32 v50, v50, v51
	v_min3_f32 v50, v48, v50, v49
	v_lshl_add_u64 v[48:49], v[74:75], 2, v[44:45]
	flat_store_dword v[48:49], v50
	s_or_b64 exec, exec, s[26:27]
	s_and_b64 s[34:35], s[14:15], s[18:19]
	s_and_saveexec_b64 s[26:27], s[34:35]
	s_cbranch_execz .LBB7_258
.LBB7_283:
	s_and_b64 vcc, exec, s[0:1]
	s_cbranch_vccnz .LBB7_285
; %bb.284:
	v_lshl_add_u64 v[48:49], v[76:77], 2, v[46:47]
	flat_load_dword v48, v[48:49]
	s_waitcnt vmcnt(0) lgkmcnt(0)
	v_mul_f32_e32 v48, s30, v48
	s_branch .LBB7_286
.LBB7_285:
	v_mov_b32_e32 v48, 0
.LBB7_286:
	v_pk_add_f32 v[50:51], v[8:9], v[40:41]
	s_nop 0
	v_min3_f32 v49, v50, v51, v101
	v_pk_add_f32 v[50:51], v[10:11], v[42:43]
	s_nop 0
	v_min_f32_e32 v50, v50, v51
	v_min3_f32 v50, v48, v50, v49
	v_lshl_add_u64 v[48:49], v[76:77], 2, v[44:45]
	flat_store_dword v[48:49], v50
	s_or_b64 exec, exec, s[26:27]
	s_and_b64 s[26:27], s[16:17], s[18:19]
	s_and_saveexec_b64 s[18:19], s[26:27]
	s_cbranch_execz .LBB7_291
.LBB7_287:
	s_and_b64 vcc, exec, s[0:1]
	s_cbranch_vccnz .LBB7_289
; %bb.288:
	v_lshl_add_u64 v[46:47], v[78:79], 2, v[46:47]
	flat_load_dword v46, v[46:47]
	s_waitcnt vmcnt(0) lgkmcnt(0)
	v_mul_f32_e32 v46, s30, v46
	s_branch .LBB7_290
.LBB7_289:
	v_mov_b32_e32 v46, 0
.LBB7_290:
	v_pk_add_f32 v[40:41], v[0:1], v[40:41]
	s_nop 0
	v_min3_f32 v47, v40, v41, v100
	v_pk_add_f32 v[40:41], v[2:3], v[42:43]
	s_nop 0
	v_min_f32_e32 v40, v40, v41
	v_min3_f32 v42, v46, v40, v47
	v_lshl_add_u64 v[40:41], v[78:79], 2, v[44:45]
	flat_store_dword v[40:41], v42
.LBB7_291:
	s_or_b64 exec, exec, s[18:19]
	v_add_u32_e32 v44, 48, v123
	v_mad_i64_i32 v[40:41], s[26:27], v44, s29, 0
	v_cmp_gt_i32_e64 s[18:19], s21, v44
	v_lshl_add_u64 v[42:43], v[40:41], 2, s[24:25]
	v_mad_i64_i32 v[40:41], s[26:27], v44, s28, 0
	v_lshl_add_u64 v[40:41], v[40:41], 2, s[22:23]
	s_and_b64 s[34:35], s[2:3], s[18:19]
	s_and_saveexec_b64 s[26:27], s[34:35]
	s_cbranch_execnz .LBB7_299
; %bb.292:
	s_or_b64 exec, exec, s[26:27]
	s_and_b64 s[34:35], s[4:5], s[18:19]
	s_and_saveexec_b64 s[26:27], s[34:35]
	s_cbranch_execnz .LBB7_303
.LBB7_293:
	s_or_b64 exec, exec, s[26:27]
	s_and_b64 s[34:35], s[6:7], s[18:19]
	s_and_saveexec_b64 s[26:27], s[34:35]
	s_cbranch_execnz .LBB7_307
.LBB7_294:
	s_or_b64 exec, exec, s[26:27]
	s_and_b64 s[34:35], s[8:9], s[18:19]
	s_and_saveexec_b64 s[26:27], s[34:35]
	s_cbranch_execnz .LBB7_311
.LBB7_295:
	s_or_b64 exec, exec, s[26:27]
	s_and_b64 s[34:35], s[10:11], s[18:19]
	s_and_saveexec_b64 s[26:27], s[34:35]
	s_cbranch_execnz .LBB7_315
.LBB7_296:
	s_or_b64 exec, exec, s[26:27]
	s_and_b64 s[34:35], s[12:13], s[18:19]
	s_and_saveexec_b64 s[26:27], s[34:35]
	s_cbranch_execnz .LBB7_319
.LBB7_297:
	s_or_b64 exec, exec, s[26:27]
	s_and_b64 s[34:35], s[14:15], s[18:19]
	s_and_saveexec_b64 s[26:27], s[34:35]
	s_cbranch_execnz .LBB7_323
.LBB7_298:
	s_or_b64 exec, exec, s[26:27]
	s_and_b64 s[26:27], s[16:17], s[18:19]
	s_and_saveexec_b64 s[18:19], s[26:27]
	s_cbranch_execnz .LBB7_327
	s_branch .LBB7_331
.LBB7_299:
	s_and_b64 vcc, exec, s[0:1]
	s_cbranch_vccnz .LBB7_301
; %bb.300:
	v_lshl_add_u64 v[44:45], v[64:65], 2, v[42:43]
	flat_load_dword v44, v[44:45]
	s_waitcnt vmcnt(0) lgkmcnt(0)
	v_mul_f32_e32 v44, s30, v44
	s_branch .LBB7_302
.LBB7_301:
	v_mov_b32_e32 v44, 0
.LBB7_302:
	v_pk_add_f32 v[46:47], v[32:33], v[36:37]
	s_nop 0
	v_min3_f32 v45, v46, v47, v99
	v_pk_add_f32 v[46:47], v[34:35], v[38:39]
	s_nop 0
	v_min_f32_e32 v46, v46, v47
	v_min3_f32 v46, v44, v46, v45
	v_lshl_add_u64 v[44:45], v[64:65], 2, v[40:41]
	flat_store_dword v[44:45], v46
	s_or_b64 exec, exec, s[26:27]
	s_and_b64 s[34:35], s[4:5], s[18:19]
	s_and_saveexec_b64 s[26:27], s[34:35]
	s_cbranch_execz .LBB7_293
.LBB7_303:
	s_and_b64 vcc, exec, s[0:1]
	s_cbranch_vccnz .LBB7_305
; %bb.304:
	v_lshl_add_u64 v[44:45], v[66:67], 2, v[42:43]
	flat_load_dword v44, v[44:45]
	s_waitcnt vmcnt(0) lgkmcnt(0)
	v_mul_f32_e32 v44, s30, v44
	s_branch .LBB7_306
.LBB7_305:
	v_mov_b32_e32 v44, 0
.LBB7_306:
	v_pk_add_f32 v[46:47], v[28:29], v[36:37]
	s_nop 0
	v_min3_f32 v45, v46, v47, v98
	v_pk_add_f32 v[46:47], v[30:31], v[38:39]
	s_nop 0
	v_min_f32_e32 v46, v46, v47
	v_min3_f32 v46, v44, v46, v45
	v_lshl_add_u64 v[44:45], v[66:67], 2, v[40:41]
	flat_store_dword v[44:45], v46
	s_or_b64 exec, exec, s[26:27]
	s_and_b64 s[34:35], s[6:7], s[18:19]
	s_and_saveexec_b64 s[26:27], s[34:35]
	s_cbranch_execz .LBB7_294
.LBB7_307:
	s_and_b64 vcc, exec, s[0:1]
	s_cbranch_vccnz .LBB7_309
; %bb.308:
	v_lshl_add_u64 v[44:45], v[68:69], 2, v[42:43]
	flat_load_dword v44, v[44:45]
	s_waitcnt vmcnt(0) lgkmcnt(0)
	v_mul_f32_e32 v44, s30, v44
	s_branch .LBB7_310
.LBB7_309:
	v_mov_b32_e32 v44, 0
.LBB7_310:
	v_pk_add_f32 v[46:47], v[24:25], v[36:37]
	s_nop 0
	v_min3_f32 v45, v46, v47, v97
	v_pk_add_f32 v[46:47], v[26:27], v[38:39]
	s_nop 0
	v_min_f32_e32 v46, v46, v47
	v_min3_f32 v46, v44, v46, v45
	v_lshl_add_u64 v[44:45], v[68:69], 2, v[40:41]
	flat_store_dword v[44:45], v46
	s_or_b64 exec, exec, s[26:27]
	s_and_b64 s[34:35], s[8:9], s[18:19]
	s_and_saveexec_b64 s[26:27], s[34:35]
	s_cbranch_execz .LBB7_295
.LBB7_311:
	s_and_b64 vcc, exec, s[0:1]
	s_cbranch_vccnz .LBB7_313
; %bb.312:
	v_lshl_add_u64 v[44:45], v[70:71], 2, v[42:43]
	flat_load_dword v44, v[44:45]
	s_waitcnt vmcnt(0) lgkmcnt(0)
	v_mul_f32_e32 v44, s30, v44
	s_branch .LBB7_314
.LBB7_313:
	v_mov_b32_e32 v44, 0
.LBB7_314:
	v_pk_add_f32 v[46:47], v[20:21], v[36:37]
	s_nop 0
	v_min3_f32 v45, v46, v47, v96
	v_pk_add_f32 v[46:47], v[22:23], v[38:39]
	s_nop 0
	v_min_f32_e32 v46, v46, v47
	v_min3_f32 v46, v44, v46, v45
	v_lshl_add_u64 v[44:45], v[70:71], 2, v[40:41]
	flat_store_dword v[44:45], v46
	s_or_b64 exec, exec, s[26:27]
	s_and_b64 s[34:35], s[10:11], s[18:19]
	s_and_saveexec_b64 s[26:27], s[34:35]
	s_cbranch_execz .LBB7_296
.LBB7_315:
	s_and_b64 vcc, exec, s[0:1]
	s_cbranch_vccnz .LBB7_317
; %bb.316:
	v_lshl_add_u64 v[44:45], v[72:73], 2, v[42:43]
	flat_load_dword v44, v[44:45]
	s_waitcnt vmcnt(0) lgkmcnt(0)
	v_mul_f32_e32 v44, s30, v44
	s_branch .LBB7_318
.LBB7_317:
	v_mov_b32_e32 v44, 0
.LBB7_318:
	v_pk_add_f32 v[46:47], v[16:17], v[36:37]
	s_nop 0
	v_min3_f32 v45, v46, v47, v95
	v_pk_add_f32 v[46:47], v[18:19], v[38:39]
	s_nop 0
	v_min_f32_e32 v46, v46, v47
	v_min3_f32 v46, v44, v46, v45
	v_lshl_add_u64 v[44:45], v[72:73], 2, v[40:41]
	flat_store_dword v[44:45], v46
	s_or_b64 exec, exec, s[26:27]
	s_and_b64 s[34:35], s[12:13], s[18:19]
	s_and_saveexec_b64 s[26:27], s[34:35]
	s_cbranch_execz .LBB7_297
.LBB7_319:
	s_and_b64 vcc, exec, s[0:1]
	s_cbranch_vccnz .LBB7_321
; %bb.320:
	v_lshl_add_u64 v[44:45], v[74:75], 2, v[42:43]
	flat_load_dword v44, v[44:45]
	s_waitcnt vmcnt(0) lgkmcnt(0)
	v_mul_f32_e32 v44, s30, v44
	s_branch .LBB7_322
.LBB7_321:
	v_mov_b32_e32 v44, 0
.LBB7_322:
	v_pk_add_f32 v[46:47], v[12:13], v[36:37]
	s_nop 0
	v_min3_f32 v45, v46, v47, v94
	v_pk_add_f32 v[46:47], v[14:15], v[38:39]
	s_nop 0
	v_min_f32_e32 v46, v46, v47
	v_min3_f32 v46, v44, v46, v45
	v_lshl_add_u64 v[44:45], v[74:75], 2, v[40:41]
	flat_store_dword v[44:45], v46
	s_or_b64 exec, exec, s[26:27]
	s_and_b64 s[34:35], s[14:15], s[18:19]
	s_and_saveexec_b64 s[26:27], s[34:35]
	s_cbranch_execz .LBB7_298
.LBB7_323:
	s_and_b64 vcc, exec, s[0:1]
	s_cbranch_vccnz .LBB7_325
; %bb.324:
	v_lshl_add_u64 v[44:45], v[76:77], 2, v[42:43]
	flat_load_dword v44, v[44:45]
	s_waitcnt vmcnt(0) lgkmcnt(0)
	v_mul_f32_e32 v44, s30, v44
	s_branch .LBB7_326
.LBB7_325:
	v_mov_b32_e32 v44, 0
.LBB7_326:
	v_pk_add_f32 v[46:47], v[8:9], v[36:37]
	s_nop 0
	v_min3_f32 v45, v46, v47, v93
	v_pk_add_f32 v[46:47], v[10:11], v[38:39]
	s_nop 0
	v_min_f32_e32 v46, v46, v47
	v_min3_f32 v46, v44, v46, v45
	v_lshl_add_u64 v[44:45], v[76:77], 2, v[40:41]
	flat_store_dword v[44:45], v46
	s_or_b64 exec, exec, s[26:27]
	s_and_b64 s[26:27], s[16:17], s[18:19]
	s_and_saveexec_b64 s[18:19], s[26:27]
	s_cbranch_execz .LBB7_331
.LBB7_327:
	s_and_b64 vcc, exec, s[0:1]
	s_cbranch_vccnz .LBB7_329
; %bb.328:
	v_lshl_add_u64 v[42:43], v[78:79], 2, v[42:43]
	flat_load_dword v42, v[42:43]
	s_waitcnt vmcnt(0) lgkmcnt(0)
	v_mul_f32_e32 v42, s30, v42
	s_branch .LBB7_330
.LBB7_329:
	v_mov_b32_e32 v42, 0
.LBB7_330:
	v_pk_add_f32 v[36:37], v[0:1], v[36:37]
	s_nop 0
	v_min3_f32 v43, v36, v37, v92
	v_pk_add_f32 v[36:37], v[2:3], v[38:39]
	s_nop 0
	v_min_f32_e32 v36, v36, v37
	v_min3_f32 v38, v42, v36, v43
	v_lshl_add_u64 v[36:37], v[78:79], 2, v[40:41]
	flat_store_dword v[36:37], v38
.LBB7_331:
	s_or_b64 exec, exec, s[18:19]
	v_add_u32_e32 v40, 56, v123
	v_cmp_gt_i32_e64 s[18:19], s21, v40
	v_mad_i64_i32 v[36:37], s[20:21], v40, s29, 0
	v_lshl_add_u64 v[38:39], v[36:37], 2, s[24:25]
	v_mad_i64_i32 v[36:37], s[20:21], v40, s28, 0
	v_lshl_add_u64 v[36:37], v[36:37], 2, s[22:23]
	s_and_b64 s[20:21], s[2:3], s[18:19]
	s_and_saveexec_b64 s[2:3], s[20:21]
	s_cbranch_execnz .LBB7_340
; %bb.332:
	s_or_b64 exec, exec, s[2:3]
	s_and_b64 s[4:5], s[4:5], s[18:19]
	s_and_saveexec_b64 s[2:3], s[4:5]
	s_cbranch_execnz .LBB7_344
.LBB7_333:
	s_or_b64 exec, exec, s[2:3]
	s_and_b64 s[4:5], s[6:7], s[18:19]
	s_and_saveexec_b64 s[2:3], s[4:5]
	s_cbranch_execnz .LBB7_348
.LBB7_334:
	s_or_b64 exec, exec, s[2:3]
	s_and_b64 s[4:5], s[8:9], s[18:19]
	s_and_saveexec_b64 s[2:3], s[4:5]
	s_cbranch_execnz .LBB7_352
.LBB7_335:
	s_or_b64 exec, exec, s[2:3]
	s_and_b64 s[4:5], s[10:11], s[18:19]
	s_and_saveexec_b64 s[2:3], s[4:5]
	s_cbranch_execnz .LBB7_356
.LBB7_336:
	s_or_b64 exec, exec, s[2:3]
	s_and_b64 s[4:5], s[12:13], s[18:19]
	s_and_saveexec_b64 s[2:3], s[4:5]
	s_cbranch_execnz .LBB7_360
.LBB7_337:
	s_or_b64 exec, exec, s[2:3]
	s_and_b64 s[4:5], s[14:15], s[18:19]
	s_and_saveexec_b64 s[2:3], s[4:5]
	s_cbranch_execnz .LBB7_364
.LBB7_338:
	s_or_b64 exec, exec, s[2:3]
	s_and_b64 s[2:3], s[16:17], s[18:19]
	s_and_saveexec_b64 s[4:5], s[2:3]
	s_cbranch_execnz .LBB7_368
.LBB7_339:
	s_endpgm
.LBB7_340:
	s_and_b64 vcc, exec, s[0:1]
	s_cbranch_vccnz .LBB7_342
; %bb.341:
	v_lshl_add_u64 v[40:41], v[64:65], 2, v[38:39]
	flat_load_dword v40, v[40:41]
	s_waitcnt vmcnt(0) lgkmcnt(0)
	v_mul_f32_e32 v40, s30, v40
	s_branch .LBB7_343
.LBB7_342:
	v_mov_b32_e32 v40, 0
.LBB7_343:
	v_pk_add_f32 v[32:33], v[32:33], v[4:5]
	s_nop 0
	v_min3_f32 v41, v32, v33, v91
	v_pk_add_f32 v[32:33], v[34:35], v[6:7]
	s_nop 0
	v_min_f32_e32 v32, v32, v33
	v_min3_f32 v34, v40, v32, v41
	v_lshl_add_u64 v[32:33], v[64:65], 2, v[36:37]
	flat_store_dword v[32:33], v34
	s_or_b64 exec, exec, s[2:3]
	s_and_b64 s[4:5], s[4:5], s[18:19]
	s_and_saveexec_b64 s[2:3], s[4:5]
	s_cbranch_execz .LBB7_333
.LBB7_344:
	s_and_b64 vcc, exec, s[0:1]
	s_cbranch_vccnz .LBB7_346
; %bb.345:
	v_lshl_add_u64 v[32:33], v[66:67], 2, v[38:39]
	flat_load_dword v32, v[32:33]
	s_waitcnt vmcnt(0) lgkmcnt(0)
	v_mul_f32_e32 v32, s30, v32
	s_branch .LBB7_347
.LBB7_346:
	v_mov_b32_e32 v32, 0
.LBB7_347:
	v_pk_add_f32 v[28:29], v[28:29], v[4:5]
	s_nop 0
	v_min3_f32 v33, v28, v29, v90
	v_pk_add_f32 v[28:29], v[30:31], v[6:7]
	s_nop 0
	v_min_f32_e32 v28, v28, v29
	v_min3_f32 v30, v32, v28, v33
	v_lshl_add_u64 v[28:29], v[66:67], 2, v[36:37]
	flat_store_dword v[28:29], v30
	s_or_b64 exec, exec, s[2:3]
	s_and_b64 s[4:5], s[6:7], s[18:19]
	s_and_saveexec_b64 s[2:3], s[4:5]
	s_cbranch_execz .LBB7_334
.LBB7_348:
	s_and_b64 vcc, exec, s[0:1]
	s_cbranch_vccnz .LBB7_350
; %bb.349:
	v_lshl_add_u64 v[28:29], v[68:69], 2, v[38:39]
	flat_load_dword v28, v[28:29]
	s_waitcnt vmcnt(0) lgkmcnt(0)
	v_mul_f32_e32 v28, s30, v28
	s_branch .LBB7_351
.LBB7_350:
	v_mov_b32_e32 v28, 0
.LBB7_351:
	v_pk_add_f32 v[24:25], v[24:25], v[4:5]
	s_nop 0
	v_min3_f32 v29, v24, v25, v89
	v_pk_add_f32 v[24:25], v[26:27], v[6:7]
	s_nop 0
	v_min_f32_e32 v24, v24, v25
	v_min3_f32 v26, v28, v24, v29
	v_lshl_add_u64 v[24:25], v[68:69], 2, v[36:37]
	flat_store_dword v[24:25], v26
	s_or_b64 exec, exec, s[2:3]
	s_and_b64 s[4:5], s[8:9], s[18:19]
	s_and_saveexec_b64 s[2:3], s[4:5]
	s_cbranch_execz .LBB7_335
.LBB7_352:
	s_and_b64 vcc, exec, s[0:1]
	s_cbranch_vccnz .LBB7_354
; %bb.353:
	v_lshl_add_u64 v[24:25], v[70:71], 2, v[38:39]
	flat_load_dword v24, v[24:25]
	s_waitcnt vmcnt(0) lgkmcnt(0)
	v_mul_f32_e32 v24, s30, v24
	s_branch .LBB7_355
.LBB7_354:
	v_mov_b32_e32 v24, 0
.LBB7_355:
	v_pk_add_f32 v[20:21], v[20:21], v[4:5]
	s_nop 0
	v_min3_f32 v25, v20, v21, v87
	v_pk_add_f32 v[20:21], v[22:23], v[6:7]
	s_nop 0
	v_min_f32_e32 v20, v20, v21
	v_min3_f32 v22, v24, v20, v25
	v_lshl_add_u64 v[20:21], v[70:71], 2, v[36:37]
	flat_store_dword v[20:21], v22
	s_or_b64 exec, exec, s[2:3]
	s_and_b64 s[4:5], s[10:11], s[18:19]
	s_and_saveexec_b64 s[2:3], s[4:5]
	s_cbranch_execz .LBB7_336
.LBB7_356:
	s_and_b64 vcc, exec, s[0:1]
	s_cbranch_vccnz .LBB7_358
; %bb.357:
	v_lshl_add_u64 v[20:21], v[72:73], 2, v[38:39]
	flat_load_dword v20, v[20:21]
	s_waitcnt vmcnt(0) lgkmcnt(0)
	v_mul_f32_e32 v20, s30, v20
	s_branch .LBB7_359
.LBB7_358:
	v_mov_b32_e32 v20, 0
.LBB7_359:
	v_pk_add_f32 v[16:17], v[16:17], v[4:5]
	s_nop 0
	v_min3_f32 v21, v16, v17, v86
	v_pk_add_f32 v[16:17], v[18:19], v[6:7]
	s_nop 0
	v_min_f32_e32 v16, v16, v17
	v_min3_f32 v18, v20, v16, v21
	v_lshl_add_u64 v[16:17], v[72:73], 2, v[36:37]
	flat_store_dword v[16:17], v18
	s_or_b64 exec, exec, s[2:3]
	s_and_b64 s[4:5], s[12:13], s[18:19]
	s_and_saveexec_b64 s[2:3], s[4:5]
	s_cbranch_execz .LBB7_337
.LBB7_360:
	s_and_b64 vcc, exec, s[0:1]
	s_cbranch_vccnz .LBB7_362
; %bb.361:
	v_lshl_add_u64 v[16:17], v[74:75], 2, v[38:39]
	flat_load_dword v16, v[16:17]
	s_waitcnt vmcnt(0) lgkmcnt(0)
	v_mul_f32_e32 v16, s30, v16
	s_branch .LBB7_363
.LBB7_362:
	v_mov_b32_e32 v16, 0
.LBB7_363:
	v_pk_add_f32 v[12:13], v[12:13], v[4:5]
	s_nop 0
	v_min3_f32 v17, v12, v13, v85
	v_pk_add_f32 v[12:13], v[14:15], v[6:7]
	s_nop 0
	v_min_f32_e32 v12, v12, v13
	v_min3_f32 v14, v16, v12, v17
	v_lshl_add_u64 v[12:13], v[74:75], 2, v[36:37]
	flat_store_dword v[12:13], v14
	s_or_b64 exec, exec, s[2:3]
	s_and_b64 s[4:5], s[14:15], s[18:19]
	s_and_saveexec_b64 s[2:3], s[4:5]
	s_cbranch_execz .LBB7_338
.LBB7_364:
	s_and_b64 vcc, exec, s[0:1]
	s_cbranch_vccnz .LBB7_366
; %bb.365:
	v_lshl_add_u64 v[12:13], v[76:77], 2, v[38:39]
	flat_load_dword v12, v[12:13]
	s_waitcnt vmcnt(0) lgkmcnt(0)
	v_mul_f32_e32 v12, s30, v12
	s_branch .LBB7_367
.LBB7_366:
	v_mov_b32_e32 v12, 0
.LBB7_367:
	v_pk_add_f32 v[8:9], v[8:9], v[4:5]
	s_nop 0
	v_min3_f32 v13, v8, v9, v84
	v_pk_add_f32 v[8:9], v[10:11], v[6:7]
	s_nop 0
	v_min_f32_e32 v8, v8, v9
	v_min3_f32 v10, v12, v8, v13
	v_lshl_add_u64 v[8:9], v[76:77], 2, v[36:37]
	flat_store_dword v[8:9], v10
	s_or_b64 exec, exec, s[2:3]
	s_and_b64 s[2:3], s[16:17], s[18:19]
	s_and_saveexec_b64 s[4:5], s[2:3]
	s_cbranch_execz .LBB7_339
.LBB7_368:
	s_and_b64 vcc, exec, s[0:1]
	s_cbranch_vccnz .LBB7_370
; %bb.369:
	v_lshl_add_u64 v[8:9], v[78:79], 2, v[38:39]
	flat_load_dword v8, v[8:9]
	s_waitcnt vmcnt(0) lgkmcnt(0)
	v_mul_f32_e32 v8, s30, v8
	s_branch .LBB7_371
.LBB7_370:
	v_mov_b32_e32 v8, 0
.LBB7_371:
	v_pk_add_f32 v[0:1], v[0:1], v[4:5]
	s_nop 0
	v_min3_f32 v4, v0, v1, v88
	v_pk_add_f32 v[0:1], v[2:3], v[6:7]
	s_nop 0
	v_min_f32_e32 v0, v0, v1
	v_min3_f32 v2, v8, v0, v4
	v_lshl_add_u64 v[0:1], v[78:79], 2, v[36:37]
	flat_store_dword v[0:1], v2
	s_endpgm
	.section	.rodata,"a",@progbits
	.p2align	6, 0x0
	.amdhsa_kernel _ZN12_GLOBAL__N_120geam_min_plus_kernelIf15HIP_vector_typeIfLj2EEfLi32ELi8ELi256ELi64ELi4ELi64ELi4ELi4ELi64ELc78ELc78ELb1ELb1ELb1EfKPKfKPfEEviiiT16_PT17_ilSA_ilS8_SA_ilPT18_ili26rocblas_geam_ex_operation_
		.amdhsa_group_segment_fixed_size 10240
		.amdhsa_private_segment_fixed_size 0
		.amdhsa_kernarg_size 128
		.amdhsa_user_sgpr_count 2
		.amdhsa_user_sgpr_dispatch_ptr 0
		.amdhsa_user_sgpr_queue_ptr 0
		.amdhsa_user_sgpr_kernarg_segment_ptr 1
		.amdhsa_user_sgpr_dispatch_id 0
		.amdhsa_user_sgpr_kernarg_preload_length 0
		.amdhsa_user_sgpr_kernarg_preload_offset 0
		.amdhsa_user_sgpr_private_segment_size 0
		.amdhsa_uses_dynamic_stack 0
		.amdhsa_enable_private_segment 0
		.amdhsa_system_sgpr_workgroup_id_x 1
		.amdhsa_system_sgpr_workgroup_id_y 0
		.amdhsa_system_sgpr_workgroup_id_z 1
		.amdhsa_system_sgpr_workgroup_info 0
		.amdhsa_system_vgpr_workitem_id 1
		.amdhsa_next_free_vgpr 161
		.amdhsa_next_free_sgpr 38
		.amdhsa_accum_offset 164
		.amdhsa_reserve_vcc 1
		.amdhsa_float_round_mode_32 0
		.amdhsa_float_round_mode_16_64 0
		.amdhsa_float_denorm_mode_32 3
		.amdhsa_float_denorm_mode_16_64 3
		.amdhsa_dx10_clamp 1
		.amdhsa_ieee_mode 1
		.amdhsa_fp16_overflow 0
		.amdhsa_tg_split 0
		.amdhsa_exception_fp_ieee_invalid_op 0
		.amdhsa_exception_fp_denorm_src 0
		.amdhsa_exception_fp_ieee_div_zero 0
		.amdhsa_exception_fp_ieee_overflow 0
		.amdhsa_exception_fp_ieee_underflow 0
		.amdhsa_exception_fp_ieee_inexact 0
		.amdhsa_exception_int_div_zero 0
	.end_amdhsa_kernel
	.section	.text._ZN12_GLOBAL__N_120geam_min_plus_kernelIf15HIP_vector_typeIfLj2EEfLi32ELi8ELi256ELi64ELi4ELi64ELi4ELi4ELi64ELc78ELc78ELb1ELb1ELb1EfKPKfKPfEEviiiT16_PT17_ilSA_ilS8_SA_ilPT18_ili26rocblas_geam_ex_operation_,"axG",@progbits,_ZN12_GLOBAL__N_120geam_min_plus_kernelIf15HIP_vector_typeIfLj2EEfLi32ELi8ELi256ELi64ELi4ELi64ELi4ELi4ELi64ELc78ELc78ELb1ELb1ELb1EfKPKfKPfEEviiiT16_PT17_ilSA_ilS8_SA_ilPT18_ili26rocblas_geam_ex_operation_,comdat
.Lfunc_end7:
	.size	_ZN12_GLOBAL__N_120geam_min_plus_kernelIf15HIP_vector_typeIfLj2EEfLi32ELi8ELi256ELi64ELi4ELi64ELi4ELi4ELi64ELc78ELc78ELb1ELb1ELb1EfKPKfKPfEEviiiT16_PT17_ilSA_ilS8_SA_ilPT18_ili26rocblas_geam_ex_operation_, .Lfunc_end7-_ZN12_GLOBAL__N_120geam_min_plus_kernelIf15HIP_vector_typeIfLj2EEfLi32ELi8ELi256ELi64ELi4ELi64ELi4ELi4ELi64ELc78ELc78ELb1ELb1ELb1EfKPKfKPfEEviiiT16_PT17_ilSA_ilS8_SA_ilPT18_ili26rocblas_geam_ex_operation_
                                        ; -- End function
	.set _ZN12_GLOBAL__N_120geam_min_plus_kernelIf15HIP_vector_typeIfLj2EEfLi32ELi8ELi256ELi64ELi4ELi64ELi4ELi4ELi64ELc78ELc78ELb1ELb1ELb1EfKPKfKPfEEviiiT16_PT17_ilSA_ilS8_SA_ilPT18_ili26rocblas_geam_ex_operation_.num_vgpr, 161
	.set _ZN12_GLOBAL__N_120geam_min_plus_kernelIf15HIP_vector_typeIfLj2EEfLi32ELi8ELi256ELi64ELi4ELi64ELi4ELi4ELi64ELc78ELc78ELb1ELb1ELb1EfKPKfKPfEEviiiT16_PT17_ilSA_ilS8_SA_ilPT18_ili26rocblas_geam_ex_operation_.num_agpr, 0
	.set _ZN12_GLOBAL__N_120geam_min_plus_kernelIf15HIP_vector_typeIfLj2EEfLi32ELi8ELi256ELi64ELi4ELi64ELi4ELi4ELi64ELc78ELc78ELb1ELb1ELb1EfKPKfKPfEEviiiT16_PT17_ilSA_ilS8_SA_ilPT18_ili26rocblas_geam_ex_operation_.numbered_sgpr, 38
	.set _ZN12_GLOBAL__N_120geam_min_plus_kernelIf15HIP_vector_typeIfLj2EEfLi32ELi8ELi256ELi64ELi4ELi64ELi4ELi4ELi64ELc78ELc78ELb1ELb1ELb1EfKPKfKPfEEviiiT16_PT17_ilSA_ilS8_SA_ilPT18_ili26rocblas_geam_ex_operation_.num_named_barrier, 0
	.set _ZN12_GLOBAL__N_120geam_min_plus_kernelIf15HIP_vector_typeIfLj2EEfLi32ELi8ELi256ELi64ELi4ELi64ELi4ELi4ELi64ELc78ELc78ELb1ELb1ELb1EfKPKfKPfEEviiiT16_PT17_ilSA_ilS8_SA_ilPT18_ili26rocblas_geam_ex_operation_.private_seg_size, 0
	.set _ZN12_GLOBAL__N_120geam_min_plus_kernelIf15HIP_vector_typeIfLj2EEfLi32ELi8ELi256ELi64ELi4ELi64ELi4ELi4ELi64ELc78ELc78ELb1ELb1ELb1EfKPKfKPfEEviiiT16_PT17_ilSA_ilS8_SA_ilPT18_ili26rocblas_geam_ex_operation_.uses_vcc, 1
	.set _ZN12_GLOBAL__N_120geam_min_plus_kernelIf15HIP_vector_typeIfLj2EEfLi32ELi8ELi256ELi64ELi4ELi64ELi4ELi4ELi64ELc78ELc78ELb1ELb1ELb1EfKPKfKPfEEviiiT16_PT17_ilSA_ilS8_SA_ilPT18_ili26rocblas_geam_ex_operation_.uses_flat_scratch, 0
	.set _ZN12_GLOBAL__N_120geam_min_plus_kernelIf15HIP_vector_typeIfLj2EEfLi32ELi8ELi256ELi64ELi4ELi64ELi4ELi4ELi64ELc78ELc78ELb1ELb1ELb1EfKPKfKPfEEviiiT16_PT17_ilSA_ilS8_SA_ilPT18_ili26rocblas_geam_ex_operation_.has_dyn_sized_stack, 0
	.set _ZN12_GLOBAL__N_120geam_min_plus_kernelIf15HIP_vector_typeIfLj2EEfLi32ELi8ELi256ELi64ELi4ELi64ELi4ELi4ELi64ELc78ELc78ELb1ELb1ELb1EfKPKfKPfEEviiiT16_PT17_ilSA_ilS8_SA_ilPT18_ili26rocblas_geam_ex_operation_.has_recursion, 0
	.set _ZN12_GLOBAL__N_120geam_min_plus_kernelIf15HIP_vector_typeIfLj2EEfLi32ELi8ELi256ELi64ELi4ELi64ELi4ELi4ELi64ELc78ELc78ELb1ELb1ELb1EfKPKfKPfEEviiiT16_PT17_ilSA_ilS8_SA_ilPT18_ili26rocblas_geam_ex_operation_.has_indirect_call, 0
	.section	.AMDGPU.csdata,"",@progbits
; Kernel info:
; codeLenInByte = 18408
; TotalNumSgprs: 44
; NumVgprs: 161
; NumAgprs: 0
; TotalNumVgprs: 161
; ScratchSize: 0
; MemoryBound: 0
; FloatMode: 240
; IeeeMode: 1
; LDSByteSize: 10240 bytes/workgroup (compile time only)
; SGPRBlocks: 5
; VGPRBlocks: 20
; NumSGPRsForWavesPerEU: 44
; NumVGPRsForWavesPerEU: 161
; AccumOffset: 164
; Occupancy: 3
; WaveLimiterHint : 1
; COMPUTE_PGM_RSRC2:SCRATCH_EN: 0
; COMPUTE_PGM_RSRC2:USER_SGPR: 2
; COMPUTE_PGM_RSRC2:TRAP_HANDLER: 0
; COMPUTE_PGM_RSRC2:TGID_X_EN: 1
; COMPUTE_PGM_RSRC2:TGID_Y_EN: 0
; COMPUTE_PGM_RSRC2:TGID_Z_EN: 1
; COMPUTE_PGM_RSRC2:TIDIG_COMP_CNT: 1
; COMPUTE_PGM_RSRC3_GFX90A:ACCUM_OFFSET: 40
; COMPUTE_PGM_RSRC3_GFX90A:TG_SPLIT: 0
	.section	.text._ZN12_GLOBAL__N_120geam_min_plus_kernelIf15HIP_vector_typeIfLj2EEfLi32ELi8ELi256ELi64ELi4ELi64ELi4ELi4ELi64ELc78ELc78ELb0ELb1ELb1EfKPKfKPfEEviiiT16_PT17_ilSA_ilS8_SA_ilPT18_ili26rocblas_geam_ex_operation_,"axG",@progbits,_ZN12_GLOBAL__N_120geam_min_plus_kernelIf15HIP_vector_typeIfLj2EEfLi32ELi8ELi256ELi64ELi4ELi64ELi4ELi4ELi64ELc78ELc78ELb0ELb1ELb1EfKPKfKPfEEviiiT16_PT17_ilSA_ilS8_SA_ilPT18_ili26rocblas_geam_ex_operation_,comdat
	.globl	_ZN12_GLOBAL__N_120geam_min_plus_kernelIf15HIP_vector_typeIfLj2EEfLi32ELi8ELi256ELi64ELi4ELi64ELi4ELi4ELi64ELc78ELc78ELb0ELb1ELb1EfKPKfKPfEEviiiT16_PT17_ilSA_ilS8_SA_ilPT18_ili26rocblas_geam_ex_operation_ ; -- Begin function _ZN12_GLOBAL__N_120geam_min_plus_kernelIf15HIP_vector_typeIfLj2EEfLi32ELi8ELi256ELi64ELi4ELi64ELi4ELi4ELi64ELc78ELc78ELb0ELb1ELb1EfKPKfKPfEEviiiT16_PT17_ilSA_ilS8_SA_ilPT18_ili26rocblas_geam_ex_operation_
	.p2align	8
	.type	_ZN12_GLOBAL__N_120geam_min_plus_kernelIf15HIP_vector_typeIfLj2EEfLi32ELi8ELi256ELi64ELi4ELi64ELi4ELi4ELi64ELc78ELc78ELb0ELb1ELb1EfKPKfKPfEEviiiT16_PT17_ilSA_ilS8_SA_ilPT18_ili26rocblas_geam_ex_operation_,@function
_ZN12_GLOBAL__N_120geam_min_plus_kernelIf15HIP_vector_typeIfLj2EEfLi32ELi8ELi256ELi64ELi4ELi64ELi4ELi4ELi64ELc78ELc78ELb0ELb1ELb1EfKPKfKPfEEviiiT16_PT17_ilSA_ilS8_SA_ilPT18_ili26rocblas_geam_ex_operation_: ; @_ZN12_GLOBAL__N_120geam_min_plus_kernelIf15HIP_vector_typeIfLj2EEfLi32ELi8ELi256ELi64ELi4ELi64ELi4ELi4ELi64ELc78ELc78ELb0ELb1ELb1EfKPKfKPfEEviiiT16_PT17_ilSA_ilS8_SA_ilPT18_ili26rocblas_geam_ex_operation_
; %bb.0:
	s_load_dwordx4 s[20:23], s[0:1], 0x0
	s_load_dwordx4 s[4:7], s[0:1], 0x20
	s_mov_b32 s8, s3
	s_mov_b32 s9, 0
	s_waitcnt lgkmcnt(0)
	v_cmp_eq_f32_e64 s[10:11], s23, 0
	s_and_b64 vcc, exec, s[10:11]
	s_cbranch_vccnz .LBB8_3
; %bb.1:
	s_load_dwordx2 s[12:13], s[0:1], 0x10
	s_lshl_b64 s[14:15], s[8:9], 3
	s_waitcnt lgkmcnt(0)
	s_add_u32 s12, s12, s14
	s_addc_u32 s13, s13, s15
	s_load_dwordx2 s[12:13], s[12:13], 0x0
	s_lshl_b64 s[4:5], s[4:5], 2
	s_waitcnt lgkmcnt(0)
	s_add_u32 s16, s12, s4
	s_addc_u32 s17, s13, s5
	s_andn2_b64 vcc, exec, s[10:11]
	s_cbranch_vccnz .LBB8_4
.LBB8_2:
	s_mov_b32 s11, 0
	s_mov_b32 s10, s8
	s_mov_b64 s[24:25], 0
	s_mov_b64 s[28:29], 0
	s_cbranch_execz .LBB8_5
	s_branch .LBB8_6
.LBB8_3:
	s_mov_b64 s[16:17], 0
	s_andn2_b64 vcc, exec, s[10:11]
	s_cbranch_vccz .LBB8_2
.LBB8_4:
	s_mov_b64 s[10:11], s[8:9]
	s_mov_b64 s[24:25], 0
	;; [unrolled: 1-line block ×3, first 2 shown]
.LBB8_5:
	s_lshl_b64 s[8:9], s[8:9], 3
	s_add_u32 s6, s6, s8
	s_load_dwordx2 s[4:5], s[0:1], 0x38
	s_addc_u32 s7, s7, s9
	s_load_dwordx2 s[6:7], s[6:7], 0x0
	s_waitcnt lgkmcnt(0)
	s_lshl_b64 s[4:5], s[4:5], 2
	s_add_u32 s28, s6, s4
	s_addc_u32 s29, s7, s5
.LBB8_6:
	s_load_dword s30, s[0:1], 0x40
	s_load_dwordx4 s[4:7], s[0:1], 0x58
	s_waitcnt lgkmcnt(0)
	v_cmp_eq_f32_e64 s[8:9], s30, 0
	v_cmp_neq_f32_e64 s[14:15], s30, 0
	s_and_b64 vcc, exec, s[8:9]
	s_cbranch_vccnz .LBB8_8
; %bb.7:
	s_load_dwordx2 s[8:9], s[0:1], 0x48
	s_lshl_b64 s[12:13], s[10:11], 3
	s_waitcnt lgkmcnt(0)
	s_add_u32 s8, s8, s12
	s_addc_u32 s9, s9, s13
	s_load_dwordx2 s[8:9], s[8:9], 0x0
	s_lshl_b64 s[4:5], s[4:5], 2
	s_waitcnt lgkmcnt(0)
	s_add_u32 s24, s8, s4
	s_addc_u32 s25, s9, s5
.LBB8_8:
	s_lshl_b64 s[4:5], s[10:11], 3
	s_add_u32 s26, s6, s4
	s_addc_u32 s27, s7, s5
	s_add_i32 s3, s20, -1
	s_ashr_i32 s4, s3, 31
	s_lshr_b32 s4, s4, 24
	s_add_i32 s3, s3, s4
	s_ashr_i32 s3, s3, 8
	s_add_i32 s4, s3, 1
	v_cvt_f32_u32_e32 v1, s4
	v_and_b32_e32 v70, 0x3ff, v0
	v_bfe_u32 v71, v0, 10, 10
	s_not_b32 s3, s3
	v_rcp_iflag_f32_e32 v1, v1
	s_load_dword s34, s[0:1], 0x18
	v_lshl_add_u32 v7, v71, 5, v70
	v_and_b32_e32 v2, 63, v7
	v_mul_f32_e32 v0, 0x4f7ffffe, v1
	v_cvt_u32_f32_e32 v0, v0
	v_lshrrev_b32_e32 v72, 6, v7
	v_cmp_le_i32_e64 s[8:9], s22, v72
	v_cmp_eq_f32_e64 s[18:19], s23, 0
	v_readfirstlane_b32 s5, v0
	s_mul_i32 s3, s3, s5
	s_mul_hi_u32 s3, s5, s3
	s_add_i32 s5, s5, s3
	s_mul_hi_u32 s3, s2, s5
	s_mul_i32 s5, s3, s4
	s_sub_i32 s5, s2, s5
	s_add_i32 s6, s3, 1
	s_sub_i32 s7, s5, s4
	s_cmp_ge_u32 s5, s4
	s_cselect_b32 s3, s6, s3
	s_cselect_b32 s5, s7, s5
	s_add_i32 s6, s3, 1
	s_cmp_ge_u32 s5, s4
	s_cselect_b32 s10, s6, s3
	s_mul_i32 s3, s10, s4
	s_sub_i32 s2, s2, s3
	s_lshl_b32 s31, s2, 8
	s_add_i32 s35, s22, -1
	v_or_b32_e32 v64, s31, v2
	v_min_i32_e32 v0, s35, v72
	s_waitcnt lgkmcnt(0)
	v_mad_i64_i32 v[0:1], s[2:3], s34, v0, 0
	v_cmp_le_i32_e32 vcc, s20, v64
	v_mov_b32_e32 v4, 0x7f7fffff
	s_or_b64 s[2:3], vcc, s[8:9]
	v_lshl_add_u64 v[0:1], v[0:1], 2, s[16:17]
	v_cndmask_b32_e64 v3, 0, v4, s[2:3]
	s_nor_b64 s[4:5], s[18:19], s[2:3]
	v_ashrrev_i32_e32 v65, 31, v64
	s_and_saveexec_b64 s[2:3], s[4:5]
	s_cbranch_execz .LBB8_10
; %bb.9:
	v_lshl_add_u64 v[8:9], v[64:65], 2, v[0:1]
	flat_load_dword v3, v[8:9]
	s_waitcnt vmcnt(0) lgkmcnt(0)
	v_mul_f32_e32 v3, s23, v3
.LBB8_10:
	s_or_b64 exec, exec, s[2:3]
	v_or_b32_e32 v5, 64, v64
	v_cmp_le_i32_e64 s[2:3], s20, v5
	s_or_b64 s[4:5], s[2:3], s[8:9]
	v_cndmask_b32_e64 v4, 0, v4, s[4:5]
	s_nor_b64 s[6:7], s[18:19], s[4:5]
	s_and_saveexec_b64 s[4:5], s[6:7]
	s_cbranch_execz .LBB8_12
; %bb.11:
	v_lshl_add_u64 v[4:5], v[64:65], 2, v[0:1]
	flat_load_dword v4, v[4:5] offset:256
	s_waitcnt vmcnt(0) lgkmcnt(0)
	v_mul_f32_e32 v4, s23, v4
.LBB8_12:
	s_or_b64 exec, exec, s[4:5]
	v_or_b32_e32 v5, 0x80, v64
	v_cmp_le_i32_e64 s[4:5], s20, v5
	v_mov_b32_e32 v6, 0x7f7fffff
	s_or_b64 s[6:7], s[4:5], s[8:9]
	v_cndmask_b32_e64 v5, 0, v6, s[6:7]
	s_nor_b64 s[12:13], s[18:19], s[6:7]
	s_and_saveexec_b64 s[6:7], s[12:13]
	s_cbranch_execz .LBB8_14
; %bb.13:
	v_lshl_add_u64 v[8:9], v[64:65], 2, v[0:1]
	flat_load_dword v5, v[8:9] offset:512
	s_waitcnt vmcnt(0) lgkmcnt(0)
	v_mul_f32_e32 v5, s23, v5
.LBB8_14:
	s_or_b64 exec, exec, s[6:7]
	v_or_b32_e32 v8, 0xc0, v64
	v_cmp_le_i32_e64 s[6:7], s20, v8
	s_or_b64 s[8:9], s[6:7], s[8:9]
	v_cndmask_b32_e64 v6, 0, v6, s[8:9]
	s_nor_b64 s[12:13], s[18:19], s[8:9]
	s_and_saveexec_b64 s[8:9], s[12:13]
	s_cbranch_execz .LBB8_16
; %bb.15:
	v_lshl_add_u64 v[0:1], v[64:65], 2, v[0:1]
	flat_load_dword v0, v[0:1] offset:768
	s_waitcnt vmcnt(0) lgkmcnt(0)
	v_mul_f32_e32 v6, s23, v0
.LBB8_16:
	s_or_b64 exec, exec, s[8:9]
	s_load_dword s37, s[0:1], 0x30
	v_lshrrev_b32_e32 v7, 2, v7
	s_lshl_b32 s33, s10, 6
	v_and_b32_e32 v75, 3, v70
	v_add_u32_e32 v57, s33, v7
	v_cmp_le_i32_e64 s[10:11], s22, v75
	v_cmp_le_i32_e64 s[8:9], s21, v57
	v_mov_b32_e32 v9, 0x7f7fffff
	s_or_b64 s[10:11], s[10:11], s[8:9]
	v_cndmask_b32_e64 v8, 0, v9, s[10:11]
	s_nor_b64 s[12:13], s[18:19], s[10:11]
	s_and_saveexec_b64 s[10:11], s[12:13]
	s_cbranch_execz .LBB8_18
; %bb.17:
	s_waitcnt lgkmcnt(0)
	v_mad_i64_i32 v[0:1], s[12:13], v57, s37, 0
	v_min_u32_e32 v8, s35, v75
	v_lshl_add_u64 v[0:1], v[0:1], 2, s[28:29]
	v_lshlrev_b32_e32 v10, 2, v8
	v_mov_b32_e32 v11, 0
	v_lshl_add_u64 v[0:1], v[0:1], 0, v[10:11]
	flat_load_dword v0, v[0:1]
	s_waitcnt vmcnt(0) lgkmcnt(0)
	v_mul_f32_e32 v8, s23, v0
.LBB8_18:
	s_or_b64 exec, exec, s[10:11]
	v_add_u32_e32 v0, 4, v72
	v_cmp_le_i32_e64 s[10:11], s22, v0
	v_min_i32_e32 v0, s35, v0
	v_mad_i64_i32 v[0:1], s[12:13], s34, v0, 0
	s_or_b64 s[12:13], vcc, s[10:11]
	v_lshl_add_u64 v[0:1], v[0:1], 2, s[16:17]
	v_cndmask_b32_e64 v58, 0, v9, s[12:13]
	s_nor_b64 s[38:39], s[18:19], s[12:13]
	s_and_saveexec_b64 s[12:13], s[38:39]
	s_cbranch_execz .LBB8_20
; %bb.19:
	v_lshl_add_u64 v[10:11], v[64:65], 2, v[0:1]
	flat_load_dword v9, v[10:11]
	s_waitcnt vmcnt(0) lgkmcnt(0)
	v_mul_f32_e32 v58, s23, v9
.LBB8_20:
	s_or_b64 exec, exec, s[12:13]
	v_mov_b32_e32 v9, 0x7f7fffff
	s_or_b64 s[12:13], s[2:3], s[10:11]
	v_cndmask_b32_e64 v59, 0, v9, s[12:13]
	s_nor_b64 s[38:39], s[18:19], s[12:13]
	s_and_saveexec_b64 s[12:13], s[38:39]
	s_cbranch_execz .LBB8_22
; %bb.21:
	v_lshl_add_u64 v[10:11], v[64:65], 2, v[0:1]
	flat_load_dword v10, v[10:11] offset:256
	s_waitcnt vmcnt(0) lgkmcnt(0)
	v_mul_f32_e32 v59, s23, v10
.LBB8_22:
	s_or_b64 exec, exec, s[12:13]
	s_or_b64 s[12:13], s[4:5], s[10:11]
	v_cndmask_b32_e64 v60, 0, v9, s[12:13]
	s_nor_b64 s[38:39], s[18:19], s[12:13]
	s_and_saveexec_b64 s[12:13], s[38:39]
	s_cbranch_execz .LBB8_24
; %bb.23:
	v_lshl_add_u64 v[10:11], v[64:65], 2, v[0:1]
	flat_load_dword v9, v[10:11] offset:512
	s_waitcnt vmcnt(0) lgkmcnt(0)
	v_mul_f32_e32 v60, s23, v9
.LBB8_24:
	s_or_b64 exec, exec, s[12:13]
	v_mov_b32_e32 v9, 0x7f7fffff
	s_or_b64 s[10:11], s[6:7], s[10:11]
	v_cndmask_b32_e64 v61, 0, v9, s[10:11]
	s_nor_b64 s[12:13], s[18:19], s[10:11]
	s_and_saveexec_b64 s[10:11], s[12:13]
	s_cbranch_execz .LBB8_26
; %bb.25:
	v_lshl_add_u64 v[0:1], v[64:65], 2, v[0:1]
	flat_load_dword v0, v[0:1] offset:768
	s_waitcnt vmcnt(0) lgkmcnt(0)
	v_mul_f32_e32 v61, s23, v0
.LBB8_26:
	s_or_b64 exec, exec, s[10:11]
	v_or_b32_e32 v0, 4, v75
	v_cmp_le_i32_e64 s[10:11], s22, v0
	s_or_b64 s[10:11], s[10:11], s[8:9]
	s_nor_b64 s[38:39], s[18:19], s[10:11]
	v_cndmask_b32_e64 v62, 0, v9, s[10:11]
	s_mov_b32 s12, 0x7f7fffff
	s_and_saveexec_b64 s[10:11], s[38:39]
	s_cbranch_execz .LBB8_28
; %bb.27:
	s_waitcnt lgkmcnt(0)
	v_mad_i64_i32 v[10:11], s[38:39], v57, s37, 0
	v_min_u32_e32 v0, s35, v0
	v_lshl_add_u64 v[10:11], v[10:11], 2, s[28:29]
	v_lshlrev_b32_e32 v0, 2, v0
	v_mov_b32_e32 v1, 0
	v_lshl_add_u64 v[0:1], v[10:11], 0, v[0:1]
	flat_load_dword v0, v[0:1]
	s_waitcnt vmcnt(0) lgkmcnt(0)
	v_mul_f32_e32 v62, s23, v0
.LBB8_28:
	s_or_b64 exec, exec, s[10:11]
	v_lshlrev_b32_e32 v0, 4, v2
	v_lshlrev_b32_e32 v56, 2, v75
	v_lshl_add_u32 v76, v72, 2, v0
	v_lshl_or_b32 v63, v7, 4, v56
	v_lshlrev_b32_e32 v74, 4, v70
	s_load_dwordx2 s[26:27], s[26:27], 0x0
	ds_write2st64_b32 v76, v3, v4 offset1:4
	ds_write2st64_b32 v76, v5, v6 offset0:8 offset1:12
	ds_write_b32 v63, v8 offset:8192
	s_waitcnt lgkmcnt(0)
	s_barrier
	v_lshlrev_b32_e32 v73, 4, v71
	ds_read_b128 v[28:31], v74
	ds_read_b128 v[24:27], v74 offset:512
	ds_read_b128 v[20:23], v74 offset:1024
	;; [unrolled: 1-line block ×13, first 2 shown]
	s_waitcnt lgkmcnt(5)
	v_pk_add_f32 v[66:67], v[28:29], v[52:53]
	s_cmp_lt_i32 s22, 9
	v_min3_f32 v68, v66, v67, s12
	v_pk_add_f32 v[66:67], v[24:25], v[52:53]
	s_nop 0
	v_min3_f32 v69, v66, v67, s12
	v_pk_add_f32 v[66:67], v[20:21], v[52:53]
	s_nop 0
	v_min3_f32 v77, v66, v67, s12
	v_pk_add_f32 v[66:67], v[16:17], v[52:53]
	s_nop 0
	v_min3_f32 v78, v66, v67, s12
	v_pk_add_f32 v[66:67], v[12:13], v[52:53]
	s_nop 0
	v_min3_f32 v79, v66, v67, s12
	v_pk_add_f32 v[66:67], v[8:9], v[52:53]
	s_nop 0
	v_min3_f32 v80, v66, v67, s12
	v_pk_add_f32 v[66:67], v[4:5], v[52:53]
	v_pk_add_f32 v[52:53], v[0:1], v[52:53]
	v_min3_f32 v66, v66, v67, s12
	v_min3_f32 v67, v52, v53, s12
	s_waitcnt lgkmcnt(4)
	v_pk_add_f32 v[52:53], v[28:29], v[48:49]
	s_nop 0
	v_min3_f32 v81, v52, v53, s12
	v_pk_add_f32 v[52:53], v[24:25], v[48:49]
	s_nop 0
	v_min3_f32 v82, v52, v53, s12
	v_pk_add_f32 v[52:53], v[20:21], v[48:49]
	s_nop 0
	v_min3_f32 v83, v52, v53, s12
	v_pk_add_f32 v[52:53], v[16:17], v[48:49]
	s_nop 0
	v_min3_f32 v84, v52, v53, s12
	v_pk_add_f32 v[52:53], v[12:13], v[48:49]
	s_nop 0
	v_min3_f32 v85, v52, v53, s12
	v_pk_add_f32 v[52:53], v[8:9], v[48:49]
	s_nop 0
	v_min3_f32 v86, v52, v53, s12
	v_pk_add_f32 v[52:53], v[4:5], v[48:49]
	v_pk_add_f32 v[48:49], v[0:1], v[48:49]
	v_min3_f32 v52, v52, v53, s12
	v_min3_f32 v53, v48, v49, s12
	s_waitcnt lgkmcnt(3)
	v_pk_add_f32 v[48:49], v[28:29], v[44:45]
	s_nop 0
	;; [unrolled: 23-line block ×4, first 2 shown]
	v_min3_f32 v101, v40, v41, s12
	v_pk_add_f32 v[40:41], v[24:25], v[36:37]
	s_nop 0
	v_min3_f32 v102, v40, v41, s12
	v_pk_add_f32 v[40:41], v[20:21], v[36:37]
	s_nop 0
	;; [unrolled: 3-line block ×5, first 2 shown]
	v_min3_f32 v106, v40, v41, s12
	v_pk_add_f32 v[40:41], v[4:5], v[36:37]
	v_pk_add_f32 v[36:37], v[0:1], v[36:37]
	v_min3_f32 v107, v40, v41, s12
	v_min3_f32 v108, v36, v37, s12
	s_waitcnt lgkmcnt(0)
	v_pk_add_f32 v[36:37], v[28:29], v[32:33]
	v_pk_add_f32 v[40:41], v[4:5], v[32:33]
	v_min3_f32 v125, v36, v37, s12
	v_pk_add_f32 v[36:37], v[24:25], v[32:33]
	v_min3_f32 v40, v40, v41, s12
	v_min3_f32 v146, v36, v37, s12
	v_pk_add_f32 v[36:37], v[20:21], v[32:33]
	s_nop 0
	v_min3_f32 v147, v36, v37, s12
	v_pk_add_f32 v[36:37], v[16:17], v[32:33]
	s_nop 0
	;; [unrolled: 3-line block ×10, first 2 shown]
	v_min3_f32 v66, v36, v37, s12
	v_pk_add_f32 v[36:37], v[8:9], v[32:33]
	v_pk_add_f32 v[32:33], v[0:1], v[32:33]
	v_min3_f32 v68, v36, v37, s12
	v_min3_f32 v41, v32, v33, s12
	v_pk_add_f32 v[32:33], v[30:31], v[50:51]
	v_pk_add_f32 v[36:37], v[2:3], v[54:55]
	v_min3_f32 v140, v32, v33, v81
	v_pk_add_f32 v[32:33], v[26:27], v[50:51]
	v_min3_f32 v141, v36, v37, v67
	v_min3_f32 v139, v32, v33, v82
	v_pk_add_f32 v[32:33], v[22:23], v[50:51]
	s_nop 0
	v_min3_f32 v138, v32, v33, v83
	v_pk_add_f32 v[32:33], v[18:19], v[50:51]
	s_nop 0
	;; [unrolled: 3-line block ×5, first 2 shown]
	v_min3_f32 v134, v32, v33, v52
	v_pk_add_f32 v[32:33], v[2:3], v[50:51]
	ds_read_b128 v[48:51], v73 offset:8960
	v_min3_f32 v133, v32, v33, v53
	v_pk_add_f32 v[32:33], v[30:31], v[46:47]
	ds_read_b128 v[52:55], v73 offset:9088
	v_min3_f32 v132, v32, v33, v87
	v_pk_add_f32 v[32:33], v[26:27], v[46:47]
	s_waitcnt lgkmcnt(1)
	v_pk_add_f32 v[36:37], v[20:21], v[48:49]
	v_min3_f32 v131, v32, v33, v88
	v_pk_add_f32 v[32:33], v[22:23], v[46:47]
	s_waitcnt lgkmcnt(0)
	v_pk_add_f32 v[20:21], v[20:21], v[52:53]
	v_min3_f32 v130, v32, v33, v89
	v_pk_add_f32 v[32:33], v[18:19], v[46:47]
	v_min3_f32 v20, v20, v21, s12
	v_min3_f32 v129, v32, v33, v90
	v_pk_add_f32 v[32:33], v[14:15], v[46:47]
	ds_write2st64_b32 v76, v58, v59 offset0:16 offset1:20
	ds_write2st64_b32 v76, v60, v61 offset0:24 offset1:28
	ds_write_b32 v63, v62 offset:9216
	v_min3_f32 v128, v32, v33, v91
	v_pk_add_f32 v[32:33], v[10:11], v[46:47]
	s_waitcnt lgkmcnt(0)
	v_min3_f32 v126, v32, v33, v92
	v_pk_add_f32 v[32:33], v[6:7], v[46:47]
	s_barrier
	v_min3_f32 v123, v32, v33, v93
	v_pk_add_f32 v[32:33], v[28:29], v[48:49]
	v_pk_add_f32 v[28:29], v[28:29], v[52:53]
	v_min3_f32 v67, v32, v33, s12
	v_pk_add_f32 v[32:33], v[24:25], v[48:49]
	v_min3_f32 v28, v28, v29, s12
	v_min3_f32 v69, v32, v33, s12
	v_pk_add_f32 v[32:33], v[2:3], v[46:47]
	v_min3_f32 v46, v36, v37, s12
	v_min3_f32 v127, v32, v33, v94
	v_pk_add_f32 v[32:33], v[30:31], v[42:43]
	v_pk_add_f32 v[36:37], v[16:17], v[48:49]
	v_min3_f32 v124, v32, v33, v95
	v_pk_add_f32 v[32:33], v[26:27], v[42:43]
	v_min3_f32 v47, v36, v37, s12
	v_min3_f32 v122, v32, v33, v96
	v_pk_add_f32 v[32:33], v[22:23], v[42:43]
	v_pk_add_f32 v[36:37], v[4:5], v[48:49]
	v_min3_f32 v121, v32, v33, v97
	v_pk_add_f32 v[32:33], v[18:19], v[42:43]
	v_pk_add_f32 v[4:5], v[4:5], v[52:53]
	;; [unrolled: 3-line block ×4, first 2 shown]
	v_min3_f32 v118, v32, v33, v100
	v_pk_add_f32 v[32:33], v[6:7], v[42:43]
	v_min3_f32 v4, v4, v5, s12
	v_min3_f32 v117, v32, v33, v44
	v_pk_add_f32 v[32:33], v[12:13], v[48:49]
	v_min3_f32 v29, v24, v25, s12
	;; [unrolled: 3-line block ×4, first 2 shown]
	v_min3_f32 v116, v32, v33, v45
	v_pk_add_f32 v[32:33], v[30:31], v[38:39]
	v_pk_add_f32 v[36:37], v[0:1], v[48:49]
	v_min3_f32 v115, v32, v33, v101
	v_pk_add_f32 v[32:33], v[26:27], v[38:39]
	v_pk_add_f32 v[0:1], v[0:1], v[52:53]
	v_min3_f32 v114, v32, v33, v102
	v_pk_add_f32 v[32:33], v[22:23], v[38:39]
	v_min3_f32 v5, v0, v1, s12
	v_min3_f32 v113, v32, v33, v103
	v_pk_add_f32 v[32:33], v[18:19], v[38:39]
	v_pk_add_f32 v[0:1], v[30:31], v[54:55]
	v_min3_f32 v112, v32, v33, v104
	v_pk_add_f32 v[32:33], v[14:15], v[38:39]
	v_pk_add_f32 v[16:17], v[30:31], v[50:51]
	v_min3_f32 v111, v32, v33, v105
	v_pk_add_f32 v[32:33], v[10:11], v[38:39]
	v_min3_f32 v91, v0, v1, v28
	v_min3_f32 v110, v32, v33, v106
	v_pk_add_f32 v[32:33], v[6:7], v[38:39]
	v_pk_add_f32 v[0:1], v[26:27], v[54:55]
	v_min3_f32 v109, v32, v33, v107
	v_pk_add_f32 v[32:33], v[2:3], v[38:39]
	v_min3_f32 v99, v16, v17, v67
	;; [unrolled: 6-line block ×3, first 2 shown]
	v_pk_add_f32 v[0:1], v[22:23], v[54:55]
	v_min3_f32 v106, v32, v33, v146
	v_pk_add_f32 v[32:33], v[22:23], v[34:35]
	v_min3_f32 v98, v16, v17, v69
	v_pk_add_f32 v[16:17], v[22:23], v[50:51]
	v_pk_add_f32 v[12:13], v[12:13], v[52:53]
	v_min3_f32 v89, v0, v1, v20
	v_pk_add_f32 v[0:1], v[18:19], v[54:55]
	v_min3_f32 v105, v32, v33, v147
	v_pk_add_f32 v[32:33], v[18:19], v[34:35]
	v_min3_f32 v97, v16, v17, v46
	v_pk_add_f32 v[16:17], v[18:19], v[50:51]
	v_min3_f32 v12, v12, v13, s12
	v_pk_add_f32 v[8:9], v[8:9], v[52:53]
	v_min3_f32 v87, v0, v1, v21
	v_pk_add_f32 v[0:1], v[14:15], v[54:55]
	v_min3_f32 v104, v32, v33, v148
	v_pk_add_f32 v[32:33], v[14:15], v[34:35]
	v_min3_f32 v96, v16, v17, v47
	v_pk_add_f32 v[16:17], v[14:15], v[50:51]
	v_min3_f32 v13, v8, v9, s12
	v_min3_f32 v86, v0, v1, v12
	v_pk_add_f32 v[0:1], v[10:11], v[54:55]
	v_min3_f32 v103, v32, v33, v66
	v_pk_add_f32 v[32:33], v[10:11], v[34:35]
	;; [unrolled: 2-line block ×4, first 2 shown]
	v_min3_f32 v36, v36, v37, s12
	v_min3_f32 v102, v32, v33, v68
	v_pk_add_f32 v[32:33], v[6:7], v[34:35]
	v_pk_add_f32 v[24:25], v[2:3], v[34:35]
	v_min3_f32 v94, v16, v17, v80
	v_pk_add_f32 v[16:17], v[6:7], v[50:51]
	v_pk_add_f32 v[8:9], v[2:3], v[50:51]
	v_min3_f32 v84, v0, v1, v4
	v_pk_add_f32 v[0:1], v[2:3], v[54:55]
	v_min3_f32 v101, v32, v33, v40
	v_min3_f32 v100, v24, v25, v41
	v_min3_f32 v93, v16, v17, v42
	v_min3_f32 v92, v8, v9, v36
	v_min3_f32 v88, v0, v1, v5
	s_cbranch_scc1 .LBB8_51
; %bb.29:
	v_mov_b32_e32 v0, 0x1000
	v_lshl_add_u32 v125, v70, 4, v0
	v_mov_b32_e32 v0, 0x2400
	v_lshl_add_u32 v146, v71, 4, v0
	v_mad_i64_i32 v[0:1], s[10:11], s37, v57, 0
	v_mov_b32_e32 v57, 0
	v_lshl_add_u64 v[0:1], v[0:1], 2, v[56:57]
	v_lshl_add_u64 v[0:1], s[28:29], 0, v[0:1]
	v_add_u32_e32 v80, 0x2000, v63
	v_add_u32_e32 v81, 0x2000, v73
	;; [unrolled: 1-line block ×4, first 2 shown]
	s_add_i32 s36, s22, -8
	v_lshl_add_u64 v[66:67], v[0:1], 0, 48
	s_mov_b32 s28, 0
	v_mov_b32_e32 v147, 0x7f7fffff
	s_branch .LBB8_31
.LBB8_30:                               ;   in Loop: Header=BB8_31 Depth=1
	s_or_b64 exec, exec, s[10:11]
	v_pk_add_f32 v[152:153], v[28:29], v[60:61]
	s_add_i32 s28, s28, 8
	v_min3_f32 v69, v152, v153, v145
	v_pk_add_f32 v[152:153], v[24:25], v[60:61]
	s_cmp_ge_i32 s28, s36
	v_min3_f32 v152, v152, v153, v144
	v_pk_add_f32 v[144:145], v[20:21], v[60:61]
	v_lshl_add_u64 v[66:67], v[66:67], 0, 32
	v_min3_f32 v153, v144, v145, v143
	v_pk_add_f32 v[144:145], v[16:17], v[60:61]
	s_nop 0
	v_min3_f32 v144, v144, v145, v142
	v_pk_add_f32 v[142:143], v[12:13], v[60:61]
	s_nop 0
	v_min3_f32 v79, v142, v143, v79
	v_pk_add_f32 v[142:143], v[8:9], v[60:61]
	s_nop 0
	v_min3_f32 v77, v142, v143, v77
	v_pk_add_f32 v[142:143], v[4:5], v[60:61]
	v_pk_add_f32 v[60:61], v[0:1], v[60:61]
	v_min3_f32 v78, v142, v143, v78
	v_min3_f32 v141, v60, v61, v141
	v_pk_add_f32 v[60:61], v[28:29], v[56:57]
	s_nop 0
	v_min3_f32 v140, v60, v61, v140
	v_pk_add_f32 v[60:61], v[24:25], v[56:57]
	s_nop 0
	v_min3_f32 v139, v60, v61, v139
	v_pk_add_f32 v[60:61], v[20:21], v[56:57]
	s_nop 0
	v_min3_f32 v138, v60, v61, v138
	v_pk_add_f32 v[60:61], v[16:17], v[56:57]
	s_nop 0
	v_min3_f32 v137, v60, v61, v137
	v_pk_add_f32 v[60:61], v[12:13], v[56:57]
	s_nop 0
	v_min3_f32 v136, v60, v61, v136
	v_pk_add_f32 v[60:61], v[8:9], v[56:57]
	s_nop 0
	v_min3_f32 v135, v60, v61, v135
	v_pk_add_f32 v[60:61], v[4:5], v[56:57]
	v_pk_add_f32 v[56:57], v[0:1], v[56:57]
	v_min3_f32 v60, v60, v61, v134
	v_min3_f32 v61, v56, v57, v133
	v_pk_add_f32 v[56:57], v[28:29], v[52:53]
	s_nop 0
	v_min3_f32 v132, v56, v57, v132
	v_pk_add_f32 v[56:57], v[24:25], v[52:53]
	s_nop 0
	v_min3_f32 v131, v56, v57, v131
	v_pk_add_f32 v[56:57], v[20:21], v[52:53]
	s_nop 0
	;; [unrolled: 22-line block ×5, first 2 shown]
	v_min3_f32 v105, v44, v45, v105
	v_pk_add_f32 v[44:45], v[16:17], v[40:41]
	s_nop 0
	v_min3_f32 v104, v44, v45, v104
	v_pk_add_f32 v[44:45], v[12:13], v[40:41]
	s_nop 0
	;; [unrolled: 3-line block ×3, first 2 shown]
	v_min3_f32 v102, v44, v45, v102
	v_pk_add_f32 v[44:45], v[4:5], v[40:41]
	v_pk_add_f32 v[40:41], v[0:1], v[40:41]
	v_min3_f32 v44, v44, v45, v101
	v_min3_f32 v45, v40, v41, v100
	v_pk_add_f32 v[40:41], v[28:29], v[36:37]
	v_pk_add_f32 v[28:29], v[28:29], v[32:33]
	v_min3_f32 v99, v40, v41, v99
	v_pk_add_f32 v[40:41], v[24:25], v[36:37]
	v_pk_add_f32 v[24:25], v[24:25], v[32:33]
	;; [unrolled: 3-line block ×7, first 2 shown]
	v_pk_add_f32 v[4:5], v[4:5], v[32:33]
	v_pk_add_f32 v[0:1], v[0:1], v[32:33]
	v_min3_f32 v4, v4, v5, v84
	v_min3_f32 v5, v0, v1, v88
	v_pk_add_f32 v[0:1], v[30:31], v[62:63]
	v_min3_f32 v8, v8, v9, v85
	v_min3_f32 v69, v0, v1, v69
	;; [unrolled: 3-line block ×9, first 2 shown]
	v_pk_add_f32 v[0:1], v[30:31], v[58:59]
	s_nop 0
	v_min3_f32 v90, v0, v1, v140
	v_pk_add_f32 v[0:1], v[26:27], v[58:59]
	s_nop 0
	v_min3_f32 v91, v0, v1, v139
	;; [unrolled: 3-line block ×56, first 2 shown]
	ds_read_b128 v[0:3], v74
	ds_read_b128 v[4:7], v74 offset:512
	ds_read_b128 v[8:11], v74 offset:1024
	;; [unrolled: 1-line block ×7, first 2 shown]
	ds_read_b128 v[36:39], v81
	ds_read_b128 v[40:43], v81 offset:128
	ds_read_b128 v[44:47], v81 offset:256
	;; [unrolled: 1-line block ×7, first 2 shown]
	s_waitcnt lgkmcnt(7)
	v_pk_add_f32 v[78:79], v[0:1], v[36:37]
	ds_write2st64_b32 v82, v148, v149 offset1:4
	ds_write2st64_b32 v82, v150, v151 offset0:8 offset1:12
	ds_write_b32 v83, v68
	v_min3_f32 v69, v78, v79, v69
	v_pk_add_f32 v[78:79], v[4:5], v[36:37]
	s_waitcnt lgkmcnt(0)
	v_min3_f32 v84, v78, v79, v84
	v_pk_add_f32 v[78:79], v[8:9], v[36:37]
	s_barrier
	v_min3_f32 v85, v78, v79, v85
	v_pk_add_f32 v[78:79], v[12:13], v[36:37]
	s_nop 0
	v_min3_f32 v86, v78, v79, v86
	v_pk_add_f32 v[78:79], v[16:17], v[36:37]
	s_nop 0
	v_min3_f32 v87, v78, v79, v87
	v_pk_add_f32 v[78:79], v[20:21], v[36:37]
	s_nop 0
	v_min3_f32 v77, v78, v79, v77
	v_pk_add_f32 v[78:79], v[24:25], v[36:37]
	v_pk_add_f32 v[36:37], v[28:29], v[36:37]
	v_min3_f32 v78, v78, v79, v88
	v_min3_f32 v88, v36, v37, v89
	v_pk_add_f32 v[36:37], v[0:1], v[40:41]
	s_nop 0
	v_min3_f32 v89, v36, v37, v90
	v_pk_add_f32 v[36:37], v[4:5], v[40:41]
	s_nop 0
	;; [unrolled: 3-line block ×40, first 2 shown]
	v_min3_f32 v56, v36, v37, v136
	v_pk_add_f32 v[36:37], v[0:1], v[60:61]
	v_pk_add_f32 v[0:1], v[0:1], v[32:33]
	v_min3_f32 v57, v36, v37, v99
	v_pk_add_f32 v[36:37], v[4:5], v[60:61]
	s_nop 0
	v_min3_f32 v98, v36, v37, v98
	v_pk_add_f32 v[36:37], v[8:9], v[60:61]
	s_nop 0
	;; [unrolled: 3-line block ×7, first 2 shown]
	v_min3_f32 v36, v36, v37, v138
	v_min3_f32 v37, v0, v1, v139
	v_pk_add_f32 v[0:1], v[4:5], v[32:33]
	s_nop 0
	v_min3_f32 v4, v0, v1, v140
	v_pk_add_f32 v[0:1], v[8:9], v[32:33]
	s_nop 0
	;; [unrolled: 3-line block ×71, first 2 shown]
	v_min3_f32 v88, v0, v1, v16
	s_cbranch_scc1 .LBB8_51
.LBB8_31:                               ; =>This Inner Loop Header: Depth=1
	v_add_u32_e32 v68, s28, v72
	v_add_u32_e32 v0, 8, v68
	v_cmp_le_i32_e64 s[10:11], s22, v0
	v_min_i32_e32 v0, s35, v0
	v_mad_i64_i32 v[0:1], s[12:13], v0, s34, 0
	v_lshl_add_u64 v[0:1], v[0:1], 2, s[16:17]
	s_or_b64 s[12:13], vcc, s[10:11]
	v_cndmask_b32_e64 v69, 0, v147, s[12:13]
	s_nor_b64 s[38:39], s[18:19], s[12:13]
	v_lshl_add_u64 v[0:1], v[64:65], 2, v[0:1]
	s_and_saveexec_b64 s[12:13], s[38:39]
	s_cbranch_execz .LBB8_33
; %bb.32:                               ;   in Loop: Header=BB8_31 Depth=1
	flat_load_dword v2, v[0:1]
	s_waitcnt vmcnt(0) lgkmcnt(0)
	v_mul_f32_e32 v69, s23, v2
.LBB8_33:                               ;   in Loop: Header=BB8_31 Depth=1
	s_or_b64 exec, exec, s[12:13]
	s_or_b64 s[12:13], s[2:3], s[10:11]
	v_cndmask_b32_e64 v148, 0, v147, s[12:13]
	s_nor_b64 s[38:39], s[18:19], s[12:13]
	s_and_saveexec_b64 s[12:13], s[38:39]
	s_cbranch_execz .LBB8_35
; %bb.34:                               ;   in Loop: Header=BB8_31 Depth=1
	flat_load_dword v2, v[0:1] offset:256
	s_waitcnt vmcnt(0) lgkmcnt(0)
	v_mul_f32_e32 v148, s23, v2
.LBB8_35:                               ;   in Loop: Header=BB8_31 Depth=1
	s_or_b64 exec, exec, s[12:13]
	s_or_b64 s[12:13], s[4:5], s[10:11]
	v_cndmask_b32_e64 v149, 0, v147, s[12:13]
	s_nor_b64 s[38:39], s[18:19], s[12:13]
	s_and_saveexec_b64 s[12:13], s[38:39]
	s_cbranch_execz .LBB8_37
; %bb.36:                               ;   in Loop: Header=BB8_31 Depth=1
	flat_load_dword v2, v[0:1] offset:512
	s_waitcnt vmcnt(0) lgkmcnt(0)
	v_mul_f32_e32 v149, s23, v2
.LBB8_37:                               ;   in Loop: Header=BB8_31 Depth=1
	;; [unrolled: 11-line block ×3, first 2 shown]
	s_or_b64 exec, exec, s[10:11]
	v_add_u32_e32 v152, s28, v75
	v_add_u32_e32 v0, 8, v152
	v_cmp_le_i32_e64 s[10:11], s22, v0
	s_or_b64 s[10:11], s[10:11], s[8:9]
	s_nop 0
	v_cndmask_b32_e64 v151, 0, v147, s[10:11]
	s_nor_b64 s[10:11], s[18:19], s[10:11]
	s_and_saveexec_b64 s[12:13], s[10:11]
	s_cbranch_execz .LBB8_41
; %bb.40:                               ;   in Loop: Header=BB8_31 Depth=1
	v_add_co_u32_e64 v0, s[10:11], -16, v66
	s_nop 1
	v_addc_co_u32_e64 v1, s[10:11], -1, v67, s[10:11]
	flat_load_dword v0, v[0:1]
	s_waitcnt vmcnt(0) lgkmcnt(0)
	v_mul_f32_e32 v151, s23, v0
.LBB8_41:                               ;   in Loop: Header=BB8_31 Depth=1
	s_or_b64 exec, exec, s[12:13]
	ds_read_b128 v[28:31], v125
	ds_read_b128 v[24:27], v125 offset:512
	ds_read_b128 v[20:23], v125 offset:1024
	;; [unrolled: 1-line block ×7, first 2 shown]
	ds_read_b128 v[60:63], v146
	ds_read_b128 v[56:59], v146 offset:128
	ds_read_b128 v[52:55], v146 offset:256
	;; [unrolled: 1-line block ×7, first 2 shown]
	v_add_u32_e32 v68, 12, v68
	v_cmp_le_i32_e64 s[10:11], s22, v68
	v_min_i32_e32 v68, s35, v68
	ds_write2st64_b32 v76, v69, v148 offset1:4
	ds_write2st64_b32 v76, v149, v150 offset0:8 offset1:12
	ds_write_b32 v80, v151
	v_mad_i64_i32 v[68:69], s[12:13], v68, s34, 0
	v_lshl_add_u64 v[68:69], v[68:69], 2, s[16:17]
	s_or_b64 s[12:13], vcc, s[10:11]
	v_cndmask_b32_e64 v148, 0, v147, s[12:13]
	s_nor_b64 s[38:39], s[18:19], s[12:13]
	v_lshl_add_u64 v[68:69], v[64:65], 2, v[68:69]
	s_waitcnt lgkmcnt(0)
	s_barrier
	s_and_saveexec_b64 s[12:13], s[38:39]
	s_cbranch_execz .LBB8_43
; %bb.42:                               ;   in Loop: Header=BB8_31 Depth=1
	flat_load_dword v148, v[68:69]
	s_waitcnt vmcnt(0) lgkmcnt(0)
	v_mul_f32_e32 v148, s23, v148
.LBB8_43:                               ;   in Loop: Header=BB8_31 Depth=1
	s_or_b64 exec, exec, s[12:13]
	s_or_b64 s[12:13], s[2:3], s[10:11]
	v_cndmask_b32_e64 v149, 0, v147, s[12:13]
	s_nor_b64 s[38:39], s[18:19], s[12:13]
	s_and_saveexec_b64 s[12:13], s[38:39]
	s_cbranch_execz .LBB8_45
; %bb.44:                               ;   in Loop: Header=BB8_31 Depth=1
	flat_load_dword v149, v[68:69] offset:256
	s_waitcnt vmcnt(0) lgkmcnt(0)
	v_mul_f32_e32 v149, s23, v149
.LBB8_45:                               ;   in Loop: Header=BB8_31 Depth=1
	s_or_b64 exec, exec, s[12:13]
	s_or_b64 s[12:13], s[4:5], s[10:11]
	v_cndmask_b32_e64 v150, 0, v147, s[12:13]
	s_nor_b64 s[38:39], s[18:19], s[12:13]
	s_and_saveexec_b64 s[12:13], s[38:39]
	s_cbranch_execz .LBB8_47
; %bb.46:                               ;   in Loop: Header=BB8_31 Depth=1
	flat_load_dword v150, v[68:69] offset:512
	s_waitcnt vmcnt(0) lgkmcnt(0)
	v_mul_f32_e32 v150, s23, v150
.LBB8_47:                               ;   in Loop: Header=BB8_31 Depth=1
	s_or_b64 exec, exec, s[12:13]
	s_or_b64 s[10:11], s[6:7], s[10:11]
	v_cndmask_b32_e64 v151, 0, v147, s[10:11]
	s_nor_b64 s[12:13], s[18:19], s[10:11]
	s_and_saveexec_b64 s[10:11], s[12:13]
	s_cbranch_execz .LBB8_49
; %bb.48:                               ;   in Loop: Header=BB8_31 Depth=1
	flat_load_dword v68, v[68:69] offset:768
	s_waitcnt vmcnt(0) lgkmcnt(0)
	v_mul_f32_e32 v151, s23, v68
.LBB8_49:                               ;   in Loop: Header=BB8_31 Depth=1
	s_or_b64 exec, exec, s[10:11]
	v_add_u32_e32 v68, 12, v152
	v_cmp_le_i32_e64 s[10:11], s22, v68
	s_or_b64 s[10:11], s[10:11], s[8:9]
	s_nor_b64 s[12:13], s[18:19], s[10:11]
	v_cndmask_b32_e64 v68, 0, v147, s[10:11]
	s_and_saveexec_b64 s[10:11], s[12:13]
	s_cbranch_execz .LBB8_30
; %bb.50:                               ;   in Loop: Header=BB8_31 Depth=1
	flat_load_dword v68, v[66:67]
	s_waitcnt vmcnt(0) lgkmcnt(0)
	v_mul_f32_e32 v68, s23, v68
	s_branch .LBB8_30
.LBB8_51:
	s_load_dwordx2 s[2:3], s[0:1], 0x70
	s_load_dword s29, s[0:1], 0x50
	s_load_dword s28, s[0:1], 0x68
	ds_read_b128 v[32:35], v74 offset:4096
	ds_read_b128 v[28:31], v74 offset:4608
	ds_read_b128 v[24:27], v74 offset:5120
	ds_read_b128 v[20:23], v74 offset:5632
	ds_read_b128 v[16:19], v74 offset:6144
	ds_read_b128 v[12:15], v74 offset:6656
	ds_read_b128 v[8:11], v74 offset:7168
	ds_read_b128 v[0:3], v74 offset:7680
	ds_read_b128 v[60:63], v73 offset:9216
	ds_read_b128 v[56:59], v73 offset:9344
	ds_read_b128 v[52:55], v73 offset:9472
	ds_read_b128 v[48:51], v73 offset:9600
	ds_read_b128 v[44:47], v73 offset:9728
	ds_read_b128 v[40:43], v73 offset:9856
	ds_read_b128 v[36:39], v73 offset:9984
	ds_read_b128 v[4:7], v73 offset:10112
	s_waitcnt lgkmcnt(0)
	s_lshl_b64 s[0:1], s[2:3], 2
	s_add_u32 s22, s26, s0
	v_add_u32_e32 v125, s33, v71
	s_addc_u32 s23, s27, s1
	v_mad_i64_i32 v[66:67], s[0:1], v125, s29, 0
	v_add_u32_e32 v64, s31, v70
	v_lshl_add_u64 v[82:83], v[66:67], 2, s[24:25]
	v_mad_i64_i32 v[66:67], s[0:1], v125, s28, 0
	v_cmp_gt_i32_e64 s[18:19], s21, v125
	v_lshl_add_u64 v[80:81], v[66:67], 2, s[22:23]
	v_cmp_gt_i32_e64 s[2:3], s20, v64
	v_cndmask_b32_e64 v66, 0, 1, s[14:15]
	s_and_b64 s[6:7], s[2:3], s[18:19]
	v_ashrrev_i32_e32 v65, 31, v64
	v_cmp_ne_u32_e64 s[0:1], 1, v66
	s_and_saveexec_b64 s[4:5], s[6:7]
	s_cbranch_execz .LBB8_56
; %bb.52:
	s_and_b64 vcc, exec, s[0:1]
	s_cbranch_vccnz .LBB8_54
; %bb.53:
	v_lshl_add_u64 v[66:67], v[64:65], 2, v[82:83]
	flat_load_dword v66, v[66:67]
	s_waitcnt vmcnt(0) lgkmcnt(0)
	v_mul_f32_e32 v66, s30, v66
	s_branch .LBB8_55
.LBB8_54:
	v_mov_b32_e32 v66, 0
.LBB8_55:
	v_pk_add_f32 v[68:69], v[32:33], v[60:61]
	s_nop 0
	v_min3_f32 v67, v68, v69, v145
	v_pk_add_f32 v[68:69], v[34:35], v[62:63]
	s_nop 0
	v_min_f32_e32 v68, v68, v69
	v_min3_f32 v68, v66, v68, v67
	v_lshl_add_u64 v[66:67], v[64:65], 2, v[80:81]
	flat_store_dword v[66:67], v68
.LBB8_56:
	s_or_b64 exec, exec, s[4:5]
	v_add_u32_e32 v66, 32, v64
	v_cmp_gt_i32_e64 s[4:5], s20, v66
	s_and_b64 s[8:9], s[4:5], s[18:19]
	v_ashrrev_i32_e32 v67, 31, v66
	s_and_saveexec_b64 s[6:7], s[8:9]
	s_cbranch_execz .LBB8_61
; %bb.57:
	s_and_b64 vcc, exec, s[0:1]
	s_cbranch_vccnz .LBB8_59
; %bb.58:
	v_lshl_add_u64 v[68:69], v[66:67], 2, v[82:83]
	flat_load_dword v68, v[68:69]
	s_waitcnt vmcnt(0) lgkmcnt(0)
	v_mul_f32_e32 v68, s30, v68
	s_branch .LBB8_60
.LBB8_59:
	v_mov_b32_e32 v68, 0
.LBB8_60:
	v_pk_add_f32 v[70:71], v[28:29], v[60:61]
	s_nop 0
	v_min3_f32 v69, v70, v71, v144
	v_pk_add_f32 v[70:71], v[30:31], v[62:63]
	s_nop 0
	v_min_f32_e32 v70, v70, v71
	v_min3_f32 v70, v68, v70, v69
	v_lshl_add_u64 v[68:69], v[66:67], 2, v[80:81]
	flat_store_dword v[68:69], v70
.LBB8_61:
	s_or_b64 exec, exec, s[6:7]
	v_add_u32_e32 v68, 64, v64
	v_cmp_gt_i32_e64 s[6:7], s20, v68
	s_and_b64 s[10:11], s[6:7], s[18:19]
	v_ashrrev_i32_e32 v69, 31, v68
	;; [unrolled: 29-line block ×7, first 2 shown]
	s_and_saveexec_b64 s[18:19], s[26:27]
	s_cbranch_execz .LBB8_91
; %bb.87:
	s_and_b64 vcc, exec, s[0:1]
	s_cbranch_vccnz .LBB8_89
; %bb.88:
	v_lshl_add_u64 v[82:83], v[78:79], 2, v[82:83]
	flat_load_dword v82, v[82:83]
	s_waitcnt vmcnt(0) lgkmcnt(0)
	v_mul_f32_e32 v82, s30, v82
	s_branch .LBB8_90
.LBB8_89:
	v_mov_b32_e32 v82, 0
.LBB8_90:
	v_pk_add_f32 v[60:61], v[0:1], v[60:61]
	s_nop 0
	v_min3_f32 v83, v60, v61, v141
	v_pk_add_f32 v[60:61], v[2:3], v[62:63]
	s_nop 0
	v_min_f32_e32 v60, v60, v61
	v_min3_f32 v62, v82, v60, v83
	v_lshl_add_u64 v[60:61], v[78:79], 2, v[80:81]
	flat_store_dword v[60:61], v62
.LBB8_91:
	s_or_b64 exec, exec, s[18:19]
	v_add_u32_e32 v80, 8, v125
	v_mad_i64_i32 v[60:61], s[26:27], v80, s29, 0
	v_cmp_gt_i32_e64 s[18:19], s21, v80
	v_lshl_add_u64 v[62:63], v[60:61], 2, s[24:25]
	v_mad_i64_i32 v[60:61], s[26:27], v80, s28, 0
	v_lshl_add_u64 v[60:61], v[60:61], 2, s[22:23]
	s_and_b64 s[34:35], s[2:3], s[18:19]
	s_and_saveexec_b64 s[26:27], s[34:35]
	s_cbranch_execnz .LBB8_99
; %bb.92:
	s_or_b64 exec, exec, s[26:27]
	s_and_b64 s[34:35], s[4:5], s[18:19]
	s_and_saveexec_b64 s[26:27], s[34:35]
	s_cbranch_execnz .LBB8_103
.LBB8_93:
	s_or_b64 exec, exec, s[26:27]
	s_and_b64 s[34:35], s[6:7], s[18:19]
	s_and_saveexec_b64 s[26:27], s[34:35]
	s_cbranch_execnz .LBB8_107
.LBB8_94:
	s_or_b64 exec, exec, s[26:27]
	s_and_b64 s[34:35], s[8:9], s[18:19]
	s_and_saveexec_b64 s[26:27], s[34:35]
	s_cbranch_execnz .LBB8_111
.LBB8_95:
	s_or_b64 exec, exec, s[26:27]
	s_and_b64 s[34:35], s[10:11], s[18:19]
	s_and_saveexec_b64 s[26:27], s[34:35]
	s_cbranch_execnz .LBB8_115
.LBB8_96:
	s_or_b64 exec, exec, s[26:27]
	s_and_b64 s[34:35], s[12:13], s[18:19]
	s_and_saveexec_b64 s[26:27], s[34:35]
	s_cbranch_execnz .LBB8_119
.LBB8_97:
	s_or_b64 exec, exec, s[26:27]
	s_and_b64 s[34:35], s[14:15], s[18:19]
	s_and_saveexec_b64 s[26:27], s[34:35]
	s_cbranch_execnz .LBB8_123
.LBB8_98:
	s_or_b64 exec, exec, s[26:27]
	s_and_b64 s[26:27], s[16:17], s[18:19]
	s_and_saveexec_b64 s[18:19], s[26:27]
	s_cbranch_execnz .LBB8_127
	s_branch .LBB8_131
.LBB8_99:
	s_and_b64 vcc, exec, s[0:1]
	s_cbranch_vccnz .LBB8_101
; %bb.100:
	v_lshl_add_u64 v[80:81], v[64:65], 2, v[62:63]
	flat_load_dword v80, v[80:81]
	s_waitcnt vmcnt(0) lgkmcnt(0)
	v_mul_f32_e32 v80, s30, v80
	s_branch .LBB8_102
.LBB8_101:
	v_mov_b32_e32 v80, 0
.LBB8_102:
	v_pk_add_f32 v[82:83], v[32:33], v[56:57]
	s_nop 0
	v_min3_f32 v81, v82, v83, v140
	v_pk_add_f32 v[82:83], v[34:35], v[58:59]
	s_nop 0
	v_min_f32_e32 v82, v82, v83
	v_min3_f32 v82, v80, v82, v81
	v_lshl_add_u64 v[80:81], v[64:65], 2, v[60:61]
	flat_store_dword v[80:81], v82
	s_or_b64 exec, exec, s[26:27]
	s_and_b64 s[34:35], s[4:5], s[18:19]
	s_and_saveexec_b64 s[26:27], s[34:35]
	s_cbranch_execz .LBB8_93
.LBB8_103:
	s_and_b64 vcc, exec, s[0:1]
	s_cbranch_vccnz .LBB8_105
; %bb.104:
	v_lshl_add_u64 v[80:81], v[66:67], 2, v[62:63]
	flat_load_dword v80, v[80:81]
	s_waitcnt vmcnt(0) lgkmcnt(0)
	v_mul_f32_e32 v80, s30, v80
	s_branch .LBB8_106
.LBB8_105:
	v_mov_b32_e32 v80, 0
.LBB8_106:
	v_pk_add_f32 v[82:83], v[28:29], v[56:57]
	s_nop 0
	v_min3_f32 v81, v82, v83, v139
	v_pk_add_f32 v[82:83], v[30:31], v[58:59]
	s_nop 0
	v_min_f32_e32 v82, v82, v83
	v_min3_f32 v82, v80, v82, v81
	v_lshl_add_u64 v[80:81], v[66:67], 2, v[60:61]
	flat_store_dword v[80:81], v82
	s_or_b64 exec, exec, s[26:27]
	s_and_b64 s[34:35], s[6:7], s[18:19]
	s_and_saveexec_b64 s[26:27], s[34:35]
	s_cbranch_execz .LBB8_94
.LBB8_107:
	s_and_b64 vcc, exec, s[0:1]
	s_cbranch_vccnz .LBB8_109
; %bb.108:
	v_lshl_add_u64 v[80:81], v[68:69], 2, v[62:63]
	flat_load_dword v80, v[80:81]
	s_waitcnt vmcnt(0) lgkmcnt(0)
	v_mul_f32_e32 v80, s30, v80
	s_branch .LBB8_110
.LBB8_109:
	v_mov_b32_e32 v80, 0
.LBB8_110:
	v_pk_add_f32 v[82:83], v[24:25], v[56:57]
	s_nop 0
	v_min3_f32 v81, v82, v83, v138
	v_pk_add_f32 v[82:83], v[26:27], v[58:59]
	s_nop 0
	v_min_f32_e32 v82, v82, v83
	v_min3_f32 v82, v80, v82, v81
	v_lshl_add_u64 v[80:81], v[68:69], 2, v[60:61]
	flat_store_dword v[80:81], v82
	s_or_b64 exec, exec, s[26:27]
	s_and_b64 s[34:35], s[8:9], s[18:19]
	s_and_saveexec_b64 s[26:27], s[34:35]
	s_cbranch_execz .LBB8_95
.LBB8_111:
	s_and_b64 vcc, exec, s[0:1]
	s_cbranch_vccnz .LBB8_113
; %bb.112:
	v_lshl_add_u64 v[80:81], v[70:71], 2, v[62:63]
	flat_load_dword v80, v[80:81]
	s_waitcnt vmcnt(0) lgkmcnt(0)
	v_mul_f32_e32 v80, s30, v80
	s_branch .LBB8_114
.LBB8_113:
	v_mov_b32_e32 v80, 0
.LBB8_114:
	v_pk_add_f32 v[82:83], v[20:21], v[56:57]
	s_nop 0
	v_min3_f32 v81, v82, v83, v137
	v_pk_add_f32 v[82:83], v[22:23], v[58:59]
	s_nop 0
	v_min_f32_e32 v82, v82, v83
	v_min3_f32 v82, v80, v82, v81
	v_lshl_add_u64 v[80:81], v[70:71], 2, v[60:61]
	flat_store_dword v[80:81], v82
	s_or_b64 exec, exec, s[26:27]
	s_and_b64 s[34:35], s[10:11], s[18:19]
	s_and_saveexec_b64 s[26:27], s[34:35]
	s_cbranch_execz .LBB8_96
.LBB8_115:
	s_and_b64 vcc, exec, s[0:1]
	s_cbranch_vccnz .LBB8_117
; %bb.116:
	v_lshl_add_u64 v[80:81], v[72:73], 2, v[62:63]
	flat_load_dword v80, v[80:81]
	s_waitcnt vmcnt(0) lgkmcnt(0)
	v_mul_f32_e32 v80, s30, v80
	s_branch .LBB8_118
.LBB8_117:
	v_mov_b32_e32 v80, 0
.LBB8_118:
	v_pk_add_f32 v[82:83], v[16:17], v[56:57]
	s_nop 0
	v_min3_f32 v81, v82, v83, v136
	v_pk_add_f32 v[82:83], v[18:19], v[58:59]
	s_nop 0
	v_min_f32_e32 v82, v82, v83
	v_min3_f32 v82, v80, v82, v81
	v_lshl_add_u64 v[80:81], v[72:73], 2, v[60:61]
	flat_store_dword v[80:81], v82
	s_or_b64 exec, exec, s[26:27]
	s_and_b64 s[34:35], s[12:13], s[18:19]
	s_and_saveexec_b64 s[26:27], s[34:35]
	s_cbranch_execz .LBB8_97
.LBB8_119:
	s_and_b64 vcc, exec, s[0:1]
	s_cbranch_vccnz .LBB8_121
; %bb.120:
	v_lshl_add_u64 v[80:81], v[74:75], 2, v[62:63]
	flat_load_dword v80, v[80:81]
	s_waitcnt vmcnt(0) lgkmcnt(0)
	v_mul_f32_e32 v80, s30, v80
	s_branch .LBB8_122
.LBB8_121:
	v_mov_b32_e32 v80, 0
.LBB8_122:
	v_pk_add_f32 v[82:83], v[12:13], v[56:57]
	s_nop 0
	v_min3_f32 v81, v82, v83, v135
	v_pk_add_f32 v[82:83], v[14:15], v[58:59]
	s_nop 0
	v_min_f32_e32 v82, v82, v83
	v_min3_f32 v82, v80, v82, v81
	v_lshl_add_u64 v[80:81], v[74:75], 2, v[60:61]
	flat_store_dword v[80:81], v82
	s_or_b64 exec, exec, s[26:27]
	s_and_b64 s[34:35], s[14:15], s[18:19]
	s_and_saveexec_b64 s[26:27], s[34:35]
	s_cbranch_execz .LBB8_98
.LBB8_123:
	s_and_b64 vcc, exec, s[0:1]
	s_cbranch_vccnz .LBB8_125
; %bb.124:
	v_lshl_add_u64 v[80:81], v[76:77], 2, v[62:63]
	flat_load_dword v80, v[80:81]
	s_waitcnt vmcnt(0) lgkmcnt(0)
	v_mul_f32_e32 v80, s30, v80
	s_branch .LBB8_126
.LBB8_125:
	v_mov_b32_e32 v80, 0
.LBB8_126:
	v_pk_add_f32 v[82:83], v[8:9], v[56:57]
	s_nop 0
	v_min3_f32 v81, v82, v83, v134
	v_pk_add_f32 v[82:83], v[10:11], v[58:59]
	s_nop 0
	v_min_f32_e32 v82, v82, v83
	v_min3_f32 v82, v80, v82, v81
	v_lshl_add_u64 v[80:81], v[76:77], 2, v[60:61]
	flat_store_dword v[80:81], v82
	s_or_b64 exec, exec, s[26:27]
	s_and_b64 s[26:27], s[16:17], s[18:19]
	s_and_saveexec_b64 s[18:19], s[26:27]
	s_cbranch_execz .LBB8_131
.LBB8_127:
	s_and_b64 vcc, exec, s[0:1]
	s_cbranch_vccnz .LBB8_129
; %bb.128:
	v_lshl_add_u64 v[62:63], v[78:79], 2, v[62:63]
	flat_load_dword v62, v[62:63]
	s_waitcnt vmcnt(0) lgkmcnt(0)
	v_mul_f32_e32 v62, s30, v62
	s_branch .LBB8_130
.LBB8_129:
	v_mov_b32_e32 v62, 0
.LBB8_130:
	v_pk_add_f32 v[56:57], v[0:1], v[56:57]
	s_nop 0
	v_min3_f32 v63, v56, v57, v133
	v_pk_add_f32 v[56:57], v[2:3], v[58:59]
	s_nop 0
	v_min_f32_e32 v56, v56, v57
	v_min3_f32 v58, v62, v56, v63
	v_lshl_add_u64 v[56:57], v[78:79], 2, v[60:61]
	flat_store_dword v[56:57], v58
.LBB8_131:
	s_or_b64 exec, exec, s[18:19]
	v_add_u32_e32 v60, 16, v125
	v_mad_i64_i32 v[56:57], s[26:27], v60, s29, 0
	v_cmp_gt_i32_e64 s[18:19], s21, v60
	v_lshl_add_u64 v[58:59], v[56:57], 2, s[24:25]
	v_mad_i64_i32 v[56:57], s[26:27], v60, s28, 0
	v_lshl_add_u64 v[56:57], v[56:57], 2, s[22:23]
	s_and_b64 s[34:35], s[2:3], s[18:19]
	s_and_saveexec_b64 s[26:27], s[34:35]
	s_cbranch_execnz .LBB8_139
; %bb.132:
	s_or_b64 exec, exec, s[26:27]
	s_and_b64 s[34:35], s[4:5], s[18:19]
	s_and_saveexec_b64 s[26:27], s[34:35]
	s_cbranch_execnz .LBB8_143
.LBB8_133:
	s_or_b64 exec, exec, s[26:27]
	s_and_b64 s[34:35], s[6:7], s[18:19]
	s_and_saveexec_b64 s[26:27], s[34:35]
	s_cbranch_execnz .LBB8_147
.LBB8_134:
	s_or_b64 exec, exec, s[26:27]
	s_and_b64 s[34:35], s[8:9], s[18:19]
	s_and_saveexec_b64 s[26:27], s[34:35]
	s_cbranch_execnz .LBB8_151
.LBB8_135:
	s_or_b64 exec, exec, s[26:27]
	s_and_b64 s[34:35], s[10:11], s[18:19]
	s_and_saveexec_b64 s[26:27], s[34:35]
	s_cbranch_execnz .LBB8_155
.LBB8_136:
	s_or_b64 exec, exec, s[26:27]
	s_and_b64 s[34:35], s[12:13], s[18:19]
	s_and_saveexec_b64 s[26:27], s[34:35]
	s_cbranch_execnz .LBB8_159
.LBB8_137:
	s_or_b64 exec, exec, s[26:27]
	s_and_b64 s[34:35], s[14:15], s[18:19]
	s_and_saveexec_b64 s[26:27], s[34:35]
	s_cbranch_execnz .LBB8_163
.LBB8_138:
	s_or_b64 exec, exec, s[26:27]
	s_and_b64 s[26:27], s[16:17], s[18:19]
	s_and_saveexec_b64 s[18:19], s[26:27]
	s_cbranch_execnz .LBB8_167
	s_branch .LBB8_171
.LBB8_139:
	s_and_b64 vcc, exec, s[0:1]
	s_cbranch_vccnz .LBB8_141
; %bb.140:
	v_lshl_add_u64 v[60:61], v[64:65], 2, v[58:59]
	flat_load_dword v60, v[60:61]
	s_waitcnt vmcnt(0) lgkmcnt(0)
	v_mul_f32_e32 v60, s30, v60
	s_branch .LBB8_142
.LBB8_141:
	v_mov_b32_e32 v60, 0
.LBB8_142:
	v_pk_add_f32 v[62:63], v[32:33], v[52:53]
	s_nop 0
	v_min3_f32 v61, v62, v63, v132
	v_pk_add_f32 v[62:63], v[34:35], v[54:55]
	s_nop 0
	v_min_f32_e32 v62, v62, v63
	v_min3_f32 v62, v60, v62, v61
	v_lshl_add_u64 v[60:61], v[64:65], 2, v[56:57]
	flat_store_dword v[60:61], v62
	s_or_b64 exec, exec, s[26:27]
	s_and_b64 s[34:35], s[4:5], s[18:19]
	s_and_saveexec_b64 s[26:27], s[34:35]
	s_cbranch_execz .LBB8_133
.LBB8_143:
	s_and_b64 vcc, exec, s[0:1]
	s_cbranch_vccnz .LBB8_145
; %bb.144:
	v_lshl_add_u64 v[60:61], v[66:67], 2, v[58:59]
	flat_load_dword v60, v[60:61]
	s_waitcnt vmcnt(0) lgkmcnt(0)
	v_mul_f32_e32 v60, s30, v60
	s_branch .LBB8_146
.LBB8_145:
	v_mov_b32_e32 v60, 0
.LBB8_146:
	v_pk_add_f32 v[62:63], v[28:29], v[52:53]
	s_nop 0
	v_min3_f32 v61, v62, v63, v131
	v_pk_add_f32 v[62:63], v[30:31], v[54:55]
	s_nop 0
	v_min_f32_e32 v62, v62, v63
	v_min3_f32 v62, v60, v62, v61
	v_lshl_add_u64 v[60:61], v[66:67], 2, v[56:57]
	flat_store_dword v[60:61], v62
	s_or_b64 exec, exec, s[26:27]
	s_and_b64 s[34:35], s[6:7], s[18:19]
	s_and_saveexec_b64 s[26:27], s[34:35]
	s_cbranch_execz .LBB8_134
.LBB8_147:
	s_and_b64 vcc, exec, s[0:1]
	s_cbranch_vccnz .LBB8_149
; %bb.148:
	v_lshl_add_u64 v[60:61], v[68:69], 2, v[58:59]
	flat_load_dword v60, v[60:61]
	s_waitcnt vmcnt(0) lgkmcnt(0)
	v_mul_f32_e32 v60, s30, v60
	s_branch .LBB8_150
.LBB8_149:
	v_mov_b32_e32 v60, 0
.LBB8_150:
	v_pk_add_f32 v[62:63], v[24:25], v[52:53]
	s_nop 0
	v_min3_f32 v61, v62, v63, v130
	v_pk_add_f32 v[62:63], v[26:27], v[54:55]
	s_nop 0
	v_min_f32_e32 v62, v62, v63
	v_min3_f32 v62, v60, v62, v61
	v_lshl_add_u64 v[60:61], v[68:69], 2, v[56:57]
	flat_store_dword v[60:61], v62
	s_or_b64 exec, exec, s[26:27]
	s_and_b64 s[34:35], s[8:9], s[18:19]
	s_and_saveexec_b64 s[26:27], s[34:35]
	s_cbranch_execz .LBB8_135
.LBB8_151:
	s_and_b64 vcc, exec, s[0:1]
	s_cbranch_vccnz .LBB8_153
; %bb.152:
	v_lshl_add_u64 v[60:61], v[70:71], 2, v[58:59]
	flat_load_dword v60, v[60:61]
	s_waitcnt vmcnt(0) lgkmcnt(0)
	v_mul_f32_e32 v60, s30, v60
	s_branch .LBB8_154
.LBB8_153:
	v_mov_b32_e32 v60, 0
.LBB8_154:
	v_pk_add_f32 v[62:63], v[20:21], v[52:53]
	s_nop 0
	v_min3_f32 v61, v62, v63, v129
	v_pk_add_f32 v[62:63], v[22:23], v[54:55]
	s_nop 0
	v_min_f32_e32 v62, v62, v63
	v_min3_f32 v62, v60, v62, v61
	v_lshl_add_u64 v[60:61], v[70:71], 2, v[56:57]
	flat_store_dword v[60:61], v62
	s_or_b64 exec, exec, s[26:27]
	s_and_b64 s[34:35], s[10:11], s[18:19]
	s_and_saveexec_b64 s[26:27], s[34:35]
	s_cbranch_execz .LBB8_136
.LBB8_155:
	s_and_b64 vcc, exec, s[0:1]
	s_cbranch_vccnz .LBB8_157
; %bb.156:
	v_lshl_add_u64 v[60:61], v[72:73], 2, v[58:59]
	flat_load_dword v60, v[60:61]
	s_waitcnt vmcnt(0) lgkmcnt(0)
	v_mul_f32_e32 v60, s30, v60
	s_branch .LBB8_158
.LBB8_157:
	v_mov_b32_e32 v60, 0
.LBB8_158:
	v_pk_add_f32 v[62:63], v[16:17], v[52:53]
	s_nop 0
	v_min3_f32 v61, v62, v63, v128
	v_pk_add_f32 v[62:63], v[18:19], v[54:55]
	s_nop 0
	v_min_f32_e32 v62, v62, v63
	v_min3_f32 v62, v60, v62, v61
	v_lshl_add_u64 v[60:61], v[72:73], 2, v[56:57]
	flat_store_dword v[60:61], v62
	s_or_b64 exec, exec, s[26:27]
	s_and_b64 s[34:35], s[12:13], s[18:19]
	s_and_saveexec_b64 s[26:27], s[34:35]
	s_cbranch_execz .LBB8_137
.LBB8_159:
	s_and_b64 vcc, exec, s[0:1]
	s_cbranch_vccnz .LBB8_161
; %bb.160:
	v_lshl_add_u64 v[60:61], v[74:75], 2, v[58:59]
	flat_load_dword v60, v[60:61]
	s_waitcnt vmcnt(0) lgkmcnt(0)
	v_mul_f32_e32 v60, s30, v60
	s_branch .LBB8_162
.LBB8_161:
	v_mov_b32_e32 v60, 0
.LBB8_162:
	v_pk_add_f32 v[62:63], v[12:13], v[52:53]
	s_nop 0
	v_min3_f32 v61, v62, v63, v126
	v_pk_add_f32 v[62:63], v[14:15], v[54:55]
	s_nop 0
	v_min_f32_e32 v62, v62, v63
	v_min3_f32 v62, v60, v62, v61
	v_lshl_add_u64 v[60:61], v[74:75], 2, v[56:57]
	flat_store_dword v[60:61], v62
	s_or_b64 exec, exec, s[26:27]
	s_and_b64 s[34:35], s[14:15], s[18:19]
	s_and_saveexec_b64 s[26:27], s[34:35]
	s_cbranch_execz .LBB8_138
.LBB8_163:
	s_and_b64 vcc, exec, s[0:1]
	s_cbranch_vccnz .LBB8_165
; %bb.164:
	v_lshl_add_u64 v[60:61], v[76:77], 2, v[58:59]
	flat_load_dword v60, v[60:61]
	s_waitcnt vmcnt(0) lgkmcnt(0)
	v_mul_f32_e32 v60, s30, v60
	s_branch .LBB8_166
.LBB8_165:
	v_mov_b32_e32 v60, 0
.LBB8_166:
	v_pk_add_f32 v[62:63], v[8:9], v[52:53]
	s_nop 0
	v_min3_f32 v61, v62, v63, v123
	v_pk_add_f32 v[62:63], v[10:11], v[54:55]
	s_nop 0
	v_min_f32_e32 v62, v62, v63
	v_min3_f32 v62, v60, v62, v61
	v_lshl_add_u64 v[60:61], v[76:77], 2, v[56:57]
	flat_store_dword v[60:61], v62
	s_or_b64 exec, exec, s[26:27]
	s_and_b64 s[26:27], s[16:17], s[18:19]
	s_and_saveexec_b64 s[18:19], s[26:27]
	s_cbranch_execz .LBB8_171
.LBB8_167:
	s_and_b64 vcc, exec, s[0:1]
	s_cbranch_vccnz .LBB8_169
; %bb.168:
	v_lshl_add_u64 v[58:59], v[78:79], 2, v[58:59]
	flat_load_dword v58, v[58:59]
	s_waitcnt vmcnt(0) lgkmcnt(0)
	v_mul_f32_e32 v58, s30, v58
	s_branch .LBB8_170
.LBB8_169:
	v_mov_b32_e32 v58, 0
.LBB8_170:
	v_pk_add_f32 v[52:53], v[0:1], v[52:53]
	s_nop 0
	v_min3_f32 v59, v52, v53, v127
	v_pk_add_f32 v[52:53], v[2:3], v[54:55]
	s_nop 0
	v_min_f32_e32 v52, v52, v53
	v_min3_f32 v54, v58, v52, v59
	v_lshl_add_u64 v[52:53], v[78:79], 2, v[56:57]
	flat_store_dword v[52:53], v54
.LBB8_171:
	s_or_b64 exec, exec, s[18:19]
	v_add_u32_e32 v56, 24, v125
	v_mad_i64_i32 v[52:53], s[26:27], v56, s29, 0
	v_cmp_gt_i32_e64 s[18:19], s21, v56
	v_lshl_add_u64 v[54:55], v[52:53], 2, s[24:25]
	v_mad_i64_i32 v[52:53], s[26:27], v56, s28, 0
	v_lshl_add_u64 v[52:53], v[52:53], 2, s[22:23]
	s_and_b64 s[34:35], s[2:3], s[18:19]
	s_and_saveexec_b64 s[26:27], s[34:35]
	s_cbranch_execnz .LBB8_179
; %bb.172:
	s_or_b64 exec, exec, s[26:27]
	s_and_b64 s[34:35], s[4:5], s[18:19]
	s_and_saveexec_b64 s[26:27], s[34:35]
	s_cbranch_execnz .LBB8_183
.LBB8_173:
	s_or_b64 exec, exec, s[26:27]
	s_and_b64 s[34:35], s[6:7], s[18:19]
	s_and_saveexec_b64 s[26:27], s[34:35]
	s_cbranch_execnz .LBB8_187
.LBB8_174:
	s_or_b64 exec, exec, s[26:27]
	s_and_b64 s[34:35], s[8:9], s[18:19]
	s_and_saveexec_b64 s[26:27], s[34:35]
	s_cbranch_execnz .LBB8_191
.LBB8_175:
	s_or_b64 exec, exec, s[26:27]
	s_and_b64 s[34:35], s[10:11], s[18:19]
	s_and_saveexec_b64 s[26:27], s[34:35]
	s_cbranch_execnz .LBB8_195
.LBB8_176:
	s_or_b64 exec, exec, s[26:27]
	s_and_b64 s[34:35], s[12:13], s[18:19]
	s_and_saveexec_b64 s[26:27], s[34:35]
	s_cbranch_execnz .LBB8_199
.LBB8_177:
	s_or_b64 exec, exec, s[26:27]
	s_and_b64 s[34:35], s[14:15], s[18:19]
	s_and_saveexec_b64 s[26:27], s[34:35]
	s_cbranch_execnz .LBB8_203
.LBB8_178:
	s_or_b64 exec, exec, s[26:27]
	s_and_b64 s[26:27], s[16:17], s[18:19]
	s_and_saveexec_b64 s[18:19], s[26:27]
	s_cbranch_execnz .LBB8_207
	s_branch .LBB8_211
.LBB8_179:
	s_and_b64 vcc, exec, s[0:1]
	s_cbranch_vccnz .LBB8_181
; %bb.180:
	v_lshl_add_u64 v[56:57], v[64:65], 2, v[54:55]
	flat_load_dword v56, v[56:57]
	s_waitcnt vmcnt(0) lgkmcnt(0)
	v_mul_f32_e32 v56, s30, v56
	s_branch .LBB8_182
.LBB8_181:
	v_mov_b32_e32 v56, 0
.LBB8_182:
	v_pk_add_f32 v[58:59], v[32:33], v[48:49]
	s_nop 0
	v_min3_f32 v57, v58, v59, v124
	v_pk_add_f32 v[58:59], v[34:35], v[50:51]
	s_nop 0
	v_min_f32_e32 v58, v58, v59
	v_min3_f32 v58, v56, v58, v57
	v_lshl_add_u64 v[56:57], v[64:65], 2, v[52:53]
	flat_store_dword v[56:57], v58
	s_or_b64 exec, exec, s[26:27]
	s_and_b64 s[34:35], s[4:5], s[18:19]
	s_and_saveexec_b64 s[26:27], s[34:35]
	s_cbranch_execz .LBB8_173
.LBB8_183:
	s_and_b64 vcc, exec, s[0:1]
	s_cbranch_vccnz .LBB8_185
; %bb.184:
	v_lshl_add_u64 v[56:57], v[66:67], 2, v[54:55]
	flat_load_dword v56, v[56:57]
	s_waitcnt vmcnt(0) lgkmcnt(0)
	v_mul_f32_e32 v56, s30, v56
	s_branch .LBB8_186
.LBB8_185:
	v_mov_b32_e32 v56, 0
.LBB8_186:
	v_pk_add_f32 v[58:59], v[28:29], v[48:49]
	s_nop 0
	v_min3_f32 v57, v58, v59, v122
	v_pk_add_f32 v[58:59], v[30:31], v[50:51]
	s_nop 0
	v_min_f32_e32 v58, v58, v59
	v_min3_f32 v58, v56, v58, v57
	v_lshl_add_u64 v[56:57], v[66:67], 2, v[52:53]
	flat_store_dword v[56:57], v58
	s_or_b64 exec, exec, s[26:27]
	s_and_b64 s[34:35], s[6:7], s[18:19]
	s_and_saveexec_b64 s[26:27], s[34:35]
	s_cbranch_execz .LBB8_174
.LBB8_187:
	s_and_b64 vcc, exec, s[0:1]
	s_cbranch_vccnz .LBB8_189
; %bb.188:
	v_lshl_add_u64 v[56:57], v[68:69], 2, v[54:55]
	flat_load_dword v56, v[56:57]
	s_waitcnt vmcnt(0) lgkmcnt(0)
	v_mul_f32_e32 v56, s30, v56
	s_branch .LBB8_190
.LBB8_189:
	v_mov_b32_e32 v56, 0
.LBB8_190:
	v_pk_add_f32 v[58:59], v[24:25], v[48:49]
	s_nop 0
	v_min3_f32 v57, v58, v59, v121
	v_pk_add_f32 v[58:59], v[26:27], v[50:51]
	s_nop 0
	v_min_f32_e32 v58, v58, v59
	v_min3_f32 v58, v56, v58, v57
	v_lshl_add_u64 v[56:57], v[68:69], 2, v[52:53]
	flat_store_dword v[56:57], v58
	s_or_b64 exec, exec, s[26:27]
	s_and_b64 s[34:35], s[8:9], s[18:19]
	s_and_saveexec_b64 s[26:27], s[34:35]
	s_cbranch_execz .LBB8_175
.LBB8_191:
	s_and_b64 vcc, exec, s[0:1]
	s_cbranch_vccnz .LBB8_193
; %bb.192:
	v_lshl_add_u64 v[56:57], v[70:71], 2, v[54:55]
	flat_load_dword v56, v[56:57]
	s_waitcnt vmcnt(0) lgkmcnt(0)
	v_mul_f32_e32 v56, s30, v56
	s_branch .LBB8_194
.LBB8_193:
	v_mov_b32_e32 v56, 0
.LBB8_194:
	v_pk_add_f32 v[58:59], v[20:21], v[48:49]
	s_nop 0
	v_min3_f32 v57, v58, v59, v120
	v_pk_add_f32 v[58:59], v[22:23], v[50:51]
	s_nop 0
	v_min_f32_e32 v58, v58, v59
	v_min3_f32 v58, v56, v58, v57
	v_lshl_add_u64 v[56:57], v[70:71], 2, v[52:53]
	flat_store_dword v[56:57], v58
	s_or_b64 exec, exec, s[26:27]
	s_and_b64 s[34:35], s[10:11], s[18:19]
	s_and_saveexec_b64 s[26:27], s[34:35]
	s_cbranch_execz .LBB8_176
.LBB8_195:
	s_and_b64 vcc, exec, s[0:1]
	s_cbranch_vccnz .LBB8_197
; %bb.196:
	v_lshl_add_u64 v[56:57], v[72:73], 2, v[54:55]
	flat_load_dword v56, v[56:57]
	s_waitcnt vmcnt(0) lgkmcnt(0)
	v_mul_f32_e32 v56, s30, v56
	s_branch .LBB8_198
.LBB8_197:
	v_mov_b32_e32 v56, 0
.LBB8_198:
	v_pk_add_f32 v[58:59], v[16:17], v[48:49]
	s_nop 0
	v_min3_f32 v57, v58, v59, v119
	v_pk_add_f32 v[58:59], v[18:19], v[50:51]
	s_nop 0
	v_min_f32_e32 v58, v58, v59
	v_min3_f32 v58, v56, v58, v57
	v_lshl_add_u64 v[56:57], v[72:73], 2, v[52:53]
	flat_store_dword v[56:57], v58
	s_or_b64 exec, exec, s[26:27]
	s_and_b64 s[34:35], s[12:13], s[18:19]
	s_and_saveexec_b64 s[26:27], s[34:35]
	s_cbranch_execz .LBB8_177
.LBB8_199:
	s_and_b64 vcc, exec, s[0:1]
	s_cbranch_vccnz .LBB8_201
; %bb.200:
	v_lshl_add_u64 v[56:57], v[74:75], 2, v[54:55]
	flat_load_dword v56, v[56:57]
	s_waitcnt vmcnt(0) lgkmcnt(0)
	v_mul_f32_e32 v56, s30, v56
	s_branch .LBB8_202
.LBB8_201:
	v_mov_b32_e32 v56, 0
.LBB8_202:
	v_pk_add_f32 v[58:59], v[12:13], v[48:49]
	s_nop 0
	v_min3_f32 v57, v58, v59, v118
	v_pk_add_f32 v[58:59], v[14:15], v[50:51]
	s_nop 0
	v_min_f32_e32 v58, v58, v59
	v_min3_f32 v58, v56, v58, v57
	v_lshl_add_u64 v[56:57], v[74:75], 2, v[52:53]
	flat_store_dword v[56:57], v58
	s_or_b64 exec, exec, s[26:27]
	s_and_b64 s[34:35], s[14:15], s[18:19]
	s_and_saveexec_b64 s[26:27], s[34:35]
	s_cbranch_execz .LBB8_178
.LBB8_203:
	s_and_b64 vcc, exec, s[0:1]
	s_cbranch_vccnz .LBB8_205
; %bb.204:
	v_lshl_add_u64 v[56:57], v[76:77], 2, v[54:55]
	flat_load_dword v56, v[56:57]
	s_waitcnt vmcnt(0) lgkmcnt(0)
	v_mul_f32_e32 v56, s30, v56
	s_branch .LBB8_206
.LBB8_205:
	v_mov_b32_e32 v56, 0
.LBB8_206:
	v_pk_add_f32 v[58:59], v[8:9], v[48:49]
	s_nop 0
	v_min3_f32 v57, v58, v59, v117
	v_pk_add_f32 v[58:59], v[10:11], v[50:51]
	s_nop 0
	v_min_f32_e32 v58, v58, v59
	v_min3_f32 v58, v56, v58, v57
	v_lshl_add_u64 v[56:57], v[76:77], 2, v[52:53]
	flat_store_dword v[56:57], v58
	s_or_b64 exec, exec, s[26:27]
	s_and_b64 s[26:27], s[16:17], s[18:19]
	s_and_saveexec_b64 s[18:19], s[26:27]
	s_cbranch_execz .LBB8_211
.LBB8_207:
	s_and_b64 vcc, exec, s[0:1]
	s_cbranch_vccnz .LBB8_209
; %bb.208:
	v_lshl_add_u64 v[54:55], v[78:79], 2, v[54:55]
	flat_load_dword v54, v[54:55]
	s_waitcnt vmcnt(0) lgkmcnt(0)
	v_mul_f32_e32 v54, s30, v54
	s_branch .LBB8_210
.LBB8_209:
	v_mov_b32_e32 v54, 0
.LBB8_210:
	v_pk_add_f32 v[48:49], v[0:1], v[48:49]
	s_nop 0
	v_min3_f32 v55, v48, v49, v116
	v_pk_add_f32 v[48:49], v[2:3], v[50:51]
	s_nop 0
	v_min_f32_e32 v48, v48, v49
	v_min3_f32 v50, v54, v48, v55
	v_lshl_add_u64 v[48:49], v[78:79], 2, v[52:53]
	flat_store_dword v[48:49], v50
.LBB8_211:
	s_or_b64 exec, exec, s[18:19]
	v_add_u32_e32 v52, 32, v125
	v_mad_i64_i32 v[48:49], s[26:27], v52, s29, 0
	v_cmp_gt_i32_e64 s[18:19], s21, v52
	v_lshl_add_u64 v[50:51], v[48:49], 2, s[24:25]
	v_mad_i64_i32 v[48:49], s[26:27], v52, s28, 0
	v_lshl_add_u64 v[48:49], v[48:49], 2, s[22:23]
	s_and_b64 s[34:35], s[2:3], s[18:19]
	s_and_saveexec_b64 s[26:27], s[34:35]
	s_cbranch_execnz .LBB8_219
; %bb.212:
	s_or_b64 exec, exec, s[26:27]
	s_and_b64 s[34:35], s[4:5], s[18:19]
	s_and_saveexec_b64 s[26:27], s[34:35]
	s_cbranch_execnz .LBB8_223
.LBB8_213:
	s_or_b64 exec, exec, s[26:27]
	s_and_b64 s[34:35], s[6:7], s[18:19]
	s_and_saveexec_b64 s[26:27], s[34:35]
	s_cbranch_execnz .LBB8_227
.LBB8_214:
	s_or_b64 exec, exec, s[26:27]
	s_and_b64 s[34:35], s[8:9], s[18:19]
	s_and_saveexec_b64 s[26:27], s[34:35]
	s_cbranch_execnz .LBB8_231
.LBB8_215:
	s_or_b64 exec, exec, s[26:27]
	s_and_b64 s[34:35], s[10:11], s[18:19]
	s_and_saveexec_b64 s[26:27], s[34:35]
	s_cbranch_execnz .LBB8_235
.LBB8_216:
	s_or_b64 exec, exec, s[26:27]
	s_and_b64 s[34:35], s[12:13], s[18:19]
	s_and_saveexec_b64 s[26:27], s[34:35]
	s_cbranch_execnz .LBB8_239
.LBB8_217:
	s_or_b64 exec, exec, s[26:27]
	s_and_b64 s[34:35], s[14:15], s[18:19]
	s_and_saveexec_b64 s[26:27], s[34:35]
	s_cbranch_execnz .LBB8_243
.LBB8_218:
	s_or_b64 exec, exec, s[26:27]
	s_and_b64 s[26:27], s[16:17], s[18:19]
	s_and_saveexec_b64 s[18:19], s[26:27]
	s_cbranch_execnz .LBB8_247
	s_branch .LBB8_251
.LBB8_219:
	s_and_b64 vcc, exec, s[0:1]
	s_cbranch_vccnz .LBB8_221
; %bb.220:
	v_lshl_add_u64 v[52:53], v[64:65], 2, v[50:51]
	flat_load_dword v52, v[52:53]
	s_waitcnt vmcnt(0) lgkmcnt(0)
	v_mul_f32_e32 v52, s30, v52
	s_branch .LBB8_222
.LBB8_221:
	v_mov_b32_e32 v52, 0
.LBB8_222:
	v_pk_add_f32 v[54:55], v[32:33], v[44:45]
	s_nop 0
	v_min3_f32 v53, v54, v55, v115
	v_pk_add_f32 v[54:55], v[34:35], v[46:47]
	s_nop 0
	v_min_f32_e32 v54, v54, v55
	v_min3_f32 v54, v52, v54, v53
	v_lshl_add_u64 v[52:53], v[64:65], 2, v[48:49]
	flat_store_dword v[52:53], v54
	s_or_b64 exec, exec, s[26:27]
	s_and_b64 s[34:35], s[4:5], s[18:19]
	s_and_saveexec_b64 s[26:27], s[34:35]
	s_cbranch_execz .LBB8_213
.LBB8_223:
	s_and_b64 vcc, exec, s[0:1]
	s_cbranch_vccnz .LBB8_225
; %bb.224:
	v_lshl_add_u64 v[52:53], v[66:67], 2, v[50:51]
	flat_load_dword v52, v[52:53]
	s_waitcnt vmcnt(0) lgkmcnt(0)
	v_mul_f32_e32 v52, s30, v52
	s_branch .LBB8_226
.LBB8_225:
	v_mov_b32_e32 v52, 0
.LBB8_226:
	v_pk_add_f32 v[54:55], v[28:29], v[44:45]
	s_nop 0
	v_min3_f32 v53, v54, v55, v114
	v_pk_add_f32 v[54:55], v[30:31], v[46:47]
	s_nop 0
	v_min_f32_e32 v54, v54, v55
	v_min3_f32 v54, v52, v54, v53
	v_lshl_add_u64 v[52:53], v[66:67], 2, v[48:49]
	flat_store_dword v[52:53], v54
	s_or_b64 exec, exec, s[26:27]
	s_and_b64 s[34:35], s[6:7], s[18:19]
	s_and_saveexec_b64 s[26:27], s[34:35]
	s_cbranch_execz .LBB8_214
.LBB8_227:
	s_and_b64 vcc, exec, s[0:1]
	s_cbranch_vccnz .LBB8_229
; %bb.228:
	v_lshl_add_u64 v[52:53], v[68:69], 2, v[50:51]
	flat_load_dword v52, v[52:53]
	s_waitcnt vmcnt(0) lgkmcnt(0)
	v_mul_f32_e32 v52, s30, v52
	s_branch .LBB8_230
.LBB8_229:
	v_mov_b32_e32 v52, 0
.LBB8_230:
	v_pk_add_f32 v[54:55], v[24:25], v[44:45]
	s_nop 0
	v_min3_f32 v53, v54, v55, v113
	v_pk_add_f32 v[54:55], v[26:27], v[46:47]
	s_nop 0
	v_min_f32_e32 v54, v54, v55
	v_min3_f32 v54, v52, v54, v53
	v_lshl_add_u64 v[52:53], v[68:69], 2, v[48:49]
	flat_store_dword v[52:53], v54
	s_or_b64 exec, exec, s[26:27]
	s_and_b64 s[34:35], s[8:9], s[18:19]
	s_and_saveexec_b64 s[26:27], s[34:35]
	s_cbranch_execz .LBB8_215
.LBB8_231:
	s_and_b64 vcc, exec, s[0:1]
	s_cbranch_vccnz .LBB8_233
; %bb.232:
	v_lshl_add_u64 v[52:53], v[70:71], 2, v[50:51]
	flat_load_dword v52, v[52:53]
	s_waitcnt vmcnt(0) lgkmcnt(0)
	v_mul_f32_e32 v52, s30, v52
	s_branch .LBB8_234
.LBB8_233:
	v_mov_b32_e32 v52, 0
.LBB8_234:
	v_pk_add_f32 v[54:55], v[20:21], v[44:45]
	s_nop 0
	v_min3_f32 v53, v54, v55, v112
	v_pk_add_f32 v[54:55], v[22:23], v[46:47]
	s_nop 0
	v_min_f32_e32 v54, v54, v55
	v_min3_f32 v54, v52, v54, v53
	v_lshl_add_u64 v[52:53], v[70:71], 2, v[48:49]
	flat_store_dword v[52:53], v54
	s_or_b64 exec, exec, s[26:27]
	s_and_b64 s[34:35], s[10:11], s[18:19]
	s_and_saveexec_b64 s[26:27], s[34:35]
	s_cbranch_execz .LBB8_216
.LBB8_235:
	s_and_b64 vcc, exec, s[0:1]
	s_cbranch_vccnz .LBB8_237
; %bb.236:
	v_lshl_add_u64 v[52:53], v[72:73], 2, v[50:51]
	flat_load_dword v52, v[52:53]
	s_waitcnt vmcnt(0) lgkmcnt(0)
	v_mul_f32_e32 v52, s30, v52
	s_branch .LBB8_238
.LBB8_237:
	v_mov_b32_e32 v52, 0
.LBB8_238:
	v_pk_add_f32 v[54:55], v[16:17], v[44:45]
	s_nop 0
	v_min3_f32 v53, v54, v55, v111
	v_pk_add_f32 v[54:55], v[18:19], v[46:47]
	s_nop 0
	v_min_f32_e32 v54, v54, v55
	v_min3_f32 v54, v52, v54, v53
	v_lshl_add_u64 v[52:53], v[72:73], 2, v[48:49]
	flat_store_dword v[52:53], v54
	s_or_b64 exec, exec, s[26:27]
	s_and_b64 s[34:35], s[12:13], s[18:19]
	s_and_saveexec_b64 s[26:27], s[34:35]
	s_cbranch_execz .LBB8_217
.LBB8_239:
	s_and_b64 vcc, exec, s[0:1]
	s_cbranch_vccnz .LBB8_241
; %bb.240:
	v_lshl_add_u64 v[52:53], v[74:75], 2, v[50:51]
	flat_load_dword v52, v[52:53]
	s_waitcnt vmcnt(0) lgkmcnt(0)
	v_mul_f32_e32 v52, s30, v52
	s_branch .LBB8_242
.LBB8_241:
	v_mov_b32_e32 v52, 0
.LBB8_242:
	v_pk_add_f32 v[54:55], v[12:13], v[44:45]
	s_nop 0
	v_min3_f32 v53, v54, v55, v110
	v_pk_add_f32 v[54:55], v[14:15], v[46:47]
	s_nop 0
	v_min_f32_e32 v54, v54, v55
	v_min3_f32 v54, v52, v54, v53
	v_lshl_add_u64 v[52:53], v[74:75], 2, v[48:49]
	flat_store_dword v[52:53], v54
	s_or_b64 exec, exec, s[26:27]
	s_and_b64 s[34:35], s[14:15], s[18:19]
	s_and_saveexec_b64 s[26:27], s[34:35]
	s_cbranch_execz .LBB8_218
.LBB8_243:
	s_and_b64 vcc, exec, s[0:1]
	s_cbranch_vccnz .LBB8_245
; %bb.244:
	v_lshl_add_u64 v[52:53], v[76:77], 2, v[50:51]
	flat_load_dword v52, v[52:53]
	s_waitcnt vmcnt(0) lgkmcnt(0)
	v_mul_f32_e32 v52, s30, v52
	s_branch .LBB8_246
.LBB8_245:
	v_mov_b32_e32 v52, 0
.LBB8_246:
	v_pk_add_f32 v[54:55], v[8:9], v[44:45]
	s_nop 0
	v_min3_f32 v53, v54, v55, v109
	v_pk_add_f32 v[54:55], v[10:11], v[46:47]
	s_nop 0
	v_min_f32_e32 v54, v54, v55
	v_min3_f32 v54, v52, v54, v53
	v_lshl_add_u64 v[52:53], v[76:77], 2, v[48:49]
	flat_store_dword v[52:53], v54
	s_or_b64 exec, exec, s[26:27]
	s_and_b64 s[26:27], s[16:17], s[18:19]
	s_and_saveexec_b64 s[18:19], s[26:27]
	s_cbranch_execz .LBB8_251
.LBB8_247:
	s_and_b64 vcc, exec, s[0:1]
	s_cbranch_vccnz .LBB8_249
; %bb.248:
	v_lshl_add_u64 v[50:51], v[78:79], 2, v[50:51]
	flat_load_dword v50, v[50:51]
	s_waitcnt vmcnt(0) lgkmcnt(0)
	v_mul_f32_e32 v50, s30, v50
	s_branch .LBB8_250
.LBB8_249:
	v_mov_b32_e32 v50, 0
.LBB8_250:
	v_pk_add_f32 v[44:45], v[0:1], v[44:45]
	s_nop 0
	v_min3_f32 v51, v44, v45, v108
	v_pk_add_f32 v[44:45], v[2:3], v[46:47]
	s_nop 0
	v_min_f32_e32 v44, v44, v45
	v_min3_f32 v46, v50, v44, v51
	v_lshl_add_u64 v[44:45], v[78:79], 2, v[48:49]
	flat_store_dword v[44:45], v46
.LBB8_251:
	s_or_b64 exec, exec, s[18:19]
	v_add_u32_e32 v48, 40, v125
	v_mad_i64_i32 v[44:45], s[26:27], v48, s29, 0
	v_cmp_gt_i32_e64 s[18:19], s21, v48
	v_lshl_add_u64 v[46:47], v[44:45], 2, s[24:25]
	v_mad_i64_i32 v[44:45], s[26:27], v48, s28, 0
	v_lshl_add_u64 v[44:45], v[44:45], 2, s[22:23]
	s_and_b64 s[34:35], s[2:3], s[18:19]
	s_and_saveexec_b64 s[26:27], s[34:35]
	s_cbranch_execnz .LBB8_259
; %bb.252:
	s_or_b64 exec, exec, s[26:27]
	s_and_b64 s[34:35], s[4:5], s[18:19]
	s_and_saveexec_b64 s[26:27], s[34:35]
	s_cbranch_execnz .LBB8_263
.LBB8_253:
	s_or_b64 exec, exec, s[26:27]
	s_and_b64 s[34:35], s[6:7], s[18:19]
	s_and_saveexec_b64 s[26:27], s[34:35]
	s_cbranch_execnz .LBB8_267
.LBB8_254:
	s_or_b64 exec, exec, s[26:27]
	s_and_b64 s[34:35], s[8:9], s[18:19]
	s_and_saveexec_b64 s[26:27], s[34:35]
	s_cbranch_execnz .LBB8_271
.LBB8_255:
	s_or_b64 exec, exec, s[26:27]
	s_and_b64 s[34:35], s[10:11], s[18:19]
	s_and_saveexec_b64 s[26:27], s[34:35]
	s_cbranch_execnz .LBB8_275
.LBB8_256:
	s_or_b64 exec, exec, s[26:27]
	s_and_b64 s[34:35], s[12:13], s[18:19]
	s_and_saveexec_b64 s[26:27], s[34:35]
	s_cbranch_execnz .LBB8_279
.LBB8_257:
	s_or_b64 exec, exec, s[26:27]
	s_and_b64 s[34:35], s[14:15], s[18:19]
	s_and_saveexec_b64 s[26:27], s[34:35]
	s_cbranch_execnz .LBB8_283
.LBB8_258:
	s_or_b64 exec, exec, s[26:27]
	s_and_b64 s[26:27], s[16:17], s[18:19]
	s_and_saveexec_b64 s[18:19], s[26:27]
	s_cbranch_execnz .LBB8_287
	s_branch .LBB8_291
.LBB8_259:
	s_and_b64 vcc, exec, s[0:1]
	s_cbranch_vccnz .LBB8_261
; %bb.260:
	v_lshl_add_u64 v[48:49], v[64:65], 2, v[46:47]
	flat_load_dword v48, v[48:49]
	s_waitcnt vmcnt(0) lgkmcnt(0)
	v_mul_f32_e32 v48, s30, v48
	s_branch .LBB8_262
.LBB8_261:
	v_mov_b32_e32 v48, 0
.LBB8_262:
	v_pk_add_f32 v[50:51], v[32:33], v[40:41]
	s_nop 0
	v_min3_f32 v49, v50, v51, v107
	v_pk_add_f32 v[50:51], v[34:35], v[42:43]
	s_nop 0
	v_min_f32_e32 v50, v50, v51
	v_min3_f32 v50, v48, v50, v49
	v_lshl_add_u64 v[48:49], v[64:65], 2, v[44:45]
	flat_store_dword v[48:49], v50
	s_or_b64 exec, exec, s[26:27]
	s_and_b64 s[34:35], s[4:5], s[18:19]
	s_and_saveexec_b64 s[26:27], s[34:35]
	s_cbranch_execz .LBB8_253
.LBB8_263:
	s_and_b64 vcc, exec, s[0:1]
	s_cbranch_vccnz .LBB8_265
; %bb.264:
	v_lshl_add_u64 v[48:49], v[66:67], 2, v[46:47]
	flat_load_dword v48, v[48:49]
	s_waitcnt vmcnt(0) lgkmcnt(0)
	v_mul_f32_e32 v48, s30, v48
	s_branch .LBB8_266
.LBB8_265:
	v_mov_b32_e32 v48, 0
.LBB8_266:
	v_pk_add_f32 v[50:51], v[28:29], v[40:41]
	s_nop 0
	v_min3_f32 v49, v50, v51, v106
	v_pk_add_f32 v[50:51], v[30:31], v[42:43]
	s_nop 0
	v_min_f32_e32 v50, v50, v51
	v_min3_f32 v50, v48, v50, v49
	v_lshl_add_u64 v[48:49], v[66:67], 2, v[44:45]
	flat_store_dword v[48:49], v50
	s_or_b64 exec, exec, s[26:27]
	s_and_b64 s[34:35], s[6:7], s[18:19]
	s_and_saveexec_b64 s[26:27], s[34:35]
	s_cbranch_execz .LBB8_254
.LBB8_267:
	s_and_b64 vcc, exec, s[0:1]
	s_cbranch_vccnz .LBB8_269
; %bb.268:
	v_lshl_add_u64 v[48:49], v[68:69], 2, v[46:47]
	flat_load_dword v48, v[48:49]
	s_waitcnt vmcnt(0) lgkmcnt(0)
	v_mul_f32_e32 v48, s30, v48
	s_branch .LBB8_270
.LBB8_269:
	v_mov_b32_e32 v48, 0
.LBB8_270:
	v_pk_add_f32 v[50:51], v[24:25], v[40:41]
	s_nop 0
	v_min3_f32 v49, v50, v51, v105
	v_pk_add_f32 v[50:51], v[26:27], v[42:43]
	s_nop 0
	v_min_f32_e32 v50, v50, v51
	v_min3_f32 v50, v48, v50, v49
	v_lshl_add_u64 v[48:49], v[68:69], 2, v[44:45]
	flat_store_dword v[48:49], v50
	s_or_b64 exec, exec, s[26:27]
	s_and_b64 s[34:35], s[8:9], s[18:19]
	s_and_saveexec_b64 s[26:27], s[34:35]
	s_cbranch_execz .LBB8_255
.LBB8_271:
	s_and_b64 vcc, exec, s[0:1]
	s_cbranch_vccnz .LBB8_273
; %bb.272:
	v_lshl_add_u64 v[48:49], v[70:71], 2, v[46:47]
	flat_load_dword v48, v[48:49]
	s_waitcnt vmcnt(0) lgkmcnt(0)
	v_mul_f32_e32 v48, s30, v48
	s_branch .LBB8_274
.LBB8_273:
	v_mov_b32_e32 v48, 0
.LBB8_274:
	v_pk_add_f32 v[50:51], v[20:21], v[40:41]
	s_nop 0
	v_min3_f32 v49, v50, v51, v104
	v_pk_add_f32 v[50:51], v[22:23], v[42:43]
	s_nop 0
	v_min_f32_e32 v50, v50, v51
	v_min3_f32 v50, v48, v50, v49
	v_lshl_add_u64 v[48:49], v[70:71], 2, v[44:45]
	flat_store_dword v[48:49], v50
	s_or_b64 exec, exec, s[26:27]
	s_and_b64 s[34:35], s[10:11], s[18:19]
	s_and_saveexec_b64 s[26:27], s[34:35]
	s_cbranch_execz .LBB8_256
.LBB8_275:
	s_and_b64 vcc, exec, s[0:1]
	s_cbranch_vccnz .LBB8_277
; %bb.276:
	v_lshl_add_u64 v[48:49], v[72:73], 2, v[46:47]
	flat_load_dword v48, v[48:49]
	s_waitcnt vmcnt(0) lgkmcnt(0)
	v_mul_f32_e32 v48, s30, v48
	s_branch .LBB8_278
.LBB8_277:
	v_mov_b32_e32 v48, 0
.LBB8_278:
	v_pk_add_f32 v[50:51], v[16:17], v[40:41]
	s_nop 0
	v_min3_f32 v49, v50, v51, v103
	v_pk_add_f32 v[50:51], v[18:19], v[42:43]
	s_nop 0
	v_min_f32_e32 v50, v50, v51
	v_min3_f32 v50, v48, v50, v49
	v_lshl_add_u64 v[48:49], v[72:73], 2, v[44:45]
	flat_store_dword v[48:49], v50
	s_or_b64 exec, exec, s[26:27]
	s_and_b64 s[34:35], s[12:13], s[18:19]
	s_and_saveexec_b64 s[26:27], s[34:35]
	s_cbranch_execz .LBB8_257
.LBB8_279:
	s_and_b64 vcc, exec, s[0:1]
	s_cbranch_vccnz .LBB8_281
; %bb.280:
	v_lshl_add_u64 v[48:49], v[74:75], 2, v[46:47]
	flat_load_dword v48, v[48:49]
	s_waitcnt vmcnt(0) lgkmcnt(0)
	v_mul_f32_e32 v48, s30, v48
	s_branch .LBB8_282
.LBB8_281:
	v_mov_b32_e32 v48, 0
.LBB8_282:
	v_pk_add_f32 v[50:51], v[12:13], v[40:41]
	s_nop 0
	v_min3_f32 v49, v50, v51, v102
	v_pk_add_f32 v[50:51], v[14:15], v[42:43]
	s_nop 0
	v_min_f32_e32 v50, v50, v51
	v_min3_f32 v50, v48, v50, v49
	v_lshl_add_u64 v[48:49], v[74:75], 2, v[44:45]
	flat_store_dword v[48:49], v50
	s_or_b64 exec, exec, s[26:27]
	s_and_b64 s[34:35], s[14:15], s[18:19]
	s_and_saveexec_b64 s[26:27], s[34:35]
	s_cbranch_execz .LBB8_258
.LBB8_283:
	s_and_b64 vcc, exec, s[0:1]
	s_cbranch_vccnz .LBB8_285
; %bb.284:
	v_lshl_add_u64 v[48:49], v[76:77], 2, v[46:47]
	flat_load_dword v48, v[48:49]
	s_waitcnt vmcnt(0) lgkmcnt(0)
	v_mul_f32_e32 v48, s30, v48
	s_branch .LBB8_286
.LBB8_285:
	v_mov_b32_e32 v48, 0
.LBB8_286:
	v_pk_add_f32 v[50:51], v[8:9], v[40:41]
	s_nop 0
	v_min3_f32 v49, v50, v51, v101
	v_pk_add_f32 v[50:51], v[10:11], v[42:43]
	s_nop 0
	v_min_f32_e32 v50, v50, v51
	v_min3_f32 v50, v48, v50, v49
	v_lshl_add_u64 v[48:49], v[76:77], 2, v[44:45]
	flat_store_dword v[48:49], v50
	s_or_b64 exec, exec, s[26:27]
	s_and_b64 s[26:27], s[16:17], s[18:19]
	s_and_saveexec_b64 s[18:19], s[26:27]
	s_cbranch_execz .LBB8_291
.LBB8_287:
	s_and_b64 vcc, exec, s[0:1]
	s_cbranch_vccnz .LBB8_289
; %bb.288:
	v_lshl_add_u64 v[46:47], v[78:79], 2, v[46:47]
	flat_load_dword v46, v[46:47]
	s_waitcnt vmcnt(0) lgkmcnt(0)
	v_mul_f32_e32 v46, s30, v46
	s_branch .LBB8_290
.LBB8_289:
	v_mov_b32_e32 v46, 0
.LBB8_290:
	v_pk_add_f32 v[40:41], v[0:1], v[40:41]
	s_nop 0
	v_min3_f32 v47, v40, v41, v100
	v_pk_add_f32 v[40:41], v[2:3], v[42:43]
	s_nop 0
	v_min_f32_e32 v40, v40, v41
	v_min3_f32 v42, v46, v40, v47
	v_lshl_add_u64 v[40:41], v[78:79], 2, v[44:45]
	flat_store_dword v[40:41], v42
.LBB8_291:
	s_or_b64 exec, exec, s[18:19]
	v_add_u32_e32 v44, 48, v125
	v_mad_i64_i32 v[40:41], s[26:27], v44, s29, 0
	v_cmp_gt_i32_e64 s[18:19], s21, v44
	v_lshl_add_u64 v[42:43], v[40:41], 2, s[24:25]
	v_mad_i64_i32 v[40:41], s[26:27], v44, s28, 0
	v_lshl_add_u64 v[40:41], v[40:41], 2, s[22:23]
	s_and_b64 s[34:35], s[2:3], s[18:19]
	s_and_saveexec_b64 s[26:27], s[34:35]
	s_cbranch_execnz .LBB8_299
; %bb.292:
	s_or_b64 exec, exec, s[26:27]
	s_and_b64 s[34:35], s[4:5], s[18:19]
	s_and_saveexec_b64 s[26:27], s[34:35]
	s_cbranch_execnz .LBB8_303
.LBB8_293:
	s_or_b64 exec, exec, s[26:27]
	s_and_b64 s[34:35], s[6:7], s[18:19]
	s_and_saveexec_b64 s[26:27], s[34:35]
	s_cbranch_execnz .LBB8_307
.LBB8_294:
	s_or_b64 exec, exec, s[26:27]
	s_and_b64 s[34:35], s[8:9], s[18:19]
	s_and_saveexec_b64 s[26:27], s[34:35]
	s_cbranch_execnz .LBB8_311
.LBB8_295:
	s_or_b64 exec, exec, s[26:27]
	s_and_b64 s[34:35], s[10:11], s[18:19]
	s_and_saveexec_b64 s[26:27], s[34:35]
	s_cbranch_execnz .LBB8_315
.LBB8_296:
	s_or_b64 exec, exec, s[26:27]
	s_and_b64 s[34:35], s[12:13], s[18:19]
	s_and_saveexec_b64 s[26:27], s[34:35]
	s_cbranch_execnz .LBB8_319
.LBB8_297:
	s_or_b64 exec, exec, s[26:27]
	s_and_b64 s[34:35], s[14:15], s[18:19]
	s_and_saveexec_b64 s[26:27], s[34:35]
	s_cbranch_execnz .LBB8_323
.LBB8_298:
	s_or_b64 exec, exec, s[26:27]
	s_and_b64 s[26:27], s[16:17], s[18:19]
	s_and_saveexec_b64 s[18:19], s[26:27]
	s_cbranch_execnz .LBB8_327
	s_branch .LBB8_331
.LBB8_299:
	s_and_b64 vcc, exec, s[0:1]
	s_cbranch_vccnz .LBB8_301
; %bb.300:
	v_lshl_add_u64 v[44:45], v[64:65], 2, v[42:43]
	flat_load_dword v44, v[44:45]
	s_waitcnt vmcnt(0) lgkmcnt(0)
	v_mul_f32_e32 v44, s30, v44
	s_branch .LBB8_302
.LBB8_301:
	v_mov_b32_e32 v44, 0
.LBB8_302:
	v_pk_add_f32 v[46:47], v[32:33], v[36:37]
	s_nop 0
	v_min3_f32 v45, v46, v47, v99
	v_pk_add_f32 v[46:47], v[34:35], v[38:39]
	s_nop 0
	v_min_f32_e32 v46, v46, v47
	v_min3_f32 v46, v44, v46, v45
	v_lshl_add_u64 v[44:45], v[64:65], 2, v[40:41]
	flat_store_dword v[44:45], v46
	s_or_b64 exec, exec, s[26:27]
	s_and_b64 s[34:35], s[4:5], s[18:19]
	s_and_saveexec_b64 s[26:27], s[34:35]
	s_cbranch_execz .LBB8_293
.LBB8_303:
	s_and_b64 vcc, exec, s[0:1]
	s_cbranch_vccnz .LBB8_305
; %bb.304:
	v_lshl_add_u64 v[44:45], v[66:67], 2, v[42:43]
	flat_load_dword v44, v[44:45]
	s_waitcnt vmcnt(0) lgkmcnt(0)
	v_mul_f32_e32 v44, s30, v44
	s_branch .LBB8_306
.LBB8_305:
	v_mov_b32_e32 v44, 0
.LBB8_306:
	v_pk_add_f32 v[46:47], v[28:29], v[36:37]
	s_nop 0
	v_min3_f32 v45, v46, v47, v98
	v_pk_add_f32 v[46:47], v[30:31], v[38:39]
	s_nop 0
	v_min_f32_e32 v46, v46, v47
	v_min3_f32 v46, v44, v46, v45
	v_lshl_add_u64 v[44:45], v[66:67], 2, v[40:41]
	flat_store_dword v[44:45], v46
	s_or_b64 exec, exec, s[26:27]
	s_and_b64 s[34:35], s[6:7], s[18:19]
	s_and_saveexec_b64 s[26:27], s[34:35]
	s_cbranch_execz .LBB8_294
.LBB8_307:
	s_and_b64 vcc, exec, s[0:1]
	s_cbranch_vccnz .LBB8_309
; %bb.308:
	v_lshl_add_u64 v[44:45], v[68:69], 2, v[42:43]
	flat_load_dword v44, v[44:45]
	s_waitcnt vmcnt(0) lgkmcnt(0)
	v_mul_f32_e32 v44, s30, v44
	s_branch .LBB8_310
.LBB8_309:
	v_mov_b32_e32 v44, 0
.LBB8_310:
	v_pk_add_f32 v[46:47], v[24:25], v[36:37]
	s_nop 0
	v_min3_f32 v45, v46, v47, v97
	v_pk_add_f32 v[46:47], v[26:27], v[38:39]
	s_nop 0
	v_min_f32_e32 v46, v46, v47
	v_min3_f32 v46, v44, v46, v45
	v_lshl_add_u64 v[44:45], v[68:69], 2, v[40:41]
	flat_store_dword v[44:45], v46
	s_or_b64 exec, exec, s[26:27]
	s_and_b64 s[34:35], s[8:9], s[18:19]
	s_and_saveexec_b64 s[26:27], s[34:35]
	s_cbranch_execz .LBB8_295
.LBB8_311:
	s_and_b64 vcc, exec, s[0:1]
	s_cbranch_vccnz .LBB8_313
; %bb.312:
	v_lshl_add_u64 v[44:45], v[70:71], 2, v[42:43]
	flat_load_dword v44, v[44:45]
	s_waitcnt vmcnt(0) lgkmcnt(0)
	v_mul_f32_e32 v44, s30, v44
	s_branch .LBB8_314
.LBB8_313:
	v_mov_b32_e32 v44, 0
.LBB8_314:
	v_pk_add_f32 v[46:47], v[20:21], v[36:37]
	s_nop 0
	v_min3_f32 v45, v46, v47, v96
	v_pk_add_f32 v[46:47], v[22:23], v[38:39]
	s_nop 0
	v_min_f32_e32 v46, v46, v47
	v_min3_f32 v46, v44, v46, v45
	v_lshl_add_u64 v[44:45], v[70:71], 2, v[40:41]
	flat_store_dword v[44:45], v46
	s_or_b64 exec, exec, s[26:27]
	s_and_b64 s[34:35], s[10:11], s[18:19]
	s_and_saveexec_b64 s[26:27], s[34:35]
	s_cbranch_execz .LBB8_296
.LBB8_315:
	s_and_b64 vcc, exec, s[0:1]
	s_cbranch_vccnz .LBB8_317
; %bb.316:
	v_lshl_add_u64 v[44:45], v[72:73], 2, v[42:43]
	flat_load_dword v44, v[44:45]
	s_waitcnt vmcnt(0) lgkmcnt(0)
	v_mul_f32_e32 v44, s30, v44
	s_branch .LBB8_318
.LBB8_317:
	v_mov_b32_e32 v44, 0
.LBB8_318:
	v_pk_add_f32 v[46:47], v[16:17], v[36:37]
	s_nop 0
	v_min3_f32 v45, v46, v47, v95
	v_pk_add_f32 v[46:47], v[18:19], v[38:39]
	s_nop 0
	v_min_f32_e32 v46, v46, v47
	v_min3_f32 v46, v44, v46, v45
	v_lshl_add_u64 v[44:45], v[72:73], 2, v[40:41]
	flat_store_dword v[44:45], v46
	s_or_b64 exec, exec, s[26:27]
	s_and_b64 s[34:35], s[12:13], s[18:19]
	s_and_saveexec_b64 s[26:27], s[34:35]
	s_cbranch_execz .LBB8_297
.LBB8_319:
	s_and_b64 vcc, exec, s[0:1]
	s_cbranch_vccnz .LBB8_321
; %bb.320:
	v_lshl_add_u64 v[44:45], v[74:75], 2, v[42:43]
	flat_load_dword v44, v[44:45]
	s_waitcnt vmcnt(0) lgkmcnt(0)
	v_mul_f32_e32 v44, s30, v44
	s_branch .LBB8_322
.LBB8_321:
	v_mov_b32_e32 v44, 0
.LBB8_322:
	v_pk_add_f32 v[46:47], v[12:13], v[36:37]
	s_nop 0
	v_min3_f32 v45, v46, v47, v94
	v_pk_add_f32 v[46:47], v[14:15], v[38:39]
	s_nop 0
	v_min_f32_e32 v46, v46, v47
	v_min3_f32 v46, v44, v46, v45
	v_lshl_add_u64 v[44:45], v[74:75], 2, v[40:41]
	flat_store_dword v[44:45], v46
	s_or_b64 exec, exec, s[26:27]
	s_and_b64 s[34:35], s[14:15], s[18:19]
	s_and_saveexec_b64 s[26:27], s[34:35]
	s_cbranch_execz .LBB8_298
.LBB8_323:
	s_and_b64 vcc, exec, s[0:1]
	s_cbranch_vccnz .LBB8_325
; %bb.324:
	v_lshl_add_u64 v[44:45], v[76:77], 2, v[42:43]
	flat_load_dword v44, v[44:45]
	s_waitcnt vmcnt(0) lgkmcnt(0)
	v_mul_f32_e32 v44, s30, v44
	s_branch .LBB8_326
.LBB8_325:
	v_mov_b32_e32 v44, 0
.LBB8_326:
	v_pk_add_f32 v[46:47], v[8:9], v[36:37]
	s_nop 0
	v_min3_f32 v45, v46, v47, v93
	v_pk_add_f32 v[46:47], v[10:11], v[38:39]
	s_nop 0
	v_min_f32_e32 v46, v46, v47
	v_min3_f32 v46, v44, v46, v45
	v_lshl_add_u64 v[44:45], v[76:77], 2, v[40:41]
	flat_store_dword v[44:45], v46
	s_or_b64 exec, exec, s[26:27]
	s_and_b64 s[26:27], s[16:17], s[18:19]
	s_and_saveexec_b64 s[18:19], s[26:27]
	s_cbranch_execz .LBB8_331
.LBB8_327:
	s_and_b64 vcc, exec, s[0:1]
	s_cbranch_vccnz .LBB8_329
; %bb.328:
	v_lshl_add_u64 v[42:43], v[78:79], 2, v[42:43]
	flat_load_dword v42, v[42:43]
	s_waitcnt vmcnt(0) lgkmcnt(0)
	v_mul_f32_e32 v42, s30, v42
	s_branch .LBB8_330
.LBB8_329:
	v_mov_b32_e32 v42, 0
.LBB8_330:
	v_pk_add_f32 v[36:37], v[0:1], v[36:37]
	s_nop 0
	v_min3_f32 v43, v36, v37, v92
	v_pk_add_f32 v[36:37], v[2:3], v[38:39]
	s_nop 0
	v_min_f32_e32 v36, v36, v37
	v_min3_f32 v38, v42, v36, v43
	v_lshl_add_u64 v[36:37], v[78:79], 2, v[40:41]
	flat_store_dword v[36:37], v38
.LBB8_331:
	s_or_b64 exec, exec, s[18:19]
	v_add_u32_e32 v40, 56, v125
	v_cmp_gt_i32_e64 s[18:19], s21, v40
	v_mad_i64_i32 v[36:37], s[20:21], v40, s29, 0
	v_lshl_add_u64 v[38:39], v[36:37], 2, s[24:25]
	v_mad_i64_i32 v[36:37], s[20:21], v40, s28, 0
	v_lshl_add_u64 v[36:37], v[36:37], 2, s[22:23]
	s_and_b64 s[20:21], s[2:3], s[18:19]
	s_and_saveexec_b64 s[2:3], s[20:21]
	s_cbranch_execnz .LBB8_340
; %bb.332:
	s_or_b64 exec, exec, s[2:3]
	s_and_b64 s[4:5], s[4:5], s[18:19]
	s_and_saveexec_b64 s[2:3], s[4:5]
	s_cbranch_execnz .LBB8_344
.LBB8_333:
	s_or_b64 exec, exec, s[2:3]
	s_and_b64 s[4:5], s[6:7], s[18:19]
	s_and_saveexec_b64 s[2:3], s[4:5]
	s_cbranch_execnz .LBB8_348
.LBB8_334:
	s_or_b64 exec, exec, s[2:3]
	s_and_b64 s[4:5], s[8:9], s[18:19]
	s_and_saveexec_b64 s[2:3], s[4:5]
	s_cbranch_execnz .LBB8_352
.LBB8_335:
	s_or_b64 exec, exec, s[2:3]
	s_and_b64 s[4:5], s[10:11], s[18:19]
	s_and_saveexec_b64 s[2:3], s[4:5]
	s_cbranch_execnz .LBB8_356
.LBB8_336:
	s_or_b64 exec, exec, s[2:3]
	s_and_b64 s[4:5], s[12:13], s[18:19]
	s_and_saveexec_b64 s[2:3], s[4:5]
	s_cbranch_execnz .LBB8_360
.LBB8_337:
	s_or_b64 exec, exec, s[2:3]
	s_and_b64 s[4:5], s[14:15], s[18:19]
	s_and_saveexec_b64 s[2:3], s[4:5]
	s_cbranch_execnz .LBB8_364
.LBB8_338:
	s_or_b64 exec, exec, s[2:3]
	s_and_b64 s[2:3], s[16:17], s[18:19]
	s_and_saveexec_b64 s[4:5], s[2:3]
	s_cbranch_execnz .LBB8_368
.LBB8_339:
	s_endpgm
.LBB8_340:
	s_and_b64 vcc, exec, s[0:1]
	s_cbranch_vccnz .LBB8_342
; %bb.341:
	v_lshl_add_u64 v[40:41], v[64:65], 2, v[38:39]
	flat_load_dword v40, v[40:41]
	s_waitcnt vmcnt(0) lgkmcnt(0)
	v_mul_f32_e32 v40, s30, v40
	s_branch .LBB8_343
.LBB8_342:
	v_mov_b32_e32 v40, 0
.LBB8_343:
	v_pk_add_f32 v[32:33], v[32:33], v[4:5]
	s_nop 0
	v_min3_f32 v41, v32, v33, v91
	v_pk_add_f32 v[32:33], v[34:35], v[6:7]
	s_nop 0
	v_min_f32_e32 v32, v32, v33
	v_min3_f32 v34, v40, v32, v41
	v_lshl_add_u64 v[32:33], v[64:65], 2, v[36:37]
	flat_store_dword v[32:33], v34
	s_or_b64 exec, exec, s[2:3]
	s_and_b64 s[4:5], s[4:5], s[18:19]
	s_and_saveexec_b64 s[2:3], s[4:5]
	s_cbranch_execz .LBB8_333
.LBB8_344:
	s_and_b64 vcc, exec, s[0:1]
	s_cbranch_vccnz .LBB8_346
; %bb.345:
	v_lshl_add_u64 v[32:33], v[66:67], 2, v[38:39]
	flat_load_dword v32, v[32:33]
	s_waitcnt vmcnt(0) lgkmcnt(0)
	v_mul_f32_e32 v32, s30, v32
	s_branch .LBB8_347
.LBB8_346:
	v_mov_b32_e32 v32, 0
.LBB8_347:
	v_pk_add_f32 v[28:29], v[28:29], v[4:5]
	s_nop 0
	v_min3_f32 v33, v28, v29, v90
	v_pk_add_f32 v[28:29], v[30:31], v[6:7]
	s_nop 0
	v_min_f32_e32 v28, v28, v29
	v_min3_f32 v30, v32, v28, v33
	v_lshl_add_u64 v[28:29], v[66:67], 2, v[36:37]
	flat_store_dword v[28:29], v30
	s_or_b64 exec, exec, s[2:3]
	s_and_b64 s[4:5], s[6:7], s[18:19]
	s_and_saveexec_b64 s[2:3], s[4:5]
	s_cbranch_execz .LBB8_334
.LBB8_348:
	s_and_b64 vcc, exec, s[0:1]
	s_cbranch_vccnz .LBB8_350
; %bb.349:
	v_lshl_add_u64 v[28:29], v[68:69], 2, v[38:39]
	flat_load_dword v28, v[28:29]
	s_waitcnt vmcnt(0) lgkmcnt(0)
	v_mul_f32_e32 v28, s30, v28
	s_branch .LBB8_351
.LBB8_350:
	v_mov_b32_e32 v28, 0
.LBB8_351:
	v_pk_add_f32 v[24:25], v[24:25], v[4:5]
	s_nop 0
	v_min3_f32 v29, v24, v25, v89
	v_pk_add_f32 v[24:25], v[26:27], v[6:7]
	s_nop 0
	v_min_f32_e32 v24, v24, v25
	v_min3_f32 v26, v28, v24, v29
	v_lshl_add_u64 v[24:25], v[68:69], 2, v[36:37]
	flat_store_dword v[24:25], v26
	s_or_b64 exec, exec, s[2:3]
	s_and_b64 s[4:5], s[8:9], s[18:19]
	s_and_saveexec_b64 s[2:3], s[4:5]
	s_cbranch_execz .LBB8_335
.LBB8_352:
	s_and_b64 vcc, exec, s[0:1]
	s_cbranch_vccnz .LBB8_354
; %bb.353:
	v_lshl_add_u64 v[24:25], v[70:71], 2, v[38:39]
	flat_load_dword v24, v[24:25]
	s_waitcnt vmcnt(0) lgkmcnt(0)
	v_mul_f32_e32 v24, s30, v24
	s_branch .LBB8_355
.LBB8_354:
	v_mov_b32_e32 v24, 0
.LBB8_355:
	v_pk_add_f32 v[20:21], v[20:21], v[4:5]
	s_nop 0
	v_min3_f32 v25, v20, v21, v87
	v_pk_add_f32 v[20:21], v[22:23], v[6:7]
	s_nop 0
	v_min_f32_e32 v20, v20, v21
	v_min3_f32 v22, v24, v20, v25
	v_lshl_add_u64 v[20:21], v[70:71], 2, v[36:37]
	flat_store_dword v[20:21], v22
	s_or_b64 exec, exec, s[2:3]
	s_and_b64 s[4:5], s[10:11], s[18:19]
	s_and_saveexec_b64 s[2:3], s[4:5]
	s_cbranch_execz .LBB8_336
.LBB8_356:
	s_and_b64 vcc, exec, s[0:1]
	s_cbranch_vccnz .LBB8_358
; %bb.357:
	v_lshl_add_u64 v[20:21], v[72:73], 2, v[38:39]
	flat_load_dword v20, v[20:21]
	s_waitcnt vmcnt(0) lgkmcnt(0)
	v_mul_f32_e32 v20, s30, v20
	s_branch .LBB8_359
.LBB8_358:
	v_mov_b32_e32 v20, 0
.LBB8_359:
	v_pk_add_f32 v[16:17], v[16:17], v[4:5]
	s_nop 0
	v_min3_f32 v21, v16, v17, v86
	v_pk_add_f32 v[16:17], v[18:19], v[6:7]
	s_nop 0
	v_min_f32_e32 v16, v16, v17
	v_min3_f32 v18, v20, v16, v21
	v_lshl_add_u64 v[16:17], v[72:73], 2, v[36:37]
	flat_store_dword v[16:17], v18
	s_or_b64 exec, exec, s[2:3]
	s_and_b64 s[4:5], s[12:13], s[18:19]
	s_and_saveexec_b64 s[2:3], s[4:5]
	s_cbranch_execz .LBB8_337
.LBB8_360:
	s_and_b64 vcc, exec, s[0:1]
	s_cbranch_vccnz .LBB8_362
; %bb.361:
	v_lshl_add_u64 v[16:17], v[74:75], 2, v[38:39]
	flat_load_dword v16, v[16:17]
	s_waitcnt vmcnt(0) lgkmcnt(0)
	v_mul_f32_e32 v16, s30, v16
	s_branch .LBB8_363
.LBB8_362:
	v_mov_b32_e32 v16, 0
.LBB8_363:
	v_pk_add_f32 v[12:13], v[12:13], v[4:5]
	s_nop 0
	v_min3_f32 v17, v12, v13, v85
	v_pk_add_f32 v[12:13], v[14:15], v[6:7]
	s_nop 0
	v_min_f32_e32 v12, v12, v13
	v_min3_f32 v14, v16, v12, v17
	v_lshl_add_u64 v[12:13], v[74:75], 2, v[36:37]
	flat_store_dword v[12:13], v14
	s_or_b64 exec, exec, s[2:3]
	s_and_b64 s[4:5], s[14:15], s[18:19]
	s_and_saveexec_b64 s[2:3], s[4:5]
	s_cbranch_execz .LBB8_338
.LBB8_364:
	s_and_b64 vcc, exec, s[0:1]
	s_cbranch_vccnz .LBB8_366
; %bb.365:
	v_lshl_add_u64 v[12:13], v[76:77], 2, v[38:39]
	flat_load_dword v12, v[12:13]
	s_waitcnt vmcnt(0) lgkmcnt(0)
	v_mul_f32_e32 v12, s30, v12
	s_branch .LBB8_367
.LBB8_366:
	v_mov_b32_e32 v12, 0
.LBB8_367:
	v_pk_add_f32 v[8:9], v[8:9], v[4:5]
	s_nop 0
	v_min3_f32 v13, v8, v9, v84
	v_pk_add_f32 v[8:9], v[10:11], v[6:7]
	s_nop 0
	v_min_f32_e32 v8, v8, v9
	v_min3_f32 v10, v12, v8, v13
	v_lshl_add_u64 v[8:9], v[76:77], 2, v[36:37]
	flat_store_dword v[8:9], v10
	s_or_b64 exec, exec, s[2:3]
	s_and_b64 s[2:3], s[16:17], s[18:19]
	s_and_saveexec_b64 s[4:5], s[2:3]
	s_cbranch_execz .LBB8_339
.LBB8_368:
	s_and_b64 vcc, exec, s[0:1]
	s_cbranch_vccnz .LBB8_370
; %bb.369:
	v_lshl_add_u64 v[8:9], v[78:79], 2, v[38:39]
	flat_load_dword v8, v[8:9]
	s_waitcnt vmcnt(0) lgkmcnt(0)
	v_mul_f32_e32 v8, s30, v8
	s_branch .LBB8_371
.LBB8_370:
	v_mov_b32_e32 v8, 0
.LBB8_371:
	v_pk_add_f32 v[0:1], v[0:1], v[4:5]
	s_nop 0
	v_min3_f32 v4, v0, v1, v88
	v_pk_add_f32 v[0:1], v[2:3], v[6:7]
	s_nop 0
	v_min_f32_e32 v0, v0, v1
	v_min3_f32 v2, v8, v0, v4
	v_lshl_add_u64 v[0:1], v[78:79], 2, v[36:37]
	flat_store_dword v[0:1], v2
	s_endpgm
	.section	.rodata,"a",@progbits
	.p2align	6, 0x0
	.amdhsa_kernel _ZN12_GLOBAL__N_120geam_min_plus_kernelIf15HIP_vector_typeIfLj2EEfLi32ELi8ELi256ELi64ELi4ELi64ELi4ELi4ELi64ELc78ELc78ELb0ELb1ELb1EfKPKfKPfEEviiiT16_PT17_ilSA_ilS8_SA_ilPT18_ili26rocblas_geam_ex_operation_
		.amdhsa_group_segment_fixed_size 10240
		.amdhsa_private_segment_fixed_size 0
		.amdhsa_kernarg_size 128
		.amdhsa_user_sgpr_count 2
		.amdhsa_user_sgpr_dispatch_ptr 0
		.amdhsa_user_sgpr_queue_ptr 0
		.amdhsa_user_sgpr_kernarg_segment_ptr 1
		.amdhsa_user_sgpr_dispatch_id 0
		.amdhsa_user_sgpr_kernarg_preload_length 0
		.amdhsa_user_sgpr_kernarg_preload_offset 0
		.amdhsa_user_sgpr_private_segment_size 0
		.amdhsa_uses_dynamic_stack 0
		.amdhsa_enable_private_segment 0
		.amdhsa_system_sgpr_workgroup_id_x 1
		.amdhsa_system_sgpr_workgroup_id_y 0
		.amdhsa_system_sgpr_workgroup_id_z 1
		.amdhsa_system_sgpr_workgroup_info 0
		.amdhsa_system_vgpr_workitem_id 1
		.amdhsa_next_free_vgpr 157
		.amdhsa_next_free_sgpr 40
		.amdhsa_accum_offset 160
		.amdhsa_reserve_vcc 1
		.amdhsa_float_round_mode_32 0
		.amdhsa_float_round_mode_16_64 0
		.amdhsa_float_denorm_mode_32 3
		.amdhsa_float_denorm_mode_16_64 3
		.amdhsa_dx10_clamp 1
		.amdhsa_ieee_mode 1
		.amdhsa_fp16_overflow 0
		.amdhsa_tg_split 0
		.amdhsa_exception_fp_ieee_invalid_op 0
		.amdhsa_exception_fp_denorm_src 0
		.amdhsa_exception_fp_ieee_div_zero 0
		.amdhsa_exception_fp_ieee_overflow 0
		.amdhsa_exception_fp_ieee_underflow 0
		.amdhsa_exception_fp_ieee_inexact 0
		.amdhsa_exception_int_div_zero 0
	.end_amdhsa_kernel
	.section	.text._ZN12_GLOBAL__N_120geam_min_plus_kernelIf15HIP_vector_typeIfLj2EEfLi32ELi8ELi256ELi64ELi4ELi64ELi4ELi4ELi64ELc78ELc78ELb0ELb1ELb1EfKPKfKPfEEviiiT16_PT17_ilSA_ilS8_SA_ilPT18_ili26rocblas_geam_ex_operation_,"axG",@progbits,_ZN12_GLOBAL__N_120geam_min_plus_kernelIf15HIP_vector_typeIfLj2EEfLi32ELi8ELi256ELi64ELi4ELi64ELi4ELi4ELi64ELc78ELc78ELb0ELb1ELb1EfKPKfKPfEEviiiT16_PT17_ilSA_ilS8_SA_ilPT18_ili26rocblas_geam_ex_operation_,comdat
.Lfunc_end8:
	.size	_ZN12_GLOBAL__N_120geam_min_plus_kernelIf15HIP_vector_typeIfLj2EEfLi32ELi8ELi256ELi64ELi4ELi64ELi4ELi4ELi64ELc78ELc78ELb0ELb1ELb1EfKPKfKPfEEviiiT16_PT17_ilSA_ilS8_SA_ilPT18_ili26rocblas_geam_ex_operation_, .Lfunc_end8-_ZN12_GLOBAL__N_120geam_min_plus_kernelIf15HIP_vector_typeIfLj2EEfLi32ELi8ELi256ELi64ELi4ELi64ELi4ELi4ELi64ELc78ELc78ELb0ELb1ELb1EfKPKfKPfEEviiiT16_PT17_ilSA_ilS8_SA_ilPT18_ili26rocblas_geam_ex_operation_
                                        ; -- End function
	.set _ZN12_GLOBAL__N_120geam_min_plus_kernelIf15HIP_vector_typeIfLj2EEfLi32ELi8ELi256ELi64ELi4ELi64ELi4ELi4ELi64ELc78ELc78ELb0ELb1ELb1EfKPKfKPfEEviiiT16_PT17_ilSA_ilS8_SA_ilPT18_ili26rocblas_geam_ex_operation_.num_vgpr, 157
	.set _ZN12_GLOBAL__N_120geam_min_plus_kernelIf15HIP_vector_typeIfLj2EEfLi32ELi8ELi256ELi64ELi4ELi64ELi4ELi4ELi64ELc78ELc78ELb0ELb1ELb1EfKPKfKPfEEviiiT16_PT17_ilSA_ilS8_SA_ilPT18_ili26rocblas_geam_ex_operation_.num_agpr, 0
	.set _ZN12_GLOBAL__N_120geam_min_plus_kernelIf15HIP_vector_typeIfLj2EEfLi32ELi8ELi256ELi64ELi4ELi64ELi4ELi4ELi64ELc78ELc78ELb0ELb1ELb1EfKPKfKPfEEviiiT16_PT17_ilSA_ilS8_SA_ilPT18_ili26rocblas_geam_ex_operation_.numbered_sgpr, 40
	.set _ZN12_GLOBAL__N_120geam_min_plus_kernelIf15HIP_vector_typeIfLj2EEfLi32ELi8ELi256ELi64ELi4ELi64ELi4ELi4ELi64ELc78ELc78ELb0ELb1ELb1EfKPKfKPfEEviiiT16_PT17_ilSA_ilS8_SA_ilPT18_ili26rocblas_geam_ex_operation_.num_named_barrier, 0
	.set _ZN12_GLOBAL__N_120geam_min_plus_kernelIf15HIP_vector_typeIfLj2EEfLi32ELi8ELi256ELi64ELi4ELi64ELi4ELi4ELi64ELc78ELc78ELb0ELb1ELb1EfKPKfKPfEEviiiT16_PT17_ilSA_ilS8_SA_ilPT18_ili26rocblas_geam_ex_operation_.private_seg_size, 0
	.set _ZN12_GLOBAL__N_120geam_min_plus_kernelIf15HIP_vector_typeIfLj2EEfLi32ELi8ELi256ELi64ELi4ELi64ELi4ELi4ELi64ELc78ELc78ELb0ELb1ELb1EfKPKfKPfEEviiiT16_PT17_ilSA_ilS8_SA_ilPT18_ili26rocblas_geam_ex_operation_.uses_vcc, 1
	.set _ZN12_GLOBAL__N_120geam_min_plus_kernelIf15HIP_vector_typeIfLj2EEfLi32ELi8ELi256ELi64ELi4ELi64ELi4ELi4ELi64ELc78ELc78ELb0ELb1ELb1EfKPKfKPfEEviiiT16_PT17_ilSA_ilS8_SA_ilPT18_ili26rocblas_geam_ex_operation_.uses_flat_scratch, 0
	.set _ZN12_GLOBAL__N_120geam_min_plus_kernelIf15HIP_vector_typeIfLj2EEfLi32ELi8ELi256ELi64ELi4ELi64ELi4ELi4ELi64ELc78ELc78ELb0ELb1ELb1EfKPKfKPfEEviiiT16_PT17_ilSA_ilS8_SA_ilPT18_ili26rocblas_geam_ex_operation_.has_dyn_sized_stack, 0
	.set _ZN12_GLOBAL__N_120geam_min_plus_kernelIf15HIP_vector_typeIfLj2EEfLi32ELi8ELi256ELi64ELi4ELi64ELi4ELi4ELi64ELc78ELc78ELb0ELb1ELb1EfKPKfKPfEEviiiT16_PT17_ilSA_ilS8_SA_ilPT18_ili26rocblas_geam_ex_operation_.has_recursion, 0
	.set _ZN12_GLOBAL__N_120geam_min_plus_kernelIf15HIP_vector_typeIfLj2EEfLi32ELi8ELi256ELi64ELi4ELi64ELi4ELi4ELi64ELc78ELc78ELb0ELb1ELb1EfKPKfKPfEEviiiT16_PT17_ilSA_ilS8_SA_ilPT18_ili26rocblas_geam_ex_operation_.has_indirect_call, 0
	.section	.AMDGPU.csdata,"",@progbits
; Kernel info:
; codeLenInByte = 18668
; TotalNumSgprs: 46
; NumVgprs: 157
; NumAgprs: 0
; TotalNumVgprs: 157
; ScratchSize: 0
; MemoryBound: 0
; FloatMode: 240
; IeeeMode: 1
; LDSByteSize: 10240 bytes/workgroup (compile time only)
; SGPRBlocks: 5
; VGPRBlocks: 19
; NumSGPRsForWavesPerEU: 46
; NumVGPRsForWavesPerEU: 157
; AccumOffset: 160
; Occupancy: 3
; WaveLimiterHint : 1
; COMPUTE_PGM_RSRC2:SCRATCH_EN: 0
; COMPUTE_PGM_RSRC2:USER_SGPR: 2
; COMPUTE_PGM_RSRC2:TRAP_HANDLER: 0
; COMPUTE_PGM_RSRC2:TGID_X_EN: 1
; COMPUTE_PGM_RSRC2:TGID_Y_EN: 0
; COMPUTE_PGM_RSRC2:TGID_Z_EN: 1
; COMPUTE_PGM_RSRC2:TIDIG_COMP_CNT: 1
; COMPUTE_PGM_RSRC3_GFX90A:ACCUM_OFFSET: 39
; COMPUTE_PGM_RSRC3_GFX90A:TG_SPLIT: 0
	.section	.text._ZN12_GLOBAL__N_120geam_min_plus_kernelIf15HIP_vector_typeIfLj2EEfLi32ELi8ELi128ELi128ELi4ELi4ELi64ELi4ELi64ELc84ELc78ELb0ELb0ELb1EPKfKS4_KPfEEviiiT16_PT17_ilSA_ilS8_SA_ilPT18_ili26rocblas_geam_ex_operation_,"axG",@progbits,_ZN12_GLOBAL__N_120geam_min_plus_kernelIf15HIP_vector_typeIfLj2EEfLi32ELi8ELi128ELi128ELi4ELi4ELi64ELi4ELi64ELc84ELc78ELb0ELb0ELb1EPKfKS4_KPfEEviiiT16_PT17_ilSA_ilS8_SA_ilPT18_ili26rocblas_geam_ex_operation_,comdat
	.globl	_ZN12_GLOBAL__N_120geam_min_plus_kernelIf15HIP_vector_typeIfLj2EEfLi32ELi8ELi128ELi128ELi4ELi4ELi64ELi4ELi64ELc84ELc78ELb0ELb0ELb1EPKfKS4_KPfEEviiiT16_PT17_ilSA_ilS8_SA_ilPT18_ili26rocblas_geam_ex_operation_ ; -- Begin function _ZN12_GLOBAL__N_120geam_min_plus_kernelIf15HIP_vector_typeIfLj2EEfLi32ELi8ELi128ELi128ELi4ELi4ELi64ELi4ELi64ELc84ELc78ELb0ELb0ELb1EPKfKS4_KPfEEviiiT16_PT17_ilSA_ilS8_SA_ilPT18_ili26rocblas_geam_ex_operation_
	.p2align	8
	.type	_ZN12_GLOBAL__N_120geam_min_plus_kernelIf15HIP_vector_typeIfLj2EEfLi32ELi8ELi128ELi128ELi4ELi4ELi64ELi4ELi64ELc84ELc78ELb0ELb0ELb1EPKfKS4_KPfEEviiiT16_PT17_ilSA_ilS8_SA_ilPT18_ili26rocblas_geam_ex_operation_,@function
_ZN12_GLOBAL__N_120geam_min_plus_kernelIf15HIP_vector_typeIfLj2EEfLi32ELi8ELi128ELi128ELi4ELi4ELi64ELi4ELi64ELc84ELc78ELb0ELb0ELb1EPKfKS4_KPfEEviiiT16_PT17_ilSA_ilS8_SA_ilPT18_ili26rocblas_geam_ex_operation_: ; @_ZN12_GLOBAL__N_120geam_min_plus_kernelIf15HIP_vector_typeIfLj2EEfLi32ELi8ELi128ELi128ELi4ELi4ELi64ELi4ELi64ELc84ELc78ELb0ELb0ELb1EPKfKS4_KPfEEviiiT16_PT17_ilSA_ilS8_SA_ilPT18_ili26rocblas_geam_ex_operation_
; %bb.0:
	s_load_dwordx4 s[4:7], s[0:1], 0x10
	s_load_dwordx4 s[12:15], s[0:1], 0x28
	;; [unrolled: 1-line block ×3, first 2 shown]
	s_mov_b32 s20, s3
	s_mov_b32 s21, 0
	s_lshl_b64 s[16:17], s[20:21], 2
	s_waitcnt lgkmcnt(0)
	s_add_u32 s4, s4, s16
	s_addc_u32 s5, s5, s17
	s_load_dword s27, s[4:5], 0x0
	s_load_dwordx2 s[22:23], s[0:1], 0x50
	s_add_u32 s10, s10, s16
	s_addc_u32 s11, s11, s17
	s_mov_b64 s[16:17], 0
	s_waitcnt lgkmcnt(0)
	v_cmp_eq_f32_e64 s[4:5], s27, 0
	s_and_b64 s[4:5], exec, s[4:5]
	v_cmp_neq_f32_e64 s[24:25], s27, 0
	s_mov_b64 s[18:19], 0
	s_mov_b64 vcc, s[4:5]
	s_cbranch_vccnz .LBB9_2
; %bb.1:
	s_lshl_b64 s[18:19], s[20:21], 3
	s_add_u32 s6, s6, s18
	s_addc_u32 s7, s7, s19
	s_load_dwordx2 s[6:7], s[6:7], 0x0
	s_lshl_b64 s[12:13], s[12:13], 2
	s_waitcnt lgkmcnt(0)
	s_add_u32 s18, s6, s12
	s_addc_u32 s19, s7, s13
.LBB9_2:
	s_load_dword s26, s[10:11], 0x0
	v_cndmask_b32_e64 v1, 0, 1, s[24:25]
	v_cmp_ne_u32_e64 s[6:7], 1, v1
	s_andn2_b64 vcc, exec, s[24:25]
	s_cbranch_vccnz .LBB9_4
; %bb.3:
	s_lshl_b64 s[10:11], s[20:21], 3
	s_add_u32 s10, s14, s10
	s_addc_u32 s11, s15, s11
	s_load_dwordx2 s[10:11], s[10:11], 0x0
	s_lshl_b64 s[8:9], s[8:9], 2
	s_waitcnt lgkmcnt(0)
	s_add_u32 s16, s10, s8
	s_addc_u32 s17, s11, s9
.LBB9_4:
	s_load_dwordx4 s[12:15], s[0:1], 0x60
	s_waitcnt lgkmcnt(0)
	v_cmp_eq_f32_e64 s[8:9], s26, 0
	s_and_b64 s[8:9], exec, s[8:9]
	s_mov_b64 vcc, s[8:9]
	s_cbranch_vccnz .LBB9_6
; %bb.5:
	s_lshl_b64 s[10:11], s[20:21], 3
	s_add_u32 s10, s22, s10
	s_addc_u32 s11, s23, s11
	s_load_dwordx2 s[10:11], s[10:11], 0x0
	s_lshl_b64 s[12:13], s[12:13], 2
	s_waitcnt lgkmcnt(0)
	s_add_u32 s10, s10, s12
	s_addc_u32 s11, s11, s13
	s_branch .LBB9_7
.LBB9_6:
	s_mov_b64 s[10:11], 0
.LBB9_7:
	s_load_dword s3, s[0:1], 0x0
	s_load_dword s22, s[0:1], 0x20
	s_lshl_b64 s[12:13], s[20:21], 3
	s_add_u32 s12, s14, s12
	s_addc_u32 s13, s15, s13
	s_waitcnt lgkmcnt(0)
	s_add_i32 s3, s3, -1
	s_ashr_i32 s14, s3, 31
	s_lshr_b32 s14, s14, 25
	s_add_i32 s3, s3, s14
	s_ashr_i32 s3, s3, 7
	s_add_i32 s14, s3, 1
	v_cvt_f32_u32_e32 v1, s14
	v_and_b32_e32 v95, 0x3ff, v0
	v_bfe_u32 v96, v0, 10, 10
	v_and_b32_e32 v106, 3, v0
	v_rcp_iflag_f32_e32 v1, v1
	s_not_b32 s3, s3
	v_mov_b32_e32 v13, 0
	v_lshlrev_b32_e32 v12, 2, v106
	v_mul_f32_e32 v0, 0x4f7ffffe, v1
	v_cvt_u32_f32_e32 v0, v0
	v_lshl_add_u32 v1, v96, 5, v95
	v_lshrrev_b32_e32 v15, 2, v1
	v_lshl_add_u64 v[2:3], s[18:19], 0, v[12:13]
	v_readfirstlane_b32 s15, v0
	s_mul_i32 s3, s3, s15
	s_mul_hi_u32 s3, s15, s3
	s_add_i32 s15, s15, s3
	s_mul_hi_u32 s3, s2, s15
	s_mul_i32 s15, s3, s14
	s_sub_i32 s15, s2, s15
	s_add_i32 s20, s3, 1
	s_sub_i32 s21, s15, s14
	s_cmp_ge_u32 s15, s14
	s_cselect_b32 s3, s20, s3
	s_cselect_b32 s15, s21, s15
	s_add_i32 s20, s3, 1
	s_cmp_ge_u32 s15, s14
	s_cselect_b32 s3, s20, s3
	s_mul_i32 s14, s3, s14
	s_sub_i32 s2, s2, s14
	s_lshl_b32 s20, s2, 7
	v_add_u32_e32 v16, s20, v15
	s_and_b64 vcc, exec, s[6:7]
	s_cbranch_vccnz .LBB9_9
; %bb.8:
	v_mad_i64_i32 v[0:1], s[14:15], v16, s22, 0
	v_lshl_add_u64 v[0:1], v[0:1], 2, v[2:3]
	flat_load_dword v0, v[0:1]
	s_waitcnt vmcnt(0) lgkmcnt(0)
	v_mul_f32_e32 v13, s27, v0
.LBB9_9:
	s_load_dword s23, s[0:1], 0x38
	s_lshl_b32 s21, s3, 7
	s_mov_b64 vcc, s[4:5]
	s_cbranch_vccz .LBB9_11
; %bb.10:
	v_mov_b32_e32 v1, 0
	v_mov_b32_e32 v0, v13
	s_mov_b64 s[2:3], 0
	s_branch .LBB9_12
.LBB9_11:
	s_mov_b64 s[2:3], -1
                                        ; implicit-def: $vgpr0_vgpr1
.LBB9_12:
	v_add_u32_e32 v18, s21, v15
	v_mov_b32_e32 v14, 0
	s_andn2_b64 vcc, exec, s[2:3]
	v_add_u32_e32 v19, 64, v16
	v_add_u32_e32 v17, 64, v18
	v_mov_b32_e32 v4, 0
	v_mov_b32_e32 v5, 0
	s_cbranch_vccnz .LBB9_14
; %bb.13:
	v_mad_i64_i32 v[0:1], s[2:3], v19, s22, 0
	v_lshl_add_u64 v[0:1], v[0:1], 2, v[2:3]
	flat_load_dword v1, v[0:1]
	v_mov_b32_e32 v0, v13
	v_mov_b32_e32 v13, 0
	v_lshl_add_u64 v[4:5], s[16:17], 0, v[12:13]
	s_waitcnt lgkmcnt(0)
	v_mad_i64_i32 v[6:7], s[2:3], v18, s23, 0
	v_lshl_add_u64 v[6:7], v[6:7], 2, v[4:5]
	v_mad_i64_i32 v[8:9], s[2:3], v17, s23, 0
	v_lshl_add_u64 v[4:5], v[8:9], 2, v[4:5]
	flat_load_dword v8, v[6:7]
	flat_load_dword v9, v[4:5]
	s_waitcnt vmcnt(0)
	v_mul_f32_e32 v1, s27, v1
	s_waitcnt lgkmcnt(0)
	v_mul_f32_e32 v5, s27, v8
	v_mul_f32_e32 v4, s27, v9
.LBB9_14:
	s_and_b64 vcc, exec, s[6:7]
	s_cbranch_vccnz .LBB9_16
; %bb.15:
	v_mad_i64_i32 v[6:7], s[2:3], v16, s22, 0
	v_lshl_add_u64 v[6:7], v[6:7], 2, v[2:3]
	flat_load_dword v6, v[6:7] offset:16
	s_waitcnt vmcnt(0) lgkmcnt(0)
	v_mul_f32_e32 v14, s27, v6
.LBB9_16:
	v_mov_b32_e32 v20, 0
	s_mov_b64 vcc, s[4:5]
	s_cbranch_vccz .LBB9_18
; %bb.17:
	v_mov_b32_e32 v13, 0
	s_load_dwordx2 s[2:3], s[12:13], 0x0
	v_mov_b32_e32 v21, 0
	s_cbranch_execz .LBB9_19
	s_branch .LBB9_20
.LBB9_18:
                                        ; implicit-def: $vgpr13
	s_load_dwordx2 s[2:3], s[12:13], 0x0
	v_mov_b32_e32 v21, 0
.LBB9_19:
	v_mad_i64_i32 v[6:7], s[12:13], v19, s22, 0
	v_lshl_add_u64 v[2:3], v[6:7], 2, v[2:3]
	v_mov_b32_e32 v13, 0
	flat_load_dword v10, v[2:3] offset:16
	v_lshl_add_u64 v[2:3], s[16:17], 0, v[12:13]
	s_waitcnt lgkmcnt(0)
	v_mad_i64_i32 v[6:7], s[12:13], v18, s23, 0
	v_lshl_add_u64 v[6:7], v[6:7], 2, v[2:3]
	v_mad_i64_i32 v[8:9], s[12:13], v17, s23, 0
	v_lshl_add_u64 v[2:3], v[8:9], 2, v[2:3]
	flat_load_dword v8, v[6:7] offset:16
	flat_load_dword v9, v[2:3] offset:16
	s_waitcnt vmcnt(0)
	v_mul_f32_e32 v13, s27, v10
	s_waitcnt lgkmcnt(0)
	v_mul_f32_e32 v21, s27, v8
	v_mul_f32_e32 v20, s27, v9
.LBB9_20:
	v_lshlrev_b32_e32 v2, 4, v15
	v_lshl_or_b32 v107, v106, 2, v2
	ds_write2st64_b32 v107, v0, v1 offset1:4
	v_mov_b32_e32 v0, 0x1000
	v_add_u32_e32 v108, 0x1000, v107
	v_lshlrev_b32_e32 v109, 4, v95
	v_lshl_add_u32 v110, v96, 4, v0
	v_mov_b32_e32 v105, 0x7f7fffff
	s_mov_b32 s14, 0
	s_mov_b64 s[12:13], -1
	v_mov_b32_e32 v104, 0x7f7fffff
	v_mov_b32_e32 v103, 0x7f7fffff
	;; [unrolled: 1-line block ×63, first 2 shown]
	ds_write2st64_b32 v107, v5, v4 offset0:16 offset1:20
	s_waitcnt lgkmcnt(0)
	s_barrier
.LBB9_21:                               ; =>This Inner Loop Header: Depth=1
	v_cndmask_b32_e64 v0, 0, 1, s[12:13]
	s_lshl_b32 s12, s14, 2
	v_cmp_ne_u32_e32 vcc, 1, v0
	v_add_u32_e32 v0, s12, v109
	ds_read2st64_b64 v[4:7], v0 offset1:1
	ds_read2st64_b64 v[0:3], v0 offset0:2 offset1:3
	v_add_u32_e32 v8, s12, v110
	ds_read2_b64 v[22:25], v8 offset1:16
	ds_read2_b64 v[26:29], v8 offset0:32 offset1:48
	ds_read2_b64 v[30:33], v8 offset0:64 offset1:80
	;; [unrolled: 1-line block ×7, first 2 shown]
	s_mov_b64 s[12:13], 0
	s_waitcnt lgkmcnt(7)
	v_pk_add_f32 v[38:39], v[4:5], v[22:23]
	s_and_b64 vcc, exec, vcc
	v_min3_f32 v105, v38, v39, v105
	v_pk_add_f32 v[38:39], v[6:7], v[22:23]
	s_mov_b32 s14, 2
	v_min3_f32 v104, v38, v39, v104
	v_pk_add_f32 v[38:39], v[0:1], v[22:23]
	v_pk_add_f32 v[22:23], v[2:3], v[22:23]
	v_min3_f32 v103, v38, v39, v103
	v_min3_f32 v102, v22, v23, v102
	v_pk_add_f32 v[22:23], v[4:5], v[24:25]
	s_nop 0
	v_min3_f32 v101, v22, v23, v101
	v_pk_add_f32 v[22:23], v[6:7], v[24:25]
	s_nop 0
	v_min3_f32 v100, v22, v23, v100
	v_pk_add_f32 v[22:23], v[0:1], v[24:25]
	s_nop 0
	v_min3_f32 v99, v22, v23, v99
	v_pk_add_f32 v[22:23], v[2:3], v[24:25]
	s_nop 0
	v_min3_f32 v98, v22, v23, v98
	s_waitcnt lgkmcnt(6)
	v_pk_add_f32 v[22:23], v[4:5], v[26:27]
	s_nop 0
	v_min3_f32 v97, v22, v23, v97
	v_pk_add_f32 v[22:23], v[6:7], v[26:27]
	s_nop 0
	v_min3_f32 v94, v22, v23, v94
	v_pk_add_f32 v[22:23], v[0:1], v[26:27]
	s_nop 0
	v_min3_f32 v93, v22, v23, v93
	v_pk_add_f32 v[22:23], v[2:3], v[26:27]
	s_nop 0
	v_min3_f32 v92, v22, v23, v92
	v_pk_add_f32 v[22:23], v[4:5], v[28:29]
	s_nop 0
	v_min3_f32 v91, v22, v23, v91
	v_pk_add_f32 v[22:23], v[6:7], v[28:29]
	s_nop 0
	v_min3_f32 v90, v22, v23, v90
	v_pk_add_f32 v[22:23], v[0:1], v[28:29]
	s_nop 0
	v_min3_f32 v89, v22, v23, v89
	v_pk_add_f32 v[22:23], v[2:3], v[28:29]
	s_nop 0
	v_min3_f32 v88, v22, v23, v88
	s_waitcnt lgkmcnt(5)
	v_pk_add_f32 v[22:23], v[4:5], v[30:31]
	s_nop 0
	v_min3_f32 v87, v22, v23, v87
	v_pk_add_f32 v[22:23], v[6:7], v[30:31]
	s_nop 0
	v_min3_f32 v86, v22, v23, v86
	v_pk_add_f32 v[22:23], v[0:1], v[30:31]
	s_nop 0
	v_min3_f32 v85, v22, v23, v85
	v_pk_add_f32 v[22:23], v[2:3], v[30:31]
	s_nop 0
	;; [unrolled: 25-line block ×6, first 2 shown]
	v_min3_f32 v52, v22, v23, v52
	v_pk_add_f32 v[22:23], v[4:5], v[122:123]
	s_nop 0
	v_min3_f32 v51, v22, v23, v51
	v_pk_add_f32 v[22:23], v[6:7], v[122:123]
	s_nop 0
	;; [unrolled: 3-line block ×4, first 2 shown]
	v_min3_f32 v48, v22, v23, v48
	s_waitcnt lgkmcnt(0)
	v_pk_add_f32 v[22:23], v[4:5], v[8:9]
	v_pk_add_f32 v[4:5], v[4:5], v[10:11]
	v_min3_f32 v47, v22, v23, v47
	v_pk_add_f32 v[22:23], v[6:7], v[8:9]
	v_min3_f32 v43, v4, v5, v43
	v_min3_f32 v46, v22, v23, v46
	v_pk_add_f32 v[22:23], v[0:1], v[8:9]
	v_pk_add_f32 v[0:1], v[0:1], v[10:11]
	;; [unrolled: 1-line block ×4, first 2 shown]
	v_min3_f32 v41, v0, v1, v41
	v_pk_add_f32 v[0:1], v[2:3], v[10:11]
	v_min3_f32 v45, v22, v23, v45
	v_min3_f32 v44, v8, v9, v44
	;; [unrolled: 1-line block ×4, first 2 shown]
	s_cbranch_vccz .LBB9_21
; %bb.22:
	s_load_dword s14, s[0:1], 0x8
	v_lshl_or_b32 v0, v15, 4, v12
	ds_write2st64_b32 v0, v14, v13 offset0:8 offset1:12
	ds_write2st64_b32 v0, v21, v20 offset0:24 offset1:28
	s_waitcnt lgkmcnt(0)
	s_barrier
	s_cmp_lt_i32 s14, 9
	s_cbranch_scc1 .LBB9_41
; %bb.23:
	v_add_u32_e32 v111, 0x800, v0
	v_add_u32_e32 v112, 0x1800, v0
	v_mov_b32_e32 v0, 0x800
	v_lshl_add_u32 v113, v95, 4, v0
	v_mov_b32_e32 v0, 0x1800
	s_add_i32 s14, s14, -8
	v_mad_i64_i32 v[20:21], s[12:13], v16, s22, 0
	v_mad_i64_i32 v[22:23], s[12:13], v19, s22, 0
	;; [unrolled: 1-line block ×4, first 2 shown]
	v_lshl_add_u32 v114, v96, 4, v0
	s_mov_b32 s15, 8
	s_mov_b32 s22, 0
	v_mov_b32_e32 v29, 0
.LBB9_24:                               ; =>This Loop Header: Depth=1
                                        ;     Child Loop BB9_31 Depth 2
                                        ;     Child Loop BB9_38 Depth 2
	v_or_b32_e32 v28, s15, v106
	v_lshl_add_u64 v[0:1], v[28:29], 2, s[18:19]
	s_and_b64 vcc, exec, s[6:7]
	v_lshl_add_u64 v[34:35], v[20:21], 2, v[0:1]
	v_mov_b32_e32 v36, v29
	s_cbranch_vccnz .LBB9_26
; %bb.25:                               ;   in Loop: Header=BB9_24 Depth=1
	flat_load_dword v2, v[34:35]
	s_waitcnt vmcnt(0) lgkmcnt(0)
	v_mul_f32_e32 v36, s27, v2
.LBB9_26:                               ;   in Loop: Header=BB9_24 Depth=1
	s_mov_b64 s[12:13], -1
	s_mov_b64 vcc, s[4:5]
                                        ; implicit-def: $vgpr38_vgpr39
                                        ; implicit-def: $vgpr37
	s_cbranch_vccz .LBB9_28
; %bb.27:                               ;   in Loop: Header=BB9_24 Depth=1
	v_mov_b32_e32 v37, v29
	v_mov_b32_e32 v38, v29
	s_mov_b64 s[12:13], 0
.LBB9_28:                               ;   in Loop: Header=BB9_24 Depth=1
	v_mov_b32_e32 v39, 0
	s_andn2_b64 vcc, exec, s[12:13]
	v_lshl_add_u64 v[32:33], v[22:23], 2, v[0:1]
	v_lshl_add_u64 v[30:31], v[28:29], 2, s[16:17]
	s_cbranch_vccnz .LBB9_30
; %bb.29:                               ;   in Loop: Header=BB9_24 Depth=1
	v_lshl_add_u64 v[0:1], v[24:25], 2, v[30:31]
	flat_load_dword v4, v[32:33]
	v_lshl_add_u64 v[2:3], v[26:27], 2, v[30:31]
	flat_load_dword v5, v[0:1]
	flat_load_dword v6, v[2:3]
	s_waitcnt vmcnt(0) lgkmcnt(0)
	v_mul_f32_e32 v37, s27, v4
	v_mul_f32_e32 v38, s27, v5
	v_mul_f32_e32 v39, s27, v6
.LBB9_30:                               ;   in Loop: Header=BB9_24 Depth=1
	s_mov_b32 s23, 0
	s_mov_b64 s[12:13], -1
.LBB9_31:                               ;   Parent Loop BB9_24 Depth=1
                                        ; =>  This Inner Loop Header: Depth=2
	v_cndmask_b32_e64 v0, 0, 1, s[12:13]
	s_lshl_b32 s12, s23, 2
	v_cmp_ne_u32_e32 vcc, 1, v0
	v_add_u32_e32 v0, s12, v113
	ds_read2st64_b64 v[4:7], v0 offset1:1
	ds_read2st64_b64 v[0:3], v0 offset0:2 offset1:3
	v_add_u32_e32 v8, s12, v114
	ds_read2_b64 v[116:119], v8 offset1:16
	ds_read2_b64 v[120:123], v8 offset0:32 offset1:48
	ds_read2_b64 v[124:127], v8 offset0:64 offset1:80
	;; [unrolled: 1-line block ×7, first 2 shown]
	s_mov_b64 s[12:13], 0
	s_waitcnt lgkmcnt(7)
	v_pk_add_f32 v[136:137], v[4:5], v[116:117]
	s_and_b64 vcc, exec, vcc
	v_min3_f32 v105, v136, v137, v105
	v_pk_add_f32 v[136:137], v[6:7], v[116:117]
	s_mov_b32 s23, 2
	v_min3_f32 v104, v136, v137, v104
	v_pk_add_f32 v[136:137], v[0:1], v[116:117]
	v_pk_add_f32 v[116:117], v[2:3], v[116:117]
	v_min3_f32 v103, v136, v137, v103
	v_min3_f32 v102, v116, v117, v102
	v_pk_add_f32 v[116:117], v[4:5], v[118:119]
	s_nop 0
	v_min3_f32 v101, v116, v117, v101
	v_pk_add_f32 v[116:117], v[6:7], v[118:119]
	s_nop 0
	v_min3_f32 v100, v116, v117, v100
	v_pk_add_f32 v[116:117], v[0:1], v[118:119]
	s_nop 0
	v_min3_f32 v99, v116, v117, v99
	v_pk_add_f32 v[116:117], v[2:3], v[118:119]
	s_nop 0
	v_min3_f32 v98, v116, v117, v98
	s_waitcnt lgkmcnt(6)
	v_pk_add_f32 v[116:117], v[4:5], v[120:121]
	s_nop 0
	v_min3_f32 v97, v116, v117, v97
	v_pk_add_f32 v[116:117], v[6:7], v[120:121]
	s_nop 0
	v_min3_f32 v94, v116, v117, v94
	v_pk_add_f32 v[116:117], v[0:1], v[120:121]
	s_nop 0
	v_min3_f32 v93, v116, v117, v93
	v_pk_add_f32 v[116:117], v[2:3], v[120:121]
	s_nop 0
	v_min3_f32 v92, v116, v117, v92
	v_pk_add_f32 v[116:117], v[4:5], v[122:123]
	s_nop 0
	v_min3_f32 v91, v116, v117, v91
	v_pk_add_f32 v[116:117], v[6:7], v[122:123]
	s_nop 0
	v_min3_f32 v90, v116, v117, v90
	v_pk_add_f32 v[116:117], v[0:1], v[122:123]
	s_nop 0
	v_min3_f32 v89, v116, v117, v89
	v_pk_add_f32 v[116:117], v[2:3], v[122:123]
	s_nop 0
	v_min3_f32 v88, v116, v117, v88
	s_waitcnt lgkmcnt(5)
	v_pk_add_f32 v[116:117], v[4:5], v[124:125]
	s_nop 0
	v_min3_f32 v87, v116, v117, v87
	v_pk_add_f32 v[116:117], v[6:7], v[124:125]
	s_nop 0
	v_min3_f32 v86, v116, v117, v86
	v_pk_add_f32 v[116:117], v[0:1], v[124:125]
	s_nop 0
	v_min3_f32 v85, v116, v117, v85
	v_pk_add_f32 v[116:117], v[2:3], v[124:125]
	s_nop 0
	;; [unrolled: 25-line block ×4, first 2 shown]
	v_min3_f32 v68, v116, v117, v68
	v_pk_add_f32 v[116:117], v[4:5], v[134:135]
	s_nop 0
	v_min3_f32 v67, v116, v117, v67
	v_pk_add_f32 v[116:117], v[6:7], v[134:135]
	s_nop 0
	;; [unrolled: 3-line block ×4, first 2 shown]
	v_min3_f32 v64, v116, v117, v64
	s_waitcnt lgkmcnt(2)
	v_pk_add_f32 v[116:117], v[4:5], v[16:17]
	s_nop 0
	v_min3_f32 v63, v116, v117, v63
	v_pk_add_f32 v[116:117], v[6:7], v[16:17]
	s_nop 0
	v_min3_f32 v62, v116, v117, v62
	v_pk_add_f32 v[116:117], v[0:1], v[16:17]
	v_pk_add_f32 v[16:17], v[2:3], v[16:17]
	v_min3_f32 v61, v116, v117, v61
	v_min3_f32 v60, v16, v17, v60
	v_pk_add_f32 v[16:17], v[4:5], v[18:19]
	s_nop 0
	v_min3_f32 v59, v16, v17, v59
	v_pk_add_f32 v[16:17], v[6:7], v[18:19]
	s_nop 0
	;; [unrolled: 3-line block ×4, first 2 shown]
	v_min3_f32 v56, v16, v17, v56
	s_waitcnt lgkmcnt(1)
	v_pk_add_f32 v[16:17], v[4:5], v[12:13]
	s_nop 0
	v_min3_f32 v55, v16, v17, v55
	v_pk_add_f32 v[16:17], v[6:7], v[12:13]
	s_nop 0
	v_min3_f32 v54, v16, v17, v54
	v_pk_add_f32 v[16:17], v[0:1], v[12:13]
	v_pk_add_f32 v[12:13], v[2:3], v[12:13]
	v_min3_f32 v53, v16, v17, v53
	v_min3_f32 v52, v12, v13, v52
	v_pk_add_f32 v[12:13], v[4:5], v[14:15]
	s_nop 0
	v_min3_f32 v51, v12, v13, v51
	v_pk_add_f32 v[12:13], v[6:7], v[14:15]
	s_nop 0
	;; [unrolled: 3-line block ×4, first 2 shown]
	v_min3_f32 v48, v12, v13, v48
	s_waitcnt lgkmcnt(0)
	v_pk_add_f32 v[12:13], v[4:5], v[8:9]
	v_pk_add_f32 v[4:5], v[4:5], v[10:11]
	v_min3_f32 v47, v12, v13, v47
	v_pk_add_f32 v[12:13], v[6:7], v[8:9]
	v_min3_f32 v43, v4, v5, v43
	v_min3_f32 v46, v12, v13, v46
	v_pk_add_f32 v[12:13], v[0:1], v[8:9]
	v_pk_add_f32 v[0:1], v[0:1], v[10:11]
	;; [unrolled: 1-line block ×4, first 2 shown]
	v_min3_f32 v41, v0, v1, v41
	v_pk_add_f32 v[0:1], v[2:3], v[10:11]
	v_min3_f32 v45, v12, v13, v45
	v_min3_f32 v44, v8, v9, v44
	v_min3_f32 v42, v4, v5, v42
	v_min3_f32 v40, v0, v1, v40
	s_cbranch_vccz .LBB9_31
; %bb.32:                               ;   in Loop: Header=BB9_24 Depth=1
	s_and_b64 vcc, exec, s[6:7]
	ds_write2st64_b32 v107, v36, v37 offset1:4
	ds_write2st64_b32 v108, v38, v39 offset1:4
	s_waitcnt lgkmcnt(0)
	s_barrier
	s_cbranch_vccnz .LBB9_40
; %bb.33:                               ;   in Loop: Header=BB9_24 Depth=1
	flat_load_dword v0, v[34:35] offset:16
	s_waitcnt vmcnt(0) lgkmcnt(0)
	v_mul_f32_e32 v12, s27, v0
	s_mov_b64 s[12:13], -1
	s_mov_b64 vcc, s[4:5]
                                        ; implicit-def: $vgpr14_vgpr15
                                        ; implicit-def: $vgpr13
	s_cbranch_vccz .LBB9_35
.LBB9_34:                               ;   in Loop: Header=BB9_24 Depth=1
	v_mov_b32_e32 v13, v29
	v_mov_b32_e32 v14, v29
	s_mov_b64 s[12:13], 0
.LBB9_35:                               ;   in Loop: Header=BB9_24 Depth=1
	s_andn2_b64 vcc, exec, s[12:13]
	v_mov_b32_e32 v15, 0
	s_cbranch_vccnz .LBB9_37
; %bb.36:                               ;   in Loop: Header=BB9_24 Depth=1
	v_lshl_add_u64 v[0:1], v[24:25], 2, v[30:31]
	flat_load_dword v4, v[32:33] offset:16
	v_lshl_add_u64 v[2:3], v[26:27], 2, v[30:31]
	flat_load_dword v5, v[0:1] offset:16
	flat_load_dword v6, v[2:3] offset:16
	s_waitcnt vmcnt(0) lgkmcnt(0)
	v_mul_f32_e32 v13, s27, v4
	v_mul_f32_e32 v14, s27, v5
	;; [unrolled: 1-line block ×3, first 2 shown]
.LBB9_37:                               ;   in Loop: Header=BB9_24 Depth=1
	s_mov_b32 s23, 0
	s_mov_b64 s[12:13], -1
.LBB9_38:                               ;   Parent Loop BB9_24 Depth=1
                                        ; =>  This Inner Loop Header: Depth=2
	v_cndmask_b32_e64 v0, 0, 1, s[12:13]
	s_lshl_b32 s12, s23, 2
	v_cmp_ne_u32_e32 vcc, 1, v0
	v_add_u32_e32 v0, s12, v109
	ds_read2st64_b64 v[4:7], v0 offset1:1
	ds_read2st64_b64 v[0:3], v0 offset0:2 offset1:3
	v_add_u32_e32 v8, s12, v110
	ds_read2_b64 v[16:19], v8 offset1:16
	ds_read2_b64 v[30:33], v8 offset0:32 offset1:48
	ds_read2_b64 v[34:37], v8 offset0:64 offset1:80
	;; [unrolled: 1-line block ×7, first 2 shown]
	s_mov_b64 s[12:13], 0
	s_waitcnt lgkmcnt(7)
	v_pk_add_f32 v[38:39], v[4:5], v[16:17]
	s_and_b64 vcc, exec, vcc
	v_min3_f32 v105, v38, v39, v105
	v_pk_add_f32 v[38:39], v[6:7], v[16:17]
	s_mov_b32 s23, 2
	v_min3_f32 v104, v38, v39, v104
	v_pk_add_f32 v[38:39], v[0:1], v[16:17]
	v_pk_add_f32 v[16:17], v[2:3], v[16:17]
	v_min3_f32 v103, v38, v39, v103
	v_min3_f32 v102, v16, v17, v102
	v_pk_add_f32 v[16:17], v[4:5], v[18:19]
	s_nop 0
	v_min3_f32 v101, v16, v17, v101
	v_pk_add_f32 v[16:17], v[6:7], v[18:19]
	s_nop 0
	v_min3_f32 v100, v16, v17, v100
	v_pk_add_f32 v[16:17], v[0:1], v[18:19]
	s_nop 0
	v_min3_f32 v99, v16, v17, v99
	v_pk_add_f32 v[16:17], v[2:3], v[18:19]
	s_nop 0
	v_min3_f32 v98, v16, v17, v98
	s_waitcnt lgkmcnt(6)
	v_pk_add_f32 v[16:17], v[4:5], v[30:31]
	s_nop 0
	v_min3_f32 v97, v16, v17, v97
	v_pk_add_f32 v[16:17], v[6:7], v[30:31]
	s_nop 0
	v_min3_f32 v94, v16, v17, v94
	v_pk_add_f32 v[16:17], v[0:1], v[30:31]
	s_nop 0
	v_min3_f32 v93, v16, v17, v93
	v_pk_add_f32 v[16:17], v[2:3], v[30:31]
	s_nop 0
	v_min3_f32 v92, v16, v17, v92
	v_pk_add_f32 v[16:17], v[4:5], v[32:33]
	s_nop 0
	v_min3_f32 v91, v16, v17, v91
	v_pk_add_f32 v[16:17], v[6:7], v[32:33]
	s_nop 0
	v_min3_f32 v90, v16, v17, v90
	v_pk_add_f32 v[16:17], v[0:1], v[32:33]
	s_nop 0
	v_min3_f32 v89, v16, v17, v89
	v_pk_add_f32 v[16:17], v[2:3], v[32:33]
	s_nop 0
	v_min3_f32 v88, v16, v17, v88
	s_waitcnt lgkmcnt(5)
	v_pk_add_f32 v[16:17], v[4:5], v[34:35]
	s_nop 0
	v_min3_f32 v87, v16, v17, v87
	v_pk_add_f32 v[16:17], v[6:7], v[34:35]
	s_nop 0
	v_min3_f32 v86, v16, v17, v86
	v_pk_add_f32 v[16:17], v[0:1], v[34:35]
	s_nop 0
	v_min3_f32 v85, v16, v17, v85
	v_pk_add_f32 v[16:17], v[2:3], v[34:35]
	s_nop 0
	;; [unrolled: 25-line block ×6, first 2 shown]
	v_min3_f32 v52, v16, v17, v52
	v_pk_add_f32 v[16:17], v[4:5], v[130:131]
	s_nop 0
	v_min3_f32 v51, v16, v17, v51
	v_pk_add_f32 v[16:17], v[6:7], v[130:131]
	s_nop 0
	;; [unrolled: 3-line block ×4, first 2 shown]
	v_min3_f32 v48, v16, v17, v48
	s_waitcnt lgkmcnt(0)
	v_pk_add_f32 v[16:17], v[4:5], v[8:9]
	v_pk_add_f32 v[4:5], v[4:5], v[10:11]
	v_min3_f32 v47, v16, v17, v47
	v_pk_add_f32 v[16:17], v[6:7], v[8:9]
	v_min3_f32 v43, v4, v5, v43
	v_min3_f32 v46, v16, v17, v46
	v_pk_add_f32 v[16:17], v[0:1], v[8:9]
	v_pk_add_f32 v[0:1], v[0:1], v[10:11]
	;; [unrolled: 1-line block ×4, first 2 shown]
	v_min3_f32 v41, v0, v1, v41
	v_pk_add_f32 v[0:1], v[2:3], v[10:11]
	v_min3_f32 v45, v16, v17, v45
	v_min3_f32 v44, v8, v9, v44
	;; [unrolled: 1-line block ×4, first 2 shown]
	s_cbranch_vccz .LBB9_38
; %bb.39:                               ;   in Loop: Header=BB9_24 Depth=1
	s_add_i32 s15, s15, 8
	s_add_i32 s22, s22, 8
	s_cmp_ge_i32 s22, s14
	ds_write2st64_b32 v111, v12, v13 offset1:4
	ds_write2st64_b32 v112, v14, v15 offset1:4
	s_waitcnt lgkmcnt(0)
	s_barrier
	s_cbranch_scc0 .LBB9_24
	s_branch .LBB9_41
.LBB9_40:                               ;   in Loop: Header=BB9_24 Depth=1
	v_mov_b32_e32 v12, 0
	s_mov_b64 s[12:13], -1
	s_mov_b64 vcc, s[4:5]
                                        ; implicit-def: $vgpr14_vgpr15
                                        ; implicit-def: $vgpr13
	s_cbranch_vccz .LBB9_35
	s_branch .LBB9_34
.LBB9_41:
	v_mov_b32_e32 v0, 0x800
	v_lshl_add_u32 v12, v95, 4, v0
	v_mov_b32_e32 v0, 0x1800
	v_lshl_add_u32 v13, v96, 4, v0
	s_mov_b32 s6, 0
	s_mov_b64 s[4:5], -1
.LBB9_42:                               ; =>This Inner Loop Header: Depth=1
	v_cndmask_b32_e64 v0, 0, 1, s[4:5]
	s_lshl_b32 s4, s6, 2
	v_cmp_ne_u32_e32 vcc, 1, v0
	v_add_u32_e32 v0, s4, v12
	ds_read2st64_b64 v[4:7], v0 offset1:1
	ds_read2st64_b64 v[0:3], v0 offset0:2 offset1:3
	v_add_u32_e32 v8, s4, v13
	ds_read2_b64 v[14:17], v8 offset1:16
	ds_read2_b64 v[18:21], v8 offset0:32 offset1:48
	ds_read2_b64 v[22:25], v8 offset0:64 offset1:80
	;; [unrolled: 1-line block ×7, first 2 shown]
	s_mov_b64 s[4:5], 0
	s_waitcnt lgkmcnt(7)
	v_pk_add_f32 v[38:39], v[4:5], v[14:15]
	s_and_b64 vcc, exec, vcc
	v_min3_f32 v105, v38, v39, v105
	v_pk_add_f32 v[38:39], v[6:7], v[14:15]
	s_mov_b32 s6, 2
	v_min3_f32 v104, v38, v39, v104
	v_pk_add_f32 v[38:39], v[0:1], v[14:15]
	v_pk_add_f32 v[14:15], v[2:3], v[14:15]
	v_min3_f32 v103, v38, v39, v103
	v_min3_f32 v102, v14, v15, v102
	v_pk_add_f32 v[14:15], v[4:5], v[16:17]
	s_nop 0
	v_min3_f32 v101, v14, v15, v101
	v_pk_add_f32 v[14:15], v[6:7], v[16:17]
	s_nop 0
	v_min3_f32 v100, v14, v15, v100
	v_pk_add_f32 v[14:15], v[0:1], v[16:17]
	s_nop 0
	v_min3_f32 v99, v14, v15, v99
	v_pk_add_f32 v[14:15], v[2:3], v[16:17]
	s_nop 0
	v_min3_f32 v98, v14, v15, v98
	s_waitcnt lgkmcnt(6)
	v_pk_add_f32 v[14:15], v[4:5], v[18:19]
	s_nop 0
	v_min3_f32 v97, v14, v15, v97
	v_pk_add_f32 v[14:15], v[6:7], v[18:19]
	s_nop 0
	v_min3_f32 v94, v14, v15, v94
	v_pk_add_f32 v[14:15], v[0:1], v[18:19]
	s_nop 0
	v_min3_f32 v93, v14, v15, v93
	v_pk_add_f32 v[14:15], v[2:3], v[18:19]
	s_nop 0
	v_min3_f32 v92, v14, v15, v92
	v_pk_add_f32 v[14:15], v[4:5], v[20:21]
	s_nop 0
	v_min3_f32 v91, v14, v15, v91
	v_pk_add_f32 v[14:15], v[6:7], v[20:21]
	s_nop 0
	v_min3_f32 v90, v14, v15, v90
	v_pk_add_f32 v[14:15], v[0:1], v[20:21]
	s_nop 0
	v_min3_f32 v89, v14, v15, v89
	v_pk_add_f32 v[14:15], v[2:3], v[20:21]
	s_nop 0
	v_min3_f32 v88, v14, v15, v88
	s_waitcnt lgkmcnt(5)
	v_pk_add_f32 v[14:15], v[4:5], v[22:23]
	s_nop 0
	v_min3_f32 v87, v14, v15, v87
	v_pk_add_f32 v[14:15], v[6:7], v[22:23]
	s_nop 0
	v_min3_f32 v86, v14, v15, v86
	v_pk_add_f32 v[14:15], v[0:1], v[22:23]
	s_nop 0
	v_min3_f32 v85, v14, v15, v85
	v_pk_add_f32 v[14:15], v[2:3], v[22:23]
	s_nop 0
	v_min3_f32 v84, v14, v15, v84
	v_pk_add_f32 v[14:15], v[4:5], v[24:25]
	s_nop 0
	v_min3_f32 v83, v14, v15, v83
	v_pk_add_f32 v[14:15], v[6:7], v[24:25]
	s_nop 0
	v_min3_f32 v82, v14, v15, v82
	v_pk_add_f32 v[14:15], v[0:1], v[24:25]
	s_nop 0
	v_min3_f32 v81, v14, v15, v81
	v_pk_add_f32 v[14:15], v[2:3], v[24:25]
	s_nop 0
	v_min3_f32 v80, v14, v15, v80
	s_waitcnt lgkmcnt(4)
	v_pk_add_f32 v[14:15], v[4:5], v[26:27]
	s_nop 0
	v_min3_f32 v79, v14, v15, v79
	v_pk_add_f32 v[14:15], v[6:7], v[26:27]
	s_nop 0
	v_min3_f32 v78, v14, v15, v78
	v_pk_add_f32 v[14:15], v[0:1], v[26:27]
	s_nop 0
	v_min3_f32 v77, v14, v15, v77
	v_pk_add_f32 v[14:15], v[2:3], v[26:27]
	s_nop 0
	v_min3_f32 v76, v14, v15, v76
	v_pk_add_f32 v[14:15], v[4:5], v[28:29]
	s_nop 0
	v_min3_f32 v75, v14, v15, v75
	v_pk_add_f32 v[14:15], v[6:7], v[28:29]
	s_nop 0
	v_min3_f32 v74, v14, v15, v74
	v_pk_add_f32 v[14:15], v[0:1], v[28:29]
	s_nop 0
	v_min3_f32 v73, v14, v15, v73
	v_pk_add_f32 v[14:15], v[2:3], v[28:29]
	s_nop 0
	v_min3_f32 v72, v14, v15, v72
	s_waitcnt lgkmcnt(3)
	v_pk_add_f32 v[14:15], v[4:5], v[30:31]
	s_nop 0
	v_min3_f32 v71, v14, v15, v71
	v_pk_add_f32 v[14:15], v[6:7], v[30:31]
	s_nop 0
	v_min3_f32 v70, v14, v15, v70
	v_pk_add_f32 v[14:15], v[0:1], v[30:31]
	s_nop 0
	v_min3_f32 v69, v14, v15, v69
	v_pk_add_f32 v[14:15], v[2:3], v[30:31]
	s_nop 0
	v_min3_f32 v68, v14, v15, v68
	v_pk_add_f32 v[14:15], v[4:5], v[32:33]
	s_nop 0
	v_min3_f32 v67, v14, v15, v67
	v_pk_add_f32 v[14:15], v[6:7], v[32:33]
	s_nop 0
	v_min3_f32 v66, v14, v15, v66
	v_pk_add_f32 v[14:15], v[0:1], v[32:33]
	s_nop 0
	v_min3_f32 v65, v14, v15, v65
	v_pk_add_f32 v[14:15], v[2:3], v[32:33]
	s_nop 0
	v_min3_f32 v64, v14, v15, v64
	s_waitcnt lgkmcnt(2)
	v_pk_add_f32 v[14:15], v[4:5], v[34:35]
	s_nop 0
	v_min3_f32 v63, v14, v15, v63
	v_pk_add_f32 v[14:15], v[6:7], v[34:35]
	s_nop 0
	v_min3_f32 v62, v14, v15, v62
	v_pk_add_f32 v[14:15], v[0:1], v[34:35]
	s_nop 0
	v_min3_f32 v61, v14, v15, v61
	v_pk_add_f32 v[14:15], v[2:3], v[34:35]
	s_nop 0
	v_min3_f32 v60, v14, v15, v60
	v_pk_add_f32 v[14:15], v[4:5], v[36:37]
	s_nop 0
	v_min3_f32 v59, v14, v15, v59
	v_pk_add_f32 v[14:15], v[6:7], v[36:37]
	s_nop 0
	v_min3_f32 v58, v14, v15, v58
	v_pk_add_f32 v[14:15], v[0:1], v[36:37]
	s_nop 0
	v_min3_f32 v57, v14, v15, v57
	v_pk_add_f32 v[14:15], v[2:3], v[36:37]
	s_nop 0
	v_min3_f32 v56, v14, v15, v56
	s_waitcnt lgkmcnt(1)
	v_pk_add_f32 v[14:15], v[4:5], v[106:107]
	s_nop 0
	v_min3_f32 v55, v14, v15, v55
	v_pk_add_f32 v[14:15], v[6:7], v[106:107]
	s_nop 0
	v_min3_f32 v54, v14, v15, v54
	v_pk_add_f32 v[14:15], v[0:1], v[106:107]
	s_nop 0
	v_min3_f32 v53, v14, v15, v53
	v_pk_add_f32 v[14:15], v[2:3], v[106:107]
	s_nop 0
	v_min3_f32 v52, v14, v15, v52
	v_pk_add_f32 v[14:15], v[4:5], v[108:109]
	s_nop 0
	v_min3_f32 v51, v14, v15, v51
	v_pk_add_f32 v[14:15], v[6:7], v[108:109]
	s_nop 0
	;; [unrolled: 3-line block ×4, first 2 shown]
	v_min3_f32 v48, v14, v15, v48
	s_waitcnt lgkmcnt(0)
	v_pk_add_f32 v[14:15], v[4:5], v[8:9]
	v_pk_add_f32 v[4:5], v[4:5], v[10:11]
	v_min3_f32 v47, v14, v15, v47
	v_pk_add_f32 v[14:15], v[6:7], v[8:9]
	v_min3_f32 v43, v4, v5, v43
	v_min3_f32 v46, v14, v15, v46
	v_pk_add_f32 v[14:15], v[0:1], v[8:9]
	v_pk_add_f32 v[0:1], v[0:1], v[10:11]
	;; [unrolled: 1-line block ×4, first 2 shown]
	v_min3_f32 v41, v0, v1, v41
	v_pk_add_f32 v[0:1], v[2:3], v[10:11]
	v_min3_f32 v45, v14, v15, v45
	v_min3_f32 v44, v8, v9, v44
	;; [unrolled: 1-line block ×4, first 2 shown]
	s_cbranch_vccz .LBB9_42
; %bb.43:
	s_load_dwordx2 s[6:7], s[0:1], 0x78
	s_load_dword s4, s[0:1], 0x58
	s_load_dword s5, s[0:1], 0x70
	v_add_u32_e32 v16, s21, v96
	v_add_u32_e32 v4, s20, v95
	s_waitcnt lgkmcnt(0)
	s_lshl_b64 s[0:1], s[6:7], 2
	s_add_u32 s0, s2, s0
	s_addc_u32 s1, s3, s1
	v_mad_i64_i32 v[2:3], s[2:3], v16, s5, 0
	v_add_u32_e32 v0, 32, v4
	v_lshl_add_u64 v[12:13], v[2:3], 2, s[0:1]
	v_mad_i64_i32 v[2:3], s[2:3], v16, s4, 0
	v_ashrrev_i32_e32 v5, 31, v4
	v_ashrrev_i32_e32 v1, 31, v0
	s_mov_b64 s[2:3], -1
	v_max_f32_e32 v6, v105, v105
	s_mov_b64 vcc, s[8:9]
	s_cbranch_vccz .LBB9_45
; %bb.44:
	v_min_f32_e32 v7, 0, v6
	v_lshl_add_u64 v[8:9], v[4:5], 2, v[12:13]
	flat_store_dword v[8:9], v7
	s_mov_b64 s[2:3], 0
.LBB9_45:
	v_lshl_add_u64 v[14:15], v[2:3], 2, s[10:11]
	v_mov_b32_e32 v10, 0
	s_andn2_b64 vcc, exec, s[2:3]
	v_lshlrev_b64 v[8:9], 2, v[4:5]
	s_cbranch_vccnz .LBB9_47
; %bb.46:
	v_lshl_add_u64 v[2:3], v[14:15], 0, v[8:9]
	flat_load_dword v7, v[2:3]
	v_lshl_add_u64 v[2:3], v[12:13], 0, v[8:9]
	s_waitcnt vmcnt(0) lgkmcnt(0)
	v_mul_f32_e32 v7, s26, v7
	v_min_f32_e32 v6, v7, v6
	flat_store_dword v[2:3], v6
	v_lshl_add_u64 v[2:3], v[0:1], 2, v[14:15]
	flat_load_dword v2, v[2:3]
	s_waitcnt vmcnt(0) lgkmcnt(0)
	v_mul_f32_e32 v10, s26, v2
.LBB9_47:
	v_max_f32_e32 v11, v104, v104
	v_max_f32_e32 v10, v10, v10
	v_add_u32_e32 v6, 64, v4
	v_add_u32_e32 v2, 0x60, v4
	v_min_f32_e32 v17, v10, v11
	v_lshl_add_u64 v[10:11], v[0:1], 2, v[12:13]
	v_ashrrev_i32_e32 v7, 31, v6
	v_ashrrev_i32_e32 v3, 31, v2
	flat_store_dword v[10:11], v17
	s_mov_b64 s[2:3], -1
	v_max_f32_e32 v17, v103, v103
	s_mov_b64 vcc, s[8:9]
	s_cbranch_vccz .LBB9_49
; %bb.48:
	v_min_f32_e32 v18, 0, v17
	v_lshl_add_u64 v[10:11], v[6:7], 2, v[12:13]
	flat_store_dword v[10:11], v18
	s_mov_b64 s[2:3], 0
.LBB9_49:
	v_mov_b32_e32 v18, 0
	s_andn2_b64 vcc, exec, s[2:3]
	v_lshlrev_b64 v[10:11], 2, v[6:7]
	s_cbranch_vccnz .LBB9_51
; %bb.50:
	v_lshl_add_u64 v[18:19], v[14:15], 0, v[10:11]
	flat_load_dword v20, v[18:19]
	v_lshl_add_u64 v[18:19], v[12:13], 0, v[10:11]
	v_lshl_add_u64 v[14:15], v[2:3], 2, v[14:15]
	s_waitcnt vmcnt(0) lgkmcnt(0)
	v_mul_f32_e32 v20, s26, v20
	v_min_f32_e32 v17, v20, v17
	flat_store_dword v[18:19], v17
	flat_load_dword v14, v[14:15]
	s_waitcnt vmcnt(0) lgkmcnt(0)
	v_mul_f32_e32 v18, s26, v14
.LBB9_51:
	v_max_f32_e32 v14, v102, v102
	v_max_f32_e32 v15, v18, v18
	v_min_f32_e32 v14, v15, v14
	v_lshl_add_u64 v[12:13], v[2:3], 2, v[12:13]
	flat_store_dword v[12:13], v14
	v_add_u32_e32 v14, 8, v16
	v_mad_i64_i32 v[12:13], s[2:3], v14, s5, 0
	v_mad_i64_i32 v[14:15], s[2:3], v14, s4, 0
	v_lshl_add_u64 v[12:13], v[12:13], 2, s[0:1]
	s_mov_b64 s[2:3], -1
	v_max_f32_e32 v17, v101, v101
	s_mov_b64 vcc, s[8:9]
	s_cbranch_vccz .LBB9_53
; %bb.52:
	v_min_f32_e32 v20, 0, v17
	v_lshl_add_u64 v[18:19], v[4:5], 2, v[12:13]
	flat_store_dword v[18:19], v20
	s_mov_b64 s[2:3], 0
.LBB9_53:
	v_lshl_add_u64 v[14:15], v[14:15], 2, s[10:11]
	s_andn2_b64 vcc, exec, s[2:3]
	v_mov_b32_e32 v18, 0
	s_cbranch_vccnz .LBB9_55
; %bb.54:
	v_lshl_add_u64 v[18:19], v[14:15], 0, v[8:9]
	flat_load_dword v20, v[18:19]
	v_lshl_add_u64 v[18:19], v[12:13], 0, v[8:9]
	s_waitcnt vmcnt(0) lgkmcnt(0)
	v_mul_f32_e32 v20, s26, v20
	v_min_f32_e32 v17, v20, v17
	flat_store_dword v[18:19], v17
	v_lshl_add_u64 v[18:19], v[0:1], 2, v[14:15]
	flat_load_dword v17, v[18:19]
	s_waitcnt vmcnt(0) lgkmcnt(0)
	v_mul_f32_e32 v18, s26, v17
.LBB9_55:
	v_max_f32_e32 v17, v100, v100
	v_max_f32_e32 v18, v18, v18
	v_min_f32_e32 v17, v18, v17
	v_lshl_add_u64 v[18:19], v[0:1], 2, v[12:13]
	flat_store_dword v[18:19], v17
	s_mov_b64 s[2:3], -1
	v_max_f32_e32 v17, v99, v99
	s_mov_b64 vcc, s[8:9]
	s_cbranch_vccz .LBB9_57
; %bb.56:
	v_min_f32_e32 v20, 0, v17
	v_lshl_add_u64 v[18:19], v[6:7], 2, v[12:13]
	flat_store_dword v[18:19], v20
	s_mov_b64 s[2:3], 0
.LBB9_57:
	s_andn2_b64 vcc, exec, s[2:3]
	v_mov_b32_e32 v18, 0
	s_cbranch_vccnz .LBB9_59
; %bb.58:
	v_lshl_add_u64 v[18:19], v[14:15], 0, v[10:11]
	flat_load_dword v20, v[18:19]
	v_lshl_add_u64 v[18:19], v[12:13], 0, v[10:11]
	v_lshl_add_u64 v[14:15], v[2:3], 2, v[14:15]
	s_waitcnt vmcnt(0) lgkmcnt(0)
	v_mul_f32_e32 v20, s26, v20
	v_min_f32_e32 v17, v20, v17
	flat_store_dword v[18:19], v17
	flat_load_dword v14, v[14:15]
	s_waitcnt vmcnt(0) lgkmcnt(0)
	v_mul_f32_e32 v18, s26, v14
.LBB9_59:
	v_max_f32_e32 v14, v98, v98
	v_max_f32_e32 v15, v18, v18
	v_min_f32_e32 v14, v15, v14
	v_lshl_add_u64 v[12:13], v[2:3], 2, v[12:13]
	flat_store_dword v[12:13], v14
	v_add_u32_e32 v14, 16, v16
	v_mad_i64_i32 v[12:13], s[2:3], v14, s5, 0
	v_mad_i64_i32 v[14:15], s[2:3], v14, s4, 0
	v_lshl_add_u64 v[12:13], v[12:13], 2, s[0:1]
	s_mov_b64 s[2:3], -1
	v_max_f32_e32 v17, v97, v97
	s_mov_b64 vcc, s[8:9]
	s_cbranch_vccz .LBB9_61
; %bb.60:
	v_min_f32_e32 v20, 0, v17
	v_lshl_add_u64 v[18:19], v[4:5], 2, v[12:13]
	flat_store_dword v[18:19], v20
	s_mov_b64 s[2:3], 0
.LBB9_61:
	v_lshl_add_u64 v[14:15], v[14:15], 2, s[10:11]
	s_andn2_b64 vcc, exec, s[2:3]
	v_mov_b32_e32 v18, 0
	s_cbranch_vccnz .LBB9_63
; %bb.62:
	v_lshl_add_u64 v[18:19], v[14:15], 0, v[8:9]
	flat_load_dword v20, v[18:19]
	v_lshl_add_u64 v[18:19], v[12:13], 0, v[8:9]
	s_waitcnt vmcnt(0) lgkmcnt(0)
	v_mul_f32_e32 v20, s26, v20
	v_min_f32_e32 v17, v20, v17
	flat_store_dword v[18:19], v17
	v_lshl_add_u64 v[18:19], v[0:1], 2, v[14:15]
	flat_load_dword v17, v[18:19]
	s_waitcnt vmcnt(0) lgkmcnt(0)
	v_mul_f32_e32 v18, s26, v17
.LBB9_63:
	v_max_f32_e32 v17, v94, v94
	v_max_f32_e32 v18, v18, v18
	v_min_f32_e32 v17, v18, v17
	v_lshl_add_u64 v[18:19], v[0:1], 2, v[12:13]
	flat_store_dword v[18:19], v17
	s_mov_b64 s[2:3], -1
	v_max_f32_e32 v17, v93, v93
	s_mov_b64 vcc, s[8:9]
	s_cbranch_vccz .LBB9_65
; %bb.64:
	v_min_f32_e32 v20, 0, v17
	v_lshl_add_u64 v[18:19], v[6:7], 2, v[12:13]
	flat_store_dword v[18:19], v20
	s_mov_b64 s[2:3], 0
.LBB9_65:
	s_andn2_b64 vcc, exec, s[2:3]
	v_mov_b32_e32 v18, 0
	s_cbranch_vccnz .LBB9_67
; %bb.66:
	v_lshl_add_u64 v[18:19], v[14:15], 0, v[10:11]
	flat_load_dword v20, v[18:19]
	v_lshl_add_u64 v[18:19], v[12:13], 0, v[10:11]
	v_lshl_add_u64 v[14:15], v[2:3], 2, v[14:15]
	s_waitcnt vmcnt(0) lgkmcnt(0)
	v_mul_f32_e32 v20, s26, v20
	v_min_f32_e32 v17, v20, v17
	flat_store_dword v[18:19], v17
	flat_load_dword v14, v[14:15]
	s_waitcnt vmcnt(0) lgkmcnt(0)
	v_mul_f32_e32 v18, s26, v14
.LBB9_67:
	v_max_f32_e32 v14, v92, v92
	v_max_f32_e32 v15, v18, v18
	v_min_f32_e32 v14, v15, v14
	v_lshl_add_u64 v[12:13], v[2:3], 2, v[12:13]
	flat_store_dword v[12:13], v14
	v_add_u32_e32 v14, 24, v16
	v_mad_i64_i32 v[12:13], s[2:3], v14, s5, 0
	v_mad_i64_i32 v[14:15], s[2:3], v14, s4, 0
	v_lshl_add_u64 v[12:13], v[12:13], 2, s[0:1]
	s_mov_b64 s[2:3], -1
	v_max_f32_e32 v17, v91, v91
	s_mov_b64 vcc, s[8:9]
	s_cbranch_vccz .LBB9_69
; %bb.68:
	v_min_f32_e32 v20, 0, v17
	v_lshl_add_u64 v[18:19], v[4:5], 2, v[12:13]
	flat_store_dword v[18:19], v20
	s_mov_b64 s[2:3], 0
.LBB9_69:
	v_lshl_add_u64 v[14:15], v[14:15], 2, s[10:11]
	s_andn2_b64 vcc, exec, s[2:3]
	v_mov_b32_e32 v18, 0
	s_cbranch_vccnz .LBB9_71
; %bb.70:
	v_lshl_add_u64 v[18:19], v[14:15], 0, v[8:9]
	flat_load_dword v20, v[18:19]
	v_lshl_add_u64 v[18:19], v[12:13], 0, v[8:9]
	s_waitcnt vmcnt(0) lgkmcnt(0)
	v_mul_f32_e32 v20, s26, v20
	v_min_f32_e32 v17, v20, v17
	flat_store_dword v[18:19], v17
	v_lshl_add_u64 v[18:19], v[0:1], 2, v[14:15]
	flat_load_dword v17, v[18:19]
	s_waitcnt vmcnt(0) lgkmcnt(0)
	v_mul_f32_e32 v18, s26, v17
.LBB9_71:
	v_max_f32_e32 v17, v90, v90
	v_max_f32_e32 v18, v18, v18
	v_min_f32_e32 v17, v18, v17
	v_lshl_add_u64 v[18:19], v[0:1], 2, v[12:13]
	flat_store_dword v[18:19], v17
	s_mov_b64 s[2:3], -1
	v_max_f32_e32 v17, v89, v89
	s_mov_b64 vcc, s[8:9]
	s_cbranch_vccz .LBB9_73
; %bb.72:
	v_min_f32_e32 v20, 0, v17
	v_lshl_add_u64 v[18:19], v[6:7], 2, v[12:13]
	flat_store_dword v[18:19], v20
	s_mov_b64 s[2:3], 0
.LBB9_73:
	s_andn2_b64 vcc, exec, s[2:3]
	v_mov_b32_e32 v18, 0
	s_cbranch_vccnz .LBB9_75
; %bb.74:
	v_lshl_add_u64 v[18:19], v[14:15], 0, v[10:11]
	flat_load_dword v20, v[18:19]
	v_lshl_add_u64 v[18:19], v[12:13], 0, v[10:11]
	v_lshl_add_u64 v[14:15], v[2:3], 2, v[14:15]
	s_waitcnt vmcnt(0) lgkmcnt(0)
	v_mul_f32_e32 v20, s26, v20
	v_min_f32_e32 v17, v20, v17
	flat_store_dword v[18:19], v17
	flat_load_dword v14, v[14:15]
	s_waitcnt vmcnt(0) lgkmcnt(0)
	v_mul_f32_e32 v18, s26, v14
.LBB9_75:
	v_max_f32_e32 v14, v88, v88
	v_max_f32_e32 v15, v18, v18
	v_min_f32_e32 v14, v15, v14
	v_lshl_add_u64 v[12:13], v[2:3], 2, v[12:13]
	flat_store_dword v[12:13], v14
	v_add_u32_e32 v14, 32, v16
	v_mad_i64_i32 v[12:13], s[2:3], v14, s5, 0
	v_mad_i64_i32 v[14:15], s[2:3], v14, s4, 0
	v_lshl_add_u64 v[12:13], v[12:13], 2, s[0:1]
	s_mov_b64 s[2:3], -1
	v_max_f32_e32 v17, v87, v87
	s_mov_b64 vcc, s[8:9]
	s_cbranch_vccz .LBB9_77
; %bb.76:
	v_min_f32_e32 v20, 0, v17
	v_lshl_add_u64 v[18:19], v[4:5], 2, v[12:13]
	flat_store_dword v[18:19], v20
	s_mov_b64 s[2:3], 0
.LBB9_77:
	v_lshl_add_u64 v[14:15], v[14:15], 2, s[10:11]
	s_andn2_b64 vcc, exec, s[2:3]
	v_mov_b32_e32 v18, 0
	s_cbranch_vccnz .LBB9_79
; %bb.78:
	v_lshl_add_u64 v[18:19], v[14:15], 0, v[8:9]
	flat_load_dword v20, v[18:19]
	v_lshl_add_u64 v[18:19], v[12:13], 0, v[8:9]
	s_waitcnt vmcnt(0) lgkmcnt(0)
	v_mul_f32_e32 v20, s26, v20
	v_min_f32_e32 v17, v20, v17
	flat_store_dword v[18:19], v17
	v_lshl_add_u64 v[18:19], v[0:1], 2, v[14:15]
	flat_load_dword v17, v[18:19]
	s_waitcnt vmcnt(0) lgkmcnt(0)
	v_mul_f32_e32 v18, s26, v17
.LBB9_79:
	v_max_f32_e32 v17, v86, v86
	v_max_f32_e32 v18, v18, v18
	v_min_f32_e32 v17, v18, v17
	v_lshl_add_u64 v[18:19], v[0:1], 2, v[12:13]
	flat_store_dword v[18:19], v17
	s_mov_b64 s[2:3], -1
	v_max_f32_e32 v17, v85, v85
	s_mov_b64 vcc, s[8:9]
	s_cbranch_vccz .LBB9_81
; %bb.80:
	v_min_f32_e32 v20, 0, v17
	v_lshl_add_u64 v[18:19], v[6:7], 2, v[12:13]
	flat_store_dword v[18:19], v20
	s_mov_b64 s[2:3], 0
.LBB9_81:
	s_andn2_b64 vcc, exec, s[2:3]
	v_mov_b32_e32 v18, 0
	s_cbranch_vccnz .LBB9_83
; %bb.82:
	v_lshl_add_u64 v[18:19], v[14:15], 0, v[10:11]
	flat_load_dword v20, v[18:19]
	v_lshl_add_u64 v[18:19], v[12:13], 0, v[10:11]
	v_lshl_add_u64 v[14:15], v[2:3], 2, v[14:15]
	s_waitcnt vmcnt(0) lgkmcnt(0)
	v_mul_f32_e32 v20, s26, v20
	v_min_f32_e32 v17, v20, v17
	flat_store_dword v[18:19], v17
	flat_load_dword v14, v[14:15]
	s_waitcnt vmcnt(0) lgkmcnt(0)
	v_mul_f32_e32 v18, s26, v14
.LBB9_83:
	v_max_f32_e32 v14, v84, v84
	v_max_f32_e32 v15, v18, v18
	v_min_f32_e32 v14, v15, v14
	v_lshl_add_u64 v[12:13], v[2:3], 2, v[12:13]
	flat_store_dword v[12:13], v14
	v_add_u32_e32 v14, 40, v16
	v_mad_i64_i32 v[12:13], s[2:3], v14, s5, 0
	v_mad_i64_i32 v[14:15], s[2:3], v14, s4, 0
	v_lshl_add_u64 v[12:13], v[12:13], 2, s[0:1]
	s_mov_b64 s[2:3], -1
	v_max_f32_e32 v17, v83, v83
	s_mov_b64 vcc, s[8:9]
	s_cbranch_vccz .LBB9_85
; %bb.84:
	v_min_f32_e32 v20, 0, v17
	v_lshl_add_u64 v[18:19], v[4:5], 2, v[12:13]
	flat_store_dword v[18:19], v20
	s_mov_b64 s[2:3], 0
.LBB9_85:
	v_lshl_add_u64 v[14:15], v[14:15], 2, s[10:11]
	s_andn2_b64 vcc, exec, s[2:3]
	v_mov_b32_e32 v18, 0
	s_cbranch_vccnz .LBB9_87
; %bb.86:
	v_lshl_add_u64 v[18:19], v[14:15], 0, v[8:9]
	flat_load_dword v20, v[18:19]
	v_lshl_add_u64 v[18:19], v[12:13], 0, v[8:9]
	s_waitcnt vmcnt(0) lgkmcnt(0)
	v_mul_f32_e32 v20, s26, v20
	v_min_f32_e32 v17, v20, v17
	flat_store_dword v[18:19], v17
	v_lshl_add_u64 v[18:19], v[0:1], 2, v[14:15]
	flat_load_dword v17, v[18:19]
	s_waitcnt vmcnt(0) lgkmcnt(0)
	v_mul_f32_e32 v18, s26, v17
.LBB9_87:
	v_max_f32_e32 v17, v82, v82
	v_max_f32_e32 v18, v18, v18
	v_min_f32_e32 v17, v18, v17
	v_lshl_add_u64 v[18:19], v[0:1], 2, v[12:13]
	flat_store_dword v[18:19], v17
	s_mov_b64 s[2:3], -1
	v_max_f32_e32 v17, v81, v81
	s_mov_b64 vcc, s[8:9]
	s_cbranch_vccz .LBB9_89
; %bb.88:
	v_min_f32_e32 v20, 0, v17
	v_lshl_add_u64 v[18:19], v[6:7], 2, v[12:13]
	flat_store_dword v[18:19], v20
	s_mov_b64 s[2:3], 0
.LBB9_89:
	s_andn2_b64 vcc, exec, s[2:3]
	v_mov_b32_e32 v18, 0
	s_cbranch_vccnz .LBB9_91
; %bb.90:
	v_lshl_add_u64 v[18:19], v[14:15], 0, v[10:11]
	flat_load_dword v20, v[18:19]
	v_lshl_add_u64 v[18:19], v[12:13], 0, v[10:11]
	v_lshl_add_u64 v[14:15], v[2:3], 2, v[14:15]
	s_waitcnt vmcnt(0) lgkmcnt(0)
	v_mul_f32_e32 v20, s26, v20
	v_min_f32_e32 v17, v20, v17
	flat_store_dword v[18:19], v17
	flat_load_dword v14, v[14:15]
	s_waitcnt vmcnt(0) lgkmcnt(0)
	v_mul_f32_e32 v18, s26, v14
.LBB9_91:
	v_max_f32_e32 v14, v80, v80
	v_max_f32_e32 v15, v18, v18
	v_min_f32_e32 v14, v15, v14
	v_lshl_add_u64 v[12:13], v[2:3], 2, v[12:13]
	flat_store_dword v[12:13], v14
	v_add_u32_e32 v14, 48, v16
	v_mad_i64_i32 v[12:13], s[2:3], v14, s5, 0
	v_mad_i64_i32 v[14:15], s[2:3], v14, s4, 0
	v_lshl_add_u64 v[12:13], v[12:13], 2, s[0:1]
	s_mov_b64 s[2:3], -1
	v_max_f32_e32 v17, v79, v79
	s_mov_b64 vcc, s[8:9]
	s_cbranch_vccz .LBB9_93
; %bb.92:
	v_min_f32_e32 v20, 0, v17
	v_lshl_add_u64 v[18:19], v[4:5], 2, v[12:13]
	flat_store_dword v[18:19], v20
	s_mov_b64 s[2:3], 0
.LBB9_93:
	v_lshl_add_u64 v[14:15], v[14:15], 2, s[10:11]
	s_andn2_b64 vcc, exec, s[2:3]
	v_mov_b32_e32 v18, 0
	s_cbranch_vccnz .LBB9_95
; %bb.94:
	v_lshl_add_u64 v[18:19], v[14:15], 0, v[8:9]
	flat_load_dword v20, v[18:19]
	v_lshl_add_u64 v[18:19], v[12:13], 0, v[8:9]
	s_waitcnt vmcnt(0) lgkmcnt(0)
	v_mul_f32_e32 v20, s26, v20
	v_min_f32_e32 v17, v20, v17
	flat_store_dword v[18:19], v17
	v_lshl_add_u64 v[18:19], v[0:1], 2, v[14:15]
	flat_load_dword v17, v[18:19]
	s_waitcnt vmcnt(0) lgkmcnt(0)
	v_mul_f32_e32 v18, s26, v17
.LBB9_95:
	v_max_f32_e32 v17, v78, v78
	v_max_f32_e32 v18, v18, v18
	v_min_f32_e32 v17, v18, v17
	v_lshl_add_u64 v[18:19], v[0:1], 2, v[12:13]
	flat_store_dword v[18:19], v17
	s_mov_b64 s[2:3], -1
	v_max_f32_e32 v17, v77, v77
	s_mov_b64 vcc, s[8:9]
	s_cbranch_vccz .LBB9_97
; %bb.96:
	v_min_f32_e32 v20, 0, v17
	v_lshl_add_u64 v[18:19], v[6:7], 2, v[12:13]
	flat_store_dword v[18:19], v20
	s_mov_b64 s[2:3], 0
.LBB9_97:
	s_andn2_b64 vcc, exec, s[2:3]
	v_mov_b32_e32 v18, 0
	s_cbranch_vccnz .LBB9_99
; %bb.98:
	v_lshl_add_u64 v[18:19], v[14:15], 0, v[10:11]
	flat_load_dword v20, v[18:19]
	v_lshl_add_u64 v[18:19], v[12:13], 0, v[10:11]
	v_lshl_add_u64 v[14:15], v[2:3], 2, v[14:15]
	s_waitcnt vmcnt(0) lgkmcnt(0)
	v_mul_f32_e32 v20, s26, v20
	v_min_f32_e32 v17, v20, v17
	flat_store_dword v[18:19], v17
	flat_load_dword v14, v[14:15]
	s_waitcnt vmcnt(0) lgkmcnt(0)
	v_mul_f32_e32 v18, s26, v14
.LBB9_99:
	v_max_f32_e32 v14, v76, v76
	v_max_f32_e32 v15, v18, v18
	v_min_f32_e32 v14, v15, v14
	v_lshl_add_u64 v[12:13], v[2:3], 2, v[12:13]
	flat_store_dword v[12:13], v14
	v_add_u32_e32 v14, 56, v16
	v_mad_i64_i32 v[12:13], s[2:3], v14, s5, 0
	v_mad_i64_i32 v[14:15], s[2:3], v14, s4, 0
	v_lshl_add_u64 v[12:13], v[12:13], 2, s[0:1]
	s_mov_b64 s[2:3], -1
	v_max_f32_e32 v17, v75, v75
	s_mov_b64 vcc, s[8:9]
	s_cbranch_vccz .LBB9_101
; %bb.100:
	v_min_f32_e32 v20, 0, v17
	v_lshl_add_u64 v[18:19], v[4:5], 2, v[12:13]
	flat_store_dword v[18:19], v20
	s_mov_b64 s[2:3], 0
.LBB9_101:
	v_lshl_add_u64 v[14:15], v[14:15], 2, s[10:11]
	s_andn2_b64 vcc, exec, s[2:3]
	v_mov_b32_e32 v18, 0
	s_cbranch_vccnz .LBB9_103
; %bb.102:
	v_lshl_add_u64 v[18:19], v[14:15], 0, v[8:9]
	flat_load_dword v20, v[18:19]
	v_lshl_add_u64 v[18:19], v[12:13], 0, v[8:9]
	s_waitcnt vmcnt(0) lgkmcnt(0)
	v_mul_f32_e32 v20, s26, v20
	v_min_f32_e32 v17, v20, v17
	flat_store_dword v[18:19], v17
	v_lshl_add_u64 v[18:19], v[0:1], 2, v[14:15]
	flat_load_dword v17, v[18:19]
	s_waitcnt vmcnt(0) lgkmcnt(0)
	v_mul_f32_e32 v18, s26, v17
.LBB9_103:
	v_max_f32_e32 v17, v74, v74
	v_max_f32_e32 v18, v18, v18
	v_min_f32_e32 v17, v18, v17
	v_lshl_add_u64 v[18:19], v[0:1], 2, v[12:13]
	flat_store_dword v[18:19], v17
	s_mov_b64 s[2:3], -1
	v_max_f32_e32 v17, v73, v73
	s_mov_b64 vcc, s[8:9]
	s_cbranch_vccz .LBB9_105
; %bb.104:
	v_min_f32_e32 v20, 0, v17
	v_lshl_add_u64 v[18:19], v[6:7], 2, v[12:13]
	flat_store_dword v[18:19], v20
	s_mov_b64 s[2:3], 0
.LBB9_105:
	s_andn2_b64 vcc, exec, s[2:3]
	v_mov_b32_e32 v18, 0
	s_cbranch_vccnz .LBB9_107
; %bb.106:
	v_lshl_add_u64 v[18:19], v[14:15], 0, v[10:11]
	flat_load_dword v20, v[18:19]
	v_lshl_add_u64 v[18:19], v[12:13], 0, v[10:11]
	v_lshl_add_u64 v[14:15], v[2:3], 2, v[14:15]
	s_waitcnt vmcnt(0) lgkmcnt(0)
	v_mul_f32_e32 v20, s26, v20
	v_min_f32_e32 v17, v20, v17
	flat_store_dword v[18:19], v17
	flat_load_dword v14, v[14:15]
	s_waitcnt vmcnt(0) lgkmcnt(0)
	v_mul_f32_e32 v18, s26, v14
.LBB9_107:
	v_max_f32_e32 v14, v72, v72
	v_max_f32_e32 v15, v18, v18
	v_min_f32_e32 v14, v15, v14
	v_lshl_add_u64 v[12:13], v[2:3], 2, v[12:13]
	flat_store_dword v[12:13], v14
	v_add_u32_e32 v14, 64, v16
	v_mad_i64_i32 v[12:13], s[2:3], v14, s5, 0
	v_mad_i64_i32 v[14:15], s[2:3], v14, s4, 0
	v_lshl_add_u64 v[12:13], v[12:13], 2, s[0:1]
	s_mov_b64 s[2:3], -1
	v_max_f32_e32 v17, v71, v71
	s_mov_b64 vcc, s[8:9]
	s_cbranch_vccz .LBB9_109
; %bb.108:
	v_min_f32_e32 v20, 0, v17
	v_lshl_add_u64 v[18:19], v[4:5], 2, v[12:13]
	flat_store_dword v[18:19], v20
	s_mov_b64 s[2:3], 0
.LBB9_109:
	v_lshl_add_u64 v[14:15], v[14:15], 2, s[10:11]
	s_andn2_b64 vcc, exec, s[2:3]
	v_mov_b32_e32 v18, 0
	s_cbranch_vccnz .LBB9_111
; %bb.110:
	v_lshl_add_u64 v[18:19], v[14:15], 0, v[8:9]
	flat_load_dword v20, v[18:19]
	v_lshl_add_u64 v[18:19], v[12:13], 0, v[8:9]
	s_waitcnt vmcnt(0) lgkmcnt(0)
	v_mul_f32_e32 v20, s26, v20
	v_min_f32_e32 v17, v20, v17
	flat_store_dword v[18:19], v17
	v_lshl_add_u64 v[18:19], v[0:1], 2, v[14:15]
	flat_load_dword v17, v[18:19]
	s_waitcnt vmcnt(0) lgkmcnt(0)
	v_mul_f32_e32 v18, s26, v17
.LBB9_111:
	v_max_f32_e32 v17, v70, v70
	v_max_f32_e32 v18, v18, v18
	v_min_f32_e32 v17, v18, v17
	v_lshl_add_u64 v[18:19], v[0:1], 2, v[12:13]
	flat_store_dword v[18:19], v17
	s_mov_b64 s[2:3], -1
	v_max_f32_e32 v17, v69, v69
	s_mov_b64 vcc, s[8:9]
	s_cbranch_vccz .LBB9_113
; %bb.112:
	v_min_f32_e32 v20, 0, v17
	v_lshl_add_u64 v[18:19], v[6:7], 2, v[12:13]
	flat_store_dword v[18:19], v20
	s_mov_b64 s[2:3], 0
.LBB9_113:
	s_andn2_b64 vcc, exec, s[2:3]
	v_mov_b32_e32 v18, 0
	s_cbranch_vccnz .LBB9_115
; %bb.114:
	v_lshl_add_u64 v[18:19], v[14:15], 0, v[10:11]
	flat_load_dword v20, v[18:19]
	v_lshl_add_u64 v[18:19], v[12:13], 0, v[10:11]
	v_lshl_add_u64 v[14:15], v[2:3], 2, v[14:15]
	s_waitcnt vmcnt(0) lgkmcnt(0)
	v_mul_f32_e32 v20, s26, v20
	v_min_f32_e32 v17, v20, v17
	flat_store_dword v[18:19], v17
	flat_load_dword v14, v[14:15]
	s_waitcnt vmcnt(0) lgkmcnt(0)
	v_mul_f32_e32 v18, s26, v14
.LBB9_115:
	v_max_f32_e32 v14, v68, v68
	v_max_f32_e32 v15, v18, v18
	v_min_f32_e32 v14, v15, v14
	v_lshl_add_u64 v[12:13], v[2:3], 2, v[12:13]
	flat_store_dword v[12:13], v14
	v_add_u32_e32 v14, 0x48, v16
	v_mad_i64_i32 v[12:13], s[2:3], v14, s5, 0
	v_mad_i64_i32 v[14:15], s[2:3], v14, s4, 0
	v_lshl_add_u64 v[12:13], v[12:13], 2, s[0:1]
	s_mov_b64 s[2:3], -1
	v_max_f32_e32 v17, v67, v67
	s_mov_b64 vcc, s[8:9]
	s_cbranch_vccz .LBB9_117
; %bb.116:
	v_min_f32_e32 v20, 0, v17
	v_lshl_add_u64 v[18:19], v[4:5], 2, v[12:13]
	flat_store_dword v[18:19], v20
	s_mov_b64 s[2:3], 0
.LBB9_117:
	v_lshl_add_u64 v[14:15], v[14:15], 2, s[10:11]
	s_andn2_b64 vcc, exec, s[2:3]
	v_mov_b32_e32 v18, 0
	s_cbranch_vccnz .LBB9_119
; %bb.118:
	v_lshl_add_u64 v[18:19], v[14:15], 0, v[8:9]
	flat_load_dword v20, v[18:19]
	v_lshl_add_u64 v[18:19], v[12:13], 0, v[8:9]
	s_waitcnt vmcnt(0) lgkmcnt(0)
	v_mul_f32_e32 v20, s26, v20
	v_min_f32_e32 v17, v20, v17
	flat_store_dword v[18:19], v17
	v_lshl_add_u64 v[18:19], v[0:1], 2, v[14:15]
	flat_load_dword v17, v[18:19]
	s_waitcnt vmcnt(0) lgkmcnt(0)
	v_mul_f32_e32 v18, s26, v17
.LBB9_119:
	v_max_f32_e32 v17, v66, v66
	v_max_f32_e32 v18, v18, v18
	v_min_f32_e32 v17, v18, v17
	v_lshl_add_u64 v[18:19], v[0:1], 2, v[12:13]
	flat_store_dword v[18:19], v17
	s_mov_b64 s[2:3], -1
	v_max_f32_e32 v17, v65, v65
	s_mov_b64 vcc, s[8:9]
	s_cbranch_vccz .LBB9_121
; %bb.120:
	v_min_f32_e32 v20, 0, v17
	v_lshl_add_u64 v[18:19], v[6:7], 2, v[12:13]
	flat_store_dword v[18:19], v20
	s_mov_b64 s[2:3], 0
.LBB9_121:
	s_andn2_b64 vcc, exec, s[2:3]
	v_mov_b32_e32 v18, 0
	s_cbranch_vccnz .LBB9_123
; %bb.122:
	v_lshl_add_u64 v[18:19], v[14:15], 0, v[10:11]
	flat_load_dword v20, v[18:19]
	v_lshl_add_u64 v[18:19], v[12:13], 0, v[10:11]
	v_lshl_add_u64 v[14:15], v[2:3], 2, v[14:15]
	s_waitcnt vmcnt(0) lgkmcnt(0)
	v_mul_f32_e32 v20, s26, v20
	v_min_f32_e32 v17, v20, v17
	flat_store_dword v[18:19], v17
	flat_load_dword v14, v[14:15]
	s_waitcnt vmcnt(0) lgkmcnt(0)
	v_mul_f32_e32 v18, s26, v14
.LBB9_123:
	v_max_f32_e32 v14, v64, v64
	v_max_f32_e32 v15, v18, v18
	v_min_f32_e32 v14, v15, v14
	v_lshl_add_u64 v[12:13], v[2:3], 2, v[12:13]
	flat_store_dword v[12:13], v14
	v_add_u32_e32 v14, 0x50, v16
	v_mad_i64_i32 v[12:13], s[2:3], v14, s5, 0
	v_mad_i64_i32 v[14:15], s[2:3], v14, s4, 0
	v_lshl_add_u64 v[12:13], v[12:13], 2, s[0:1]
	s_mov_b64 s[2:3], -1
	v_max_f32_e32 v17, v63, v63
	s_mov_b64 vcc, s[8:9]
	s_cbranch_vccz .LBB9_125
; %bb.124:
	v_min_f32_e32 v20, 0, v17
	v_lshl_add_u64 v[18:19], v[4:5], 2, v[12:13]
	flat_store_dword v[18:19], v20
	s_mov_b64 s[2:3], 0
.LBB9_125:
	v_lshl_add_u64 v[14:15], v[14:15], 2, s[10:11]
	s_andn2_b64 vcc, exec, s[2:3]
	v_mov_b32_e32 v18, 0
	s_cbranch_vccnz .LBB9_127
; %bb.126:
	v_lshl_add_u64 v[18:19], v[14:15], 0, v[8:9]
	flat_load_dword v20, v[18:19]
	v_lshl_add_u64 v[18:19], v[12:13], 0, v[8:9]
	s_waitcnt vmcnt(0) lgkmcnt(0)
	v_mul_f32_e32 v20, s26, v20
	v_min_f32_e32 v17, v20, v17
	flat_store_dword v[18:19], v17
	v_lshl_add_u64 v[18:19], v[0:1], 2, v[14:15]
	flat_load_dword v17, v[18:19]
	s_waitcnt vmcnt(0) lgkmcnt(0)
	v_mul_f32_e32 v18, s26, v17
.LBB9_127:
	v_max_f32_e32 v17, v62, v62
	v_max_f32_e32 v18, v18, v18
	v_min_f32_e32 v17, v18, v17
	v_lshl_add_u64 v[18:19], v[0:1], 2, v[12:13]
	flat_store_dword v[18:19], v17
	s_mov_b64 s[2:3], -1
	v_max_f32_e32 v17, v61, v61
	s_mov_b64 vcc, s[8:9]
	s_cbranch_vccz .LBB9_129
; %bb.128:
	v_min_f32_e32 v20, 0, v17
	v_lshl_add_u64 v[18:19], v[6:7], 2, v[12:13]
	flat_store_dword v[18:19], v20
	s_mov_b64 s[2:3], 0
.LBB9_129:
	s_andn2_b64 vcc, exec, s[2:3]
	v_mov_b32_e32 v18, 0
	s_cbranch_vccnz .LBB9_131
; %bb.130:
	v_lshl_add_u64 v[18:19], v[14:15], 0, v[10:11]
	flat_load_dword v20, v[18:19]
	v_lshl_add_u64 v[18:19], v[12:13], 0, v[10:11]
	v_lshl_add_u64 v[14:15], v[2:3], 2, v[14:15]
	s_waitcnt vmcnt(0) lgkmcnt(0)
	v_mul_f32_e32 v20, s26, v20
	v_min_f32_e32 v17, v20, v17
	flat_store_dword v[18:19], v17
	flat_load_dword v14, v[14:15]
	s_waitcnt vmcnt(0) lgkmcnt(0)
	v_mul_f32_e32 v18, s26, v14
.LBB9_131:
	v_max_f32_e32 v14, v60, v60
	v_max_f32_e32 v15, v18, v18
	v_min_f32_e32 v14, v15, v14
	v_lshl_add_u64 v[12:13], v[2:3], 2, v[12:13]
	flat_store_dword v[12:13], v14
	v_add_u32_e32 v14, 0x58, v16
	v_mad_i64_i32 v[12:13], s[2:3], v14, s5, 0
	v_mad_i64_i32 v[14:15], s[2:3], v14, s4, 0
	v_lshl_add_u64 v[12:13], v[12:13], 2, s[0:1]
	s_mov_b64 s[2:3], -1
	v_max_f32_e32 v17, v59, v59
	s_mov_b64 vcc, s[8:9]
	s_cbranch_vccz .LBB9_133
; %bb.132:
	v_min_f32_e32 v20, 0, v17
	v_lshl_add_u64 v[18:19], v[4:5], 2, v[12:13]
	flat_store_dword v[18:19], v20
	s_mov_b64 s[2:3], 0
.LBB9_133:
	v_lshl_add_u64 v[14:15], v[14:15], 2, s[10:11]
	s_andn2_b64 vcc, exec, s[2:3]
	v_mov_b32_e32 v18, 0
	s_cbranch_vccnz .LBB9_135
; %bb.134:
	v_lshl_add_u64 v[18:19], v[14:15], 0, v[8:9]
	flat_load_dword v20, v[18:19]
	v_lshl_add_u64 v[18:19], v[12:13], 0, v[8:9]
	s_waitcnt vmcnt(0) lgkmcnt(0)
	v_mul_f32_e32 v20, s26, v20
	v_min_f32_e32 v17, v20, v17
	flat_store_dword v[18:19], v17
	v_lshl_add_u64 v[18:19], v[0:1], 2, v[14:15]
	flat_load_dword v17, v[18:19]
	s_waitcnt vmcnt(0) lgkmcnt(0)
	v_mul_f32_e32 v18, s26, v17
.LBB9_135:
	v_max_f32_e32 v17, v58, v58
	v_max_f32_e32 v18, v18, v18
	v_min_f32_e32 v17, v18, v17
	v_lshl_add_u64 v[18:19], v[0:1], 2, v[12:13]
	flat_store_dword v[18:19], v17
	s_mov_b64 s[2:3], -1
	v_max_f32_e32 v17, v57, v57
	s_mov_b64 vcc, s[8:9]
	s_cbranch_vccz .LBB9_137
; %bb.136:
	v_min_f32_e32 v20, 0, v17
	v_lshl_add_u64 v[18:19], v[6:7], 2, v[12:13]
	flat_store_dword v[18:19], v20
	s_mov_b64 s[2:3], 0
.LBB9_137:
	s_andn2_b64 vcc, exec, s[2:3]
	v_mov_b32_e32 v18, 0
	s_cbranch_vccnz .LBB9_139
; %bb.138:
	v_lshl_add_u64 v[18:19], v[14:15], 0, v[10:11]
	flat_load_dword v20, v[18:19]
	v_lshl_add_u64 v[18:19], v[12:13], 0, v[10:11]
	v_lshl_add_u64 v[14:15], v[2:3], 2, v[14:15]
	s_waitcnt vmcnt(0) lgkmcnt(0)
	v_mul_f32_e32 v20, s26, v20
	v_min_f32_e32 v17, v20, v17
	flat_store_dword v[18:19], v17
	flat_load_dword v14, v[14:15]
	s_waitcnt vmcnt(0) lgkmcnt(0)
	v_mul_f32_e32 v18, s26, v14
.LBB9_139:
	v_max_f32_e32 v14, v56, v56
	v_max_f32_e32 v15, v18, v18
	v_min_f32_e32 v14, v15, v14
	v_lshl_add_u64 v[12:13], v[2:3], 2, v[12:13]
	flat_store_dword v[12:13], v14
	v_add_u32_e32 v14, 0x60, v16
	v_mad_i64_i32 v[12:13], s[2:3], v14, s5, 0
	v_mad_i64_i32 v[14:15], s[2:3], v14, s4, 0
	v_lshl_add_u64 v[12:13], v[12:13], 2, s[0:1]
	s_mov_b64 s[2:3], -1
	v_max_f32_e32 v17, v55, v55
	s_mov_b64 vcc, s[8:9]
	s_cbranch_vccz .LBB9_141
; %bb.140:
	v_min_f32_e32 v20, 0, v17
	v_lshl_add_u64 v[18:19], v[4:5], 2, v[12:13]
	flat_store_dword v[18:19], v20
	s_mov_b64 s[2:3], 0
.LBB9_141:
	v_lshl_add_u64 v[14:15], v[14:15], 2, s[10:11]
	s_andn2_b64 vcc, exec, s[2:3]
	v_mov_b32_e32 v18, 0
	s_cbranch_vccnz .LBB9_143
; %bb.142:
	v_lshl_add_u64 v[18:19], v[14:15], 0, v[8:9]
	flat_load_dword v20, v[18:19]
	v_lshl_add_u64 v[18:19], v[12:13], 0, v[8:9]
	s_waitcnt vmcnt(0) lgkmcnt(0)
	v_mul_f32_e32 v20, s26, v20
	v_min_f32_e32 v17, v20, v17
	flat_store_dword v[18:19], v17
	v_lshl_add_u64 v[18:19], v[0:1], 2, v[14:15]
	flat_load_dword v17, v[18:19]
	s_waitcnt vmcnt(0) lgkmcnt(0)
	v_mul_f32_e32 v18, s26, v17
.LBB9_143:
	v_max_f32_e32 v17, v54, v54
	v_max_f32_e32 v18, v18, v18
	v_min_f32_e32 v17, v18, v17
	v_lshl_add_u64 v[18:19], v[0:1], 2, v[12:13]
	flat_store_dword v[18:19], v17
	s_mov_b64 s[2:3], -1
	v_max_f32_e32 v17, v53, v53
	s_mov_b64 vcc, s[8:9]
	s_cbranch_vccz .LBB9_145
; %bb.144:
	v_min_f32_e32 v20, 0, v17
	v_lshl_add_u64 v[18:19], v[6:7], 2, v[12:13]
	flat_store_dword v[18:19], v20
	s_mov_b64 s[2:3], 0
.LBB9_145:
	s_andn2_b64 vcc, exec, s[2:3]
	v_mov_b32_e32 v18, 0
	s_cbranch_vccnz .LBB9_147
; %bb.146:
	v_lshl_add_u64 v[18:19], v[14:15], 0, v[10:11]
	flat_load_dword v20, v[18:19]
	v_lshl_add_u64 v[18:19], v[12:13], 0, v[10:11]
	v_lshl_add_u64 v[14:15], v[2:3], 2, v[14:15]
	s_waitcnt vmcnt(0) lgkmcnt(0)
	v_mul_f32_e32 v20, s26, v20
	v_min_f32_e32 v17, v20, v17
	flat_store_dword v[18:19], v17
	flat_load_dword v14, v[14:15]
	s_waitcnt vmcnt(0) lgkmcnt(0)
	v_mul_f32_e32 v18, s26, v14
.LBB9_147:
	v_max_f32_e32 v14, v52, v52
	v_max_f32_e32 v15, v18, v18
	v_min_f32_e32 v14, v15, v14
	v_lshl_add_u64 v[12:13], v[2:3], 2, v[12:13]
	flat_store_dword v[12:13], v14
	v_add_u32_e32 v14, 0x68, v16
	v_mad_i64_i32 v[12:13], s[2:3], v14, s5, 0
	v_mad_i64_i32 v[14:15], s[2:3], v14, s4, 0
	v_lshl_add_u64 v[12:13], v[12:13], 2, s[0:1]
	s_mov_b64 s[2:3], -1
	v_max_f32_e32 v17, v51, v51
	s_mov_b64 vcc, s[8:9]
	s_cbranch_vccz .LBB9_149
; %bb.148:
	v_min_f32_e32 v20, 0, v17
	v_lshl_add_u64 v[18:19], v[4:5], 2, v[12:13]
	flat_store_dword v[18:19], v20
	s_mov_b64 s[2:3], 0
.LBB9_149:
	v_lshl_add_u64 v[14:15], v[14:15], 2, s[10:11]
	s_andn2_b64 vcc, exec, s[2:3]
	v_mov_b32_e32 v18, 0
	s_cbranch_vccnz .LBB9_151
; %bb.150:
	v_lshl_add_u64 v[18:19], v[14:15], 0, v[8:9]
	flat_load_dword v20, v[18:19]
	v_lshl_add_u64 v[18:19], v[12:13], 0, v[8:9]
	s_waitcnt vmcnt(0) lgkmcnt(0)
	v_mul_f32_e32 v20, s26, v20
	v_min_f32_e32 v17, v20, v17
	flat_store_dword v[18:19], v17
	v_lshl_add_u64 v[18:19], v[0:1], 2, v[14:15]
	flat_load_dword v17, v[18:19]
	s_waitcnt vmcnt(0) lgkmcnt(0)
	v_mul_f32_e32 v18, s26, v17
.LBB9_151:
	v_max_f32_e32 v17, v50, v50
	v_max_f32_e32 v18, v18, v18
	v_min_f32_e32 v17, v18, v17
	v_lshl_add_u64 v[18:19], v[0:1], 2, v[12:13]
	flat_store_dword v[18:19], v17
	s_mov_b64 s[2:3], -1
	v_max_f32_e32 v17, v49, v49
	s_mov_b64 vcc, s[8:9]
	s_cbranch_vccz .LBB9_153
; %bb.152:
	v_min_f32_e32 v20, 0, v17
	v_lshl_add_u64 v[18:19], v[6:7], 2, v[12:13]
	flat_store_dword v[18:19], v20
	s_mov_b64 s[2:3], 0
.LBB9_153:
	s_andn2_b64 vcc, exec, s[2:3]
	v_mov_b32_e32 v18, 0
	s_cbranch_vccnz .LBB9_155
; %bb.154:
	v_lshl_add_u64 v[18:19], v[14:15], 0, v[10:11]
	flat_load_dword v20, v[18:19]
	v_lshl_add_u64 v[18:19], v[12:13], 0, v[10:11]
	v_lshl_add_u64 v[14:15], v[2:3], 2, v[14:15]
	s_waitcnt vmcnt(0) lgkmcnt(0)
	v_mul_f32_e32 v20, s26, v20
	v_min_f32_e32 v17, v20, v17
	flat_store_dword v[18:19], v17
	flat_load_dword v14, v[14:15]
	s_waitcnt vmcnt(0) lgkmcnt(0)
	v_mul_f32_e32 v18, s26, v14
.LBB9_155:
	v_max_f32_e32 v14, v48, v48
	v_max_f32_e32 v15, v18, v18
	v_min_f32_e32 v14, v15, v14
	v_lshl_add_u64 v[12:13], v[2:3], 2, v[12:13]
	flat_store_dword v[12:13], v14
	v_add_u32_e32 v14, 0x70, v16
	v_mad_i64_i32 v[12:13], s[2:3], v14, s5, 0
	v_mad_i64_i32 v[14:15], s[2:3], v14, s4, 0
	v_lshl_add_u64 v[12:13], v[12:13], 2, s[0:1]
	s_mov_b64 s[2:3], -1
	v_max_f32_e32 v17, v47, v47
	s_mov_b64 vcc, s[8:9]
	s_cbranch_vccz .LBB9_157
; %bb.156:
	v_min_f32_e32 v20, 0, v17
	v_lshl_add_u64 v[18:19], v[4:5], 2, v[12:13]
	flat_store_dword v[18:19], v20
	s_mov_b64 s[2:3], 0
.LBB9_157:
	v_lshl_add_u64 v[14:15], v[14:15], 2, s[10:11]
	s_andn2_b64 vcc, exec, s[2:3]
	v_mov_b32_e32 v18, 0
	s_cbranch_vccnz .LBB9_159
; %bb.158:
	v_lshl_add_u64 v[18:19], v[14:15], 0, v[8:9]
	flat_load_dword v20, v[18:19]
	v_lshl_add_u64 v[18:19], v[12:13], 0, v[8:9]
	s_waitcnt vmcnt(0) lgkmcnt(0)
	v_mul_f32_e32 v20, s26, v20
	v_min_f32_e32 v17, v20, v17
	flat_store_dword v[18:19], v17
	v_lshl_add_u64 v[18:19], v[0:1], 2, v[14:15]
	flat_load_dword v17, v[18:19]
	s_waitcnt vmcnt(0) lgkmcnt(0)
	v_mul_f32_e32 v18, s26, v17
.LBB9_159:
	v_max_f32_e32 v17, v46, v46
	v_max_f32_e32 v18, v18, v18
	v_min_f32_e32 v17, v18, v17
	v_lshl_add_u64 v[18:19], v[0:1], 2, v[12:13]
	flat_store_dword v[18:19], v17
	s_mov_b64 s[2:3], -1
	v_max_f32_e32 v17, v45, v45
	s_mov_b64 vcc, s[8:9]
	s_cbranch_vccz .LBB9_161
; %bb.160:
	v_min_f32_e32 v20, 0, v17
	v_lshl_add_u64 v[18:19], v[6:7], 2, v[12:13]
	flat_store_dword v[18:19], v20
	s_mov_b64 s[2:3], 0
.LBB9_161:
	s_andn2_b64 vcc, exec, s[2:3]
	v_mov_b32_e32 v18, 0
	s_cbranch_vccnz .LBB9_163
; %bb.162:
	v_lshl_add_u64 v[18:19], v[14:15], 0, v[10:11]
	flat_load_dword v20, v[18:19]
	v_lshl_add_u64 v[18:19], v[12:13], 0, v[10:11]
	v_lshl_add_u64 v[14:15], v[2:3], 2, v[14:15]
	s_waitcnt vmcnt(0) lgkmcnt(0)
	v_mul_f32_e32 v20, s26, v20
	v_min_f32_e32 v17, v20, v17
	flat_store_dword v[18:19], v17
	flat_load_dword v14, v[14:15]
	s_waitcnt vmcnt(0) lgkmcnt(0)
	v_mul_f32_e32 v18, s26, v14
.LBB9_163:
	v_max_f32_e32 v14, v44, v44
	v_max_f32_e32 v15, v18, v18
	v_min_f32_e32 v14, v15, v14
	v_lshl_add_u64 v[12:13], v[2:3], 2, v[12:13]
	flat_store_dword v[12:13], v14
	v_add_u32_e32 v14, 0x78, v16
	v_mad_i64_i32 v[12:13], s[2:3], v14, s5, 0
	v_lshl_add_u64 v[12:13], v[12:13], 2, s[0:1]
	v_mad_i64_i32 v[14:15], s[0:1], v14, s4, 0
	s_mov_b64 s[0:1], -1
	v_max_f32_e32 v16, v43, v43
	s_mov_b64 vcc, s[8:9]
	s_cbranch_vccz .LBB9_165
; %bb.164:
	v_min_f32_e32 v17, 0, v16
	v_lshl_add_u64 v[4:5], v[4:5], 2, v[12:13]
	flat_store_dword v[4:5], v17
	s_mov_b64 s[0:1], 0
.LBB9_165:
	v_lshl_add_u64 v[4:5], v[14:15], 2, s[10:11]
	s_andn2_b64 vcc, exec, s[0:1]
	v_mov_b32_e32 v14, 0
	s_cbranch_vccnz .LBB9_167
; %bb.166:
	v_lshl_add_u64 v[14:15], v[4:5], 0, v[8:9]
	flat_load_dword v14, v[14:15]
	v_lshl_add_u64 v[8:9], v[12:13], 0, v[8:9]
	s_waitcnt vmcnt(0) lgkmcnt(0)
	v_mul_f32_e32 v14, s26, v14
	v_min_f32_e32 v14, v14, v16
	flat_store_dword v[8:9], v14
	v_lshl_add_u64 v[8:9], v[0:1], 2, v[4:5]
	flat_load_dword v8, v[8:9]
	s_waitcnt vmcnt(0) lgkmcnt(0)
	v_mul_f32_e32 v14, s26, v8
.LBB9_167:
	v_max_f32_e32 v8, v42, v42
	v_max_f32_e32 v9, v14, v14
	v_min_f32_e32 v8, v9, v8
	v_lshl_add_u64 v[0:1], v[0:1], 2, v[12:13]
	flat_store_dword v[0:1], v8
	s_mov_b64 s[0:1], -1
	v_max_f32_e32 v0, v41, v41
	s_mov_b64 vcc, s[8:9]
	s_cbranch_vccz .LBB9_169
; %bb.168:
	v_min_f32_e32 v1, 0, v0
	v_lshl_add_u64 v[6:7], v[6:7], 2, v[12:13]
	flat_store_dword v[6:7], v1
	s_mov_b64 s[0:1], 0
.LBB9_169:
	s_andn2_b64 vcc, exec, s[0:1]
	v_mov_b32_e32 v1, 0
	s_cbranch_vccnz .LBB9_171
; %bb.170:
	v_lshl_add_u64 v[6:7], v[4:5], 0, v[10:11]
	flat_load_dword v1, v[6:7]
	v_lshl_add_u64 v[6:7], v[12:13], 0, v[10:11]
	s_waitcnt vmcnt(0) lgkmcnt(0)
	v_mul_f32_e32 v1, s26, v1
	v_min_f32_e32 v0, v1, v0
	flat_store_dword v[6:7], v0
	v_lshl_add_u64 v[0:1], v[2:3], 2, v[4:5]
	flat_load_dword v0, v[0:1]
	s_waitcnt vmcnt(0) lgkmcnt(0)
	v_mul_f32_e32 v1, s26, v0
.LBB9_171:
	v_max_f32_e32 v0, v40, v40
	v_max_f32_e32 v1, v1, v1
	v_min_f32_e32 v4, v1, v0
	v_lshl_add_u64 v[0:1], v[2:3], 2, v[12:13]
	flat_store_dword v[0:1], v4
	s_endpgm
	.section	.rodata,"a",@progbits
	.p2align	6, 0x0
	.amdhsa_kernel _ZN12_GLOBAL__N_120geam_min_plus_kernelIf15HIP_vector_typeIfLj2EEfLi32ELi8ELi128ELi128ELi4ELi4ELi64ELi4ELi64ELc84ELc78ELb0ELb0ELb1EPKfKS4_KPfEEviiiT16_PT17_ilSA_ilS8_SA_ilPT18_ili26rocblas_geam_ex_operation_
		.amdhsa_group_segment_fixed_size 8192
		.amdhsa_private_segment_fixed_size 0
		.amdhsa_kernarg_size 136
		.amdhsa_user_sgpr_count 2
		.amdhsa_user_sgpr_dispatch_ptr 0
		.amdhsa_user_sgpr_queue_ptr 0
		.amdhsa_user_sgpr_kernarg_segment_ptr 1
		.amdhsa_user_sgpr_dispatch_id 0
		.amdhsa_user_sgpr_kernarg_preload_length 0
		.amdhsa_user_sgpr_kernarg_preload_offset 0
		.amdhsa_user_sgpr_private_segment_size 0
		.amdhsa_uses_dynamic_stack 0
		.amdhsa_enable_private_segment 0
		.amdhsa_system_sgpr_workgroup_id_x 1
		.amdhsa_system_sgpr_workgroup_id_y 0
		.amdhsa_system_sgpr_workgroup_id_z 1
		.amdhsa_system_sgpr_workgroup_info 0
		.amdhsa_system_vgpr_workitem_id 1
		.amdhsa_next_free_vgpr 138
		.amdhsa_next_free_sgpr 28
		.amdhsa_accum_offset 140
		.amdhsa_reserve_vcc 1
		.amdhsa_float_round_mode_32 0
		.amdhsa_float_round_mode_16_64 0
		.amdhsa_float_denorm_mode_32 3
		.amdhsa_float_denorm_mode_16_64 3
		.amdhsa_dx10_clamp 1
		.amdhsa_ieee_mode 1
		.amdhsa_fp16_overflow 0
		.amdhsa_tg_split 0
		.amdhsa_exception_fp_ieee_invalid_op 0
		.amdhsa_exception_fp_denorm_src 0
		.amdhsa_exception_fp_ieee_div_zero 0
		.amdhsa_exception_fp_ieee_overflow 0
		.amdhsa_exception_fp_ieee_underflow 0
		.amdhsa_exception_fp_ieee_inexact 0
		.amdhsa_exception_int_div_zero 0
	.end_amdhsa_kernel
	.section	.text._ZN12_GLOBAL__N_120geam_min_plus_kernelIf15HIP_vector_typeIfLj2EEfLi32ELi8ELi128ELi128ELi4ELi4ELi64ELi4ELi64ELc84ELc78ELb0ELb0ELb1EPKfKS4_KPfEEviiiT16_PT17_ilSA_ilS8_SA_ilPT18_ili26rocblas_geam_ex_operation_,"axG",@progbits,_ZN12_GLOBAL__N_120geam_min_plus_kernelIf15HIP_vector_typeIfLj2EEfLi32ELi8ELi128ELi128ELi4ELi4ELi64ELi4ELi64ELc84ELc78ELb0ELb0ELb1EPKfKS4_KPfEEviiiT16_PT17_ilSA_ilS8_SA_ilPT18_ili26rocblas_geam_ex_operation_,comdat
.Lfunc_end9:
	.size	_ZN12_GLOBAL__N_120geam_min_plus_kernelIf15HIP_vector_typeIfLj2EEfLi32ELi8ELi128ELi128ELi4ELi4ELi64ELi4ELi64ELc84ELc78ELb0ELb0ELb1EPKfKS4_KPfEEviiiT16_PT17_ilSA_ilS8_SA_ilPT18_ili26rocblas_geam_ex_operation_, .Lfunc_end9-_ZN12_GLOBAL__N_120geam_min_plus_kernelIf15HIP_vector_typeIfLj2EEfLi32ELi8ELi128ELi128ELi4ELi4ELi64ELi4ELi64ELc84ELc78ELb0ELb0ELb1EPKfKS4_KPfEEviiiT16_PT17_ilSA_ilS8_SA_ilPT18_ili26rocblas_geam_ex_operation_
                                        ; -- End function
	.set _ZN12_GLOBAL__N_120geam_min_plus_kernelIf15HIP_vector_typeIfLj2EEfLi32ELi8ELi128ELi128ELi4ELi4ELi64ELi4ELi64ELc84ELc78ELb0ELb0ELb1EPKfKS4_KPfEEviiiT16_PT17_ilSA_ilS8_SA_ilPT18_ili26rocblas_geam_ex_operation_.num_vgpr, 138
	.set _ZN12_GLOBAL__N_120geam_min_plus_kernelIf15HIP_vector_typeIfLj2EEfLi32ELi8ELi128ELi128ELi4ELi4ELi64ELi4ELi64ELc84ELc78ELb0ELb0ELb1EPKfKS4_KPfEEviiiT16_PT17_ilSA_ilS8_SA_ilPT18_ili26rocblas_geam_ex_operation_.num_agpr, 0
	.set _ZN12_GLOBAL__N_120geam_min_plus_kernelIf15HIP_vector_typeIfLj2EEfLi32ELi8ELi128ELi128ELi4ELi4ELi64ELi4ELi64ELc84ELc78ELb0ELb0ELb1EPKfKS4_KPfEEviiiT16_PT17_ilSA_ilS8_SA_ilPT18_ili26rocblas_geam_ex_operation_.numbered_sgpr, 28
	.set _ZN12_GLOBAL__N_120geam_min_plus_kernelIf15HIP_vector_typeIfLj2EEfLi32ELi8ELi128ELi128ELi4ELi4ELi64ELi4ELi64ELc84ELc78ELb0ELb0ELb1EPKfKS4_KPfEEviiiT16_PT17_ilSA_ilS8_SA_ilPT18_ili26rocblas_geam_ex_operation_.num_named_barrier, 0
	.set _ZN12_GLOBAL__N_120geam_min_plus_kernelIf15HIP_vector_typeIfLj2EEfLi32ELi8ELi128ELi128ELi4ELi4ELi64ELi4ELi64ELc84ELc78ELb0ELb0ELb1EPKfKS4_KPfEEviiiT16_PT17_ilSA_ilS8_SA_ilPT18_ili26rocblas_geam_ex_operation_.private_seg_size, 0
	.set _ZN12_GLOBAL__N_120geam_min_plus_kernelIf15HIP_vector_typeIfLj2EEfLi32ELi8ELi128ELi128ELi4ELi4ELi64ELi4ELi64ELc84ELc78ELb0ELb0ELb1EPKfKS4_KPfEEviiiT16_PT17_ilSA_ilS8_SA_ilPT18_ili26rocblas_geam_ex_operation_.uses_vcc, 1
	.set _ZN12_GLOBAL__N_120geam_min_plus_kernelIf15HIP_vector_typeIfLj2EEfLi32ELi8ELi128ELi128ELi4ELi4ELi64ELi4ELi64ELc84ELc78ELb0ELb0ELb1EPKfKS4_KPfEEviiiT16_PT17_ilSA_ilS8_SA_ilPT18_ili26rocblas_geam_ex_operation_.uses_flat_scratch, 0
	.set _ZN12_GLOBAL__N_120geam_min_plus_kernelIf15HIP_vector_typeIfLj2EEfLi32ELi8ELi128ELi128ELi4ELi4ELi64ELi4ELi64ELc84ELc78ELb0ELb0ELb1EPKfKS4_KPfEEviiiT16_PT17_ilSA_ilS8_SA_ilPT18_ili26rocblas_geam_ex_operation_.has_dyn_sized_stack, 0
	.set _ZN12_GLOBAL__N_120geam_min_plus_kernelIf15HIP_vector_typeIfLj2EEfLi32ELi8ELi128ELi128ELi4ELi4ELi64ELi4ELi64ELc84ELc78ELb0ELb0ELb1EPKfKS4_KPfEEviiiT16_PT17_ilSA_ilS8_SA_ilPT18_ili26rocblas_geam_ex_operation_.has_recursion, 0
	.set _ZN12_GLOBAL__N_120geam_min_plus_kernelIf15HIP_vector_typeIfLj2EEfLi32ELi8ELi128ELi128ELi4ELi4ELi64ELi4ELi64ELc84ELc78ELb0ELb0ELb1EPKfKS4_KPfEEviiiT16_PT17_ilSA_ilS8_SA_ilPT18_ili26rocblas_geam_ex_operation_.has_indirect_call, 0
	.section	.AMDGPU.csdata,"",@progbits
; Kernel info:
; codeLenInByte = 13016
; TotalNumSgprs: 34
; NumVgprs: 138
; NumAgprs: 0
; TotalNumVgprs: 138
; ScratchSize: 0
; MemoryBound: 0
; FloatMode: 240
; IeeeMode: 1
; LDSByteSize: 8192 bytes/workgroup (compile time only)
; SGPRBlocks: 4
; VGPRBlocks: 17
; NumSGPRsForWavesPerEU: 34
; NumVGPRsForWavesPerEU: 138
; AccumOffset: 140
; Occupancy: 3
; WaveLimiterHint : 1
; COMPUTE_PGM_RSRC2:SCRATCH_EN: 0
; COMPUTE_PGM_RSRC2:USER_SGPR: 2
; COMPUTE_PGM_RSRC2:TRAP_HANDLER: 0
; COMPUTE_PGM_RSRC2:TGID_X_EN: 1
; COMPUTE_PGM_RSRC2:TGID_Y_EN: 0
; COMPUTE_PGM_RSRC2:TGID_Z_EN: 1
; COMPUTE_PGM_RSRC2:TIDIG_COMP_CNT: 1
; COMPUTE_PGM_RSRC3_GFX90A:ACCUM_OFFSET: 34
; COMPUTE_PGM_RSRC3_GFX90A:TG_SPLIT: 0
	.section	.text._ZN12_GLOBAL__N_120geam_min_plus_kernelIf15HIP_vector_typeIfLj2EEfLi32ELi8ELi128ELi128ELi4ELi4ELi64ELi4ELi64ELc84ELc78ELb1ELb0ELb1EfKPKfKPfEEviiiT16_PT17_ilSA_ilS8_SA_ilPT18_ili26rocblas_geam_ex_operation_,"axG",@progbits,_ZN12_GLOBAL__N_120geam_min_plus_kernelIf15HIP_vector_typeIfLj2EEfLi32ELi8ELi128ELi128ELi4ELi4ELi64ELi4ELi64ELc84ELc78ELb1ELb0ELb1EfKPKfKPfEEviiiT16_PT17_ilSA_ilS8_SA_ilPT18_ili26rocblas_geam_ex_operation_,comdat
	.globl	_ZN12_GLOBAL__N_120geam_min_plus_kernelIf15HIP_vector_typeIfLj2EEfLi32ELi8ELi128ELi128ELi4ELi4ELi64ELi4ELi64ELc84ELc78ELb1ELb0ELb1EfKPKfKPfEEviiiT16_PT17_ilSA_ilS8_SA_ilPT18_ili26rocblas_geam_ex_operation_ ; -- Begin function _ZN12_GLOBAL__N_120geam_min_plus_kernelIf15HIP_vector_typeIfLj2EEfLi32ELi8ELi128ELi128ELi4ELi4ELi64ELi4ELi64ELc84ELc78ELb1ELb0ELb1EfKPKfKPfEEviiiT16_PT17_ilSA_ilS8_SA_ilPT18_ili26rocblas_geam_ex_operation_
	.p2align	8
	.type	_ZN12_GLOBAL__N_120geam_min_plus_kernelIf15HIP_vector_typeIfLj2EEfLi32ELi8ELi128ELi128ELi4ELi4ELi64ELi4ELi64ELc84ELc78ELb1ELb0ELb1EfKPKfKPfEEviiiT16_PT17_ilSA_ilS8_SA_ilPT18_ili26rocblas_geam_ex_operation_,@function
_ZN12_GLOBAL__N_120geam_min_plus_kernelIf15HIP_vector_typeIfLj2EEfLi32ELi8ELi128ELi128ELi4ELi4ELi64ELi4ELi64ELc84ELc78ELb1ELb0ELb1EfKPKfKPfEEviiiT16_PT17_ilSA_ilS8_SA_ilPT18_ili26rocblas_geam_ex_operation_: ; @_ZN12_GLOBAL__N_120geam_min_plus_kernelIf15HIP_vector_typeIfLj2EEfLi32ELi8ELi128ELi128ELi4ELi4ELi64ELi4ELi64ELc84ELc78ELb1ELb0ELb1EfKPKfKPfEEviiiT16_PT17_ilSA_ilS8_SA_ilPT18_ili26rocblas_geam_ex_operation_
; %bb.0:
	s_load_dwordx2 s[18:19], s[0:1], 0x8
	s_load_dwordx4 s[4:7], s[0:1], 0x20
	s_mov_b32 s8, s3
	s_mov_b32 s9, 0
	s_waitcnt lgkmcnt(0)
	v_cmp_eq_f32_e64 s[10:11], s19, 0
	s_and_b64 vcc, exec, s[10:11]
	s_cbranch_vccnz .LBB10_3
; %bb.1:
	s_load_dwordx2 s[12:13], s[0:1], 0x10
	s_lshl_b64 s[14:15], s[8:9], 3
	s_waitcnt lgkmcnt(0)
	s_add_u32 s12, s12, s14
	s_addc_u32 s13, s13, s15
	s_load_dwordx2 s[12:13], s[12:13], 0x0
	s_lshl_b64 s[4:5], s[4:5], 2
	s_waitcnt lgkmcnt(0)
	s_add_u32 s14, s12, s4
	s_addc_u32 s15, s13, s5
	s_andn2_b64 vcc, exec, s[10:11]
	s_cbranch_vccnz .LBB10_4
.LBB10_2:
	s_mov_b32 s21, 0
	s_mov_b32 s20, s8
	s_mov_b64 s[12:13], 0
	s_mov_b64 s[16:17], 0
	s_cbranch_execz .LBB10_5
	s_branch .LBB10_6
.LBB10_3:
	s_mov_b64 s[14:15], 0
	s_andn2_b64 vcc, exec, s[10:11]
	s_cbranch_vccz .LBB10_2
.LBB10_4:
	s_mov_b64 s[20:21], s[8:9]
	s_mov_b64 s[12:13], 0
	;; [unrolled: 1-line block ×3, first 2 shown]
.LBB10_5:
	s_lshl_b64 s[8:9], s[8:9], 3
	s_add_u32 s6, s6, s8
	s_load_dwordx2 s[4:5], s[0:1], 0x38
	s_addc_u32 s7, s7, s9
	s_load_dwordx2 s[6:7], s[6:7], 0x0
	s_waitcnt lgkmcnt(0)
	s_lshl_b64 s[4:5], s[4:5], 2
	s_add_u32 s16, s6, s4
	s_addc_u32 s17, s7, s5
.LBB10_6:
	s_load_dword s19, s[0:1], 0x40
	s_load_dwordx4 s[8:11], s[0:1], 0x58
	s_mov_b32 s22, 0
	s_waitcnt lgkmcnt(0)
	v_cmp_eq_f32_e64 s[4:5], s19, 0
	s_and_b64 s[4:5], exec, s[4:5]
	s_mov_b64 vcc, s[4:5]
	s_cbranch_vccnz .LBB10_8
; %bb.7:
	s_load_dwordx2 s[6:7], s[0:1], 0x48
	s_lshl_b64 s[12:13], s[20:21], 3
	s_waitcnt lgkmcnt(0)
	s_add_u32 s6, s6, s12
	s_addc_u32 s7, s7, s13
	s_load_dwordx2 s[6:7], s[6:7], 0x0
	s_lshl_b64 s[8:9], s[8:9], 2
	s_waitcnt lgkmcnt(0)
	s_add_u32 s12, s6, s8
	s_addc_u32 s13, s7, s9
.LBB10_8:
	s_load_dword s3, s[0:1], 0x0
	s_load_dword s23, s[0:1], 0x18
	;; [unrolled: 1-line block ×3, first 2 shown]
	s_lshl_b64 s[6:7], s[20:21], 3
	s_add_u32 s8, s10, s6
	s_addc_u32 s9, s11, s7
	s_waitcnt lgkmcnt(0)
	s_add_i32 s3, s3, -1
	s_ashr_i32 s6, s3, 31
	s_lshr_b32 s6, s6, 25
	s_add_i32 s3, s3, s6
	s_ashr_i32 s3, s3, 7
	s_add_i32 s6, s3, 1
	v_cvt_f32_u32_e32 v1, s6
	v_and_b32_e32 v99, 0x3ff, v0
	v_bfe_u32 v100, v0, 10, 10
	v_and_b32_e32 v104, 3, v0
	v_rcp_iflag_f32_e32 v1, v1
	s_not_b32 s3, s3
	v_mov_b32_e32 v103, 0x7f7fffff
	v_mov_b32_e32 v102, 0x7f7fffff
	v_mul_f32_e32 v0, 0x4f7ffffe, v1
	v_cvt_u32_f32_e32 v0, v0
	v_lshl_add_u32 v1, v100, 5, v99
	v_lshrrev_b32_e32 v10, 2, v1
	v_mov_b32_e32 v1, 0
	v_readfirstlane_b32 s7, v0
	s_mul_i32 s3, s3, s7
	s_mul_hi_u32 s3, s7, s3
	s_add_i32 s7, s7, s3
	s_mul_hi_u32 s3, s2, s7
	s_mul_i32 s7, s3, s6
	s_sub_i32 s7, s2, s7
	s_add_i32 s10, s3, 1
	s_sub_i32 s11, s7, s6
	s_cmp_ge_u32 s7, s6
	s_cselect_b32 s3, s10, s3
	s_cselect_b32 s7, s11, s7
	s_add_i32 s10, s3, 1
	s_cmp_ge_u32 s7, s6
	s_cselect_b32 s3, s10, s3
	s_mul_i32 s6, s3, s6
	s_sub_i32 s2, s2, s6
	s_lshl_b32 s10, s2, 7
	s_lshl_b32 s11, s3, 7
	v_add_u32_e32 v6, s10, v10
	v_lshlrev_b32_e32 v0, 2, v104
	v_mad_i64_i32 v[20:21], s[2:3], v6, s23, 0
	v_add_u32_e32 v6, 64, v6
	v_add_u32_e32 v11, s11, v10
	v_lshl_add_u64 v[2:3], s[14:15], 0, v[0:1]
	v_mad_i64_i32 v[22:23], s[2:3], v6, s23, 0
	v_lshl_add_u64 v[6:7], s[16:17], 0, v[0:1]
	v_mad_i64_i32 v[24:25], s[2:3], v11, s24, 0
	v_add_u32_e32 v1, 64, v11
	v_lshl_add_u64 v[8:9], v[24:25], 2, v[6:7]
	v_mad_i64_i32 v[26:27], s[2:3], v1, s24, 0
	v_lshl_add_u64 v[6:7], v[26:27], 2, v[6:7]
	flat_load_dword v1, v[8:9]
	flat_load_dword v11, v[6:7]
	v_lshl_add_u64 v[4:5], v[20:21], 2, v[2:3]
	v_lshl_add_u64 v[2:3], v[22:23], 2, v[2:3]
	flat_load_dword v16, v[4:5]
	flat_load_dword v17, v[2:3]
	flat_load_dword v12, v[6:7] offset:16
	flat_load_dword v13, v[8:9] offset:16
	;; [unrolled: 1-line block ×4, first 2 shown]
	s_load_dwordx2 s[2:3], s[8:9], 0x0
	v_mov_b32_e32 v2, 0x1000
	v_lshl_or_b32 v107, v10, 4, v0
	s_mov_b64 s[6:7], -1
	v_mov_b32_e32 v101, 0x7f7fffff
	v_mov_b32_e32 v98, 0x7f7fffff
	;; [unrolled: 1-line block ×42, first 2 shown]
	v_lshl_add_u32 v105, v100, 4, v2
	v_lshlrev_b32_e32 v106, 4, v99
	v_add_u32_e32 v108, 0x1000, v107
	v_mov_b32_e32 v57, 0x7f7fffff
	v_mov_b32_e32 v56, 0x7f7fffff
	;; [unrolled: 1-line block ×20, first 2 shown]
	s_waitcnt vmcnt(0) lgkmcnt(0)
	ds_write2st64_b32 v107, v1, v11 offset0:16 offset1:20
	ds_write2st64_b32 v107, v16, v17 offset1:4
	s_waitcnt lgkmcnt(0)
	s_barrier
.LBB10_9:                               ; =>This Inner Loop Header: Depth=1
	v_cndmask_b32_e64 v0, 0, 1, s[6:7]
	s_lshl_b32 s6, s22, 2
	v_cmp_ne_u32_e32 vcc, 1, v0
	v_add_u32_e32 v0, s6, v106
	ds_read2st64_b64 v[4:7], v0 offset1:1
	ds_read2st64_b64 v[0:3], v0 offset0:2 offset1:3
	v_add_u32_e32 v8, s6, v105
	ds_read2_b64 v[16:19], v8 offset1:16
	ds_read2_b64 v[28:31], v8 offset0:32 offset1:48
	ds_read2_b64 v[32:35], v8 offset0:64 offset1:80
	;; [unrolled: 1-line block ×7, first 2 shown]
	s_mov_b64 s[6:7], 0
	s_waitcnt lgkmcnt(7)
	v_pk_add_f32 v[36:37], v[4:5], v[16:17]
	s_and_b64 vcc, exec, vcc
	v_min3_f32 v103, v36, v37, v103
	v_pk_add_f32 v[36:37], v[6:7], v[16:17]
	s_mov_b32 s22, 2
	v_min3_f32 v102, v36, v37, v102
	v_pk_add_f32 v[36:37], v[0:1], v[16:17]
	v_pk_add_f32 v[16:17], v[2:3], v[16:17]
	v_min3_f32 v101, v36, v37, v101
	v_min3_f32 v98, v16, v17, v98
	v_pk_add_f32 v[16:17], v[4:5], v[18:19]
	s_nop 0
	v_min3_f32 v97, v16, v17, v97
	v_pk_add_f32 v[16:17], v[6:7], v[18:19]
	s_nop 0
	v_min3_f32 v96, v16, v17, v96
	v_pk_add_f32 v[16:17], v[0:1], v[18:19]
	s_nop 0
	v_min3_f32 v95, v16, v17, v95
	v_pk_add_f32 v[16:17], v[2:3], v[18:19]
	s_nop 0
	v_min3_f32 v94, v16, v17, v94
	s_waitcnt lgkmcnt(6)
	v_pk_add_f32 v[16:17], v[4:5], v[28:29]
	s_nop 0
	v_min3_f32 v93, v16, v17, v93
	v_pk_add_f32 v[16:17], v[6:7], v[28:29]
	s_nop 0
	v_min3_f32 v92, v16, v17, v92
	v_pk_add_f32 v[16:17], v[0:1], v[28:29]
	s_nop 0
	v_min3_f32 v91, v16, v17, v91
	v_pk_add_f32 v[16:17], v[2:3], v[28:29]
	s_nop 0
	v_min3_f32 v90, v16, v17, v90
	v_pk_add_f32 v[16:17], v[4:5], v[30:31]
	s_nop 0
	v_min3_f32 v89, v16, v17, v89
	v_pk_add_f32 v[16:17], v[6:7], v[30:31]
	s_nop 0
	v_min3_f32 v88, v16, v17, v88
	v_pk_add_f32 v[16:17], v[0:1], v[30:31]
	s_nop 0
	v_min3_f32 v87, v16, v17, v87
	v_pk_add_f32 v[16:17], v[2:3], v[30:31]
	s_nop 0
	v_min3_f32 v86, v16, v17, v86
	s_waitcnt lgkmcnt(5)
	v_pk_add_f32 v[16:17], v[4:5], v[32:33]
	s_nop 0
	v_min3_f32 v85, v16, v17, v85
	v_pk_add_f32 v[16:17], v[6:7], v[32:33]
	s_nop 0
	v_min3_f32 v84, v16, v17, v84
	v_pk_add_f32 v[16:17], v[0:1], v[32:33]
	s_nop 0
	v_min3_f32 v83, v16, v17, v83
	v_pk_add_f32 v[16:17], v[2:3], v[32:33]
	s_nop 0
	;; [unrolled: 25-line block ×6, first 2 shown]
	v_min3_f32 v50, v16, v17, v50
	v_pk_add_f32 v[16:17], v[4:5], v[124:125]
	s_nop 0
	v_min3_f32 v49, v16, v17, v49
	v_pk_add_f32 v[16:17], v[6:7], v[124:125]
	s_nop 0
	;; [unrolled: 3-line block ×4, first 2 shown]
	v_min3_f32 v46, v16, v17, v46
	s_waitcnt lgkmcnt(0)
	v_pk_add_f32 v[16:17], v[4:5], v[8:9]
	v_pk_add_f32 v[4:5], v[4:5], v[10:11]
	v_min3_f32 v45, v16, v17, v45
	v_pk_add_f32 v[16:17], v[6:7], v[8:9]
	v_min3_f32 v41, v4, v5, v41
	v_min3_f32 v44, v16, v17, v44
	v_pk_add_f32 v[16:17], v[0:1], v[8:9]
	v_pk_add_f32 v[0:1], v[0:1], v[10:11]
	;; [unrolled: 1-line block ×4, first 2 shown]
	v_min3_f32 v39, v0, v1, v39
	v_pk_add_f32 v[0:1], v[2:3], v[10:11]
	v_min3_f32 v43, v16, v17, v43
	v_min3_f32 v42, v8, v9, v42
	;; [unrolled: 1-line block ×4, first 2 shown]
	s_cbranch_vccz .LBB10_9
; %bb.10:
	s_cmp_lt_i32 s18, 9
	ds_write2st64_b32 v107, v15, v14 offset0:8 offset1:12
	ds_write2st64_b32 v107, v13, v12 offset0:24 offset1:28
	s_waitcnt lgkmcnt(0)
	s_barrier
	s_cbranch_scc1 .LBB10_17
; %bb.11:
	v_mov_b32_e32 v0, 0x800
	v_lshl_add_u32 v111, v99, 4, v0
	v_mov_b32_e32 v0, 0x1800
	v_add_u32_e32 v109, 0x800, v107
	v_add_u32_e32 v110, 0x1800, v107
	s_add_i32 s8, s18, -8
	v_lshl_add_u32 v112, v100, 4, v0
	s_mov_b32 s9, 8
	s_mov_b32 s18, 0
	v_mov_b32_e32 v29, 0
.LBB10_12:                              ; =>This Loop Header: Depth=1
                                        ;     Child Loop BB10_13 Depth 2
                                        ;     Child Loop BB10_15 Depth 2
	v_or_b32_e32 v28, s9, v104
	v_lshlrev_b64 v[0:1], 2, v[28:29]
	v_lshl_add_u64 v[2:3], s[14:15], 0, v[0:1]
	v_lshl_add_u64 v[0:1], s[16:17], 0, v[0:1]
	;; [unrolled: 1-line block ×5, first 2 shown]
	flat_load_dword v28, v[30:31]
	flat_load_dword v113, v[32:33]
	v_lshl_add_u64 v[36:37], v[26:27], 2, v[0:1]
	flat_load_dword v114, v[34:35]
	flat_load_dword v115, v[36:37]
	s_mov_b64 s[6:7], -1
	s_mov_b32 s20, 0
.LBB10_13:                              ;   Parent Loop BB10_12 Depth=1
                                        ; =>  This Inner Loop Header: Depth=2
	v_cndmask_b32_e64 v0, 0, 1, s[6:7]
	s_lshl_b32 s6, s20, 2
	v_cmp_ne_u32_e32 vcc, 1, v0
	v_add_u32_e32 v0, s6, v111
	ds_read2st64_b64 v[4:7], v0 offset1:1
	ds_read2st64_b64 v[0:3], v0 offset0:2 offset1:3
	v_add_u32_e32 v8, s6, v112
	ds_read2_b64 v[116:119], v8 offset1:16
	ds_read2_b64 v[120:123], v8 offset0:32 offset1:48
	ds_read2_b64 v[124:127], v8 offset0:64 offset1:80
	;; [unrolled: 1-line block ×7, first 2 shown]
	s_mov_b64 s[6:7], 0
	s_waitcnt lgkmcnt(0)
	v_pk_add_f32 v[136:137], v[4:5], v[116:117]
	s_and_b64 vcc, exec, vcc
	v_min3_f32 v103, v136, v137, v103
	v_pk_add_f32 v[136:137], v[6:7], v[116:117]
	s_mov_b32 s20, 2
	v_min3_f32 v102, v136, v137, v102
	v_pk_add_f32 v[136:137], v[0:1], v[116:117]
	v_pk_add_f32 v[116:117], v[2:3], v[116:117]
	v_min3_f32 v101, v136, v137, v101
	v_min3_f32 v98, v116, v117, v98
	v_pk_add_f32 v[116:117], v[4:5], v[118:119]
	s_nop 0
	v_min3_f32 v97, v116, v117, v97
	v_pk_add_f32 v[116:117], v[6:7], v[118:119]
	s_nop 0
	;; [unrolled: 3-line block ×38, first 2 shown]
	v_min3_f32 v60, v116, v117, v60
	v_pk_add_f32 v[116:117], v[0:1], v[16:17]
	v_pk_add_f32 v[16:17], v[2:3], v[16:17]
	v_min3_f32 v59, v116, v117, v59
	v_min3_f32 v58, v16, v17, v58
	v_pk_add_f32 v[16:17], v[4:5], v[18:19]
	s_nop 0
	v_min3_f32 v57, v16, v17, v57
	v_pk_add_f32 v[16:17], v[6:7], v[18:19]
	s_nop 0
	;; [unrolled: 3-line block ×6, first 2 shown]
	v_min3_f32 v52, v16, v17, v52
	v_pk_add_f32 v[16:17], v[0:1], v[12:13]
	v_pk_add_f32 v[12:13], v[2:3], v[12:13]
	v_min3_f32 v51, v16, v17, v51
	v_min3_f32 v50, v12, v13, v50
	v_pk_add_f32 v[12:13], v[4:5], v[14:15]
	s_nop 0
	v_min3_f32 v49, v12, v13, v49
	v_pk_add_f32 v[12:13], v[6:7], v[14:15]
	s_nop 0
	;; [unrolled: 3-line block ×4, first 2 shown]
	v_min3_f32 v46, v12, v13, v46
	v_pk_add_f32 v[12:13], v[4:5], v[8:9]
	v_pk_add_f32 v[4:5], v[4:5], v[10:11]
	v_min3_f32 v45, v12, v13, v45
	v_pk_add_f32 v[12:13], v[6:7], v[8:9]
	v_min3_f32 v41, v4, v5, v41
	v_min3_f32 v44, v12, v13, v44
	v_pk_add_f32 v[12:13], v[0:1], v[8:9]
	v_pk_add_f32 v[0:1], v[0:1], v[10:11]
	;; [unrolled: 1-line block ×4, first 2 shown]
	v_min3_f32 v39, v0, v1, v39
	v_pk_add_f32 v[0:1], v[2:3], v[10:11]
	v_min3_f32 v43, v12, v13, v43
	v_min3_f32 v42, v8, v9, v42
	;; [unrolled: 1-line block ×4, first 2 shown]
	s_cbranch_vccz .LBB10_13
; %bb.14:                               ;   in Loop: Header=BB10_12 Depth=1
	s_waitcnt vmcnt(0)
	ds_write2st64_b32 v107, v28, v113 offset1:4
	ds_write2st64_b32 v108, v114, v115 offset1:4
	s_waitcnt lgkmcnt(0)
	s_barrier
	flat_load_dword v12, v[30:31] offset:16
	flat_load_dword v13, v[32:33] offset:16
	;; [unrolled: 1-line block ×4, first 2 shown]
	s_mov_b32 s20, 0
	s_mov_b64 s[6:7], -1
.LBB10_15:                              ;   Parent Loop BB10_12 Depth=1
                                        ; =>  This Inner Loop Header: Depth=2
	v_cndmask_b32_e64 v0, 0, 1, s[6:7]
	s_lshl_b32 s6, s20, 2
	v_cmp_ne_u32_e32 vcc, 1, v0
	v_add_u32_e32 v0, s6, v106
	ds_read2st64_b64 v[4:7], v0 offset1:1
	ds_read2st64_b64 v[0:3], v0 offset0:2 offset1:3
	v_add_u32_e32 v8, s6, v105
	ds_read2_b64 v[16:19], v8 offset1:16
	ds_read2_b64 v[30:33], v8 offset0:32 offset1:48
	ds_read2_b64 v[34:37], v8 offset0:64 offset1:80
	ds_read2_b64 v[114:117], v8 offset0:96 offset1:112
	ds_read2_b64 v[118:121], v8 offset0:128 offset1:144
	ds_read2_b64 v[122:125], v8 offset0:160 offset1:176
	ds_read2_b64 v[126:129], v8 offset0:192 offset1:208
	ds_read2_b64 v[8:11], v8 offset0:224 offset1:240
	s_mov_b64 s[6:7], 0
	s_waitcnt lgkmcnt(0)
	v_pk_add_f32 v[130:131], v[4:5], v[16:17]
	s_and_b64 vcc, exec, vcc
	v_min3_f32 v103, v130, v131, v103
	v_pk_add_f32 v[130:131], v[6:7], v[16:17]
	s_mov_b32 s20, 2
	v_min3_f32 v102, v130, v131, v102
	v_pk_add_f32 v[130:131], v[0:1], v[16:17]
	v_pk_add_f32 v[16:17], v[2:3], v[16:17]
	v_min3_f32 v101, v130, v131, v101
	v_min3_f32 v98, v16, v17, v98
	v_pk_add_f32 v[16:17], v[4:5], v[18:19]
	s_nop 0
	v_min3_f32 v97, v16, v17, v97
	v_pk_add_f32 v[16:17], v[6:7], v[18:19]
	s_nop 0
	;; [unrolled: 3-line block ×52, first 2 shown]
	v_min3_f32 v46, v16, v17, v46
	v_pk_add_f32 v[16:17], v[4:5], v[8:9]
	v_pk_add_f32 v[4:5], v[4:5], v[10:11]
	v_min3_f32 v45, v16, v17, v45
	v_pk_add_f32 v[16:17], v[6:7], v[8:9]
	v_min3_f32 v41, v4, v5, v41
	v_min3_f32 v44, v16, v17, v44
	v_pk_add_f32 v[16:17], v[0:1], v[8:9]
	v_pk_add_f32 v[0:1], v[0:1], v[10:11]
	;; [unrolled: 1-line block ×4, first 2 shown]
	v_min3_f32 v39, v0, v1, v39
	v_pk_add_f32 v[0:1], v[2:3], v[10:11]
	v_min3_f32 v43, v16, v17, v43
	v_min3_f32 v42, v8, v9, v42
	;; [unrolled: 1-line block ×4, first 2 shown]
	s_cbranch_vccz .LBB10_15
; %bb.16:                               ;   in Loop: Header=BB10_12 Depth=1
	s_add_i32 s9, s9, 8
	s_add_i32 s18, s18, 8
	s_cmp_ge_i32 s18, s8
	s_waitcnt vmcnt(0)
	ds_write2st64_b32 v109, v12, v13 offset1:4
	ds_write2st64_b32 v110, v14, v15 offset1:4
	s_waitcnt lgkmcnt(0)
	s_barrier
	s_cbranch_scc0 .LBB10_12
.LBB10_17:
	v_mov_b32_e32 v0, 0x800
	v_lshl_add_u32 v12, v99, 4, v0
	v_mov_b32_e32 v0, 0x1800
	v_lshl_add_u32 v13, v100, 4, v0
	s_mov_b32 s8, 0
	s_mov_b64 s[6:7], -1
.LBB10_18:                              ; =>This Inner Loop Header: Depth=1
	v_cndmask_b32_e64 v0, 0, 1, s[6:7]
	s_lshl_b32 s6, s8, 2
	v_cmp_ne_u32_e32 vcc, 1, v0
	v_add_u32_e32 v0, s6, v12
	ds_read2st64_b64 v[4:7], v0 offset1:1
	ds_read2st64_b64 v[0:3], v0 offset0:2 offset1:3
	v_add_u32_e32 v8, s6, v13
	ds_read2_b64 v[14:17], v8 offset1:16
	ds_read2_b64 v[18:21], v8 offset0:32 offset1:48
	ds_read2_b64 v[22:25], v8 offset0:64 offset1:80
	;; [unrolled: 1-line block ×7, first 2 shown]
	s_mov_b64 s[6:7], 0
	s_waitcnt lgkmcnt(7)
	v_pk_add_f32 v[108:109], v[4:5], v[14:15]
	s_and_b64 vcc, exec, vcc
	v_min3_f32 v103, v108, v109, v103
	v_pk_add_f32 v[108:109], v[6:7], v[14:15]
	s_mov_b32 s8, 2
	v_min3_f32 v102, v108, v109, v102
	v_pk_add_f32 v[108:109], v[0:1], v[14:15]
	v_pk_add_f32 v[14:15], v[2:3], v[14:15]
	v_min3_f32 v101, v108, v109, v101
	v_min3_f32 v98, v14, v15, v98
	v_pk_add_f32 v[14:15], v[4:5], v[16:17]
	s_nop 0
	v_min3_f32 v97, v14, v15, v97
	v_pk_add_f32 v[14:15], v[6:7], v[16:17]
	s_nop 0
	v_min3_f32 v96, v14, v15, v96
	v_pk_add_f32 v[14:15], v[0:1], v[16:17]
	s_nop 0
	v_min3_f32 v95, v14, v15, v95
	v_pk_add_f32 v[14:15], v[2:3], v[16:17]
	s_nop 0
	v_min3_f32 v94, v14, v15, v94
	s_waitcnt lgkmcnt(6)
	v_pk_add_f32 v[14:15], v[4:5], v[18:19]
	s_nop 0
	v_min3_f32 v93, v14, v15, v93
	v_pk_add_f32 v[14:15], v[6:7], v[18:19]
	s_nop 0
	v_min3_f32 v92, v14, v15, v92
	v_pk_add_f32 v[14:15], v[0:1], v[18:19]
	s_nop 0
	v_min3_f32 v91, v14, v15, v91
	v_pk_add_f32 v[14:15], v[2:3], v[18:19]
	s_nop 0
	v_min3_f32 v90, v14, v15, v90
	v_pk_add_f32 v[14:15], v[4:5], v[20:21]
	s_nop 0
	v_min3_f32 v89, v14, v15, v89
	v_pk_add_f32 v[14:15], v[6:7], v[20:21]
	s_nop 0
	v_min3_f32 v88, v14, v15, v88
	v_pk_add_f32 v[14:15], v[0:1], v[20:21]
	s_nop 0
	v_min3_f32 v87, v14, v15, v87
	v_pk_add_f32 v[14:15], v[2:3], v[20:21]
	s_nop 0
	v_min3_f32 v86, v14, v15, v86
	s_waitcnt lgkmcnt(5)
	v_pk_add_f32 v[14:15], v[4:5], v[22:23]
	s_nop 0
	v_min3_f32 v85, v14, v15, v85
	v_pk_add_f32 v[14:15], v[6:7], v[22:23]
	s_nop 0
	v_min3_f32 v84, v14, v15, v84
	v_pk_add_f32 v[14:15], v[0:1], v[22:23]
	s_nop 0
	v_min3_f32 v83, v14, v15, v83
	v_pk_add_f32 v[14:15], v[2:3], v[22:23]
	s_nop 0
	;; [unrolled: 25-line block ×6, first 2 shown]
	v_min3_f32 v50, v14, v15, v50
	v_pk_add_f32 v[14:15], v[4:5], v[106:107]
	s_nop 0
	v_min3_f32 v49, v14, v15, v49
	v_pk_add_f32 v[14:15], v[6:7], v[106:107]
	s_nop 0
	;; [unrolled: 3-line block ×4, first 2 shown]
	v_min3_f32 v46, v14, v15, v46
	s_waitcnt lgkmcnt(0)
	v_pk_add_f32 v[14:15], v[4:5], v[8:9]
	v_pk_add_f32 v[4:5], v[4:5], v[10:11]
	v_min3_f32 v45, v14, v15, v45
	v_pk_add_f32 v[14:15], v[6:7], v[8:9]
	v_min3_f32 v41, v4, v5, v41
	v_min3_f32 v44, v14, v15, v44
	v_pk_add_f32 v[14:15], v[0:1], v[8:9]
	v_pk_add_f32 v[0:1], v[0:1], v[10:11]
	;; [unrolled: 1-line block ×4, first 2 shown]
	v_min3_f32 v39, v0, v1, v39
	v_pk_add_f32 v[0:1], v[2:3], v[10:11]
	v_min3_f32 v43, v14, v15, v43
	v_min3_f32 v42, v8, v9, v42
	;; [unrolled: 1-line block ×4, first 2 shown]
	s_cbranch_vccz .LBB10_18
; %bb.19:
	s_load_dwordx2 s[8:9], s[0:1], 0x70
	s_load_dword s6, s[0:1], 0x50
	s_load_dword s7, s[0:1], 0x68
	v_add_u32_e32 v16, s11, v100
	v_add_u32_e32 v4, s10, v99
	s_waitcnt lgkmcnt(0)
	s_lshl_b64 s[0:1], s[8:9], 2
	s_add_u32 s0, s2, s0
	s_addc_u32 s1, s3, s1
	v_mad_i64_i32 v[2:3], s[2:3], v16, s7, 0
	v_add_u32_e32 v0, 32, v4
	v_lshl_add_u64 v[12:13], v[2:3], 2, s[0:1]
	v_mad_i64_i32 v[2:3], s[2:3], v16, s6, 0
	v_ashrrev_i32_e32 v5, 31, v4
	v_ashrrev_i32_e32 v1, 31, v0
	s_mov_b64 s[2:3], -1
	v_max_f32_e32 v6, v103, v103
	s_mov_b64 vcc, s[4:5]
	s_cbranch_vccz .LBB10_21
; %bb.20:
	v_min_f32_e32 v7, 0, v6
	v_lshl_add_u64 v[8:9], v[4:5], 2, v[12:13]
	flat_store_dword v[8:9], v7
	s_mov_b64 s[2:3], 0
.LBB10_21:
	v_lshl_add_u64 v[14:15], v[2:3], 2, s[12:13]
	v_mov_b32_e32 v10, 0
	s_andn2_b64 vcc, exec, s[2:3]
	v_lshlrev_b64 v[8:9], 2, v[4:5]
	s_cbranch_vccnz .LBB10_23
; %bb.22:
	v_lshl_add_u64 v[2:3], v[14:15], 0, v[8:9]
	flat_load_dword v7, v[2:3]
	v_lshl_add_u64 v[2:3], v[12:13], 0, v[8:9]
	s_waitcnt vmcnt(0) lgkmcnt(0)
	v_mul_f32_e32 v7, s19, v7
	v_min_f32_e32 v6, v7, v6
	flat_store_dword v[2:3], v6
	v_lshl_add_u64 v[2:3], v[0:1], 2, v[14:15]
	flat_load_dword v2, v[2:3]
	s_waitcnt vmcnt(0) lgkmcnt(0)
	v_mul_f32_e32 v10, s19, v2
.LBB10_23:
	v_max_f32_e32 v11, v102, v102
	v_max_f32_e32 v10, v10, v10
	v_add_u32_e32 v6, 64, v4
	v_add_u32_e32 v2, 0x60, v4
	v_min_f32_e32 v17, v10, v11
	v_lshl_add_u64 v[10:11], v[0:1], 2, v[12:13]
	v_ashrrev_i32_e32 v7, 31, v6
	v_ashrrev_i32_e32 v3, 31, v2
	flat_store_dword v[10:11], v17
	s_mov_b64 s[2:3], -1
	v_max_f32_e32 v17, v101, v101
	s_mov_b64 vcc, s[4:5]
	s_cbranch_vccz .LBB10_25
; %bb.24:
	v_min_f32_e32 v18, 0, v17
	v_lshl_add_u64 v[10:11], v[6:7], 2, v[12:13]
	flat_store_dword v[10:11], v18
	s_mov_b64 s[2:3], 0
.LBB10_25:
	v_mov_b32_e32 v18, 0
	s_andn2_b64 vcc, exec, s[2:3]
	v_lshlrev_b64 v[10:11], 2, v[6:7]
	s_cbranch_vccnz .LBB10_27
; %bb.26:
	v_lshl_add_u64 v[18:19], v[14:15], 0, v[10:11]
	flat_load_dword v20, v[18:19]
	v_lshl_add_u64 v[18:19], v[12:13], 0, v[10:11]
	v_lshl_add_u64 v[14:15], v[2:3], 2, v[14:15]
	s_waitcnt vmcnt(0) lgkmcnt(0)
	v_mul_f32_e32 v20, s19, v20
	v_min_f32_e32 v17, v20, v17
	flat_store_dword v[18:19], v17
	flat_load_dword v14, v[14:15]
	s_waitcnt vmcnt(0) lgkmcnt(0)
	v_mul_f32_e32 v18, s19, v14
.LBB10_27:
	v_max_f32_e32 v14, v98, v98
	v_max_f32_e32 v15, v18, v18
	v_min_f32_e32 v14, v15, v14
	v_lshl_add_u64 v[12:13], v[2:3], 2, v[12:13]
	flat_store_dword v[12:13], v14
	v_add_u32_e32 v14, 8, v16
	v_mad_i64_i32 v[12:13], s[2:3], v14, s7, 0
	v_mad_i64_i32 v[14:15], s[2:3], v14, s6, 0
	v_lshl_add_u64 v[12:13], v[12:13], 2, s[0:1]
	s_mov_b64 s[2:3], -1
	v_max_f32_e32 v17, v97, v97
	s_mov_b64 vcc, s[4:5]
	s_cbranch_vccz .LBB10_29
; %bb.28:
	v_min_f32_e32 v20, 0, v17
	v_lshl_add_u64 v[18:19], v[4:5], 2, v[12:13]
	flat_store_dword v[18:19], v20
	s_mov_b64 s[2:3], 0
.LBB10_29:
	v_lshl_add_u64 v[14:15], v[14:15], 2, s[12:13]
	s_andn2_b64 vcc, exec, s[2:3]
	v_mov_b32_e32 v18, 0
	s_cbranch_vccnz .LBB10_31
; %bb.30:
	v_lshl_add_u64 v[18:19], v[14:15], 0, v[8:9]
	flat_load_dword v20, v[18:19]
	v_lshl_add_u64 v[18:19], v[12:13], 0, v[8:9]
	s_waitcnt vmcnt(0) lgkmcnt(0)
	v_mul_f32_e32 v20, s19, v20
	v_min_f32_e32 v17, v20, v17
	flat_store_dword v[18:19], v17
	v_lshl_add_u64 v[18:19], v[0:1], 2, v[14:15]
	flat_load_dword v17, v[18:19]
	s_waitcnt vmcnt(0) lgkmcnt(0)
	v_mul_f32_e32 v18, s19, v17
.LBB10_31:
	v_max_f32_e32 v17, v96, v96
	v_max_f32_e32 v18, v18, v18
	v_min_f32_e32 v17, v18, v17
	v_lshl_add_u64 v[18:19], v[0:1], 2, v[12:13]
	flat_store_dword v[18:19], v17
	s_mov_b64 s[2:3], -1
	v_max_f32_e32 v17, v95, v95
	s_mov_b64 vcc, s[4:5]
	s_cbranch_vccz .LBB10_33
; %bb.32:
	v_min_f32_e32 v20, 0, v17
	v_lshl_add_u64 v[18:19], v[6:7], 2, v[12:13]
	flat_store_dword v[18:19], v20
	s_mov_b64 s[2:3], 0
.LBB10_33:
	s_andn2_b64 vcc, exec, s[2:3]
	v_mov_b32_e32 v18, 0
	s_cbranch_vccnz .LBB10_35
; %bb.34:
	v_lshl_add_u64 v[18:19], v[14:15], 0, v[10:11]
	flat_load_dword v20, v[18:19]
	v_lshl_add_u64 v[18:19], v[12:13], 0, v[10:11]
	v_lshl_add_u64 v[14:15], v[2:3], 2, v[14:15]
	s_waitcnt vmcnt(0) lgkmcnt(0)
	v_mul_f32_e32 v20, s19, v20
	v_min_f32_e32 v17, v20, v17
	flat_store_dword v[18:19], v17
	flat_load_dword v14, v[14:15]
	s_waitcnt vmcnt(0) lgkmcnt(0)
	v_mul_f32_e32 v18, s19, v14
.LBB10_35:
	v_max_f32_e32 v14, v94, v94
	v_max_f32_e32 v15, v18, v18
	v_min_f32_e32 v14, v15, v14
	v_lshl_add_u64 v[12:13], v[2:3], 2, v[12:13]
	flat_store_dword v[12:13], v14
	v_add_u32_e32 v14, 16, v16
	v_mad_i64_i32 v[12:13], s[2:3], v14, s7, 0
	v_mad_i64_i32 v[14:15], s[2:3], v14, s6, 0
	v_lshl_add_u64 v[12:13], v[12:13], 2, s[0:1]
	s_mov_b64 s[2:3], -1
	v_max_f32_e32 v17, v93, v93
	s_mov_b64 vcc, s[4:5]
	s_cbranch_vccz .LBB10_37
; %bb.36:
	v_min_f32_e32 v20, 0, v17
	v_lshl_add_u64 v[18:19], v[4:5], 2, v[12:13]
	flat_store_dword v[18:19], v20
	s_mov_b64 s[2:3], 0
.LBB10_37:
	v_lshl_add_u64 v[14:15], v[14:15], 2, s[12:13]
	s_andn2_b64 vcc, exec, s[2:3]
	v_mov_b32_e32 v18, 0
	s_cbranch_vccnz .LBB10_39
; %bb.38:
	v_lshl_add_u64 v[18:19], v[14:15], 0, v[8:9]
	flat_load_dword v20, v[18:19]
	v_lshl_add_u64 v[18:19], v[12:13], 0, v[8:9]
	s_waitcnt vmcnt(0) lgkmcnt(0)
	v_mul_f32_e32 v20, s19, v20
	v_min_f32_e32 v17, v20, v17
	flat_store_dword v[18:19], v17
	v_lshl_add_u64 v[18:19], v[0:1], 2, v[14:15]
	flat_load_dword v17, v[18:19]
	s_waitcnt vmcnt(0) lgkmcnt(0)
	v_mul_f32_e32 v18, s19, v17
.LBB10_39:
	v_max_f32_e32 v17, v92, v92
	v_max_f32_e32 v18, v18, v18
	v_min_f32_e32 v17, v18, v17
	v_lshl_add_u64 v[18:19], v[0:1], 2, v[12:13]
	flat_store_dword v[18:19], v17
	s_mov_b64 s[2:3], -1
	v_max_f32_e32 v17, v91, v91
	s_mov_b64 vcc, s[4:5]
	s_cbranch_vccz .LBB10_41
; %bb.40:
	v_min_f32_e32 v20, 0, v17
	v_lshl_add_u64 v[18:19], v[6:7], 2, v[12:13]
	flat_store_dword v[18:19], v20
	s_mov_b64 s[2:3], 0
.LBB10_41:
	s_andn2_b64 vcc, exec, s[2:3]
	v_mov_b32_e32 v18, 0
	s_cbranch_vccnz .LBB10_43
; %bb.42:
	v_lshl_add_u64 v[18:19], v[14:15], 0, v[10:11]
	flat_load_dword v20, v[18:19]
	v_lshl_add_u64 v[18:19], v[12:13], 0, v[10:11]
	v_lshl_add_u64 v[14:15], v[2:3], 2, v[14:15]
	s_waitcnt vmcnt(0) lgkmcnt(0)
	v_mul_f32_e32 v20, s19, v20
	v_min_f32_e32 v17, v20, v17
	flat_store_dword v[18:19], v17
	flat_load_dword v14, v[14:15]
	s_waitcnt vmcnt(0) lgkmcnt(0)
	v_mul_f32_e32 v18, s19, v14
.LBB10_43:
	v_max_f32_e32 v14, v90, v90
	v_max_f32_e32 v15, v18, v18
	v_min_f32_e32 v14, v15, v14
	v_lshl_add_u64 v[12:13], v[2:3], 2, v[12:13]
	flat_store_dword v[12:13], v14
	v_add_u32_e32 v14, 24, v16
	v_mad_i64_i32 v[12:13], s[2:3], v14, s7, 0
	v_mad_i64_i32 v[14:15], s[2:3], v14, s6, 0
	v_lshl_add_u64 v[12:13], v[12:13], 2, s[0:1]
	s_mov_b64 s[2:3], -1
	v_max_f32_e32 v17, v89, v89
	s_mov_b64 vcc, s[4:5]
	s_cbranch_vccz .LBB10_45
; %bb.44:
	v_min_f32_e32 v20, 0, v17
	v_lshl_add_u64 v[18:19], v[4:5], 2, v[12:13]
	flat_store_dword v[18:19], v20
	s_mov_b64 s[2:3], 0
.LBB10_45:
	v_lshl_add_u64 v[14:15], v[14:15], 2, s[12:13]
	s_andn2_b64 vcc, exec, s[2:3]
	v_mov_b32_e32 v18, 0
	s_cbranch_vccnz .LBB10_47
; %bb.46:
	v_lshl_add_u64 v[18:19], v[14:15], 0, v[8:9]
	flat_load_dword v20, v[18:19]
	v_lshl_add_u64 v[18:19], v[12:13], 0, v[8:9]
	s_waitcnt vmcnt(0) lgkmcnt(0)
	v_mul_f32_e32 v20, s19, v20
	v_min_f32_e32 v17, v20, v17
	flat_store_dword v[18:19], v17
	v_lshl_add_u64 v[18:19], v[0:1], 2, v[14:15]
	flat_load_dword v17, v[18:19]
	s_waitcnt vmcnt(0) lgkmcnt(0)
	v_mul_f32_e32 v18, s19, v17
.LBB10_47:
	v_max_f32_e32 v17, v88, v88
	v_max_f32_e32 v18, v18, v18
	v_min_f32_e32 v17, v18, v17
	v_lshl_add_u64 v[18:19], v[0:1], 2, v[12:13]
	flat_store_dword v[18:19], v17
	s_mov_b64 s[2:3], -1
	v_max_f32_e32 v17, v87, v87
	s_mov_b64 vcc, s[4:5]
	s_cbranch_vccz .LBB10_49
; %bb.48:
	v_min_f32_e32 v20, 0, v17
	v_lshl_add_u64 v[18:19], v[6:7], 2, v[12:13]
	flat_store_dword v[18:19], v20
	s_mov_b64 s[2:3], 0
.LBB10_49:
	s_andn2_b64 vcc, exec, s[2:3]
	v_mov_b32_e32 v18, 0
	s_cbranch_vccnz .LBB10_51
; %bb.50:
	v_lshl_add_u64 v[18:19], v[14:15], 0, v[10:11]
	flat_load_dword v20, v[18:19]
	v_lshl_add_u64 v[18:19], v[12:13], 0, v[10:11]
	v_lshl_add_u64 v[14:15], v[2:3], 2, v[14:15]
	s_waitcnt vmcnt(0) lgkmcnt(0)
	v_mul_f32_e32 v20, s19, v20
	v_min_f32_e32 v17, v20, v17
	flat_store_dword v[18:19], v17
	flat_load_dword v14, v[14:15]
	s_waitcnt vmcnt(0) lgkmcnt(0)
	v_mul_f32_e32 v18, s19, v14
.LBB10_51:
	v_max_f32_e32 v14, v86, v86
	v_max_f32_e32 v15, v18, v18
	v_min_f32_e32 v14, v15, v14
	v_lshl_add_u64 v[12:13], v[2:3], 2, v[12:13]
	flat_store_dword v[12:13], v14
	v_add_u32_e32 v14, 32, v16
	v_mad_i64_i32 v[12:13], s[2:3], v14, s7, 0
	v_mad_i64_i32 v[14:15], s[2:3], v14, s6, 0
	v_lshl_add_u64 v[12:13], v[12:13], 2, s[0:1]
	s_mov_b64 s[2:3], -1
	v_max_f32_e32 v17, v85, v85
	s_mov_b64 vcc, s[4:5]
	s_cbranch_vccz .LBB10_53
; %bb.52:
	v_min_f32_e32 v20, 0, v17
	v_lshl_add_u64 v[18:19], v[4:5], 2, v[12:13]
	flat_store_dword v[18:19], v20
	s_mov_b64 s[2:3], 0
.LBB10_53:
	v_lshl_add_u64 v[14:15], v[14:15], 2, s[12:13]
	s_andn2_b64 vcc, exec, s[2:3]
	v_mov_b32_e32 v18, 0
	s_cbranch_vccnz .LBB10_55
; %bb.54:
	v_lshl_add_u64 v[18:19], v[14:15], 0, v[8:9]
	flat_load_dword v20, v[18:19]
	v_lshl_add_u64 v[18:19], v[12:13], 0, v[8:9]
	s_waitcnt vmcnt(0) lgkmcnt(0)
	v_mul_f32_e32 v20, s19, v20
	v_min_f32_e32 v17, v20, v17
	flat_store_dword v[18:19], v17
	v_lshl_add_u64 v[18:19], v[0:1], 2, v[14:15]
	flat_load_dword v17, v[18:19]
	s_waitcnt vmcnt(0) lgkmcnt(0)
	v_mul_f32_e32 v18, s19, v17
.LBB10_55:
	v_max_f32_e32 v17, v84, v84
	v_max_f32_e32 v18, v18, v18
	v_min_f32_e32 v17, v18, v17
	v_lshl_add_u64 v[18:19], v[0:1], 2, v[12:13]
	flat_store_dword v[18:19], v17
	s_mov_b64 s[2:3], -1
	v_max_f32_e32 v17, v83, v83
	s_mov_b64 vcc, s[4:5]
	s_cbranch_vccz .LBB10_57
; %bb.56:
	v_min_f32_e32 v20, 0, v17
	v_lshl_add_u64 v[18:19], v[6:7], 2, v[12:13]
	flat_store_dword v[18:19], v20
	s_mov_b64 s[2:3], 0
.LBB10_57:
	s_andn2_b64 vcc, exec, s[2:3]
	v_mov_b32_e32 v18, 0
	s_cbranch_vccnz .LBB10_59
; %bb.58:
	v_lshl_add_u64 v[18:19], v[14:15], 0, v[10:11]
	flat_load_dword v20, v[18:19]
	v_lshl_add_u64 v[18:19], v[12:13], 0, v[10:11]
	v_lshl_add_u64 v[14:15], v[2:3], 2, v[14:15]
	s_waitcnt vmcnt(0) lgkmcnt(0)
	v_mul_f32_e32 v20, s19, v20
	v_min_f32_e32 v17, v20, v17
	flat_store_dword v[18:19], v17
	flat_load_dword v14, v[14:15]
	s_waitcnt vmcnt(0) lgkmcnt(0)
	v_mul_f32_e32 v18, s19, v14
.LBB10_59:
	v_max_f32_e32 v14, v82, v82
	v_max_f32_e32 v15, v18, v18
	v_min_f32_e32 v14, v15, v14
	v_lshl_add_u64 v[12:13], v[2:3], 2, v[12:13]
	flat_store_dword v[12:13], v14
	v_add_u32_e32 v14, 40, v16
	v_mad_i64_i32 v[12:13], s[2:3], v14, s7, 0
	v_mad_i64_i32 v[14:15], s[2:3], v14, s6, 0
	v_lshl_add_u64 v[12:13], v[12:13], 2, s[0:1]
	s_mov_b64 s[2:3], -1
	v_max_f32_e32 v17, v81, v81
	s_mov_b64 vcc, s[4:5]
	s_cbranch_vccz .LBB10_61
; %bb.60:
	v_min_f32_e32 v20, 0, v17
	v_lshl_add_u64 v[18:19], v[4:5], 2, v[12:13]
	flat_store_dword v[18:19], v20
	s_mov_b64 s[2:3], 0
.LBB10_61:
	v_lshl_add_u64 v[14:15], v[14:15], 2, s[12:13]
	s_andn2_b64 vcc, exec, s[2:3]
	v_mov_b32_e32 v18, 0
	s_cbranch_vccnz .LBB10_63
; %bb.62:
	v_lshl_add_u64 v[18:19], v[14:15], 0, v[8:9]
	flat_load_dword v20, v[18:19]
	v_lshl_add_u64 v[18:19], v[12:13], 0, v[8:9]
	s_waitcnt vmcnt(0) lgkmcnt(0)
	v_mul_f32_e32 v20, s19, v20
	v_min_f32_e32 v17, v20, v17
	flat_store_dword v[18:19], v17
	v_lshl_add_u64 v[18:19], v[0:1], 2, v[14:15]
	flat_load_dword v17, v[18:19]
	s_waitcnt vmcnt(0) lgkmcnt(0)
	v_mul_f32_e32 v18, s19, v17
.LBB10_63:
	v_max_f32_e32 v17, v80, v80
	v_max_f32_e32 v18, v18, v18
	v_min_f32_e32 v17, v18, v17
	v_lshl_add_u64 v[18:19], v[0:1], 2, v[12:13]
	flat_store_dword v[18:19], v17
	s_mov_b64 s[2:3], -1
	v_max_f32_e32 v17, v79, v79
	s_mov_b64 vcc, s[4:5]
	s_cbranch_vccz .LBB10_65
; %bb.64:
	v_min_f32_e32 v20, 0, v17
	v_lshl_add_u64 v[18:19], v[6:7], 2, v[12:13]
	flat_store_dword v[18:19], v20
	s_mov_b64 s[2:3], 0
.LBB10_65:
	s_andn2_b64 vcc, exec, s[2:3]
	v_mov_b32_e32 v18, 0
	s_cbranch_vccnz .LBB10_67
; %bb.66:
	v_lshl_add_u64 v[18:19], v[14:15], 0, v[10:11]
	flat_load_dword v20, v[18:19]
	v_lshl_add_u64 v[18:19], v[12:13], 0, v[10:11]
	v_lshl_add_u64 v[14:15], v[2:3], 2, v[14:15]
	s_waitcnt vmcnt(0) lgkmcnt(0)
	v_mul_f32_e32 v20, s19, v20
	v_min_f32_e32 v17, v20, v17
	flat_store_dword v[18:19], v17
	flat_load_dword v14, v[14:15]
	s_waitcnt vmcnt(0) lgkmcnt(0)
	v_mul_f32_e32 v18, s19, v14
.LBB10_67:
	v_max_f32_e32 v14, v78, v78
	v_max_f32_e32 v15, v18, v18
	v_min_f32_e32 v14, v15, v14
	v_lshl_add_u64 v[12:13], v[2:3], 2, v[12:13]
	flat_store_dword v[12:13], v14
	v_add_u32_e32 v14, 48, v16
	v_mad_i64_i32 v[12:13], s[2:3], v14, s7, 0
	v_mad_i64_i32 v[14:15], s[2:3], v14, s6, 0
	v_lshl_add_u64 v[12:13], v[12:13], 2, s[0:1]
	s_mov_b64 s[2:3], -1
	v_max_f32_e32 v17, v77, v77
	s_mov_b64 vcc, s[4:5]
	s_cbranch_vccz .LBB10_69
; %bb.68:
	v_min_f32_e32 v20, 0, v17
	v_lshl_add_u64 v[18:19], v[4:5], 2, v[12:13]
	flat_store_dword v[18:19], v20
	s_mov_b64 s[2:3], 0
.LBB10_69:
	v_lshl_add_u64 v[14:15], v[14:15], 2, s[12:13]
	s_andn2_b64 vcc, exec, s[2:3]
	v_mov_b32_e32 v18, 0
	s_cbranch_vccnz .LBB10_71
; %bb.70:
	v_lshl_add_u64 v[18:19], v[14:15], 0, v[8:9]
	flat_load_dword v20, v[18:19]
	v_lshl_add_u64 v[18:19], v[12:13], 0, v[8:9]
	s_waitcnt vmcnt(0) lgkmcnt(0)
	v_mul_f32_e32 v20, s19, v20
	v_min_f32_e32 v17, v20, v17
	flat_store_dword v[18:19], v17
	v_lshl_add_u64 v[18:19], v[0:1], 2, v[14:15]
	flat_load_dword v17, v[18:19]
	s_waitcnt vmcnt(0) lgkmcnt(0)
	v_mul_f32_e32 v18, s19, v17
.LBB10_71:
	v_max_f32_e32 v17, v76, v76
	v_max_f32_e32 v18, v18, v18
	v_min_f32_e32 v17, v18, v17
	v_lshl_add_u64 v[18:19], v[0:1], 2, v[12:13]
	flat_store_dword v[18:19], v17
	s_mov_b64 s[2:3], -1
	v_max_f32_e32 v17, v75, v75
	s_mov_b64 vcc, s[4:5]
	s_cbranch_vccz .LBB10_73
; %bb.72:
	v_min_f32_e32 v20, 0, v17
	v_lshl_add_u64 v[18:19], v[6:7], 2, v[12:13]
	flat_store_dword v[18:19], v20
	s_mov_b64 s[2:3], 0
.LBB10_73:
	s_andn2_b64 vcc, exec, s[2:3]
	v_mov_b32_e32 v18, 0
	s_cbranch_vccnz .LBB10_75
; %bb.74:
	v_lshl_add_u64 v[18:19], v[14:15], 0, v[10:11]
	flat_load_dword v20, v[18:19]
	v_lshl_add_u64 v[18:19], v[12:13], 0, v[10:11]
	v_lshl_add_u64 v[14:15], v[2:3], 2, v[14:15]
	s_waitcnt vmcnt(0) lgkmcnt(0)
	v_mul_f32_e32 v20, s19, v20
	v_min_f32_e32 v17, v20, v17
	flat_store_dword v[18:19], v17
	flat_load_dword v14, v[14:15]
	s_waitcnt vmcnt(0) lgkmcnt(0)
	v_mul_f32_e32 v18, s19, v14
.LBB10_75:
	v_max_f32_e32 v14, v74, v74
	v_max_f32_e32 v15, v18, v18
	v_min_f32_e32 v14, v15, v14
	v_lshl_add_u64 v[12:13], v[2:3], 2, v[12:13]
	flat_store_dword v[12:13], v14
	v_add_u32_e32 v14, 56, v16
	v_mad_i64_i32 v[12:13], s[2:3], v14, s7, 0
	v_mad_i64_i32 v[14:15], s[2:3], v14, s6, 0
	v_lshl_add_u64 v[12:13], v[12:13], 2, s[0:1]
	s_mov_b64 s[2:3], -1
	v_max_f32_e32 v17, v73, v73
	s_mov_b64 vcc, s[4:5]
	s_cbranch_vccz .LBB10_77
; %bb.76:
	v_min_f32_e32 v20, 0, v17
	v_lshl_add_u64 v[18:19], v[4:5], 2, v[12:13]
	flat_store_dword v[18:19], v20
	s_mov_b64 s[2:3], 0
.LBB10_77:
	v_lshl_add_u64 v[14:15], v[14:15], 2, s[12:13]
	s_andn2_b64 vcc, exec, s[2:3]
	v_mov_b32_e32 v18, 0
	s_cbranch_vccnz .LBB10_79
; %bb.78:
	v_lshl_add_u64 v[18:19], v[14:15], 0, v[8:9]
	flat_load_dword v20, v[18:19]
	v_lshl_add_u64 v[18:19], v[12:13], 0, v[8:9]
	s_waitcnt vmcnt(0) lgkmcnt(0)
	v_mul_f32_e32 v20, s19, v20
	v_min_f32_e32 v17, v20, v17
	flat_store_dword v[18:19], v17
	v_lshl_add_u64 v[18:19], v[0:1], 2, v[14:15]
	flat_load_dword v17, v[18:19]
	s_waitcnt vmcnt(0) lgkmcnt(0)
	v_mul_f32_e32 v18, s19, v17
.LBB10_79:
	v_max_f32_e32 v17, v72, v72
	v_max_f32_e32 v18, v18, v18
	v_min_f32_e32 v17, v18, v17
	v_lshl_add_u64 v[18:19], v[0:1], 2, v[12:13]
	flat_store_dword v[18:19], v17
	s_mov_b64 s[2:3], -1
	v_max_f32_e32 v17, v71, v71
	s_mov_b64 vcc, s[4:5]
	s_cbranch_vccz .LBB10_81
; %bb.80:
	v_min_f32_e32 v20, 0, v17
	v_lshl_add_u64 v[18:19], v[6:7], 2, v[12:13]
	flat_store_dword v[18:19], v20
	s_mov_b64 s[2:3], 0
.LBB10_81:
	s_andn2_b64 vcc, exec, s[2:3]
	v_mov_b32_e32 v18, 0
	s_cbranch_vccnz .LBB10_83
; %bb.82:
	v_lshl_add_u64 v[18:19], v[14:15], 0, v[10:11]
	flat_load_dword v20, v[18:19]
	v_lshl_add_u64 v[18:19], v[12:13], 0, v[10:11]
	v_lshl_add_u64 v[14:15], v[2:3], 2, v[14:15]
	s_waitcnt vmcnt(0) lgkmcnt(0)
	v_mul_f32_e32 v20, s19, v20
	v_min_f32_e32 v17, v20, v17
	flat_store_dword v[18:19], v17
	flat_load_dword v14, v[14:15]
	s_waitcnt vmcnt(0) lgkmcnt(0)
	v_mul_f32_e32 v18, s19, v14
.LBB10_83:
	v_max_f32_e32 v14, v70, v70
	v_max_f32_e32 v15, v18, v18
	v_min_f32_e32 v14, v15, v14
	v_lshl_add_u64 v[12:13], v[2:3], 2, v[12:13]
	flat_store_dword v[12:13], v14
	v_add_u32_e32 v14, 64, v16
	v_mad_i64_i32 v[12:13], s[2:3], v14, s7, 0
	v_mad_i64_i32 v[14:15], s[2:3], v14, s6, 0
	v_lshl_add_u64 v[12:13], v[12:13], 2, s[0:1]
	s_mov_b64 s[2:3], -1
	v_max_f32_e32 v17, v69, v69
	s_mov_b64 vcc, s[4:5]
	s_cbranch_vccz .LBB10_85
; %bb.84:
	v_min_f32_e32 v20, 0, v17
	v_lshl_add_u64 v[18:19], v[4:5], 2, v[12:13]
	flat_store_dword v[18:19], v20
	s_mov_b64 s[2:3], 0
.LBB10_85:
	v_lshl_add_u64 v[14:15], v[14:15], 2, s[12:13]
	s_andn2_b64 vcc, exec, s[2:3]
	v_mov_b32_e32 v18, 0
	s_cbranch_vccnz .LBB10_87
; %bb.86:
	v_lshl_add_u64 v[18:19], v[14:15], 0, v[8:9]
	flat_load_dword v20, v[18:19]
	v_lshl_add_u64 v[18:19], v[12:13], 0, v[8:9]
	s_waitcnt vmcnt(0) lgkmcnt(0)
	v_mul_f32_e32 v20, s19, v20
	v_min_f32_e32 v17, v20, v17
	flat_store_dword v[18:19], v17
	v_lshl_add_u64 v[18:19], v[0:1], 2, v[14:15]
	flat_load_dword v17, v[18:19]
	s_waitcnt vmcnt(0) lgkmcnt(0)
	v_mul_f32_e32 v18, s19, v17
.LBB10_87:
	v_max_f32_e32 v17, v68, v68
	v_max_f32_e32 v18, v18, v18
	v_min_f32_e32 v17, v18, v17
	v_lshl_add_u64 v[18:19], v[0:1], 2, v[12:13]
	flat_store_dword v[18:19], v17
	s_mov_b64 s[2:3], -1
	v_max_f32_e32 v17, v67, v67
	s_mov_b64 vcc, s[4:5]
	s_cbranch_vccz .LBB10_89
; %bb.88:
	v_min_f32_e32 v20, 0, v17
	v_lshl_add_u64 v[18:19], v[6:7], 2, v[12:13]
	flat_store_dword v[18:19], v20
	s_mov_b64 s[2:3], 0
.LBB10_89:
	s_andn2_b64 vcc, exec, s[2:3]
	v_mov_b32_e32 v18, 0
	s_cbranch_vccnz .LBB10_91
; %bb.90:
	v_lshl_add_u64 v[18:19], v[14:15], 0, v[10:11]
	flat_load_dword v20, v[18:19]
	v_lshl_add_u64 v[18:19], v[12:13], 0, v[10:11]
	v_lshl_add_u64 v[14:15], v[2:3], 2, v[14:15]
	s_waitcnt vmcnt(0) lgkmcnt(0)
	v_mul_f32_e32 v20, s19, v20
	v_min_f32_e32 v17, v20, v17
	flat_store_dword v[18:19], v17
	flat_load_dword v14, v[14:15]
	s_waitcnt vmcnt(0) lgkmcnt(0)
	v_mul_f32_e32 v18, s19, v14
.LBB10_91:
	v_max_f32_e32 v14, v66, v66
	v_max_f32_e32 v15, v18, v18
	v_min_f32_e32 v14, v15, v14
	v_lshl_add_u64 v[12:13], v[2:3], 2, v[12:13]
	flat_store_dword v[12:13], v14
	v_add_u32_e32 v14, 0x48, v16
	v_mad_i64_i32 v[12:13], s[2:3], v14, s7, 0
	v_mad_i64_i32 v[14:15], s[2:3], v14, s6, 0
	v_lshl_add_u64 v[12:13], v[12:13], 2, s[0:1]
	s_mov_b64 s[2:3], -1
	v_max_f32_e32 v17, v65, v65
	s_mov_b64 vcc, s[4:5]
	s_cbranch_vccz .LBB10_93
; %bb.92:
	v_min_f32_e32 v20, 0, v17
	v_lshl_add_u64 v[18:19], v[4:5], 2, v[12:13]
	flat_store_dword v[18:19], v20
	s_mov_b64 s[2:3], 0
.LBB10_93:
	v_lshl_add_u64 v[14:15], v[14:15], 2, s[12:13]
	s_andn2_b64 vcc, exec, s[2:3]
	v_mov_b32_e32 v18, 0
	s_cbranch_vccnz .LBB10_95
; %bb.94:
	v_lshl_add_u64 v[18:19], v[14:15], 0, v[8:9]
	flat_load_dword v20, v[18:19]
	v_lshl_add_u64 v[18:19], v[12:13], 0, v[8:9]
	s_waitcnt vmcnt(0) lgkmcnt(0)
	v_mul_f32_e32 v20, s19, v20
	v_min_f32_e32 v17, v20, v17
	flat_store_dword v[18:19], v17
	v_lshl_add_u64 v[18:19], v[0:1], 2, v[14:15]
	flat_load_dword v17, v[18:19]
	s_waitcnt vmcnt(0) lgkmcnt(0)
	v_mul_f32_e32 v18, s19, v17
.LBB10_95:
	v_max_f32_e32 v17, v64, v64
	v_max_f32_e32 v18, v18, v18
	v_min_f32_e32 v17, v18, v17
	v_lshl_add_u64 v[18:19], v[0:1], 2, v[12:13]
	flat_store_dword v[18:19], v17
	s_mov_b64 s[2:3], -1
	v_max_f32_e32 v17, v63, v63
	s_mov_b64 vcc, s[4:5]
	s_cbranch_vccz .LBB10_97
; %bb.96:
	v_min_f32_e32 v20, 0, v17
	v_lshl_add_u64 v[18:19], v[6:7], 2, v[12:13]
	flat_store_dword v[18:19], v20
	s_mov_b64 s[2:3], 0
.LBB10_97:
	s_andn2_b64 vcc, exec, s[2:3]
	v_mov_b32_e32 v18, 0
	s_cbranch_vccnz .LBB10_99
; %bb.98:
	v_lshl_add_u64 v[18:19], v[14:15], 0, v[10:11]
	flat_load_dword v20, v[18:19]
	v_lshl_add_u64 v[18:19], v[12:13], 0, v[10:11]
	v_lshl_add_u64 v[14:15], v[2:3], 2, v[14:15]
	s_waitcnt vmcnt(0) lgkmcnt(0)
	v_mul_f32_e32 v20, s19, v20
	v_min_f32_e32 v17, v20, v17
	flat_store_dword v[18:19], v17
	flat_load_dword v14, v[14:15]
	s_waitcnt vmcnt(0) lgkmcnt(0)
	v_mul_f32_e32 v18, s19, v14
.LBB10_99:
	v_max_f32_e32 v14, v62, v62
	v_max_f32_e32 v15, v18, v18
	v_min_f32_e32 v14, v15, v14
	v_lshl_add_u64 v[12:13], v[2:3], 2, v[12:13]
	flat_store_dword v[12:13], v14
	v_add_u32_e32 v14, 0x50, v16
	v_mad_i64_i32 v[12:13], s[2:3], v14, s7, 0
	v_mad_i64_i32 v[14:15], s[2:3], v14, s6, 0
	v_lshl_add_u64 v[12:13], v[12:13], 2, s[0:1]
	s_mov_b64 s[2:3], -1
	v_max_f32_e32 v17, v61, v61
	s_mov_b64 vcc, s[4:5]
	s_cbranch_vccz .LBB10_101
; %bb.100:
	v_min_f32_e32 v20, 0, v17
	v_lshl_add_u64 v[18:19], v[4:5], 2, v[12:13]
	flat_store_dword v[18:19], v20
	s_mov_b64 s[2:3], 0
.LBB10_101:
	v_lshl_add_u64 v[14:15], v[14:15], 2, s[12:13]
	s_andn2_b64 vcc, exec, s[2:3]
	v_mov_b32_e32 v18, 0
	s_cbranch_vccnz .LBB10_103
; %bb.102:
	v_lshl_add_u64 v[18:19], v[14:15], 0, v[8:9]
	flat_load_dword v20, v[18:19]
	v_lshl_add_u64 v[18:19], v[12:13], 0, v[8:9]
	s_waitcnt vmcnt(0) lgkmcnt(0)
	v_mul_f32_e32 v20, s19, v20
	v_min_f32_e32 v17, v20, v17
	flat_store_dword v[18:19], v17
	v_lshl_add_u64 v[18:19], v[0:1], 2, v[14:15]
	flat_load_dword v17, v[18:19]
	s_waitcnt vmcnt(0) lgkmcnt(0)
	v_mul_f32_e32 v18, s19, v17
.LBB10_103:
	v_max_f32_e32 v17, v60, v60
	v_max_f32_e32 v18, v18, v18
	v_min_f32_e32 v17, v18, v17
	v_lshl_add_u64 v[18:19], v[0:1], 2, v[12:13]
	flat_store_dword v[18:19], v17
	s_mov_b64 s[2:3], -1
	v_max_f32_e32 v17, v59, v59
	s_mov_b64 vcc, s[4:5]
	s_cbranch_vccz .LBB10_105
; %bb.104:
	v_min_f32_e32 v20, 0, v17
	v_lshl_add_u64 v[18:19], v[6:7], 2, v[12:13]
	flat_store_dword v[18:19], v20
	s_mov_b64 s[2:3], 0
.LBB10_105:
	s_andn2_b64 vcc, exec, s[2:3]
	v_mov_b32_e32 v18, 0
	s_cbranch_vccnz .LBB10_107
; %bb.106:
	v_lshl_add_u64 v[18:19], v[14:15], 0, v[10:11]
	flat_load_dword v20, v[18:19]
	v_lshl_add_u64 v[18:19], v[12:13], 0, v[10:11]
	v_lshl_add_u64 v[14:15], v[2:3], 2, v[14:15]
	s_waitcnt vmcnt(0) lgkmcnt(0)
	v_mul_f32_e32 v20, s19, v20
	v_min_f32_e32 v17, v20, v17
	flat_store_dword v[18:19], v17
	flat_load_dword v14, v[14:15]
	s_waitcnt vmcnt(0) lgkmcnt(0)
	v_mul_f32_e32 v18, s19, v14
.LBB10_107:
	v_max_f32_e32 v14, v58, v58
	v_max_f32_e32 v15, v18, v18
	v_min_f32_e32 v14, v15, v14
	v_lshl_add_u64 v[12:13], v[2:3], 2, v[12:13]
	flat_store_dword v[12:13], v14
	v_add_u32_e32 v14, 0x58, v16
	v_mad_i64_i32 v[12:13], s[2:3], v14, s7, 0
	v_mad_i64_i32 v[14:15], s[2:3], v14, s6, 0
	v_lshl_add_u64 v[12:13], v[12:13], 2, s[0:1]
	s_mov_b64 s[2:3], -1
	v_max_f32_e32 v17, v57, v57
	s_mov_b64 vcc, s[4:5]
	s_cbranch_vccz .LBB10_109
; %bb.108:
	v_min_f32_e32 v20, 0, v17
	v_lshl_add_u64 v[18:19], v[4:5], 2, v[12:13]
	flat_store_dword v[18:19], v20
	s_mov_b64 s[2:3], 0
.LBB10_109:
	v_lshl_add_u64 v[14:15], v[14:15], 2, s[12:13]
	s_andn2_b64 vcc, exec, s[2:3]
	v_mov_b32_e32 v18, 0
	s_cbranch_vccnz .LBB10_111
; %bb.110:
	v_lshl_add_u64 v[18:19], v[14:15], 0, v[8:9]
	flat_load_dword v20, v[18:19]
	v_lshl_add_u64 v[18:19], v[12:13], 0, v[8:9]
	s_waitcnt vmcnt(0) lgkmcnt(0)
	v_mul_f32_e32 v20, s19, v20
	v_min_f32_e32 v17, v20, v17
	flat_store_dword v[18:19], v17
	v_lshl_add_u64 v[18:19], v[0:1], 2, v[14:15]
	flat_load_dword v17, v[18:19]
	s_waitcnt vmcnt(0) lgkmcnt(0)
	v_mul_f32_e32 v18, s19, v17
.LBB10_111:
	v_max_f32_e32 v17, v56, v56
	v_max_f32_e32 v18, v18, v18
	v_min_f32_e32 v17, v18, v17
	v_lshl_add_u64 v[18:19], v[0:1], 2, v[12:13]
	flat_store_dword v[18:19], v17
	s_mov_b64 s[2:3], -1
	v_max_f32_e32 v17, v55, v55
	s_mov_b64 vcc, s[4:5]
	s_cbranch_vccz .LBB10_113
; %bb.112:
	v_min_f32_e32 v20, 0, v17
	v_lshl_add_u64 v[18:19], v[6:7], 2, v[12:13]
	flat_store_dword v[18:19], v20
	s_mov_b64 s[2:3], 0
.LBB10_113:
	s_andn2_b64 vcc, exec, s[2:3]
	v_mov_b32_e32 v18, 0
	s_cbranch_vccnz .LBB10_115
; %bb.114:
	v_lshl_add_u64 v[18:19], v[14:15], 0, v[10:11]
	flat_load_dword v20, v[18:19]
	v_lshl_add_u64 v[18:19], v[12:13], 0, v[10:11]
	v_lshl_add_u64 v[14:15], v[2:3], 2, v[14:15]
	s_waitcnt vmcnt(0) lgkmcnt(0)
	v_mul_f32_e32 v20, s19, v20
	v_min_f32_e32 v17, v20, v17
	flat_store_dword v[18:19], v17
	flat_load_dword v14, v[14:15]
	s_waitcnt vmcnt(0) lgkmcnt(0)
	v_mul_f32_e32 v18, s19, v14
.LBB10_115:
	v_max_f32_e32 v14, v54, v54
	v_max_f32_e32 v15, v18, v18
	v_min_f32_e32 v14, v15, v14
	v_lshl_add_u64 v[12:13], v[2:3], 2, v[12:13]
	flat_store_dword v[12:13], v14
	v_add_u32_e32 v14, 0x60, v16
	v_mad_i64_i32 v[12:13], s[2:3], v14, s7, 0
	v_mad_i64_i32 v[14:15], s[2:3], v14, s6, 0
	v_lshl_add_u64 v[12:13], v[12:13], 2, s[0:1]
	s_mov_b64 s[2:3], -1
	v_max_f32_e32 v17, v53, v53
	s_mov_b64 vcc, s[4:5]
	s_cbranch_vccz .LBB10_117
; %bb.116:
	v_min_f32_e32 v20, 0, v17
	v_lshl_add_u64 v[18:19], v[4:5], 2, v[12:13]
	flat_store_dword v[18:19], v20
	s_mov_b64 s[2:3], 0
.LBB10_117:
	v_lshl_add_u64 v[14:15], v[14:15], 2, s[12:13]
	s_andn2_b64 vcc, exec, s[2:3]
	v_mov_b32_e32 v18, 0
	s_cbranch_vccnz .LBB10_119
; %bb.118:
	v_lshl_add_u64 v[18:19], v[14:15], 0, v[8:9]
	flat_load_dword v20, v[18:19]
	v_lshl_add_u64 v[18:19], v[12:13], 0, v[8:9]
	s_waitcnt vmcnt(0) lgkmcnt(0)
	v_mul_f32_e32 v20, s19, v20
	v_min_f32_e32 v17, v20, v17
	flat_store_dword v[18:19], v17
	v_lshl_add_u64 v[18:19], v[0:1], 2, v[14:15]
	flat_load_dword v17, v[18:19]
	s_waitcnt vmcnt(0) lgkmcnt(0)
	v_mul_f32_e32 v18, s19, v17
.LBB10_119:
	v_max_f32_e32 v17, v52, v52
	v_max_f32_e32 v18, v18, v18
	v_min_f32_e32 v17, v18, v17
	v_lshl_add_u64 v[18:19], v[0:1], 2, v[12:13]
	flat_store_dword v[18:19], v17
	s_mov_b64 s[2:3], -1
	v_max_f32_e32 v17, v51, v51
	s_mov_b64 vcc, s[4:5]
	s_cbranch_vccz .LBB10_121
; %bb.120:
	v_min_f32_e32 v20, 0, v17
	v_lshl_add_u64 v[18:19], v[6:7], 2, v[12:13]
	flat_store_dword v[18:19], v20
	s_mov_b64 s[2:3], 0
.LBB10_121:
	s_andn2_b64 vcc, exec, s[2:3]
	v_mov_b32_e32 v18, 0
	s_cbranch_vccnz .LBB10_123
; %bb.122:
	v_lshl_add_u64 v[18:19], v[14:15], 0, v[10:11]
	flat_load_dword v20, v[18:19]
	v_lshl_add_u64 v[18:19], v[12:13], 0, v[10:11]
	v_lshl_add_u64 v[14:15], v[2:3], 2, v[14:15]
	s_waitcnt vmcnt(0) lgkmcnt(0)
	v_mul_f32_e32 v20, s19, v20
	v_min_f32_e32 v17, v20, v17
	flat_store_dword v[18:19], v17
	flat_load_dword v14, v[14:15]
	s_waitcnt vmcnt(0) lgkmcnt(0)
	v_mul_f32_e32 v18, s19, v14
.LBB10_123:
	v_max_f32_e32 v14, v50, v50
	v_max_f32_e32 v15, v18, v18
	v_min_f32_e32 v14, v15, v14
	v_lshl_add_u64 v[12:13], v[2:3], 2, v[12:13]
	flat_store_dword v[12:13], v14
	v_add_u32_e32 v14, 0x68, v16
	v_mad_i64_i32 v[12:13], s[2:3], v14, s7, 0
	v_mad_i64_i32 v[14:15], s[2:3], v14, s6, 0
	v_lshl_add_u64 v[12:13], v[12:13], 2, s[0:1]
	s_mov_b64 s[2:3], -1
	v_max_f32_e32 v17, v49, v49
	s_mov_b64 vcc, s[4:5]
	s_cbranch_vccz .LBB10_125
; %bb.124:
	v_min_f32_e32 v20, 0, v17
	v_lshl_add_u64 v[18:19], v[4:5], 2, v[12:13]
	flat_store_dword v[18:19], v20
	s_mov_b64 s[2:3], 0
.LBB10_125:
	v_lshl_add_u64 v[14:15], v[14:15], 2, s[12:13]
	s_andn2_b64 vcc, exec, s[2:3]
	v_mov_b32_e32 v18, 0
	s_cbranch_vccnz .LBB10_127
; %bb.126:
	v_lshl_add_u64 v[18:19], v[14:15], 0, v[8:9]
	flat_load_dword v20, v[18:19]
	v_lshl_add_u64 v[18:19], v[12:13], 0, v[8:9]
	s_waitcnt vmcnt(0) lgkmcnt(0)
	v_mul_f32_e32 v20, s19, v20
	v_min_f32_e32 v17, v20, v17
	flat_store_dword v[18:19], v17
	v_lshl_add_u64 v[18:19], v[0:1], 2, v[14:15]
	flat_load_dword v17, v[18:19]
	s_waitcnt vmcnt(0) lgkmcnt(0)
	v_mul_f32_e32 v18, s19, v17
.LBB10_127:
	v_max_f32_e32 v17, v48, v48
	v_max_f32_e32 v18, v18, v18
	v_min_f32_e32 v17, v18, v17
	v_lshl_add_u64 v[18:19], v[0:1], 2, v[12:13]
	flat_store_dword v[18:19], v17
	s_mov_b64 s[2:3], -1
	v_max_f32_e32 v17, v47, v47
	s_mov_b64 vcc, s[4:5]
	s_cbranch_vccz .LBB10_129
; %bb.128:
	v_min_f32_e32 v20, 0, v17
	v_lshl_add_u64 v[18:19], v[6:7], 2, v[12:13]
	flat_store_dword v[18:19], v20
	s_mov_b64 s[2:3], 0
.LBB10_129:
	s_andn2_b64 vcc, exec, s[2:3]
	v_mov_b32_e32 v18, 0
	s_cbranch_vccnz .LBB10_131
; %bb.130:
	v_lshl_add_u64 v[18:19], v[14:15], 0, v[10:11]
	flat_load_dword v20, v[18:19]
	v_lshl_add_u64 v[18:19], v[12:13], 0, v[10:11]
	v_lshl_add_u64 v[14:15], v[2:3], 2, v[14:15]
	s_waitcnt vmcnt(0) lgkmcnt(0)
	v_mul_f32_e32 v20, s19, v20
	v_min_f32_e32 v17, v20, v17
	flat_store_dword v[18:19], v17
	flat_load_dword v14, v[14:15]
	s_waitcnt vmcnt(0) lgkmcnt(0)
	v_mul_f32_e32 v18, s19, v14
.LBB10_131:
	v_max_f32_e32 v14, v46, v46
	v_max_f32_e32 v15, v18, v18
	v_min_f32_e32 v14, v15, v14
	v_lshl_add_u64 v[12:13], v[2:3], 2, v[12:13]
	flat_store_dword v[12:13], v14
	v_add_u32_e32 v14, 0x70, v16
	v_mad_i64_i32 v[12:13], s[2:3], v14, s7, 0
	v_mad_i64_i32 v[14:15], s[2:3], v14, s6, 0
	v_lshl_add_u64 v[12:13], v[12:13], 2, s[0:1]
	s_mov_b64 s[2:3], -1
	v_max_f32_e32 v17, v45, v45
	s_mov_b64 vcc, s[4:5]
	s_cbranch_vccz .LBB10_133
; %bb.132:
	v_min_f32_e32 v20, 0, v17
	v_lshl_add_u64 v[18:19], v[4:5], 2, v[12:13]
	flat_store_dword v[18:19], v20
	s_mov_b64 s[2:3], 0
.LBB10_133:
	v_lshl_add_u64 v[14:15], v[14:15], 2, s[12:13]
	s_andn2_b64 vcc, exec, s[2:3]
	v_mov_b32_e32 v18, 0
	s_cbranch_vccnz .LBB10_135
; %bb.134:
	v_lshl_add_u64 v[18:19], v[14:15], 0, v[8:9]
	flat_load_dword v20, v[18:19]
	v_lshl_add_u64 v[18:19], v[12:13], 0, v[8:9]
	s_waitcnt vmcnt(0) lgkmcnt(0)
	v_mul_f32_e32 v20, s19, v20
	v_min_f32_e32 v17, v20, v17
	flat_store_dword v[18:19], v17
	v_lshl_add_u64 v[18:19], v[0:1], 2, v[14:15]
	flat_load_dword v17, v[18:19]
	s_waitcnt vmcnt(0) lgkmcnt(0)
	v_mul_f32_e32 v18, s19, v17
.LBB10_135:
	v_max_f32_e32 v17, v44, v44
	v_max_f32_e32 v18, v18, v18
	v_min_f32_e32 v17, v18, v17
	v_lshl_add_u64 v[18:19], v[0:1], 2, v[12:13]
	flat_store_dword v[18:19], v17
	s_mov_b64 s[2:3], -1
	v_max_f32_e32 v17, v43, v43
	s_mov_b64 vcc, s[4:5]
	s_cbranch_vccz .LBB10_137
; %bb.136:
	v_min_f32_e32 v20, 0, v17
	v_lshl_add_u64 v[18:19], v[6:7], 2, v[12:13]
	flat_store_dword v[18:19], v20
	s_mov_b64 s[2:3], 0
.LBB10_137:
	s_andn2_b64 vcc, exec, s[2:3]
	v_mov_b32_e32 v18, 0
	s_cbranch_vccnz .LBB10_139
; %bb.138:
	v_lshl_add_u64 v[18:19], v[14:15], 0, v[10:11]
	flat_load_dword v20, v[18:19]
	v_lshl_add_u64 v[18:19], v[12:13], 0, v[10:11]
	v_lshl_add_u64 v[14:15], v[2:3], 2, v[14:15]
	s_waitcnt vmcnt(0) lgkmcnt(0)
	v_mul_f32_e32 v20, s19, v20
	v_min_f32_e32 v17, v20, v17
	flat_store_dword v[18:19], v17
	flat_load_dword v14, v[14:15]
	s_waitcnt vmcnt(0) lgkmcnt(0)
	v_mul_f32_e32 v18, s19, v14
.LBB10_139:
	v_max_f32_e32 v14, v42, v42
	v_max_f32_e32 v15, v18, v18
	v_min_f32_e32 v14, v15, v14
	v_lshl_add_u64 v[12:13], v[2:3], 2, v[12:13]
	flat_store_dword v[12:13], v14
	v_add_u32_e32 v14, 0x78, v16
	v_mad_i64_i32 v[12:13], s[2:3], v14, s7, 0
	v_lshl_add_u64 v[12:13], v[12:13], 2, s[0:1]
	v_mad_i64_i32 v[14:15], s[0:1], v14, s6, 0
	s_mov_b64 s[0:1], -1
	v_max_f32_e32 v16, v41, v41
	s_mov_b64 vcc, s[4:5]
	s_cbranch_vccz .LBB10_141
; %bb.140:
	v_min_f32_e32 v17, 0, v16
	v_lshl_add_u64 v[4:5], v[4:5], 2, v[12:13]
	flat_store_dword v[4:5], v17
	s_mov_b64 s[0:1], 0
.LBB10_141:
	v_lshl_add_u64 v[4:5], v[14:15], 2, s[12:13]
	s_andn2_b64 vcc, exec, s[0:1]
	v_mov_b32_e32 v14, 0
	s_cbranch_vccnz .LBB10_143
; %bb.142:
	v_lshl_add_u64 v[14:15], v[4:5], 0, v[8:9]
	flat_load_dword v14, v[14:15]
	v_lshl_add_u64 v[8:9], v[12:13], 0, v[8:9]
	s_waitcnt vmcnt(0) lgkmcnt(0)
	v_mul_f32_e32 v14, s19, v14
	v_min_f32_e32 v14, v14, v16
	flat_store_dword v[8:9], v14
	v_lshl_add_u64 v[8:9], v[0:1], 2, v[4:5]
	flat_load_dword v8, v[8:9]
	s_waitcnt vmcnt(0) lgkmcnt(0)
	v_mul_f32_e32 v14, s19, v8
.LBB10_143:
	v_max_f32_e32 v8, v40, v40
	v_max_f32_e32 v9, v14, v14
	v_min_f32_e32 v8, v9, v8
	v_lshl_add_u64 v[0:1], v[0:1], 2, v[12:13]
	flat_store_dword v[0:1], v8
	s_mov_b64 s[0:1], -1
	v_max_f32_e32 v0, v39, v39
	s_mov_b64 vcc, s[4:5]
	s_cbranch_vccz .LBB10_145
; %bb.144:
	v_min_f32_e32 v1, 0, v0
	v_lshl_add_u64 v[6:7], v[6:7], 2, v[12:13]
	flat_store_dword v[6:7], v1
	s_mov_b64 s[0:1], 0
.LBB10_145:
	s_andn2_b64 vcc, exec, s[0:1]
	v_mov_b32_e32 v1, 0
	s_cbranch_vccnz .LBB10_147
; %bb.146:
	v_lshl_add_u64 v[6:7], v[4:5], 0, v[10:11]
	flat_load_dword v1, v[6:7]
	v_lshl_add_u64 v[6:7], v[12:13], 0, v[10:11]
	s_waitcnt vmcnt(0) lgkmcnt(0)
	v_mul_f32_e32 v1, s19, v1
	v_min_f32_e32 v0, v1, v0
	flat_store_dword v[6:7], v0
	v_lshl_add_u64 v[0:1], v[2:3], 2, v[4:5]
	flat_load_dword v0, v[0:1]
	s_waitcnt vmcnt(0) lgkmcnt(0)
	v_mul_f32_e32 v1, s19, v0
.LBB10_147:
	v_max_f32_e32 v0, v38, v38
	v_max_f32_e32 v1, v1, v1
	v_min_f32_e32 v4, v1, v0
	v_lshl_add_u64 v[0:1], v[2:3], 2, v[12:13]
	flat_store_dword v[0:1], v4
	s_endpgm
	.section	.rodata,"a",@progbits
	.p2align	6, 0x0
	.amdhsa_kernel _ZN12_GLOBAL__N_120geam_min_plus_kernelIf15HIP_vector_typeIfLj2EEfLi32ELi8ELi128ELi128ELi4ELi4ELi64ELi4ELi64ELc84ELc78ELb1ELb0ELb1EfKPKfKPfEEviiiT16_PT17_ilSA_ilS8_SA_ilPT18_ili26rocblas_geam_ex_operation_
		.amdhsa_group_segment_fixed_size 8192
		.amdhsa_private_segment_fixed_size 0
		.amdhsa_kernarg_size 128
		.amdhsa_user_sgpr_count 2
		.amdhsa_user_sgpr_dispatch_ptr 0
		.amdhsa_user_sgpr_queue_ptr 0
		.amdhsa_user_sgpr_kernarg_segment_ptr 1
		.amdhsa_user_sgpr_dispatch_id 0
		.amdhsa_user_sgpr_kernarg_preload_length 0
		.amdhsa_user_sgpr_kernarg_preload_offset 0
		.amdhsa_user_sgpr_private_segment_size 0
		.amdhsa_uses_dynamic_stack 0
		.amdhsa_enable_private_segment 0
		.amdhsa_system_sgpr_workgroup_id_x 1
		.amdhsa_system_sgpr_workgroup_id_y 0
		.amdhsa_system_sgpr_workgroup_id_z 1
		.amdhsa_system_sgpr_workgroup_info 0
		.amdhsa_system_vgpr_workitem_id 1
		.amdhsa_next_free_vgpr 138
		.amdhsa_next_free_sgpr 25
		.amdhsa_accum_offset 140
		.amdhsa_reserve_vcc 1
		.amdhsa_float_round_mode_32 0
		.amdhsa_float_round_mode_16_64 0
		.amdhsa_float_denorm_mode_32 3
		.amdhsa_float_denorm_mode_16_64 3
		.amdhsa_dx10_clamp 1
		.amdhsa_ieee_mode 1
		.amdhsa_fp16_overflow 0
		.amdhsa_tg_split 0
		.amdhsa_exception_fp_ieee_invalid_op 0
		.amdhsa_exception_fp_denorm_src 0
		.amdhsa_exception_fp_ieee_div_zero 0
		.amdhsa_exception_fp_ieee_overflow 0
		.amdhsa_exception_fp_ieee_underflow 0
		.amdhsa_exception_fp_ieee_inexact 0
		.amdhsa_exception_int_div_zero 0
	.end_amdhsa_kernel
	.section	.text._ZN12_GLOBAL__N_120geam_min_plus_kernelIf15HIP_vector_typeIfLj2EEfLi32ELi8ELi128ELi128ELi4ELi4ELi64ELi4ELi64ELc84ELc78ELb1ELb0ELb1EfKPKfKPfEEviiiT16_PT17_ilSA_ilS8_SA_ilPT18_ili26rocblas_geam_ex_operation_,"axG",@progbits,_ZN12_GLOBAL__N_120geam_min_plus_kernelIf15HIP_vector_typeIfLj2EEfLi32ELi8ELi128ELi128ELi4ELi4ELi64ELi4ELi64ELc84ELc78ELb1ELb0ELb1EfKPKfKPfEEviiiT16_PT17_ilSA_ilS8_SA_ilPT18_ili26rocblas_geam_ex_operation_,comdat
.Lfunc_end10:
	.size	_ZN12_GLOBAL__N_120geam_min_plus_kernelIf15HIP_vector_typeIfLj2EEfLi32ELi8ELi128ELi128ELi4ELi4ELi64ELi4ELi64ELc84ELc78ELb1ELb0ELb1EfKPKfKPfEEviiiT16_PT17_ilSA_ilS8_SA_ilPT18_ili26rocblas_geam_ex_operation_, .Lfunc_end10-_ZN12_GLOBAL__N_120geam_min_plus_kernelIf15HIP_vector_typeIfLj2EEfLi32ELi8ELi128ELi128ELi4ELi4ELi64ELi4ELi64ELc84ELc78ELb1ELb0ELb1EfKPKfKPfEEviiiT16_PT17_ilSA_ilS8_SA_ilPT18_ili26rocblas_geam_ex_operation_
                                        ; -- End function
	.set _ZN12_GLOBAL__N_120geam_min_plus_kernelIf15HIP_vector_typeIfLj2EEfLi32ELi8ELi128ELi128ELi4ELi4ELi64ELi4ELi64ELc84ELc78ELb1ELb0ELb1EfKPKfKPfEEviiiT16_PT17_ilSA_ilS8_SA_ilPT18_ili26rocblas_geam_ex_operation_.num_vgpr, 138
	.set _ZN12_GLOBAL__N_120geam_min_plus_kernelIf15HIP_vector_typeIfLj2EEfLi32ELi8ELi128ELi128ELi4ELi4ELi64ELi4ELi64ELc84ELc78ELb1ELb0ELb1EfKPKfKPfEEviiiT16_PT17_ilSA_ilS8_SA_ilPT18_ili26rocblas_geam_ex_operation_.num_agpr, 0
	.set _ZN12_GLOBAL__N_120geam_min_plus_kernelIf15HIP_vector_typeIfLj2EEfLi32ELi8ELi128ELi128ELi4ELi4ELi64ELi4ELi64ELc84ELc78ELb1ELb0ELb1EfKPKfKPfEEviiiT16_PT17_ilSA_ilS8_SA_ilPT18_ili26rocblas_geam_ex_operation_.numbered_sgpr, 25
	.set _ZN12_GLOBAL__N_120geam_min_plus_kernelIf15HIP_vector_typeIfLj2EEfLi32ELi8ELi128ELi128ELi4ELi4ELi64ELi4ELi64ELc84ELc78ELb1ELb0ELb1EfKPKfKPfEEviiiT16_PT17_ilSA_ilS8_SA_ilPT18_ili26rocblas_geam_ex_operation_.num_named_barrier, 0
	.set _ZN12_GLOBAL__N_120geam_min_plus_kernelIf15HIP_vector_typeIfLj2EEfLi32ELi8ELi128ELi128ELi4ELi4ELi64ELi4ELi64ELc84ELc78ELb1ELb0ELb1EfKPKfKPfEEviiiT16_PT17_ilSA_ilS8_SA_ilPT18_ili26rocblas_geam_ex_operation_.private_seg_size, 0
	.set _ZN12_GLOBAL__N_120geam_min_plus_kernelIf15HIP_vector_typeIfLj2EEfLi32ELi8ELi128ELi128ELi4ELi4ELi64ELi4ELi64ELc84ELc78ELb1ELb0ELb1EfKPKfKPfEEviiiT16_PT17_ilSA_ilS8_SA_ilPT18_ili26rocblas_geam_ex_operation_.uses_vcc, 1
	.set _ZN12_GLOBAL__N_120geam_min_plus_kernelIf15HIP_vector_typeIfLj2EEfLi32ELi8ELi128ELi128ELi4ELi4ELi64ELi4ELi64ELc84ELc78ELb1ELb0ELb1EfKPKfKPfEEviiiT16_PT17_ilSA_ilS8_SA_ilPT18_ili26rocblas_geam_ex_operation_.uses_flat_scratch, 0
	.set _ZN12_GLOBAL__N_120geam_min_plus_kernelIf15HIP_vector_typeIfLj2EEfLi32ELi8ELi128ELi128ELi4ELi4ELi64ELi4ELi64ELc84ELc78ELb1ELb0ELb1EfKPKfKPfEEviiiT16_PT17_ilSA_ilS8_SA_ilPT18_ili26rocblas_geam_ex_operation_.has_dyn_sized_stack, 0
	.set _ZN12_GLOBAL__N_120geam_min_plus_kernelIf15HIP_vector_typeIfLj2EEfLi32ELi8ELi128ELi128ELi4ELi4ELi64ELi4ELi64ELc84ELc78ELb1ELb0ELb1EfKPKfKPfEEviiiT16_PT17_ilSA_ilS8_SA_ilPT18_ili26rocblas_geam_ex_operation_.has_recursion, 0
	.set _ZN12_GLOBAL__N_120geam_min_plus_kernelIf15HIP_vector_typeIfLj2EEfLi32ELi8ELi128ELi128ELi4ELi4ELi64ELi4ELi64ELc84ELc78ELb1ELb0ELb1EfKPKfKPfEEviiiT16_PT17_ilSA_ilS8_SA_ilPT18_ili26rocblas_geam_ex_operation_.has_indirect_call, 0
	.section	.AMDGPU.csdata,"",@progbits
; Kernel info:
; codeLenInByte = 12484
; TotalNumSgprs: 31
; NumVgprs: 138
; NumAgprs: 0
; TotalNumVgprs: 138
; ScratchSize: 0
; MemoryBound: 0
; FloatMode: 240
; IeeeMode: 1
; LDSByteSize: 8192 bytes/workgroup (compile time only)
; SGPRBlocks: 3
; VGPRBlocks: 17
; NumSGPRsForWavesPerEU: 31
; NumVGPRsForWavesPerEU: 138
; AccumOffset: 140
; Occupancy: 3
; WaveLimiterHint : 1
; COMPUTE_PGM_RSRC2:SCRATCH_EN: 0
; COMPUTE_PGM_RSRC2:USER_SGPR: 2
; COMPUTE_PGM_RSRC2:TRAP_HANDLER: 0
; COMPUTE_PGM_RSRC2:TGID_X_EN: 1
; COMPUTE_PGM_RSRC2:TGID_Y_EN: 0
; COMPUTE_PGM_RSRC2:TGID_Z_EN: 1
; COMPUTE_PGM_RSRC2:TIDIG_COMP_CNT: 1
; COMPUTE_PGM_RSRC3_GFX90A:ACCUM_OFFSET: 34
; COMPUTE_PGM_RSRC3_GFX90A:TG_SPLIT: 0
	.section	.text._ZN12_GLOBAL__N_120geam_min_plus_kernelIf15HIP_vector_typeIfLj2EEfLi32ELi8ELi128ELi128ELi4ELi4ELi64ELi4ELi64ELc84ELc78ELb0ELb0ELb1EfKPKfKPfEEviiiT16_PT17_ilSA_ilS8_SA_ilPT18_ili26rocblas_geam_ex_operation_,"axG",@progbits,_ZN12_GLOBAL__N_120geam_min_plus_kernelIf15HIP_vector_typeIfLj2EEfLi32ELi8ELi128ELi128ELi4ELi4ELi64ELi4ELi64ELc84ELc78ELb0ELb0ELb1EfKPKfKPfEEviiiT16_PT17_ilSA_ilS8_SA_ilPT18_ili26rocblas_geam_ex_operation_,comdat
	.globl	_ZN12_GLOBAL__N_120geam_min_plus_kernelIf15HIP_vector_typeIfLj2EEfLi32ELi8ELi128ELi128ELi4ELi4ELi64ELi4ELi64ELc84ELc78ELb0ELb0ELb1EfKPKfKPfEEviiiT16_PT17_ilSA_ilS8_SA_ilPT18_ili26rocblas_geam_ex_operation_ ; -- Begin function _ZN12_GLOBAL__N_120geam_min_plus_kernelIf15HIP_vector_typeIfLj2EEfLi32ELi8ELi128ELi128ELi4ELi4ELi64ELi4ELi64ELc84ELc78ELb0ELb0ELb1EfKPKfKPfEEviiiT16_PT17_ilSA_ilS8_SA_ilPT18_ili26rocblas_geam_ex_operation_
	.p2align	8
	.type	_ZN12_GLOBAL__N_120geam_min_plus_kernelIf15HIP_vector_typeIfLj2EEfLi32ELi8ELi128ELi128ELi4ELi4ELi64ELi4ELi64ELc84ELc78ELb0ELb0ELb1EfKPKfKPfEEviiiT16_PT17_ilSA_ilS8_SA_ilPT18_ili26rocblas_geam_ex_operation_,@function
_ZN12_GLOBAL__N_120geam_min_plus_kernelIf15HIP_vector_typeIfLj2EEfLi32ELi8ELi128ELi128ELi4ELi4ELi64ELi4ELi64ELc84ELc78ELb0ELb0ELb1EfKPKfKPfEEviiiT16_PT17_ilSA_ilS8_SA_ilPT18_ili26rocblas_geam_ex_operation_: ; @_ZN12_GLOBAL__N_120geam_min_plus_kernelIf15HIP_vector_typeIfLj2EEfLi32ELi8ELi128ELi128ELi4ELi4ELi64ELi4ELi64ELc84ELc78ELb0ELb0ELb1EfKPKfKPfEEviiiT16_PT17_ilSA_ilS8_SA_ilPT18_ili26rocblas_geam_ex_operation_
; %bb.0:
	s_load_dwordx2 s[18:19], s[0:1], 0x8
	s_load_dwordx4 s[8:11], s[0:1], 0x20
	s_mov_b32 s6, s3
	s_mov_b32 s7, 0
	s_waitcnt lgkmcnt(0)
	v_cmp_eq_f32_e64 s[12:13], s19, 0
	s_and_b64 s[4:5], exec, s[12:13]
	s_mov_b64 vcc, s[4:5]
	s_cbranch_vccnz .LBB11_3
; %bb.1:
	s_load_dwordx2 s[14:15], s[0:1], 0x10
	s_lshl_b64 s[16:17], s[6:7], 3
	s_waitcnt lgkmcnt(0)
	s_add_u32 s14, s14, s16
	s_addc_u32 s15, s15, s17
	s_load_dwordx2 s[14:15], s[14:15], 0x0
	s_lshl_b64 s[8:9], s[8:9], 2
	s_waitcnt lgkmcnt(0)
	s_add_u32 s20, s14, s8
	s_addc_u32 s21, s15, s9
	s_andn2_b64 vcc, exec, s[12:13]
	s_cbranch_vccnz .LBB11_4
.LBB11_2:
	s_mov_b32 s27, 0
	s_mov_b32 s26, s6
	s_mov_b64 s[16:17], 0
	s_mov_b64 s[22:23], 0
	s_cbranch_execz .LBB11_5
	s_branch .LBB11_6
.LBB11_3:
	s_mov_b64 s[20:21], 0
	s_andn2_b64 vcc, exec, s[12:13]
	s_cbranch_vccz .LBB11_2
.LBB11_4:
	s_mov_b64 s[26:27], s[6:7]
	s_mov_b64 s[16:17], 0
	;; [unrolled: 1-line block ×3, first 2 shown]
.LBB11_5:
	s_lshl_b64 s[6:7], s[6:7], 3
	s_add_u32 s6, s10, s6
	s_load_dwordx2 s[8:9], s[0:1], 0x38
	s_addc_u32 s7, s11, s7
	s_load_dwordx2 s[6:7], s[6:7], 0x0
	s_waitcnt lgkmcnt(0)
	s_lshl_b64 s[8:9], s[8:9], 2
	s_add_u32 s22, s6, s8
	s_addc_u32 s23, s7, s9
.LBB11_6:
	s_load_dword s28, s[0:1], 0x40
	s_load_dwordx4 s[12:15], s[0:1], 0x58
	v_cmp_neq_f32_e64 s[24:25], s19, 0
	s_waitcnt lgkmcnt(0)
	v_cmp_eq_f32_e64 s[6:7], s28, 0
	s_and_b64 s[8:9], exec, s[6:7]
	s_mov_b64 vcc, s[8:9]
	s_cbranch_vccnz .LBB11_8
; %bb.7:
	s_load_dwordx2 s[6:7], s[0:1], 0x48
	s_lshl_b64 s[10:11], s[26:27], 3
	s_waitcnt lgkmcnt(0)
	s_add_u32 s6, s6, s10
	s_addc_u32 s7, s7, s11
	s_load_dwordx2 s[6:7], s[6:7], 0x0
	s_lshl_b64 s[10:11], s[12:13], 2
	s_waitcnt lgkmcnt(0)
	s_add_u32 s16, s6, s10
	s_addc_u32 s17, s7, s11
.LBB11_8:
	s_load_dword s3, s[0:1], 0x0
	s_load_dword s29, s[0:1], 0x18
	s_lshl_b64 s[6:7], s[26:27], 3
	s_add_u32 s10, s14, s6
	s_addc_u32 s11, s15, s7
	s_waitcnt lgkmcnt(0)
	s_add_i32 s3, s3, -1
	s_ashr_i32 s6, s3, 31
	s_lshr_b32 s6, s6, 25
	s_add_i32 s3, s3, s6
	s_ashr_i32 s3, s3, 7
	s_add_i32 s6, s3, 1
	v_cvt_f32_u32_e32 v1, s6
	v_and_b32_e32 v95, 0x3ff, v0
	v_bfe_u32 v96, v0, 10, 10
	v_and_b32_e32 v106, 3, v0
	v_rcp_iflag_f32_e32 v1, v1
	s_not_b32 s3, s3
	v_mov_b32_e32 v13, 0
	v_lshlrev_b32_e32 v12, 2, v106
	v_mul_f32_e32 v0, 0x4f7ffffe, v1
	v_cvt_u32_f32_e32 v0, v0
	v_lshl_add_u32 v1, v96, 5, v95
	v_lshrrev_b32_e32 v15, 2, v1
	v_lshl_add_u64 v[2:3], s[20:21], 0, v[12:13]
	v_readfirstlane_b32 s7, v0
	s_mul_i32 s3, s3, s7
	s_mul_hi_u32 s3, s7, s3
	s_add_i32 s7, s7, s3
	s_mul_hi_u32 s3, s2, s7
	s_mul_i32 s7, s3, s6
	s_sub_i32 s7, s2, s7
	s_add_i32 s12, s3, 1
	s_sub_i32 s13, s7, s6
	s_cmp_ge_u32 s7, s6
	s_cselect_b32 s3, s12, s3
	s_cselect_b32 s7, s13, s7
	s_add_i32 s12, s3, 1
	s_cmp_ge_u32 s7, s6
	s_cselect_b32 s3, s12, s3
	s_mul_i32 s6, s3, s6
	s_sub_i32 s2, s2, s6
	s_lshl_b32 s14, s2, 7
	v_cndmask_b32_e64 v0, 0, 1, s[24:25]
	v_add_u32_e32 v16, s14, v15
	v_cmp_ne_u32_e64 s[6:7], 1, v0
	s_andn2_b64 vcc, exec, s[24:25]
	s_cbranch_vccnz .LBB11_10
; %bb.9:
	v_mad_i64_i32 v[0:1], s[12:13], v16, s29, 0
	v_lshl_add_u64 v[0:1], v[0:1], 2, v[2:3]
	flat_load_dword v0, v[0:1]
	s_waitcnt vmcnt(0) lgkmcnt(0)
	v_mul_f32_e32 v13, s19, v0
.LBB11_10:
	s_load_dword s24, s[0:1], 0x30
	s_lshl_b32 s15, s3, 7
	s_mov_b64 vcc, s[4:5]
	s_cbranch_vccz .LBB11_12
; %bb.11:
	v_mov_b32_e32 v1, 0
	v_mov_b32_e32 v0, v13
	s_mov_b64 s[2:3], 0
	s_branch .LBB11_13
.LBB11_12:
	s_mov_b64 s[2:3], -1
                                        ; implicit-def: $vgpr0_vgpr1
.LBB11_13:
	v_add_u32_e32 v18, s15, v15
	v_mov_b32_e32 v14, 0
	s_andn2_b64 vcc, exec, s[2:3]
	v_add_u32_e32 v19, 64, v16
	v_add_u32_e32 v17, 64, v18
	v_mov_b32_e32 v4, 0
	v_mov_b32_e32 v5, 0
	s_cbranch_vccnz .LBB11_15
; %bb.14:
	v_mad_i64_i32 v[0:1], s[2:3], v19, s29, 0
	v_lshl_add_u64 v[0:1], v[0:1], 2, v[2:3]
	flat_load_dword v1, v[0:1]
	v_mov_b32_e32 v0, v13
	v_mov_b32_e32 v13, 0
	v_lshl_add_u64 v[4:5], s[22:23], 0, v[12:13]
	s_waitcnt lgkmcnt(0)
	v_mad_i64_i32 v[6:7], s[2:3], v18, s24, 0
	v_lshl_add_u64 v[6:7], v[6:7], 2, v[4:5]
	v_mad_i64_i32 v[8:9], s[2:3], v17, s24, 0
	v_lshl_add_u64 v[4:5], v[8:9], 2, v[4:5]
	flat_load_dword v8, v[6:7]
	flat_load_dword v9, v[4:5]
	s_waitcnt vmcnt(0)
	v_mul_f32_e32 v1, s19, v1
	s_waitcnt lgkmcnt(0)
	v_mul_f32_e32 v5, s19, v8
	v_mul_f32_e32 v4, s19, v9
.LBB11_15:
	s_and_b64 vcc, exec, s[6:7]
	s_cbranch_vccnz .LBB11_17
; %bb.16:
	v_mad_i64_i32 v[6:7], s[2:3], v16, s29, 0
	v_lshl_add_u64 v[6:7], v[6:7], 2, v[2:3]
	flat_load_dword v6, v[6:7] offset:16
	s_waitcnt vmcnt(0) lgkmcnt(0)
	v_mul_f32_e32 v14, s19, v6
.LBB11_17:
	v_mov_b32_e32 v20, 0
	s_mov_b64 vcc, s[4:5]
	s_cbranch_vccz .LBB11_19
; %bb.18:
	v_mov_b32_e32 v13, 0
	s_load_dwordx2 s[2:3], s[10:11], 0x0
	v_mov_b32_e32 v21, 0
	s_cbranch_execz .LBB11_20
	s_branch .LBB11_21
.LBB11_19:
                                        ; implicit-def: $vgpr13
	s_load_dwordx2 s[2:3], s[10:11], 0x0
	v_mov_b32_e32 v21, 0
.LBB11_20:
	v_mad_i64_i32 v[6:7], s[10:11], v19, s29, 0
	v_lshl_add_u64 v[2:3], v[6:7], 2, v[2:3]
	v_mov_b32_e32 v13, 0
	flat_load_dword v10, v[2:3] offset:16
	v_lshl_add_u64 v[2:3], s[22:23], 0, v[12:13]
	s_waitcnt lgkmcnt(0)
	v_mad_i64_i32 v[6:7], s[10:11], v18, s24, 0
	v_lshl_add_u64 v[6:7], v[6:7], 2, v[2:3]
	v_mad_i64_i32 v[8:9], s[10:11], v17, s24, 0
	v_lshl_add_u64 v[2:3], v[8:9], 2, v[2:3]
	flat_load_dword v8, v[6:7] offset:16
	flat_load_dword v9, v[2:3] offset:16
	s_waitcnt vmcnt(0)
	v_mul_f32_e32 v13, s19, v10
	s_waitcnt lgkmcnt(0)
	v_mul_f32_e32 v21, s19, v8
	v_mul_f32_e32 v20, s19, v9
.LBB11_21:
	v_lshlrev_b32_e32 v2, 4, v15
	v_lshl_or_b32 v107, v106, 2, v2
	ds_write2st64_b32 v107, v0, v1 offset1:4
	v_mov_b32_e32 v0, 0x1000
	v_add_u32_e32 v108, 0x1000, v107
	v_lshlrev_b32_e32 v109, 4, v95
	v_lshl_add_u32 v110, v96, 4, v0
	v_mov_b32_e32 v105, 0x7f7fffff
	s_mov_b32 s12, 0
	s_mov_b64 s[10:11], -1
	v_mov_b32_e32 v104, 0x7f7fffff
	v_mov_b32_e32 v103, 0x7f7fffff
	;; [unrolled: 1-line block ×63, first 2 shown]
	ds_write2st64_b32 v107, v5, v4 offset0:16 offset1:20
	s_waitcnt lgkmcnt(0)
	s_barrier
.LBB11_22:                              ; =>This Inner Loop Header: Depth=1
	v_cndmask_b32_e64 v0, 0, 1, s[10:11]
	s_lshl_b32 s10, s12, 2
	v_cmp_ne_u32_e32 vcc, 1, v0
	v_add_u32_e32 v0, s10, v109
	ds_read2st64_b64 v[4:7], v0 offset1:1
	ds_read2st64_b64 v[0:3], v0 offset0:2 offset1:3
	v_add_u32_e32 v8, s10, v110
	ds_read2_b64 v[22:25], v8 offset1:16
	ds_read2_b64 v[26:29], v8 offset0:32 offset1:48
	ds_read2_b64 v[30:33], v8 offset0:64 offset1:80
	;; [unrolled: 1-line block ×7, first 2 shown]
	s_mov_b64 s[10:11], 0
	s_waitcnt lgkmcnt(7)
	v_pk_add_f32 v[38:39], v[4:5], v[22:23]
	s_and_b64 vcc, exec, vcc
	v_min3_f32 v105, v38, v39, v105
	v_pk_add_f32 v[38:39], v[6:7], v[22:23]
	s_mov_b32 s12, 2
	v_min3_f32 v104, v38, v39, v104
	v_pk_add_f32 v[38:39], v[0:1], v[22:23]
	v_pk_add_f32 v[22:23], v[2:3], v[22:23]
	v_min3_f32 v103, v38, v39, v103
	v_min3_f32 v102, v22, v23, v102
	v_pk_add_f32 v[22:23], v[4:5], v[24:25]
	s_nop 0
	v_min3_f32 v101, v22, v23, v101
	v_pk_add_f32 v[22:23], v[6:7], v[24:25]
	s_nop 0
	v_min3_f32 v100, v22, v23, v100
	v_pk_add_f32 v[22:23], v[0:1], v[24:25]
	s_nop 0
	v_min3_f32 v99, v22, v23, v99
	v_pk_add_f32 v[22:23], v[2:3], v[24:25]
	s_nop 0
	v_min3_f32 v98, v22, v23, v98
	s_waitcnt lgkmcnt(6)
	v_pk_add_f32 v[22:23], v[4:5], v[26:27]
	s_nop 0
	v_min3_f32 v97, v22, v23, v97
	v_pk_add_f32 v[22:23], v[6:7], v[26:27]
	s_nop 0
	v_min3_f32 v94, v22, v23, v94
	v_pk_add_f32 v[22:23], v[0:1], v[26:27]
	s_nop 0
	v_min3_f32 v93, v22, v23, v93
	v_pk_add_f32 v[22:23], v[2:3], v[26:27]
	s_nop 0
	v_min3_f32 v92, v22, v23, v92
	v_pk_add_f32 v[22:23], v[4:5], v[28:29]
	s_nop 0
	v_min3_f32 v91, v22, v23, v91
	v_pk_add_f32 v[22:23], v[6:7], v[28:29]
	s_nop 0
	v_min3_f32 v90, v22, v23, v90
	v_pk_add_f32 v[22:23], v[0:1], v[28:29]
	s_nop 0
	v_min3_f32 v89, v22, v23, v89
	v_pk_add_f32 v[22:23], v[2:3], v[28:29]
	s_nop 0
	v_min3_f32 v88, v22, v23, v88
	s_waitcnt lgkmcnt(5)
	v_pk_add_f32 v[22:23], v[4:5], v[30:31]
	s_nop 0
	v_min3_f32 v87, v22, v23, v87
	v_pk_add_f32 v[22:23], v[6:7], v[30:31]
	s_nop 0
	v_min3_f32 v86, v22, v23, v86
	v_pk_add_f32 v[22:23], v[0:1], v[30:31]
	s_nop 0
	v_min3_f32 v85, v22, v23, v85
	v_pk_add_f32 v[22:23], v[2:3], v[30:31]
	s_nop 0
	;; [unrolled: 25-line block ×6, first 2 shown]
	v_min3_f32 v52, v22, v23, v52
	v_pk_add_f32 v[22:23], v[4:5], v[122:123]
	s_nop 0
	v_min3_f32 v51, v22, v23, v51
	v_pk_add_f32 v[22:23], v[6:7], v[122:123]
	s_nop 0
	;; [unrolled: 3-line block ×4, first 2 shown]
	v_min3_f32 v48, v22, v23, v48
	s_waitcnt lgkmcnt(0)
	v_pk_add_f32 v[22:23], v[4:5], v[8:9]
	v_pk_add_f32 v[4:5], v[4:5], v[10:11]
	v_min3_f32 v47, v22, v23, v47
	v_pk_add_f32 v[22:23], v[6:7], v[8:9]
	v_min3_f32 v43, v4, v5, v43
	v_min3_f32 v46, v22, v23, v46
	v_pk_add_f32 v[22:23], v[0:1], v[8:9]
	v_pk_add_f32 v[0:1], v[0:1], v[10:11]
	;; [unrolled: 1-line block ×4, first 2 shown]
	v_min3_f32 v41, v0, v1, v41
	v_pk_add_f32 v[0:1], v[2:3], v[10:11]
	v_min3_f32 v45, v22, v23, v45
	v_min3_f32 v44, v8, v9, v44
	;; [unrolled: 1-line block ×4, first 2 shown]
	s_cbranch_vccz .LBB11_22
; %bb.23:
	v_lshl_or_b32 v0, v15, 4, v12
	s_cmp_lt_i32 s18, 9
	ds_write2st64_b32 v0, v14, v13 offset0:8 offset1:12
	ds_write2st64_b32 v0, v21, v20 offset0:24 offset1:28
	s_waitcnt lgkmcnt(0)
	s_barrier
	s_cbranch_scc1 .LBB11_42
; %bb.24:
	v_add_u32_e32 v111, 0x800, v0
	v_add_u32_e32 v112, 0x1800, v0
	v_mov_b32_e32 v0, 0x800
	v_lshl_add_u32 v113, v95, 4, v0
	v_mov_b32_e32 v0, 0x1800
	s_add_i32 s12, s18, -8
	v_mad_i64_i32 v[20:21], s[10:11], v16, s29, 0
	v_mad_i64_i32 v[22:23], s[10:11], v19, s29, 0
	;; [unrolled: 1-line block ×4, first 2 shown]
	v_lshl_add_u32 v114, v96, 4, v0
	s_mov_b32 s13, 8
	s_mov_b32 s18, 0
	v_mov_b32_e32 v29, 0
.LBB11_25:                              ; =>This Loop Header: Depth=1
                                        ;     Child Loop BB11_32 Depth 2
                                        ;     Child Loop BB11_39 Depth 2
	v_or_b32_e32 v28, s13, v106
	v_lshl_add_u64 v[0:1], v[28:29], 2, s[20:21]
	s_and_b64 vcc, exec, s[6:7]
	v_lshl_add_u64 v[34:35], v[20:21], 2, v[0:1]
	v_mov_b32_e32 v36, v29
	s_cbranch_vccnz .LBB11_27
; %bb.26:                               ;   in Loop: Header=BB11_25 Depth=1
	flat_load_dword v2, v[34:35]
	s_waitcnt vmcnt(0) lgkmcnt(0)
	v_mul_f32_e32 v36, s19, v2
.LBB11_27:                              ;   in Loop: Header=BB11_25 Depth=1
	s_mov_b64 s[10:11], -1
	s_mov_b64 vcc, s[4:5]
                                        ; implicit-def: $vgpr38_vgpr39
                                        ; implicit-def: $vgpr37
	s_cbranch_vccz .LBB11_29
; %bb.28:                               ;   in Loop: Header=BB11_25 Depth=1
	v_mov_b32_e32 v37, v29
	v_mov_b32_e32 v38, v29
	s_mov_b64 s[10:11], 0
.LBB11_29:                              ;   in Loop: Header=BB11_25 Depth=1
	v_mov_b32_e32 v39, 0
	s_andn2_b64 vcc, exec, s[10:11]
	v_lshl_add_u64 v[32:33], v[22:23], 2, v[0:1]
	v_lshl_add_u64 v[30:31], v[28:29], 2, s[22:23]
	s_cbranch_vccnz .LBB11_31
; %bb.30:                               ;   in Loop: Header=BB11_25 Depth=1
	v_lshl_add_u64 v[0:1], v[24:25], 2, v[30:31]
	flat_load_dword v4, v[32:33]
	v_lshl_add_u64 v[2:3], v[26:27], 2, v[30:31]
	flat_load_dword v5, v[0:1]
	flat_load_dword v6, v[2:3]
	s_waitcnt vmcnt(0) lgkmcnt(0)
	v_mul_f32_e32 v37, s19, v4
	v_mul_f32_e32 v38, s19, v5
	;; [unrolled: 1-line block ×3, first 2 shown]
.LBB11_31:                              ;   in Loop: Header=BB11_25 Depth=1
	s_mov_b32 s24, 0
	s_mov_b64 s[10:11], -1
.LBB11_32:                              ;   Parent Loop BB11_25 Depth=1
                                        ; =>  This Inner Loop Header: Depth=2
	v_cndmask_b32_e64 v0, 0, 1, s[10:11]
	s_lshl_b32 s10, s24, 2
	v_cmp_ne_u32_e32 vcc, 1, v0
	v_add_u32_e32 v0, s10, v113
	ds_read2st64_b64 v[4:7], v0 offset1:1
	ds_read2st64_b64 v[0:3], v0 offset0:2 offset1:3
	v_add_u32_e32 v8, s10, v114
	ds_read2_b64 v[116:119], v8 offset1:16
	ds_read2_b64 v[120:123], v8 offset0:32 offset1:48
	ds_read2_b64 v[124:127], v8 offset0:64 offset1:80
	;; [unrolled: 1-line block ×7, first 2 shown]
	s_mov_b64 s[10:11], 0
	s_waitcnt lgkmcnt(7)
	v_pk_add_f32 v[136:137], v[4:5], v[116:117]
	s_and_b64 vcc, exec, vcc
	v_min3_f32 v105, v136, v137, v105
	v_pk_add_f32 v[136:137], v[6:7], v[116:117]
	s_mov_b32 s24, 2
	v_min3_f32 v104, v136, v137, v104
	v_pk_add_f32 v[136:137], v[0:1], v[116:117]
	v_pk_add_f32 v[116:117], v[2:3], v[116:117]
	v_min3_f32 v103, v136, v137, v103
	v_min3_f32 v102, v116, v117, v102
	v_pk_add_f32 v[116:117], v[4:5], v[118:119]
	s_nop 0
	v_min3_f32 v101, v116, v117, v101
	v_pk_add_f32 v[116:117], v[6:7], v[118:119]
	s_nop 0
	v_min3_f32 v100, v116, v117, v100
	v_pk_add_f32 v[116:117], v[0:1], v[118:119]
	s_nop 0
	v_min3_f32 v99, v116, v117, v99
	v_pk_add_f32 v[116:117], v[2:3], v[118:119]
	s_nop 0
	v_min3_f32 v98, v116, v117, v98
	s_waitcnt lgkmcnt(6)
	v_pk_add_f32 v[116:117], v[4:5], v[120:121]
	s_nop 0
	v_min3_f32 v97, v116, v117, v97
	v_pk_add_f32 v[116:117], v[6:7], v[120:121]
	s_nop 0
	v_min3_f32 v94, v116, v117, v94
	v_pk_add_f32 v[116:117], v[0:1], v[120:121]
	s_nop 0
	v_min3_f32 v93, v116, v117, v93
	v_pk_add_f32 v[116:117], v[2:3], v[120:121]
	s_nop 0
	v_min3_f32 v92, v116, v117, v92
	v_pk_add_f32 v[116:117], v[4:5], v[122:123]
	s_nop 0
	v_min3_f32 v91, v116, v117, v91
	v_pk_add_f32 v[116:117], v[6:7], v[122:123]
	s_nop 0
	v_min3_f32 v90, v116, v117, v90
	v_pk_add_f32 v[116:117], v[0:1], v[122:123]
	s_nop 0
	v_min3_f32 v89, v116, v117, v89
	v_pk_add_f32 v[116:117], v[2:3], v[122:123]
	s_nop 0
	v_min3_f32 v88, v116, v117, v88
	s_waitcnt lgkmcnt(5)
	v_pk_add_f32 v[116:117], v[4:5], v[124:125]
	s_nop 0
	v_min3_f32 v87, v116, v117, v87
	v_pk_add_f32 v[116:117], v[6:7], v[124:125]
	s_nop 0
	v_min3_f32 v86, v116, v117, v86
	v_pk_add_f32 v[116:117], v[0:1], v[124:125]
	s_nop 0
	v_min3_f32 v85, v116, v117, v85
	v_pk_add_f32 v[116:117], v[2:3], v[124:125]
	s_nop 0
	;; [unrolled: 25-line block ×4, first 2 shown]
	v_min3_f32 v68, v116, v117, v68
	v_pk_add_f32 v[116:117], v[4:5], v[134:135]
	s_nop 0
	v_min3_f32 v67, v116, v117, v67
	v_pk_add_f32 v[116:117], v[6:7], v[134:135]
	s_nop 0
	;; [unrolled: 3-line block ×4, first 2 shown]
	v_min3_f32 v64, v116, v117, v64
	s_waitcnt lgkmcnt(2)
	v_pk_add_f32 v[116:117], v[4:5], v[16:17]
	s_nop 0
	v_min3_f32 v63, v116, v117, v63
	v_pk_add_f32 v[116:117], v[6:7], v[16:17]
	s_nop 0
	v_min3_f32 v62, v116, v117, v62
	v_pk_add_f32 v[116:117], v[0:1], v[16:17]
	v_pk_add_f32 v[16:17], v[2:3], v[16:17]
	v_min3_f32 v61, v116, v117, v61
	v_min3_f32 v60, v16, v17, v60
	v_pk_add_f32 v[16:17], v[4:5], v[18:19]
	s_nop 0
	v_min3_f32 v59, v16, v17, v59
	v_pk_add_f32 v[16:17], v[6:7], v[18:19]
	s_nop 0
	;; [unrolled: 3-line block ×4, first 2 shown]
	v_min3_f32 v56, v16, v17, v56
	s_waitcnt lgkmcnt(1)
	v_pk_add_f32 v[16:17], v[4:5], v[12:13]
	s_nop 0
	v_min3_f32 v55, v16, v17, v55
	v_pk_add_f32 v[16:17], v[6:7], v[12:13]
	s_nop 0
	v_min3_f32 v54, v16, v17, v54
	v_pk_add_f32 v[16:17], v[0:1], v[12:13]
	v_pk_add_f32 v[12:13], v[2:3], v[12:13]
	v_min3_f32 v53, v16, v17, v53
	v_min3_f32 v52, v12, v13, v52
	v_pk_add_f32 v[12:13], v[4:5], v[14:15]
	s_nop 0
	v_min3_f32 v51, v12, v13, v51
	v_pk_add_f32 v[12:13], v[6:7], v[14:15]
	s_nop 0
	;; [unrolled: 3-line block ×4, first 2 shown]
	v_min3_f32 v48, v12, v13, v48
	s_waitcnt lgkmcnt(0)
	v_pk_add_f32 v[12:13], v[4:5], v[8:9]
	v_pk_add_f32 v[4:5], v[4:5], v[10:11]
	v_min3_f32 v47, v12, v13, v47
	v_pk_add_f32 v[12:13], v[6:7], v[8:9]
	v_min3_f32 v43, v4, v5, v43
	v_min3_f32 v46, v12, v13, v46
	v_pk_add_f32 v[12:13], v[0:1], v[8:9]
	v_pk_add_f32 v[0:1], v[0:1], v[10:11]
	;; [unrolled: 1-line block ×4, first 2 shown]
	v_min3_f32 v41, v0, v1, v41
	v_pk_add_f32 v[0:1], v[2:3], v[10:11]
	v_min3_f32 v45, v12, v13, v45
	v_min3_f32 v44, v8, v9, v44
	;; [unrolled: 1-line block ×4, first 2 shown]
	s_cbranch_vccz .LBB11_32
; %bb.33:                               ;   in Loop: Header=BB11_25 Depth=1
	s_and_b64 vcc, exec, s[6:7]
	ds_write2st64_b32 v107, v36, v37 offset1:4
	ds_write2st64_b32 v108, v38, v39 offset1:4
	s_waitcnt lgkmcnt(0)
	s_barrier
	s_cbranch_vccnz .LBB11_41
; %bb.34:                               ;   in Loop: Header=BB11_25 Depth=1
	flat_load_dword v0, v[34:35] offset:16
	s_waitcnt vmcnt(0) lgkmcnt(0)
	v_mul_f32_e32 v12, s19, v0
	s_mov_b64 s[10:11], -1
	s_mov_b64 vcc, s[4:5]
                                        ; implicit-def: $vgpr14_vgpr15
                                        ; implicit-def: $vgpr13
	s_cbranch_vccz .LBB11_36
.LBB11_35:                              ;   in Loop: Header=BB11_25 Depth=1
	v_mov_b32_e32 v13, v29
	v_mov_b32_e32 v14, v29
	s_mov_b64 s[10:11], 0
.LBB11_36:                              ;   in Loop: Header=BB11_25 Depth=1
	s_andn2_b64 vcc, exec, s[10:11]
	v_mov_b32_e32 v15, 0
	s_cbranch_vccnz .LBB11_38
; %bb.37:                               ;   in Loop: Header=BB11_25 Depth=1
	v_lshl_add_u64 v[0:1], v[24:25], 2, v[30:31]
	flat_load_dword v4, v[32:33] offset:16
	v_lshl_add_u64 v[2:3], v[26:27], 2, v[30:31]
	flat_load_dword v5, v[0:1] offset:16
	flat_load_dword v6, v[2:3] offset:16
	s_waitcnt vmcnt(0) lgkmcnt(0)
	v_mul_f32_e32 v13, s19, v4
	v_mul_f32_e32 v14, s19, v5
	;; [unrolled: 1-line block ×3, first 2 shown]
.LBB11_38:                              ;   in Loop: Header=BB11_25 Depth=1
	s_mov_b32 s24, 0
	s_mov_b64 s[10:11], -1
.LBB11_39:                              ;   Parent Loop BB11_25 Depth=1
                                        ; =>  This Inner Loop Header: Depth=2
	v_cndmask_b32_e64 v0, 0, 1, s[10:11]
	s_lshl_b32 s10, s24, 2
	v_cmp_ne_u32_e32 vcc, 1, v0
	v_add_u32_e32 v0, s10, v109
	ds_read2st64_b64 v[4:7], v0 offset1:1
	ds_read2st64_b64 v[0:3], v0 offset0:2 offset1:3
	v_add_u32_e32 v8, s10, v110
	ds_read2_b64 v[16:19], v8 offset1:16
	ds_read2_b64 v[30:33], v8 offset0:32 offset1:48
	ds_read2_b64 v[34:37], v8 offset0:64 offset1:80
	;; [unrolled: 1-line block ×7, first 2 shown]
	s_mov_b64 s[10:11], 0
	s_waitcnt lgkmcnt(7)
	v_pk_add_f32 v[38:39], v[4:5], v[16:17]
	s_and_b64 vcc, exec, vcc
	v_min3_f32 v105, v38, v39, v105
	v_pk_add_f32 v[38:39], v[6:7], v[16:17]
	s_mov_b32 s24, 2
	v_min3_f32 v104, v38, v39, v104
	v_pk_add_f32 v[38:39], v[0:1], v[16:17]
	v_pk_add_f32 v[16:17], v[2:3], v[16:17]
	v_min3_f32 v103, v38, v39, v103
	v_min3_f32 v102, v16, v17, v102
	v_pk_add_f32 v[16:17], v[4:5], v[18:19]
	s_nop 0
	v_min3_f32 v101, v16, v17, v101
	v_pk_add_f32 v[16:17], v[6:7], v[18:19]
	s_nop 0
	v_min3_f32 v100, v16, v17, v100
	v_pk_add_f32 v[16:17], v[0:1], v[18:19]
	s_nop 0
	v_min3_f32 v99, v16, v17, v99
	v_pk_add_f32 v[16:17], v[2:3], v[18:19]
	s_nop 0
	v_min3_f32 v98, v16, v17, v98
	s_waitcnt lgkmcnt(6)
	v_pk_add_f32 v[16:17], v[4:5], v[30:31]
	s_nop 0
	v_min3_f32 v97, v16, v17, v97
	v_pk_add_f32 v[16:17], v[6:7], v[30:31]
	s_nop 0
	v_min3_f32 v94, v16, v17, v94
	v_pk_add_f32 v[16:17], v[0:1], v[30:31]
	s_nop 0
	v_min3_f32 v93, v16, v17, v93
	v_pk_add_f32 v[16:17], v[2:3], v[30:31]
	s_nop 0
	v_min3_f32 v92, v16, v17, v92
	v_pk_add_f32 v[16:17], v[4:5], v[32:33]
	s_nop 0
	v_min3_f32 v91, v16, v17, v91
	v_pk_add_f32 v[16:17], v[6:7], v[32:33]
	s_nop 0
	v_min3_f32 v90, v16, v17, v90
	v_pk_add_f32 v[16:17], v[0:1], v[32:33]
	s_nop 0
	v_min3_f32 v89, v16, v17, v89
	v_pk_add_f32 v[16:17], v[2:3], v[32:33]
	s_nop 0
	v_min3_f32 v88, v16, v17, v88
	s_waitcnt lgkmcnt(5)
	v_pk_add_f32 v[16:17], v[4:5], v[34:35]
	s_nop 0
	v_min3_f32 v87, v16, v17, v87
	v_pk_add_f32 v[16:17], v[6:7], v[34:35]
	s_nop 0
	v_min3_f32 v86, v16, v17, v86
	v_pk_add_f32 v[16:17], v[0:1], v[34:35]
	s_nop 0
	v_min3_f32 v85, v16, v17, v85
	v_pk_add_f32 v[16:17], v[2:3], v[34:35]
	s_nop 0
	;; [unrolled: 25-line block ×6, first 2 shown]
	v_min3_f32 v52, v16, v17, v52
	v_pk_add_f32 v[16:17], v[4:5], v[130:131]
	s_nop 0
	v_min3_f32 v51, v16, v17, v51
	v_pk_add_f32 v[16:17], v[6:7], v[130:131]
	s_nop 0
	;; [unrolled: 3-line block ×4, first 2 shown]
	v_min3_f32 v48, v16, v17, v48
	s_waitcnt lgkmcnt(0)
	v_pk_add_f32 v[16:17], v[4:5], v[8:9]
	v_pk_add_f32 v[4:5], v[4:5], v[10:11]
	v_min3_f32 v47, v16, v17, v47
	v_pk_add_f32 v[16:17], v[6:7], v[8:9]
	v_min3_f32 v43, v4, v5, v43
	v_min3_f32 v46, v16, v17, v46
	v_pk_add_f32 v[16:17], v[0:1], v[8:9]
	v_pk_add_f32 v[0:1], v[0:1], v[10:11]
	;; [unrolled: 1-line block ×4, first 2 shown]
	v_min3_f32 v41, v0, v1, v41
	v_pk_add_f32 v[0:1], v[2:3], v[10:11]
	v_min3_f32 v45, v16, v17, v45
	v_min3_f32 v44, v8, v9, v44
	v_min3_f32 v42, v4, v5, v42
	v_min3_f32 v40, v0, v1, v40
	s_cbranch_vccz .LBB11_39
; %bb.40:                               ;   in Loop: Header=BB11_25 Depth=1
	s_add_i32 s13, s13, 8
	s_add_i32 s18, s18, 8
	s_cmp_ge_i32 s18, s12
	ds_write2st64_b32 v111, v12, v13 offset1:4
	ds_write2st64_b32 v112, v14, v15 offset1:4
	s_waitcnt lgkmcnt(0)
	s_barrier
	s_cbranch_scc0 .LBB11_25
	s_branch .LBB11_42
.LBB11_41:                              ;   in Loop: Header=BB11_25 Depth=1
	v_mov_b32_e32 v12, 0
	s_mov_b64 s[10:11], -1
	s_mov_b64 vcc, s[4:5]
                                        ; implicit-def: $vgpr14_vgpr15
                                        ; implicit-def: $vgpr13
	s_cbranch_vccz .LBB11_36
	s_branch .LBB11_35
.LBB11_42:
	v_mov_b32_e32 v0, 0x800
	v_lshl_add_u32 v12, v95, 4, v0
	v_mov_b32_e32 v0, 0x1800
	v_lshl_add_u32 v13, v96, 4, v0
	s_mov_b32 s6, 0
	s_mov_b64 s[4:5], -1
.LBB11_43:                              ; =>This Inner Loop Header: Depth=1
	v_cndmask_b32_e64 v0, 0, 1, s[4:5]
	s_lshl_b32 s4, s6, 2
	v_cmp_ne_u32_e32 vcc, 1, v0
	v_add_u32_e32 v0, s4, v12
	ds_read2st64_b64 v[4:7], v0 offset1:1
	ds_read2st64_b64 v[0:3], v0 offset0:2 offset1:3
	v_add_u32_e32 v8, s4, v13
	ds_read2_b64 v[14:17], v8 offset1:16
	ds_read2_b64 v[18:21], v8 offset0:32 offset1:48
	ds_read2_b64 v[22:25], v8 offset0:64 offset1:80
	;; [unrolled: 1-line block ×7, first 2 shown]
	s_mov_b64 s[4:5], 0
	s_waitcnt lgkmcnt(7)
	v_pk_add_f32 v[38:39], v[4:5], v[14:15]
	s_and_b64 vcc, exec, vcc
	v_min3_f32 v105, v38, v39, v105
	v_pk_add_f32 v[38:39], v[6:7], v[14:15]
	s_mov_b32 s6, 2
	v_min3_f32 v104, v38, v39, v104
	v_pk_add_f32 v[38:39], v[0:1], v[14:15]
	v_pk_add_f32 v[14:15], v[2:3], v[14:15]
	v_min3_f32 v103, v38, v39, v103
	v_min3_f32 v102, v14, v15, v102
	v_pk_add_f32 v[14:15], v[4:5], v[16:17]
	s_nop 0
	v_min3_f32 v101, v14, v15, v101
	v_pk_add_f32 v[14:15], v[6:7], v[16:17]
	s_nop 0
	v_min3_f32 v100, v14, v15, v100
	v_pk_add_f32 v[14:15], v[0:1], v[16:17]
	s_nop 0
	v_min3_f32 v99, v14, v15, v99
	v_pk_add_f32 v[14:15], v[2:3], v[16:17]
	s_nop 0
	v_min3_f32 v98, v14, v15, v98
	s_waitcnt lgkmcnt(6)
	v_pk_add_f32 v[14:15], v[4:5], v[18:19]
	s_nop 0
	v_min3_f32 v97, v14, v15, v97
	v_pk_add_f32 v[14:15], v[6:7], v[18:19]
	s_nop 0
	v_min3_f32 v94, v14, v15, v94
	v_pk_add_f32 v[14:15], v[0:1], v[18:19]
	s_nop 0
	v_min3_f32 v93, v14, v15, v93
	v_pk_add_f32 v[14:15], v[2:3], v[18:19]
	s_nop 0
	v_min3_f32 v92, v14, v15, v92
	v_pk_add_f32 v[14:15], v[4:5], v[20:21]
	s_nop 0
	v_min3_f32 v91, v14, v15, v91
	v_pk_add_f32 v[14:15], v[6:7], v[20:21]
	s_nop 0
	v_min3_f32 v90, v14, v15, v90
	v_pk_add_f32 v[14:15], v[0:1], v[20:21]
	s_nop 0
	v_min3_f32 v89, v14, v15, v89
	v_pk_add_f32 v[14:15], v[2:3], v[20:21]
	s_nop 0
	v_min3_f32 v88, v14, v15, v88
	s_waitcnt lgkmcnt(5)
	v_pk_add_f32 v[14:15], v[4:5], v[22:23]
	s_nop 0
	v_min3_f32 v87, v14, v15, v87
	v_pk_add_f32 v[14:15], v[6:7], v[22:23]
	s_nop 0
	v_min3_f32 v86, v14, v15, v86
	v_pk_add_f32 v[14:15], v[0:1], v[22:23]
	s_nop 0
	v_min3_f32 v85, v14, v15, v85
	v_pk_add_f32 v[14:15], v[2:3], v[22:23]
	s_nop 0
	;; [unrolled: 25-line block ×6, first 2 shown]
	v_min3_f32 v52, v14, v15, v52
	v_pk_add_f32 v[14:15], v[4:5], v[108:109]
	s_nop 0
	v_min3_f32 v51, v14, v15, v51
	v_pk_add_f32 v[14:15], v[6:7], v[108:109]
	s_nop 0
	;; [unrolled: 3-line block ×4, first 2 shown]
	v_min3_f32 v48, v14, v15, v48
	s_waitcnt lgkmcnt(0)
	v_pk_add_f32 v[14:15], v[4:5], v[8:9]
	v_pk_add_f32 v[4:5], v[4:5], v[10:11]
	v_min3_f32 v47, v14, v15, v47
	v_pk_add_f32 v[14:15], v[6:7], v[8:9]
	v_min3_f32 v43, v4, v5, v43
	v_min3_f32 v46, v14, v15, v46
	v_pk_add_f32 v[14:15], v[0:1], v[8:9]
	v_pk_add_f32 v[0:1], v[0:1], v[10:11]
	;; [unrolled: 1-line block ×4, first 2 shown]
	v_min3_f32 v41, v0, v1, v41
	v_pk_add_f32 v[0:1], v[2:3], v[10:11]
	v_min3_f32 v45, v14, v15, v45
	v_min3_f32 v44, v8, v9, v44
	;; [unrolled: 1-line block ×4, first 2 shown]
	s_cbranch_vccz .LBB11_43
; %bb.44:
	s_load_dwordx2 s[6:7], s[0:1], 0x70
	s_load_dword s4, s[0:1], 0x50
	s_load_dword s5, s[0:1], 0x68
	v_add_u32_e32 v16, s15, v96
	v_add_u32_e32 v4, s14, v95
	s_waitcnt lgkmcnt(0)
	s_lshl_b64 s[0:1], s[6:7], 2
	s_add_u32 s0, s2, s0
	s_addc_u32 s1, s3, s1
	v_mad_i64_i32 v[2:3], s[2:3], v16, s5, 0
	v_add_u32_e32 v0, 32, v4
	v_lshl_add_u64 v[12:13], v[2:3], 2, s[0:1]
	v_mad_i64_i32 v[2:3], s[2:3], v16, s4, 0
	v_ashrrev_i32_e32 v5, 31, v4
	v_ashrrev_i32_e32 v1, 31, v0
	s_mov_b64 s[2:3], -1
	v_max_f32_e32 v6, v105, v105
	s_mov_b64 vcc, s[8:9]
	s_cbranch_vccz .LBB11_46
; %bb.45:
	v_min_f32_e32 v7, 0, v6
	v_lshl_add_u64 v[8:9], v[4:5], 2, v[12:13]
	flat_store_dword v[8:9], v7
	s_mov_b64 s[2:3], 0
.LBB11_46:
	v_lshl_add_u64 v[14:15], v[2:3], 2, s[16:17]
	v_mov_b32_e32 v10, 0
	s_andn2_b64 vcc, exec, s[2:3]
	v_lshlrev_b64 v[8:9], 2, v[4:5]
	s_cbranch_vccnz .LBB11_48
; %bb.47:
	v_lshl_add_u64 v[2:3], v[14:15], 0, v[8:9]
	flat_load_dword v7, v[2:3]
	v_lshl_add_u64 v[2:3], v[12:13], 0, v[8:9]
	s_waitcnt vmcnt(0) lgkmcnt(0)
	v_mul_f32_e32 v7, s28, v7
	v_min_f32_e32 v6, v7, v6
	flat_store_dword v[2:3], v6
	v_lshl_add_u64 v[2:3], v[0:1], 2, v[14:15]
	flat_load_dword v2, v[2:3]
	s_waitcnt vmcnt(0) lgkmcnt(0)
	v_mul_f32_e32 v10, s28, v2
.LBB11_48:
	v_max_f32_e32 v11, v104, v104
	v_max_f32_e32 v10, v10, v10
	v_add_u32_e32 v6, 64, v4
	v_add_u32_e32 v2, 0x60, v4
	v_min_f32_e32 v17, v10, v11
	v_lshl_add_u64 v[10:11], v[0:1], 2, v[12:13]
	v_ashrrev_i32_e32 v7, 31, v6
	v_ashrrev_i32_e32 v3, 31, v2
	flat_store_dword v[10:11], v17
	s_mov_b64 s[2:3], -1
	v_max_f32_e32 v17, v103, v103
	s_mov_b64 vcc, s[8:9]
	s_cbranch_vccz .LBB11_50
; %bb.49:
	v_min_f32_e32 v18, 0, v17
	v_lshl_add_u64 v[10:11], v[6:7], 2, v[12:13]
	flat_store_dword v[10:11], v18
	s_mov_b64 s[2:3], 0
.LBB11_50:
	v_mov_b32_e32 v18, 0
	s_andn2_b64 vcc, exec, s[2:3]
	v_lshlrev_b64 v[10:11], 2, v[6:7]
	s_cbranch_vccnz .LBB11_52
; %bb.51:
	v_lshl_add_u64 v[18:19], v[14:15], 0, v[10:11]
	flat_load_dword v20, v[18:19]
	v_lshl_add_u64 v[18:19], v[12:13], 0, v[10:11]
	v_lshl_add_u64 v[14:15], v[2:3], 2, v[14:15]
	s_waitcnt vmcnt(0) lgkmcnt(0)
	v_mul_f32_e32 v20, s28, v20
	v_min_f32_e32 v17, v20, v17
	flat_store_dword v[18:19], v17
	flat_load_dword v14, v[14:15]
	s_waitcnt vmcnt(0) lgkmcnt(0)
	v_mul_f32_e32 v18, s28, v14
.LBB11_52:
	v_max_f32_e32 v14, v102, v102
	v_max_f32_e32 v15, v18, v18
	v_min_f32_e32 v14, v15, v14
	v_lshl_add_u64 v[12:13], v[2:3], 2, v[12:13]
	flat_store_dword v[12:13], v14
	v_add_u32_e32 v14, 8, v16
	v_mad_i64_i32 v[12:13], s[2:3], v14, s5, 0
	v_mad_i64_i32 v[14:15], s[2:3], v14, s4, 0
	v_lshl_add_u64 v[12:13], v[12:13], 2, s[0:1]
	s_mov_b64 s[2:3], -1
	v_max_f32_e32 v17, v101, v101
	s_mov_b64 vcc, s[8:9]
	s_cbranch_vccz .LBB11_54
; %bb.53:
	v_min_f32_e32 v20, 0, v17
	v_lshl_add_u64 v[18:19], v[4:5], 2, v[12:13]
	flat_store_dword v[18:19], v20
	s_mov_b64 s[2:3], 0
.LBB11_54:
	v_lshl_add_u64 v[14:15], v[14:15], 2, s[16:17]
	s_andn2_b64 vcc, exec, s[2:3]
	v_mov_b32_e32 v18, 0
	s_cbranch_vccnz .LBB11_56
; %bb.55:
	v_lshl_add_u64 v[18:19], v[14:15], 0, v[8:9]
	flat_load_dword v20, v[18:19]
	v_lshl_add_u64 v[18:19], v[12:13], 0, v[8:9]
	s_waitcnt vmcnt(0) lgkmcnt(0)
	v_mul_f32_e32 v20, s28, v20
	v_min_f32_e32 v17, v20, v17
	flat_store_dword v[18:19], v17
	v_lshl_add_u64 v[18:19], v[0:1], 2, v[14:15]
	flat_load_dword v17, v[18:19]
	s_waitcnt vmcnt(0) lgkmcnt(0)
	v_mul_f32_e32 v18, s28, v17
.LBB11_56:
	v_max_f32_e32 v17, v100, v100
	v_max_f32_e32 v18, v18, v18
	v_min_f32_e32 v17, v18, v17
	v_lshl_add_u64 v[18:19], v[0:1], 2, v[12:13]
	flat_store_dword v[18:19], v17
	s_mov_b64 s[2:3], -1
	v_max_f32_e32 v17, v99, v99
	s_mov_b64 vcc, s[8:9]
	s_cbranch_vccz .LBB11_58
; %bb.57:
	v_min_f32_e32 v20, 0, v17
	v_lshl_add_u64 v[18:19], v[6:7], 2, v[12:13]
	flat_store_dword v[18:19], v20
	s_mov_b64 s[2:3], 0
.LBB11_58:
	s_andn2_b64 vcc, exec, s[2:3]
	v_mov_b32_e32 v18, 0
	s_cbranch_vccnz .LBB11_60
; %bb.59:
	v_lshl_add_u64 v[18:19], v[14:15], 0, v[10:11]
	flat_load_dword v20, v[18:19]
	v_lshl_add_u64 v[18:19], v[12:13], 0, v[10:11]
	v_lshl_add_u64 v[14:15], v[2:3], 2, v[14:15]
	s_waitcnt vmcnt(0) lgkmcnt(0)
	v_mul_f32_e32 v20, s28, v20
	v_min_f32_e32 v17, v20, v17
	flat_store_dword v[18:19], v17
	flat_load_dword v14, v[14:15]
	s_waitcnt vmcnt(0) lgkmcnt(0)
	v_mul_f32_e32 v18, s28, v14
.LBB11_60:
	v_max_f32_e32 v14, v98, v98
	v_max_f32_e32 v15, v18, v18
	v_min_f32_e32 v14, v15, v14
	v_lshl_add_u64 v[12:13], v[2:3], 2, v[12:13]
	flat_store_dword v[12:13], v14
	v_add_u32_e32 v14, 16, v16
	v_mad_i64_i32 v[12:13], s[2:3], v14, s5, 0
	v_mad_i64_i32 v[14:15], s[2:3], v14, s4, 0
	v_lshl_add_u64 v[12:13], v[12:13], 2, s[0:1]
	s_mov_b64 s[2:3], -1
	v_max_f32_e32 v17, v97, v97
	s_mov_b64 vcc, s[8:9]
	s_cbranch_vccz .LBB11_62
; %bb.61:
	v_min_f32_e32 v20, 0, v17
	v_lshl_add_u64 v[18:19], v[4:5], 2, v[12:13]
	flat_store_dword v[18:19], v20
	s_mov_b64 s[2:3], 0
.LBB11_62:
	v_lshl_add_u64 v[14:15], v[14:15], 2, s[16:17]
	s_andn2_b64 vcc, exec, s[2:3]
	v_mov_b32_e32 v18, 0
	s_cbranch_vccnz .LBB11_64
; %bb.63:
	v_lshl_add_u64 v[18:19], v[14:15], 0, v[8:9]
	flat_load_dword v20, v[18:19]
	v_lshl_add_u64 v[18:19], v[12:13], 0, v[8:9]
	s_waitcnt vmcnt(0) lgkmcnt(0)
	v_mul_f32_e32 v20, s28, v20
	v_min_f32_e32 v17, v20, v17
	flat_store_dword v[18:19], v17
	v_lshl_add_u64 v[18:19], v[0:1], 2, v[14:15]
	flat_load_dword v17, v[18:19]
	s_waitcnt vmcnt(0) lgkmcnt(0)
	v_mul_f32_e32 v18, s28, v17
.LBB11_64:
	v_max_f32_e32 v17, v94, v94
	v_max_f32_e32 v18, v18, v18
	v_min_f32_e32 v17, v18, v17
	v_lshl_add_u64 v[18:19], v[0:1], 2, v[12:13]
	flat_store_dword v[18:19], v17
	s_mov_b64 s[2:3], -1
	v_max_f32_e32 v17, v93, v93
	s_mov_b64 vcc, s[8:9]
	s_cbranch_vccz .LBB11_66
; %bb.65:
	v_min_f32_e32 v20, 0, v17
	v_lshl_add_u64 v[18:19], v[6:7], 2, v[12:13]
	flat_store_dword v[18:19], v20
	s_mov_b64 s[2:3], 0
.LBB11_66:
	s_andn2_b64 vcc, exec, s[2:3]
	v_mov_b32_e32 v18, 0
	s_cbranch_vccnz .LBB11_68
; %bb.67:
	v_lshl_add_u64 v[18:19], v[14:15], 0, v[10:11]
	flat_load_dword v20, v[18:19]
	v_lshl_add_u64 v[18:19], v[12:13], 0, v[10:11]
	v_lshl_add_u64 v[14:15], v[2:3], 2, v[14:15]
	s_waitcnt vmcnt(0) lgkmcnt(0)
	v_mul_f32_e32 v20, s28, v20
	v_min_f32_e32 v17, v20, v17
	flat_store_dword v[18:19], v17
	flat_load_dword v14, v[14:15]
	s_waitcnt vmcnt(0) lgkmcnt(0)
	v_mul_f32_e32 v18, s28, v14
.LBB11_68:
	v_max_f32_e32 v14, v92, v92
	v_max_f32_e32 v15, v18, v18
	v_min_f32_e32 v14, v15, v14
	v_lshl_add_u64 v[12:13], v[2:3], 2, v[12:13]
	flat_store_dword v[12:13], v14
	v_add_u32_e32 v14, 24, v16
	v_mad_i64_i32 v[12:13], s[2:3], v14, s5, 0
	v_mad_i64_i32 v[14:15], s[2:3], v14, s4, 0
	v_lshl_add_u64 v[12:13], v[12:13], 2, s[0:1]
	s_mov_b64 s[2:3], -1
	v_max_f32_e32 v17, v91, v91
	s_mov_b64 vcc, s[8:9]
	s_cbranch_vccz .LBB11_70
; %bb.69:
	v_min_f32_e32 v20, 0, v17
	v_lshl_add_u64 v[18:19], v[4:5], 2, v[12:13]
	flat_store_dword v[18:19], v20
	s_mov_b64 s[2:3], 0
.LBB11_70:
	v_lshl_add_u64 v[14:15], v[14:15], 2, s[16:17]
	s_andn2_b64 vcc, exec, s[2:3]
	v_mov_b32_e32 v18, 0
	s_cbranch_vccnz .LBB11_72
; %bb.71:
	v_lshl_add_u64 v[18:19], v[14:15], 0, v[8:9]
	flat_load_dword v20, v[18:19]
	v_lshl_add_u64 v[18:19], v[12:13], 0, v[8:9]
	s_waitcnt vmcnt(0) lgkmcnt(0)
	v_mul_f32_e32 v20, s28, v20
	v_min_f32_e32 v17, v20, v17
	flat_store_dword v[18:19], v17
	v_lshl_add_u64 v[18:19], v[0:1], 2, v[14:15]
	flat_load_dword v17, v[18:19]
	s_waitcnt vmcnt(0) lgkmcnt(0)
	v_mul_f32_e32 v18, s28, v17
.LBB11_72:
	v_max_f32_e32 v17, v90, v90
	v_max_f32_e32 v18, v18, v18
	v_min_f32_e32 v17, v18, v17
	v_lshl_add_u64 v[18:19], v[0:1], 2, v[12:13]
	flat_store_dword v[18:19], v17
	s_mov_b64 s[2:3], -1
	v_max_f32_e32 v17, v89, v89
	s_mov_b64 vcc, s[8:9]
	s_cbranch_vccz .LBB11_74
; %bb.73:
	v_min_f32_e32 v20, 0, v17
	v_lshl_add_u64 v[18:19], v[6:7], 2, v[12:13]
	flat_store_dword v[18:19], v20
	s_mov_b64 s[2:3], 0
.LBB11_74:
	s_andn2_b64 vcc, exec, s[2:3]
	v_mov_b32_e32 v18, 0
	s_cbranch_vccnz .LBB11_76
; %bb.75:
	v_lshl_add_u64 v[18:19], v[14:15], 0, v[10:11]
	flat_load_dword v20, v[18:19]
	v_lshl_add_u64 v[18:19], v[12:13], 0, v[10:11]
	v_lshl_add_u64 v[14:15], v[2:3], 2, v[14:15]
	s_waitcnt vmcnt(0) lgkmcnt(0)
	v_mul_f32_e32 v20, s28, v20
	v_min_f32_e32 v17, v20, v17
	flat_store_dword v[18:19], v17
	flat_load_dword v14, v[14:15]
	s_waitcnt vmcnt(0) lgkmcnt(0)
	v_mul_f32_e32 v18, s28, v14
.LBB11_76:
	v_max_f32_e32 v14, v88, v88
	v_max_f32_e32 v15, v18, v18
	v_min_f32_e32 v14, v15, v14
	v_lshl_add_u64 v[12:13], v[2:3], 2, v[12:13]
	flat_store_dword v[12:13], v14
	v_add_u32_e32 v14, 32, v16
	v_mad_i64_i32 v[12:13], s[2:3], v14, s5, 0
	v_mad_i64_i32 v[14:15], s[2:3], v14, s4, 0
	v_lshl_add_u64 v[12:13], v[12:13], 2, s[0:1]
	s_mov_b64 s[2:3], -1
	v_max_f32_e32 v17, v87, v87
	s_mov_b64 vcc, s[8:9]
	s_cbranch_vccz .LBB11_78
; %bb.77:
	v_min_f32_e32 v20, 0, v17
	v_lshl_add_u64 v[18:19], v[4:5], 2, v[12:13]
	flat_store_dword v[18:19], v20
	s_mov_b64 s[2:3], 0
.LBB11_78:
	v_lshl_add_u64 v[14:15], v[14:15], 2, s[16:17]
	s_andn2_b64 vcc, exec, s[2:3]
	v_mov_b32_e32 v18, 0
	s_cbranch_vccnz .LBB11_80
; %bb.79:
	v_lshl_add_u64 v[18:19], v[14:15], 0, v[8:9]
	flat_load_dword v20, v[18:19]
	v_lshl_add_u64 v[18:19], v[12:13], 0, v[8:9]
	s_waitcnt vmcnt(0) lgkmcnt(0)
	v_mul_f32_e32 v20, s28, v20
	v_min_f32_e32 v17, v20, v17
	flat_store_dword v[18:19], v17
	v_lshl_add_u64 v[18:19], v[0:1], 2, v[14:15]
	flat_load_dword v17, v[18:19]
	s_waitcnt vmcnt(0) lgkmcnt(0)
	v_mul_f32_e32 v18, s28, v17
.LBB11_80:
	v_max_f32_e32 v17, v86, v86
	v_max_f32_e32 v18, v18, v18
	v_min_f32_e32 v17, v18, v17
	v_lshl_add_u64 v[18:19], v[0:1], 2, v[12:13]
	flat_store_dword v[18:19], v17
	s_mov_b64 s[2:3], -1
	v_max_f32_e32 v17, v85, v85
	s_mov_b64 vcc, s[8:9]
	s_cbranch_vccz .LBB11_82
; %bb.81:
	v_min_f32_e32 v20, 0, v17
	v_lshl_add_u64 v[18:19], v[6:7], 2, v[12:13]
	flat_store_dword v[18:19], v20
	s_mov_b64 s[2:3], 0
.LBB11_82:
	s_andn2_b64 vcc, exec, s[2:3]
	v_mov_b32_e32 v18, 0
	s_cbranch_vccnz .LBB11_84
; %bb.83:
	v_lshl_add_u64 v[18:19], v[14:15], 0, v[10:11]
	flat_load_dword v20, v[18:19]
	v_lshl_add_u64 v[18:19], v[12:13], 0, v[10:11]
	v_lshl_add_u64 v[14:15], v[2:3], 2, v[14:15]
	s_waitcnt vmcnt(0) lgkmcnt(0)
	v_mul_f32_e32 v20, s28, v20
	v_min_f32_e32 v17, v20, v17
	flat_store_dword v[18:19], v17
	flat_load_dword v14, v[14:15]
	s_waitcnt vmcnt(0) lgkmcnt(0)
	v_mul_f32_e32 v18, s28, v14
.LBB11_84:
	v_max_f32_e32 v14, v84, v84
	v_max_f32_e32 v15, v18, v18
	v_min_f32_e32 v14, v15, v14
	v_lshl_add_u64 v[12:13], v[2:3], 2, v[12:13]
	flat_store_dword v[12:13], v14
	v_add_u32_e32 v14, 40, v16
	v_mad_i64_i32 v[12:13], s[2:3], v14, s5, 0
	v_mad_i64_i32 v[14:15], s[2:3], v14, s4, 0
	v_lshl_add_u64 v[12:13], v[12:13], 2, s[0:1]
	s_mov_b64 s[2:3], -1
	v_max_f32_e32 v17, v83, v83
	s_mov_b64 vcc, s[8:9]
	s_cbranch_vccz .LBB11_86
; %bb.85:
	v_min_f32_e32 v20, 0, v17
	v_lshl_add_u64 v[18:19], v[4:5], 2, v[12:13]
	flat_store_dword v[18:19], v20
	s_mov_b64 s[2:3], 0
.LBB11_86:
	v_lshl_add_u64 v[14:15], v[14:15], 2, s[16:17]
	s_andn2_b64 vcc, exec, s[2:3]
	v_mov_b32_e32 v18, 0
	s_cbranch_vccnz .LBB11_88
; %bb.87:
	v_lshl_add_u64 v[18:19], v[14:15], 0, v[8:9]
	flat_load_dword v20, v[18:19]
	v_lshl_add_u64 v[18:19], v[12:13], 0, v[8:9]
	s_waitcnt vmcnt(0) lgkmcnt(0)
	v_mul_f32_e32 v20, s28, v20
	v_min_f32_e32 v17, v20, v17
	flat_store_dword v[18:19], v17
	v_lshl_add_u64 v[18:19], v[0:1], 2, v[14:15]
	flat_load_dword v17, v[18:19]
	s_waitcnt vmcnt(0) lgkmcnt(0)
	v_mul_f32_e32 v18, s28, v17
.LBB11_88:
	v_max_f32_e32 v17, v82, v82
	v_max_f32_e32 v18, v18, v18
	v_min_f32_e32 v17, v18, v17
	v_lshl_add_u64 v[18:19], v[0:1], 2, v[12:13]
	flat_store_dword v[18:19], v17
	s_mov_b64 s[2:3], -1
	v_max_f32_e32 v17, v81, v81
	s_mov_b64 vcc, s[8:9]
	s_cbranch_vccz .LBB11_90
; %bb.89:
	v_min_f32_e32 v20, 0, v17
	v_lshl_add_u64 v[18:19], v[6:7], 2, v[12:13]
	flat_store_dword v[18:19], v20
	s_mov_b64 s[2:3], 0
.LBB11_90:
	s_andn2_b64 vcc, exec, s[2:3]
	v_mov_b32_e32 v18, 0
	s_cbranch_vccnz .LBB11_92
; %bb.91:
	v_lshl_add_u64 v[18:19], v[14:15], 0, v[10:11]
	flat_load_dword v20, v[18:19]
	v_lshl_add_u64 v[18:19], v[12:13], 0, v[10:11]
	v_lshl_add_u64 v[14:15], v[2:3], 2, v[14:15]
	s_waitcnt vmcnt(0) lgkmcnt(0)
	v_mul_f32_e32 v20, s28, v20
	v_min_f32_e32 v17, v20, v17
	flat_store_dword v[18:19], v17
	flat_load_dword v14, v[14:15]
	s_waitcnt vmcnt(0) lgkmcnt(0)
	v_mul_f32_e32 v18, s28, v14
.LBB11_92:
	v_max_f32_e32 v14, v80, v80
	v_max_f32_e32 v15, v18, v18
	v_min_f32_e32 v14, v15, v14
	v_lshl_add_u64 v[12:13], v[2:3], 2, v[12:13]
	flat_store_dword v[12:13], v14
	v_add_u32_e32 v14, 48, v16
	v_mad_i64_i32 v[12:13], s[2:3], v14, s5, 0
	v_mad_i64_i32 v[14:15], s[2:3], v14, s4, 0
	v_lshl_add_u64 v[12:13], v[12:13], 2, s[0:1]
	s_mov_b64 s[2:3], -1
	v_max_f32_e32 v17, v79, v79
	s_mov_b64 vcc, s[8:9]
	s_cbranch_vccz .LBB11_94
; %bb.93:
	v_min_f32_e32 v20, 0, v17
	v_lshl_add_u64 v[18:19], v[4:5], 2, v[12:13]
	flat_store_dword v[18:19], v20
	s_mov_b64 s[2:3], 0
.LBB11_94:
	v_lshl_add_u64 v[14:15], v[14:15], 2, s[16:17]
	s_andn2_b64 vcc, exec, s[2:3]
	v_mov_b32_e32 v18, 0
	s_cbranch_vccnz .LBB11_96
; %bb.95:
	v_lshl_add_u64 v[18:19], v[14:15], 0, v[8:9]
	flat_load_dword v20, v[18:19]
	v_lshl_add_u64 v[18:19], v[12:13], 0, v[8:9]
	s_waitcnt vmcnt(0) lgkmcnt(0)
	v_mul_f32_e32 v20, s28, v20
	v_min_f32_e32 v17, v20, v17
	flat_store_dword v[18:19], v17
	v_lshl_add_u64 v[18:19], v[0:1], 2, v[14:15]
	flat_load_dword v17, v[18:19]
	s_waitcnt vmcnt(0) lgkmcnt(0)
	v_mul_f32_e32 v18, s28, v17
.LBB11_96:
	v_max_f32_e32 v17, v78, v78
	v_max_f32_e32 v18, v18, v18
	v_min_f32_e32 v17, v18, v17
	v_lshl_add_u64 v[18:19], v[0:1], 2, v[12:13]
	flat_store_dword v[18:19], v17
	s_mov_b64 s[2:3], -1
	v_max_f32_e32 v17, v77, v77
	s_mov_b64 vcc, s[8:9]
	s_cbranch_vccz .LBB11_98
; %bb.97:
	v_min_f32_e32 v20, 0, v17
	v_lshl_add_u64 v[18:19], v[6:7], 2, v[12:13]
	flat_store_dword v[18:19], v20
	s_mov_b64 s[2:3], 0
.LBB11_98:
	s_andn2_b64 vcc, exec, s[2:3]
	v_mov_b32_e32 v18, 0
	s_cbranch_vccnz .LBB11_100
; %bb.99:
	v_lshl_add_u64 v[18:19], v[14:15], 0, v[10:11]
	flat_load_dword v20, v[18:19]
	v_lshl_add_u64 v[18:19], v[12:13], 0, v[10:11]
	v_lshl_add_u64 v[14:15], v[2:3], 2, v[14:15]
	s_waitcnt vmcnt(0) lgkmcnt(0)
	v_mul_f32_e32 v20, s28, v20
	v_min_f32_e32 v17, v20, v17
	flat_store_dword v[18:19], v17
	flat_load_dword v14, v[14:15]
	s_waitcnt vmcnt(0) lgkmcnt(0)
	v_mul_f32_e32 v18, s28, v14
.LBB11_100:
	v_max_f32_e32 v14, v76, v76
	v_max_f32_e32 v15, v18, v18
	v_min_f32_e32 v14, v15, v14
	v_lshl_add_u64 v[12:13], v[2:3], 2, v[12:13]
	flat_store_dword v[12:13], v14
	v_add_u32_e32 v14, 56, v16
	v_mad_i64_i32 v[12:13], s[2:3], v14, s5, 0
	v_mad_i64_i32 v[14:15], s[2:3], v14, s4, 0
	v_lshl_add_u64 v[12:13], v[12:13], 2, s[0:1]
	s_mov_b64 s[2:3], -1
	v_max_f32_e32 v17, v75, v75
	s_mov_b64 vcc, s[8:9]
	s_cbranch_vccz .LBB11_102
; %bb.101:
	v_min_f32_e32 v20, 0, v17
	v_lshl_add_u64 v[18:19], v[4:5], 2, v[12:13]
	flat_store_dword v[18:19], v20
	s_mov_b64 s[2:3], 0
.LBB11_102:
	v_lshl_add_u64 v[14:15], v[14:15], 2, s[16:17]
	s_andn2_b64 vcc, exec, s[2:3]
	v_mov_b32_e32 v18, 0
	s_cbranch_vccnz .LBB11_104
; %bb.103:
	v_lshl_add_u64 v[18:19], v[14:15], 0, v[8:9]
	flat_load_dword v20, v[18:19]
	v_lshl_add_u64 v[18:19], v[12:13], 0, v[8:9]
	s_waitcnt vmcnt(0) lgkmcnt(0)
	v_mul_f32_e32 v20, s28, v20
	v_min_f32_e32 v17, v20, v17
	flat_store_dword v[18:19], v17
	v_lshl_add_u64 v[18:19], v[0:1], 2, v[14:15]
	flat_load_dword v17, v[18:19]
	s_waitcnt vmcnt(0) lgkmcnt(0)
	v_mul_f32_e32 v18, s28, v17
.LBB11_104:
	v_max_f32_e32 v17, v74, v74
	v_max_f32_e32 v18, v18, v18
	v_min_f32_e32 v17, v18, v17
	v_lshl_add_u64 v[18:19], v[0:1], 2, v[12:13]
	flat_store_dword v[18:19], v17
	s_mov_b64 s[2:3], -1
	v_max_f32_e32 v17, v73, v73
	s_mov_b64 vcc, s[8:9]
	s_cbranch_vccz .LBB11_106
; %bb.105:
	v_min_f32_e32 v20, 0, v17
	v_lshl_add_u64 v[18:19], v[6:7], 2, v[12:13]
	flat_store_dword v[18:19], v20
	s_mov_b64 s[2:3], 0
.LBB11_106:
	s_andn2_b64 vcc, exec, s[2:3]
	v_mov_b32_e32 v18, 0
	s_cbranch_vccnz .LBB11_108
; %bb.107:
	v_lshl_add_u64 v[18:19], v[14:15], 0, v[10:11]
	flat_load_dword v20, v[18:19]
	v_lshl_add_u64 v[18:19], v[12:13], 0, v[10:11]
	v_lshl_add_u64 v[14:15], v[2:3], 2, v[14:15]
	s_waitcnt vmcnt(0) lgkmcnt(0)
	v_mul_f32_e32 v20, s28, v20
	v_min_f32_e32 v17, v20, v17
	flat_store_dword v[18:19], v17
	flat_load_dword v14, v[14:15]
	s_waitcnt vmcnt(0) lgkmcnt(0)
	v_mul_f32_e32 v18, s28, v14
.LBB11_108:
	v_max_f32_e32 v14, v72, v72
	v_max_f32_e32 v15, v18, v18
	v_min_f32_e32 v14, v15, v14
	v_lshl_add_u64 v[12:13], v[2:3], 2, v[12:13]
	flat_store_dword v[12:13], v14
	v_add_u32_e32 v14, 64, v16
	v_mad_i64_i32 v[12:13], s[2:3], v14, s5, 0
	v_mad_i64_i32 v[14:15], s[2:3], v14, s4, 0
	v_lshl_add_u64 v[12:13], v[12:13], 2, s[0:1]
	s_mov_b64 s[2:3], -1
	v_max_f32_e32 v17, v71, v71
	s_mov_b64 vcc, s[8:9]
	s_cbranch_vccz .LBB11_110
; %bb.109:
	v_min_f32_e32 v20, 0, v17
	v_lshl_add_u64 v[18:19], v[4:5], 2, v[12:13]
	flat_store_dword v[18:19], v20
	s_mov_b64 s[2:3], 0
.LBB11_110:
	v_lshl_add_u64 v[14:15], v[14:15], 2, s[16:17]
	s_andn2_b64 vcc, exec, s[2:3]
	v_mov_b32_e32 v18, 0
	s_cbranch_vccnz .LBB11_112
; %bb.111:
	v_lshl_add_u64 v[18:19], v[14:15], 0, v[8:9]
	flat_load_dword v20, v[18:19]
	v_lshl_add_u64 v[18:19], v[12:13], 0, v[8:9]
	s_waitcnt vmcnt(0) lgkmcnt(0)
	v_mul_f32_e32 v20, s28, v20
	v_min_f32_e32 v17, v20, v17
	flat_store_dword v[18:19], v17
	v_lshl_add_u64 v[18:19], v[0:1], 2, v[14:15]
	flat_load_dword v17, v[18:19]
	s_waitcnt vmcnt(0) lgkmcnt(0)
	v_mul_f32_e32 v18, s28, v17
.LBB11_112:
	v_max_f32_e32 v17, v70, v70
	v_max_f32_e32 v18, v18, v18
	v_min_f32_e32 v17, v18, v17
	v_lshl_add_u64 v[18:19], v[0:1], 2, v[12:13]
	flat_store_dword v[18:19], v17
	s_mov_b64 s[2:3], -1
	v_max_f32_e32 v17, v69, v69
	s_mov_b64 vcc, s[8:9]
	s_cbranch_vccz .LBB11_114
; %bb.113:
	v_min_f32_e32 v20, 0, v17
	v_lshl_add_u64 v[18:19], v[6:7], 2, v[12:13]
	flat_store_dword v[18:19], v20
	s_mov_b64 s[2:3], 0
.LBB11_114:
	s_andn2_b64 vcc, exec, s[2:3]
	v_mov_b32_e32 v18, 0
	s_cbranch_vccnz .LBB11_116
; %bb.115:
	v_lshl_add_u64 v[18:19], v[14:15], 0, v[10:11]
	flat_load_dword v20, v[18:19]
	v_lshl_add_u64 v[18:19], v[12:13], 0, v[10:11]
	v_lshl_add_u64 v[14:15], v[2:3], 2, v[14:15]
	s_waitcnt vmcnt(0) lgkmcnt(0)
	v_mul_f32_e32 v20, s28, v20
	v_min_f32_e32 v17, v20, v17
	flat_store_dword v[18:19], v17
	flat_load_dword v14, v[14:15]
	s_waitcnt vmcnt(0) lgkmcnt(0)
	v_mul_f32_e32 v18, s28, v14
.LBB11_116:
	v_max_f32_e32 v14, v68, v68
	v_max_f32_e32 v15, v18, v18
	v_min_f32_e32 v14, v15, v14
	v_lshl_add_u64 v[12:13], v[2:3], 2, v[12:13]
	flat_store_dword v[12:13], v14
	v_add_u32_e32 v14, 0x48, v16
	v_mad_i64_i32 v[12:13], s[2:3], v14, s5, 0
	v_mad_i64_i32 v[14:15], s[2:3], v14, s4, 0
	v_lshl_add_u64 v[12:13], v[12:13], 2, s[0:1]
	s_mov_b64 s[2:3], -1
	v_max_f32_e32 v17, v67, v67
	s_mov_b64 vcc, s[8:9]
	s_cbranch_vccz .LBB11_118
; %bb.117:
	v_min_f32_e32 v20, 0, v17
	v_lshl_add_u64 v[18:19], v[4:5], 2, v[12:13]
	flat_store_dword v[18:19], v20
	s_mov_b64 s[2:3], 0
.LBB11_118:
	v_lshl_add_u64 v[14:15], v[14:15], 2, s[16:17]
	s_andn2_b64 vcc, exec, s[2:3]
	v_mov_b32_e32 v18, 0
	s_cbranch_vccnz .LBB11_120
; %bb.119:
	v_lshl_add_u64 v[18:19], v[14:15], 0, v[8:9]
	flat_load_dword v20, v[18:19]
	v_lshl_add_u64 v[18:19], v[12:13], 0, v[8:9]
	s_waitcnt vmcnt(0) lgkmcnt(0)
	v_mul_f32_e32 v20, s28, v20
	v_min_f32_e32 v17, v20, v17
	flat_store_dword v[18:19], v17
	v_lshl_add_u64 v[18:19], v[0:1], 2, v[14:15]
	flat_load_dword v17, v[18:19]
	s_waitcnt vmcnt(0) lgkmcnt(0)
	v_mul_f32_e32 v18, s28, v17
.LBB11_120:
	v_max_f32_e32 v17, v66, v66
	v_max_f32_e32 v18, v18, v18
	v_min_f32_e32 v17, v18, v17
	v_lshl_add_u64 v[18:19], v[0:1], 2, v[12:13]
	flat_store_dword v[18:19], v17
	s_mov_b64 s[2:3], -1
	v_max_f32_e32 v17, v65, v65
	s_mov_b64 vcc, s[8:9]
	s_cbranch_vccz .LBB11_122
; %bb.121:
	v_min_f32_e32 v20, 0, v17
	v_lshl_add_u64 v[18:19], v[6:7], 2, v[12:13]
	flat_store_dword v[18:19], v20
	s_mov_b64 s[2:3], 0
.LBB11_122:
	s_andn2_b64 vcc, exec, s[2:3]
	v_mov_b32_e32 v18, 0
	s_cbranch_vccnz .LBB11_124
; %bb.123:
	v_lshl_add_u64 v[18:19], v[14:15], 0, v[10:11]
	flat_load_dword v20, v[18:19]
	v_lshl_add_u64 v[18:19], v[12:13], 0, v[10:11]
	v_lshl_add_u64 v[14:15], v[2:3], 2, v[14:15]
	s_waitcnt vmcnt(0) lgkmcnt(0)
	v_mul_f32_e32 v20, s28, v20
	v_min_f32_e32 v17, v20, v17
	flat_store_dword v[18:19], v17
	flat_load_dword v14, v[14:15]
	s_waitcnt vmcnt(0) lgkmcnt(0)
	v_mul_f32_e32 v18, s28, v14
.LBB11_124:
	v_max_f32_e32 v14, v64, v64
	v_max_f32_e32 v15, v18, v18
	v_min_f32_e32 v14, v15, v14
	v_lshl_add_u64 v[12:13], v[2:3], 2, v[12:13]
	flat_store_dword v[12:13], v14
	v_add_u32_e32 v14, 0x50, v16
	v_mad_i64_i32 v[12:13], s[2:3], v14, s5, 0
	v_mad_i64_i32 v[14:15], s[2:3], v14, s4, 0
	v_lshl_add_u64 v[12:13], v[12:13], 2, s[0:1]
	s_mov_b64 s[2:3], -1
	v_max_f32_e32 v17, v63, v63
	s_mov_b64 vcc, s[8:9]
	s_cbranch_vccz .LBB11_126
; %bb.125:
	v_min_f32_e32 v20, 0, v17
	v_lshl_add_u64 v[18:19], v[4:5], 2, v[12:13]
	flat_store_dword v[18:19], v20
	s_mov_b64 s[2:3], 0
.LBB11_126:
	v_lshl_add_u64 v[14:15], v[14:15], 2, s[16:17]
	s_andn2_b64 vcc, exec, s[2:3]
	v_mov_b32_e32 v18, 0
	s_cbranch_vccnz .LBB11_128
; %bb.127:
	v_lshl_add_u64 v[18:19], v[14:15], 0, v[8:9]
	flat_load_dword v20, v[18:19]
	v_lshl_add_u64 v[18:19], v[12:13], 0, v[8:9]
	s_waitcnt vmcnt(0) lgkmcnt(0)
	v_mul_f32_e32 v20, s28, v20
	v_min_f32_e32 v17, v20, v17
	flat_store_dword v[18:19], v17
	v_lshl_add_u64 v[18:19], v[0:1], 2, v[14:15]
	flat_load_dword v17, v[18:19]
	s_waitcnt vmcnt(0) lgkmcnt(0)
	v_mul_f32_e32 v18, s28, v17
.LBB11_128:
	v_max_f32_e32 v17, v62, v62
	v_max_f32_e32 v18, v18, v18
	v_min_f32_e32 v17, v18, v17
	v_lshl_add_u64 v[18:19], v[0:1], 2, v[12:13]
	flat_store_dword v[18:19], v17
	s_mov_b64 s[2:3], -1
	v_max_f32_e32 v17, v61, v61
	s_mov_b64 vcc, s[8:9]
	s_cbranch_vccz .LBB11_130
; %bb.129:
	v_min_f32_e32 v20, 0, v17
	v_lshl_add_u64 v[18:19], v[6:7], 2, v[12:13]
	flat_store_dword v[18:19], v20
	s_mov_b64 s[2:3], 0
.LBB11_130:
	s_andn2_b64 vcc, exec, s[2:3]
	v_mov_b32_e32 v18, 0
	s_cbranch_vccnz .LBB11_132
; %bb.131:
	v_lshl_add_u64 v[18:19], v[14:15], 0, v[10:11]
	flat_load_dword v20, v[18:19]
	v_lshl_add_u64 v[18:19], v[12:13], 0, v[10:11]
	v_lshl_add_u64 v[14:15], v[2:3], 2, v[14:15]
	s_waitcnt vmcnt(0) lgkmcnt(0)
	v_mul_f32_e32 v20, s28, v20
	v_min_f32_e32 v17, v20, v17
	flat_store_dword v[18:19], v17
	flat_load_dword v14, v[14:15]
	s_waitcnt vmcnt(0) lgkmcnt(0)
	v_mul_f32_e32 v18, s28, v14
.LBB11_132:
	v_max_f32_e32 v14, v60, v60
	v_max_f32_e32 v15, v18, v18
	v_min_f32_e32 v14, v15, v14
	v_lshl_add_u64 v[12:13], v[2:3], 2, v[12:13]
	flat_store_dword v[12:13], v14
	v_add_u32_e32 v14, 0x58, v16
	v_mad_i64_i32 v[12:13], s[2:3], v14, s5, 0
	v_mad_i64_i32 v[14:15], s[2:3], v14, s4, 0
	v_lshl_add_u64 v[12:13], v[12:13], 2, s[0:1]
	s_mov_b64 s[2:3], -1
	v_max_f32_e32 v17, v59, v59
	s_mov_b64 vcc, s[8:9]
	s_cbranch_vccz .LBB11_134
; %bb.133:
	v_min_f32_e32 v20, 0, v17
	v_lshl_add_u64 v[18:19], v[4:5], 2, v[12:13]
	flat_store_dword v[18:19], v20
	s_mov_b64 s[2:3], 0
.LBB11_134:
	v_lshl_add_u64 v[14:15], v[14:15], 2, s[16:17]
	s_andn2_b64 vcc, exec, s[2:3]
	v_mov_b32_e32 v18, 0
	s_cbranch_vccnz .LBB11_136
; %bb.135:
	v_lshl_add_u64 v[18:19], v[14:15], 0, v[8:9]
	flat_load_dword v20, v[18:19]
	v_lshl_add_u64 v[18:19], v[12:13], 0, v[8:9]
	s_waitcnt vmcnt(0) lgkmcnt(0)
	v_mul_f32_e32 v20, s28, v20
	v_min_f32_e32 v17, v20, v17
	flat_store_dword v[18:19], v17
	v_lshl_add_u64 v[18:19], v[0:1], 2, v[14:15]
	flat_load_dword v17, v[18:19]
	s_waitcnt vmcnt(0) lgkmcnt(0)
	v_mul_f32_e32 v18, s28, v17
.LBB11_136:
	v_max_f32_e32 v17, v58, v58
	v_max_f32_e32 v18, v18, v18
	v_min_f32_e32 v17, v18, v17
	v_lshl_add_u64 v[18:19], v[0:1], 2, v[12:13]
	flat_store_dword v[18:19], v17
	s_mov_b64 s[2:3], -1
	v_max_f32_e32 v17, v57, v57
	s_mov_b64 vcc, s[8:9]
	s_cbranch_vccz .LBB11_138
; %bb.137:
	v_min_f32_e32 v20, 0, v17
	v_lshl_add_u64 v[18:19], v[6:7], 2, v[12:13]
	flat_store_dword v[18:19], v20
	s_mov_b64 s[2:3], 0
.LBB11_138:
	s_andn2_b64 vcc, exec, s[2:3]
	v_mov_b32_e32 v18, 0
	s_cbranch_vccnz .LBB11_140
; %bb.139:
	v_lshl_add_u64 v[18:19], v[14:15], 0, v[10:11]
	flat_load_dword v20, v[18:19]
	v_lshl_add_u64 v[18:19], v[12:13], 0, v[10:11]
	v_lshl_add_u64 v[14:15], v[2:3], 2, v[14:15]
	s_waitcnt vmcnt(0) lgkmcnt(0)
	v_mul_f32_e32 v20, s28, v20
	v_min_f32_e32 v17, v20, v17
	flat_store_dword v[18:19], v17
	flat_load_dword v14, v[14:15]
	s_waitcnt vmcnt(0) lgkmcnt(0)
	v_mul_f32_e32 v18, s28, v14
.LBB11_140:
	v_max_f32_e32 v14, v56, v56
	v_max_f32_e32 v15, v18, v18
	v_min_f32_e32 v14, v15, v14
	v_lshl_add_u64 v[12:13], v[2:3], 2, v[12:13]
	flat_store_dword v[12:13], v14
	v_add_u32_e32 v14, 0x60, v16
	v_mad_i64_i32 v[12:13], s[2:3], v14, s5, 0
	v_mad_i64_i32 v[14:15], s[2:3], v14, s4, 0
	v_lshl_add_u64 v[12:13], v[12:13], 2, s[0:1]
	s_mov_b64 s[2:3], -1
	v_max_f32_e32 v17, v55, v55
	s_mov_b64 vcc, s[8:9]
	s_cbranch_vccz .LBB11_142
; %bb.141:
	v_min_f32_e32 v20, 0, v17
	v_lshl_add_u64 v[18:19], v[4:5], 2, v[12:13]
	flat_store_dword v[18:19], v20
	s_mov_b64 s[2:3], 0
.LBB11_142:
	v_lshl_add_u64 v[14:15], v[14:15], 2, s[16:17]
	s_andn2_b64 vcc, exec, s[2:3]
	v_mov_b32_e32 v18, 0
	s_cbranch_vccnz .LBB11_144
; %bb.143:
	v_lshl_add_u64 v[18:19], v[14:15], 0, v[8:9]
	flat_load_dword v20, v[18:19]
	v_lshl_add_u64 v[18:19], v[12:13], 0, v[8:9]
	s_waitcnt vmcnt(0) lgkmcnt(0)
	v_mul_f32_e32 v20, s28, v20
	v_min_f32_e32 v17, v20, v17
	flat_store_dword v[18:19], v17
	v_lshl_add_u64 v[18:19], v[0:1], 2, v[14:15]
	flat_load_dword v17, v[18:19]
	s_waitcnt vmcnt(0) lgkmcnt(0)
	v_mul_f32_e32 v18, s28, v17
.LBB11_144:
	v_max_f32_e32 v17, v54, v54
	v_max_f32_e32 v18, v18, v18
	v_min_f32_e32 v17, v18, v17
	v_lshl_add_u64 v[18:19], v[0:1], 2, v[12:13]
	flat_store_dword v[18:19], v17
	s_mov_b64 s[2:3], -1
	v_max_f32_e32 v17, v53, v53
	s_mov_b64 vcc, s[8:9]
	s_cbranch_vccz .LBB11_146
; %bb.145:
	v_min_f32_e32 v20, 0, v17
	v_lshl_add_u64 v[18:19], v[6:7], 2, v[12:13]
	flat_store_dword v[18:19], v20
	s_mov_b64 s[2:3], 0
.LBB11_146:
	s_andn2_b64 vcc, exec, s[2:3]
	v_mov_b32_e32 v18, 0
	s_cbranch_vccnz .LBB11_148
; %bb.147:
	v_lshl_add_u64 v[18:19], v[14:15], 0, v[10:11]
	flat_load_dword v20, v[18:19]
	v_lshl_add_u64 v[18:19], v[12:13], 0, v[10:11]
	v_lshl_add_u64 v[14:15], v[2:3], 2, v[14:15]
	s_waitcnt vmcnt(0) lgkmcnt(0)
	v_mul_f32_e32 v20, s28, v20
	v_min_f32_e32 v17, v20, v17
	flat_store_dword v[18:19], v17
	flat_load_dword v14, v[14:15]
	s_waitcnt vmcnt(0) lgkmcnt(0)
	v_mul_f32_e32 v18, s28, v14
.LBB11_148:
	v_max_f32_e32 v14, v52, v52
	v_max_f32_e32 v15, v18, v18
	v_min_f32_e32 v14, v15, v14
	v_lshl_add_u64 v[12:13], v[2:3], 2, v[12:13]
	flat_store_dword v[12:13], v14
	v_add_u32_e32 v14, 0x68, v16
	v_mad_i64_i32 v[12:13], s[2:3], v14, s5, 0
	v_mad_i64_i32 v[14:15], s[2:3], v14, s4, 0
	v_lshl_add_u64 v[12:13], v[12:13], 2, s[0:1]
	s_mov_b64 s[2:3], -1
	v_max_f32_e32 v17, v51, v51
	s_mov_b64 vcc, s[8:9]
	s_cbranch_vccz .LBB11_150
; %bb.149:
	v_min_f32_e32 v20, 0, v17
	v_lshl_add_u64 v[18:19], v[4:5], 2, v[12:13]
	flat_store_dword v[18:19], v20
	s_mov_b64 s[2:3], 0
.LBB11_150:
	v_lshl_add_u64 v[14:15], v[14:15], 2, s[16:17]
	s_andn2_b64 vcc, exec, s[2:3]
	v_mov_b32_e32 v18, 0
	s_cbranch_vccnz .LBB11_152
; %bb.151:
	v_lshl_add_u64 v[18:19], v[14:15], 0, v[8:9]
	flat_load_dword v20, v[18:19]
	v_lshl_add_u64 v[18:19], v[12:13], 0, v[8:9]
	s_waitcnt vmcnt(0) lgkmcnt(0)
	v_mul_f32_e32 v20, s28, v20
	v_min_f32_e32 v17, v20, v17
	flat_store_dword v[18:19], v17
	v_lshl_add_u64 v[18:19], v[0:1], 2, v[14:15]
	flat_load_dword v17, v[18:19]
	s_waitcnt vmcnt(0) lgkmcnt(0)
	v_mul_f32_e32 v18, s28, v17
.LBB11_152:
	v_max_f32_e32 v17, v50, v50
	v_max_f32_e32 v18, v18, v18
	v_min_f32_e32 v17, v18, v17
	v_lshl_add_u64 v[18:19], v[0:1], 2, v[12:13]
	flat_store_dword v[18:19], v17
	s_mov_b64 s[2:3], -1
	v_max_f32_e32 v17, v49, v49
	s_mov_b64 vcc, s[8:9]
	s_cbranch_vccz .LBB11_154
; %bb.153:
	v_min_f32_e32 v20, 0, v17
	v_lshl_add_u64 v[18:19], v[6:7], 2, v[12:13]
	flat_store_dword v[18:19], v20
	s_mov_b64 s[2:3], 0
.LBB11_154:
	s_andn2_b64 vcc, exec, s[2:3]
	v_mov_b32_e32 v18, 0
	s_cbranch_vccnz .LBB11_156
; %bb.155:
	v_lshl_add_u64 v[18:19], v[14:15], 0, v[10:11]
	flat_load_dword v20, v[18:19]
	v_lshl_add_u64 v[18:19], v[12:13], 0, v[10:11]
	v_lshl_add_u64 v[14:15], v[2:3], 2, v[14:15]
	s_waitcnt vmcnt(0) lgkmcnt(0)
	v_mul_f32_e32 v20, s28, v20
	v_min_f32_e32 v17, v20, v17
	flat_store_dword v[18:19], v17
	flat_load_dword v14, v[14:15]
	s_waitcnt vmcnt(0) lgkmcnt(0)
	v_mul_f32_e32 v18, s28, v14
.LBB11_156:
	v_max_f32_e32 v14, v48, v48
	v_max_f32_e32 v15, v18, v18
	v_min_f32_e32 v14, v15, v14
	v_lshl_add_u64 v[12:13], v[2:3], 2, v[12:13]
	flat_store_dword v[12:13], v14
	v_add_u32_e32 v14, 0x70, v16
	v_mad_i64_i32 v[12:13], s[2:3], v14, s5, 0
	v_mad_i64_i32 v[14:15], s[2:3], v14, s4, 0
	v_lshl_add_u64 v[12:13], v[12:13], 2, s[0:1]
	s_mov_b64 s[2:3], -1
	v_max_f32_e32 v17, v47, v47
	s_mov_b64 vcc, s[8:9]
	s_cbranch_vccz .LBB11_158
; %bb.157:
	v_min_f32_e32 v20, 0, v17
	v_lshl_add_u64 v[18:19], v[4:5], 2, v[12:13]
	flat_store_dword v[18:19], v20
	s_mov_b64 s[2:3], 0
.LBB11_158:
	v_lshl_add_u64 v[14:15], v[14:15], 2, s[16:17]
	s_andn2_b64 vcc, exec, s[2:3]
	v_mov_b32_e32 v18, 0
	s_cbranch_vccnz .LBB11_160
; %bb.159:
	v_lshl_add_u64 v[18:19], v[14:15], 0, v[8:9]
	flat_load_dword v20, v[18:19]
	v_lshl_add_u64 v[18:19], v[12:13], 0, v[8:9]
	s_waitcnt vmcnt(0) lgkmcnt(0)
	v_mul_f32_e32 v20, s28, v20
	v_min_f32_e32 v17, v20, v17
	flat_store_dword v[18:19], v17
	v_lshl_add_u64 v[18:19], v[0:1], 2, v[14:15]
	flat_load_dword v17, v[18:19]
	s_waitcnt vmcnt(0) lgkmcnt(0)
	v_mul_f32_e32 v18, s28, v17
.LBB11_160:
	v_max_f32_e32 v17, v46, v46
	v_max_f32_e32 v18, v18, v18
	v_min_f32_e32 v17, v18, v17
	v_lshl_add_u64 v[18:19], v[0:1], 2, v[12:13]
	flat_store_dword v[18:19], v17
	s_mov_b64 s[2:3], -1
	v_max_f32_e32 v17, v45, v45
	s_mov_b64 vcc, s[8:9]
	s_cbranch_vccz .LBB11_162
; %bb.161:
	v_min_f32_e32 v20, 0, v17
	v_lshl_add_u64 v[18:19], v[6:7], 2, v[12:13]
	flat_store_dword v[18:19], v20
	s_mov_b64 s[2:3], 0
.LBB11_162:
	s_andn2_b64 vcc, exec, s[2:3]
	v_mov_b32_e32 v18, 0
	s_cbranch_vccnz .LBB11_164
; %bb.163:
	v_lshl_add_u64 v[18:19], v[14:15], 0, v[10:11]
	flat_load_dword v20, v[18:19]
	v_lshl_add_u64 v[18:19], v[12:13], 0, v[10:11]
	v_lshl_add_u64 v[14:15], v[2:3], 2, v[14:15]
	s_waitcnt vmcnt(0) lgkmcnt(0)
	v_mul_f32_e32 v20, s28, v20
	v_min_f32_e32 v17, v20, v17
	flat_store_dword v[18:19], v17
	flat_load_dword v14, v[14:15]
	s_waitcnt vmcnt(0) lgkmcnt(0)
	v_mul_f32_e32 v18, s28, v14
.LBB11_164:
	v_max_f32_e32 v14, v44, v44
	v_max_f32_e32 v15, v18, v18
	v_min_f32_e32 v14, v15, v14
	v_lshl_add_u64 v[12:13], v[2:3], 2, v[12:13]
	flat_store_dword v[12:13], v14
	v_add_u32_e32 v14, 0x78, v16
	v_mad_i64_i32 v[12:13], s[2:3], v14, s5, 0
	v_lshl_add_u64 v[12:13], v[12:13], 2, s[0:1]
	v_mad_i64_i32 v[14:15], s[0:1], v14, s4, 0
	s_mov_b64 s[0:1], -1
	v_max_f32_e32 v16, v43, v43
	s_mov_b64 vcc, s[8:9]
	s_cbranch_vccz .LBB11_166
; %bb.165:
	v_min_f32_e32 v17, 0, v16
	v_lshl_add_u64 v[4:5], v[4:5], 2, v[12:13]
	flat_store_dword v[4:5], v17
	s_mov_b64 s[0:1], 0
.LBB11_166:
	v_lshl_add_u64 v[4:5], v[14:15], 2, s[16:17]
	s_andn2_b64 vcc, exec, s[0:1]
	v_mov_b32_e32 v14, 0
	s_cbranch_vccnz .LBB11_168
; %bb.167:
	v_lshl_add_u64 v[14:15], v[4:5], 0, v[8:9]
	flat_load_dword v14, v[14:15]
	v_lshl_add_u64 v[8:9], v[12:13], 0, v[8:9]
	s_waitcnt vmcnt(0) lgkmcnt(0)
	v_mul_f32_e32 v14, s28, v14
	v_min_f32_e32 v14, v14, v16
	flat_store_dword v[8:9], v14
	v_lshl_add_u64 v[8:9], v[0:1], 2, v[4:5]
	flat_load_dword v8, v[8:9]
	s_waitcnt vmcnt(0) lgkmcnt(0)
	v_mul_f32_e32 v14, s28, v8
.LBB11_168:
	v_max_f32_e32 v8, v42, v42
	v_max_f32_e32 v9, v14, v14
	v_min_f32_e32 v8, v9, v8
	v_lshl_add_u64 v[0:1], v[0:1], 2, v[12:13]
	flat_store_dword v[0:1], v8
	s_mov_b64 s[0:1], -1
	v_max_f32_e32 v0, v41, v41
	s_mov_b64 vcc, s[8:9]
	s_cbranch_vccz .LBB11_170
; %bb.169:
	v_min_f32_e32 v1, 0, v0
	v_lshl_add_u64 v[6:7], v[6:7], 2, v[12:13]
	flat_store_dword v[6:7], v1
	s_mov_b64 s[0:1], 0
.LBB11_170:
	s_andn2_b64 vcc, exec, s[0:1]
	v_mov_b32_e32 v1, 0
	s_cbranch_vccnz .LBB11_172
; %bb.171:
	v_lshl_add_u64 v[6:7], v[4:5], 0, v[10:11]
	flat_load_dword v1, v[6:7]
	v_lshl_add_u64 v[6:7], v[12:13], 0, v[10:11]
	s_waitcnt vmcnt(0) lgkmcnt(0)
	v_mul_f32_e32 v1, s28, v1
	v_min_f32_e32 v0, v1, v0
	flat_store_dword v[6:7], v0
	v_lshl_add_u64 v[0:1], v[2:3], 2, v[4:5]
	flat_load_dword v0, v[0:1]
	s_waitcnt vmcnt(0) lgkmcnt(0)
	v_mul_f32_e32 v1, s28, v0
.LBB11_172:
	v_max_f32_e32 v0, v40, v40
	v_max_f32_e32 v1, v1, v1
	v_min_f32_e32 v4, v1, v0
	v_lshl_add_u64 v[0:1], v[2:3], 2, v[12:13]
	flat_store_dword v[0:1], v4
	s_endpgm
	.section	.rodata,"a",@progbits
	.p2align	6, 0x0
	.amdhsa_kernel _ZN12_GLOBAL__N_120geam_min_plus_kernelIf15HIP_vector_typeIfLj2EEfLi32ELi8ELi128ELi128ELi4ELi4ELi64ELi4ELi64ELc84ELc78ELb0ELb0ELb1EfKPKfKPfEEviiiT16_PT17_ilSA_ilS8_SA_ilPT18_ili26rocblas_geam_ex_operation_
		.amdhsa_group_segment_fixed_size 8192
		.amdhsa_private_segment_fixed_size 0
		.amdhsa_kernarg_size 128
		.amdhsa_user_sgpr_count 2
		.amdhsa_user_sgpr_dispatch_ptr 0
		.amdhsa_user_sgpr_queue_ptr 0
		.amdhsa_user_sgpr_kernarg_segment_ptr 1
		.amdhsa_user_sgpr_dispatch_id 0
		.amdhsa_user_sgpr_kernarg_preload_length 0
		.amdhsa_user_sgpr_kernarg_preload_offset 0
		.amdhsa_user_sgpr_private_segment_size 0
		.amdhsa_uses_dynamic_stack 0
		.amdhsa_enable_private_segment 0
		.amdhsa_system_sgpr_workgroup_id_x 1
		.amdhsa_system_sgpr_workgroup_id_y 0
		.amdhsa_system_sgpr_workgroup_id_z 1
		.amdhsa_system_sgpr_workgroup_info 0
		.amdhsa_system_vgpr_workitem_id 1
		.amdhsa_next_free_vgpr 138
		.amdhsa_next_free_sgpr 30
		.amdhsa_accum_offset 140
		.amdhsa_reserve_vcc 1
		.amdhsa_float_round_mode_32 0
		.amdhsa_float_round_mode_16_64 0
		.amdhsa_float_denorm_mode_32 3
		.amdhsa_float_denorm_mode_16_64 3
		.amdhsa_dx10_clamp 1
		.amdhsa_ieee_mode 1
		.amdhsa_fp16_overflow 0
		.amdhsa_tg_split 0
		.amdhsa_exception_fp_ieee_invalid_op 0
		.amdhsa_exception_fp_denorm_src 0
		.amdhsa_exception_fp_ieee_div_zero 0
		.amdhsa_exception_fp_ieee_overflow 0
		.amdhsa_exception_fp_ieee_underflow 0
		.amdhsa_exception_fp_ieee_inexact 0
		.amdhsa_exception_int_div_zero 0
	.end_amdhsa_kernel
	.section	.text._ZN12_GLOBAL__N_120geam_min_plus_kernelIf15HIP_vector_typeIfLj2EEfLi32ELi8ELi128ELi128ELi4ELi4ELi64ELi4ELi64ELc84ELc78ELb0ELb0ELb1EfKPKfKPfEEviiiT16_PT17_ilSA_ilS8_SA_ilPT18_ili26rocblas_geam_ex_operation_,"axG",@progbits,_ZN12_GLOBAL__N_120geam_min_plus_kernelIf15HIP_vector_typeIfLj2EEfLi32ELi8ELi128ELi128ELi4ELi4ELi64ELi4ELi64ELc84ELc78ELb0ELb0ELb1EfKPKfKPfEEviiiT16_PT17_ilSA_ilS8_SA_ilPT18_ili26rocblas_geam_ex_operation_,comdat
.Lfunc_end11:
	.size	_ZN12_GLOBAL__N_120geam_min_plus_kernelIf15HIP_vector_typeIfLj2EEfLi32ELi8ELi128ELi128ELi4ELi4ELi64ELi4ELi64ELc84ELc78ELb0ELb0ELb1EfKPKfKPfEEviiiT16_PT17_ilSA_ilS8_SA_ilPT18_ili26rocblas_geam_ex_operation_, .Lfunc_end11-_ZN12_GLOBAL__N_120geam_min_plus_kernelIf15HIP_vector_typeIfLj2EEfLi32ELi8ELi128ELi128ELi4ELi4ELi64ELi4ELi64ELc84ELc78ELb0ELb0ELb1EfKPKfKPfEEviiiT16_PT17_ilSA_ilS8_SA_ilPT18_ili26rocblas_geam_ex_operation_
                                        ; -- End function
	.set _ZN12_GLOBAL__N_120geam_min_plus_kernelIf15HIP_vector_typeIfLj2EEfLi32ELi8ELi128ELi128ELi4ELi4ELi64ELi4ELi64ELc84ELc78ELb0ELb0ELb1EfKPKfKPfEEviiiT16_PT17_ilSA_ilS8_SA_ilPT18_ili26rocblas_geam_ex_operation_.num_vgpr, 138
	.set _ZN12_GLOBAL__N_120geam_min_plus_kernelIf15HIP_vector_typeIfLj2EEfLi32ELi8ELi128ELi128ELi4ELi4ELi64ELi4ELi64ELc84ELc78ELb0ELb0ELb1EfKPKfKPfEEviiiT16_PT17_ilSA_ilS8_SA_ilPT18_ili26rocblas_geam_ex_operation_.num_agpr, 0
	.set _ZN12_GLOBAL__N_120geam_min_plus_kernelIf15HIP_vector_typeIfLj2EEfLi32ELi8ELi128ELi128ELi4ELi4ELi64ELi4ELi64ELc84ELc78ELb0ELb0ELb1EfKPKfKPfEEviiiT16_PT17_ilSA_ilS8_SA_ilPT18_ili26rocblas_geam_ex_operation_.numbered_sgpr, 30
	.set _ZN12_GLOBAL__N_120geam_min_plus_kernelIf15HIP_vector_typeIfLj2EEfLi32ELi8ELi128ELi128ELi4ELi4ELi64ELi4ELi64ELc84ELc78ELb0ELb0ELb1EfKPKfKPfEEviiiT16_PT17_ilSA_ilS8_SA_ilPT18_ili26rocblas_geam_ex_operation_.num_named_barrier, 0
	.set _ZN12_GLOBAL__N_120geam_min_plus_kernelIf15HIP_vector_typeIfLj2EEfLi32ELi8ELi128ELi128ELi4ELi4ELi64ELi4ELi64ELc84ELc78ELb0ELb0ELb1EfKPKfKPfEEviiiT16_PT17_ilSA_ilS8_SA_ilPT18_ili26rocblas_geam_ex_operation_.private_seg_size, 0
	.set _ZN12_GLOBAL__N_120geam_min_plus_kernelIf15HIP_vector_typeIfLj2EEfLi32ELi8ELi128ELi128ELi4ELi4ELi64ELi4ELi64ELc84ELc78ELb0ELb0ELb1EfKPKfKPfEEviiiT16_PT17_ilSA_ilS8_SA_ilPT18_ili26rocblas_geam_ex_operation_.uses_vcc, 1
	.set _ZN12_GLOBAL__N_120geam_min_plus_kernelIf15HIP_vector_typeIfLj2EEfLi32ELi8ELi128ELi128ELi4ELi4ELi64ELi4ELi64ELc84ELc78ELb0ELb0ELb1EfKPKfKPfEEviiiT16_PT17_ilSA_ilS8_SA_ilPT18_ili26rocblas_geam_ex_operation_.uses_flat_scratch, 0
	.set _ZN12_GLOBAL__N_120geam_min_plus_kernelIf15HIP_vector_typeIfLj2EEfLi32ELi8ELi128ELi128ELi4ELi4ELi64ELi4ELi64ELc84ELc78ELb0ELb0ELb1EfKPKfKPfEEviiiT16_PT17_ilSA_ilS8_SA_ilPT18_ili26rocblas_geam_ex_operation_.has_dyn_sized_stack, 0
	.set _ZN12_GLOBAL__N_120geam_min_plus_kernelIf15HIP_vector_typeIfLj2EEfLi32ELi8ELi128ELi128ELi4ELi4ELi64ELi4ELi64ELc84ELc78ELb0ELb0ELb1EfKPKfKPfEEviiiT16_PT17_ilSA_ilS8_SA_ilPT18_ili26rocblas_geam_ex_operation_.has_recursion, 0
	.set _ZN12_GLOBAL__N_120geam_min_plus_kernelIf15HIP_vector_typeIfLj2EEfLi32ELi8ELi128ELi128ELi4ELi4ELi64ELi4ELi64ELc84ELc78ELb0ELb0ELb1EfKPKfKPfEEviiiT16_PT17_ilSA_ilS8_SA_ilPT18_ili26rocblas_geam_ex_operation_.has_indirect_call, 0
	.section	.AMDGPU.csdata,"",@progbits
; Kernel info:
; codeLenInByte = 13024
; TotalNumSgprs: 36
; NumVgprs: 138
; NumAgprs: 0
; TotalNumVgprs: 138
; ScratchSize: 0
; MemoryBound: 0
; FloatMode: 240
; IeeeMode: 1
; LDSByteSize: 8192 bytes/workgroup (compile time only)
; SGPRBlocks: 4
; VGPRBlocks: 17
; NumSGPRsForWavesPerEU: 36
; NumVGPRsForWavesPerEU: 138
; AccumOffset: 140
; Occupancy: 3
; WaveLimiterHint : 1
; COMPUTE_PGM_RSRC2:SCRATCH_EN: 0
; COMPUTE_PGM_RSRC2:USER_SGPR: 2
; COMPUTE_PGM_RSRC2:TRAP_HANDLER: 0
; COMPUTE_PGM_RSRC2:TGID_X_EN: 1
; COMPUTE_PGM_RSRC2:TGID_Y_EN: 0
; COMPUTE_PGM_RSRC2:TGID_Z_EN: 1
; COMPUTE_PGM_RSRC2:TIDIG_COMP_CNT: 1
; COMPUTE_PGM_RSRC3_GFX90A:ACCUM_OFFSET: 34
; COMPUTE_PGM_RSRC3_GFX90A:TG_SPLIT: 0
	.section	.text._ZN12_GLOBAL__N_120geam_min_plus_kernelIf15HIP_vector_typeIfLj2EEfLi32ELi8ELi128ELi128ELi4ELi4ELi64ELi4ELi64ELc84ELc78ELb0ELb1ELb1EPKfKS4_KPfEEviiiT16_PT17_ilSA_ilS8_SA_ilPT18_ili26rocblas_geam_ex_operation_,"axG",@progbits,_ZN12_GLOBAL__N_120geam_min_plus_kernelIf15HIP_vector_typeIfLj2EEfLi32ELi8ELi128ELi128ELi4ELi4ELi64ELi4ELi64ELc84ELc78ELb0ELb1ELb1EPKfKS4_KPfEEviiiT16_PT17_ilSA_ilS8_SA_ilPT18_ili26rocblas_geam_ex_operation_,comdat
	.globl	_ZN12_GLOBAL__N_120geam_min_plus_kernelIf15HIP_vector_typeIfLj2EEfLi32ELi8ELi128ELi128ELi4ELi4ELi64ELi4ELi64ELc84ELc78ELb0ELb1ELb1EPKfKS4_KPfEEviiiT16_PT17_ilSA_ilS8_SA_ilPT18_ili26rocblas_geam_ex_operation_ ; -- Begin function _ZN12_GLOBAL__N_120geam_min_plus_kernelIf15HIP_vector_typeIfLj2EEfLi32ELi8ELi128ELi128ELi4ELi4ELi64ELi4ELi64ELc84ELc78ELb0ELb1ELb1EPKfKS4_KPfEEviiiT16_PT17_ilSA_ilS8_SA_ilPT18_ili26rocblas_geam_ex_operation_
	.p2align	8
	.type	_ZN12_GLOBAL__N_120geam_min_plus_kernelIf15HIP_vector_typeIfLj2EEfLi32ELi8ELi128ELi128ELi4ELi4ELi64ELi4ELi64ELc84ELc78ELb0ELb1ELb1EPKfKS4_KPfEEviiiT16_PT17_ilSA_ilS8_SA_ilPT18_ili26rocblas_geam_ex_operation_,@function
_ZN12_GLOBAL__N_120geam_min_plus_kernelIf15HIP_vector_typeIfLj2EEfLi32ELi8ELi128ELi128ELi4ELi4ELi64ELi4ELi64ELc84ELc78ELb0ELb1ELb1EPKfKS4_KPfEEviiiT16_PT17_ilSA_ilS8_SA_ilPT18_ili26rocblas_geam_ex_operation_: ; @_ZN12_GLOBAL__N_120geam_min_plus_kernelIf15HIP_vector_typeIfLj2EEfLi32ELi8ELi128ELi128ELi4ELi4ELi64ELi4ELi64ELc84ELc78ELb0ELb1ELb1EPKfKS4_KPfEEviiiT16_PT17_ilSA_ilS8_SA_ilPT18_ili26rocblas_geam_ex_operation_
; %bb.0:
	s_load_dwordx4 s[12:15], s[0:1], 0x10
	s_load_dwordx4 s[8:11], s[0:1], 0x28
	;; [unrolled: 1-line block ×3, first 2 shown]
	s_mov_b32 s20, s3
	s_mov_b32 s21, 0
	s_lshl_b64 s[16:17], s[20:21], 2
	s_waitcnt lgkmcnt(0)
	s_add_u32 s18, s12, s16
	s_addc_u32 s19, s13, s17
	s_load_dword s30, s[18:19], 0x0
	s_load_dwordx2 s[12:13], s[0:1], 0x50
	s_add_u32 s6, s6, s16
	s_addc_u32 s7, s7, s17
	s_mov_b64 s[22:23], 0
	s_waitcnt lgkmcnt(0)
	v_cmp_eq_f32_e64 s[18:19], s30, 0
	v_cmp_neq_f32_e64 s[16:17], s30, 0
	s_and_b64 vcc, exec, s[18:19]
	s_mov_b64 s[24:25], 0
	s_cbranch_vccnz .LBB12_2
; %bb.1:
	s_lshl_b64 s[18:19], s[20:21], 3
	s_add_u32 s14, s14, s18
	s_addc_u32 s15, s15, s19
	s_load_dwordx2 s[14:15], s[14:15], 0x0
	s_lshl_b64 s[8:9], s[8:9], 2
	s_waitcnt lgkmcnt(0)
	s_add_u32 s24, s14, s8
	s_addc_u32 s25, s15, s9
.LBB12_2:
	s_load_dword s28, s[6:7], 0x0
	s_andn2_b64 vcc, exec, s[16:17]
	s_cbranch_vccnz .LBB12_4
; %bb.3:
	s_lshl_b64 s[6:7], s[20:21], 3
	s_add_u32 s6, s10, s6
	s_addc_u32 s7, s11, s7
	s_load_dwordx2 s[6:7], s[6:7], 0x0
	s_lshl_b64 s[4:5], s[4:5], 2
	s_waitcnt lgkmcnt(0)
	s_add_u32 s22, s6, s4
	s_addc_u32 s23, s7, s5
.LBB12_4:
	s_load_dwordx4 s[4:7], s[0:1], 0x60
	s_waitcnt lgkmcnt(0)
	v_cmp_eq_f32_e64 s[8:9], s28, 0
	v_cmp_neq_f32_e64 s[18:19], s28, 0
	s_and_b64 vcc, exec, s[8:9]
	s_cbranch_vccnz .LBB12_6
; %bb.5:
	s_lshl_b64 s[8:9], s[20:21], 3
	s_add_u32 s8, s12, s8
	s_addc_u32 s9, s13, s9
	s_load_dwordx2 s[8:9], s[8:9], 0x0
	s_lshl_b64 s[4:5], s[4:5], 2
	s_waitcnt lgkmcnt(0)
	s_add_u32 s16, s8, s4
	s_addc_u32 s17, s9, s5
	s_branch .LBB12_7
.LBB12_6:
	s_mov_b64 s[16:17], 0
.LBB12_7:
	s_load_dwordx4 s[12:15], s[0:1], 0x0
	s_load_dword s34, s[0:1], 0x20
	s_lshl_b64 s[4:5], s[20:21], 3
	s_add_u32 s20, s6, s4
	s_addc_u32 s21, s7, s5
	s_waitcnt lgkmcnt(0)
	s_add_i32 s3, s12, -1
	s_ashr_i32 s4, s3, 31
	s_lshr_b32 s4, s4, 25
	s_add_i32 s3, s3, s4
	s_ashr_i32 s3, s3, 7
	s_add_i32 s4, s3, 1
	v_cvt_f32_u32_e32 v1, s4
	s_not_b32 s3, s3
	v_and_b32_e32 v85, 0x3ff, v0
	v_bfe_u32 v86, v0, 10, 10
	v_rcp_iflag_f32_e32 v1, v1
	v_and_b32_e32 v94, 3, v0
	v_lshl_add_u32 v0, v86, 5, v85
	v_lshrrev_b32_e32 v12, 2, v0
	v_mul_f32_e32 v1, 0x4f7ffffe, v1
	v_cvt_u32_f32_e32 v1, v1
	v_cmp_le_i32_e32 vcc, s14, v94
	v_cmp_eq_f32_e64 s[26:27], s30, 0
	v_mov_b32_e32 v5, 0x7f7fffff
	v_readfirstlane_b32 s5, v1
	s_mul_i32 s3, s3, s5
	s_mul_hi_u32 s3, s5, s3
	s_add_i32 s5, s5, s3
	s_mul_hi_u32 s3, s2, s5
	s_mul_i32 s5, s3, s4
	s_sub_i32 s5, s2, s5
	s_add_i32 s6, s3, 1
	s_sub_i32 s7, s5, s4
	s_cmp_ge_u32 s5, s4
	s_cselect_b32 s3, s6, s3
	s_cselect_b32 s5, s7, s5
	s_add_i32 s6, s3, 1
	s_cmp_ge_u32 s5, s4
	s_cselect_b32 s8, s6, s3
	s_mul_i32 s3, s8, s4
	s_sub_i32 s2, s2, s3
	s_lshl_b32 s15, s2, 7
	v_add_u32_e32 v13, s15, v12
	s_add_i32 s31, s14, -1
	v_min_i32_e32 v0, s31, v94
	v_cmp_le_i32_e64 s[2:3], s12, v13
	v_ashrrev_i32_e32 v1, 31, v0
	s_or_b64 s[4:5], vcc, s[2:3]
	v_lshl_add_u64 v[2:3], v[0:1], 2, s[24:25]
	v_cndmask_b32_e64 v4, 0, v5, s[4:5]
	s_nor_b64 s[6:7], s[26:27], s[4:5]
	s_and_saveexec_b64 s[4:5], s[6:7]
	s_cbranch_execz .LBB12_9
; %bb.8:
	v_mad_i64_i32 v[6:7], s[6:7], v13, s34, 0
	v_lshl_add_u64 v[6:7], v[6:7], 2, v[2:3]
	flat_load_dword v4, v[6:7]
	s_waitcnt vmcnt(0) lgkmcnt(0)
	v_mul_f32_e32 v4, s30, v4
.LBB12_9:
	s_or_b64 exec, exec, s[4:5]
	v_add_u32_e32 v14, 64, v13
	v_cmp_le_i32_e64 s[4:5], s12, v14
	s_or_b64 s[6:7], vcc, s[4:5]
	v_cndmask_b32_e64 v5, 0, v5, s[6:7]
	s_nor_b64 s[10:11], s[26:27], s[6:7]
	s_and_saveexec_b64 s[6:7], s[10:11]
	s_cbranch_execz .LBB12_11
; %bb.10:
	v_mad_i64_i32 v[6:7], s[10:11], v14, s34, 0
	v_lshl_add_u64 v[2:3], v[6:7], 2, v[2:3]
	flat_load_dword v2, v[2:3]
	s_waitcnt vmcnt(0) lgkmcnt(0)
	v_mul_f32_e32 v5, s30, v2
.LBB12_11:
	s_or_b64 exec, exec, s[6:7]
	s_load_dword s35, s[0:1], 0x38
	s_lshl_b32 s29, s8, 7
	v_add_u32_e32 v15, s29, v12
	v_cmp_le_i32_e64 s[6:7], s13, v15
	v_mov_b32_e32 v2, 0x7f7fffff
	s_or_b64 s[8:9], vcc, s[6:7]
	v_lshl_add_u64 v[0:1], v[0:1], 2, s[22:23]
	v_cndmask_b32_e64 v6, 0, v2, s[8:9]
	s_nor_b64 s[10:11], s[26:27], s[8:9]
	s_and_saveexec_b64 s[8:9], s[10:11]
	s_cbranch_execz .LBB12_13
; %bb.12:
	s_waitcnt lgkmcnt(0)
	v_mad_i64_i32 v[6:7], s[10:11], v15, s35, 0
	v_lshl_add_u64 v[6:7], v[6:7], 2, v[0:1]
	flat_load_dword v3, v[6:7]
	s_waitcnt vmcnt(0) lgkmcnt(0)
	v_mul_f32_e32 v6, s30, v3
.LBB12_13:
	s_or_b64 exec, exec, s[8:9]
	v_add_u32_e32 v16, 64, v15
	v_cmp_le_i32_e64 s[8:9], s13, v16
	s_or_b64 vcc, vcc, s[8:9]
	v_cndmask_b32_e32 v7, 0, v2, vcc
	s_nor_b64 s[36:37], s[26:27], vcc
	s_and_saveexec_b64 s[10:11], s[36:37]
	s_cbranch_execz .LBB12_15
; %bb.14:
	s_waitcnt lgkmcnt(0)
	v_mad_i64_i32 v[2:3], s[36:37], v16, s35, 0
	v_lshl_add_u64 v[0:1], v[2:3], 2, v[0:1]
	flat_load_dword v0, v[0:1]
	s_waitcnt vmcnt(0) lgkmcnt(0)
	v_mul_f32_e32 v7, s30, v0
.LBB12_15:
	s_or_b64 exec, exec, s[10:11]
	v_or_b32_e32 v0, 4, v94
	v_cmp_le_i32_e32 vcc, s14, v0
	v_min_i32_e32 v0, s31, v0
	v_ashrrev_i32_e32 v1, 31, v0
	v_mov_b32_e32 v8, 0x7f7fffff
	s_or_b64 s[10:11], vcc, s[2:3]
	v_lshl_add_u64 v[2:3], v[0:1], 2, s[24:25]
	v_cndmask_b32_e64 v17, 0, v8, s[10:11]
	s_nor_b64 s[36:37], s[26:27], s[10:11]
	s_and_saveexec_b64 s[10:11], s[36:37]
	s_cbranch_execz .LBB12_17
; %bb.16:
	v_mad_i64_i32 v[10:11], s[36:37], v13, s34, 0
	v_lshl_add_u64 v[10:11], v[10:11], 2, v[2:3]
	flat_load_dword v9, v[10:11]
	s_waitcnt vmcnt(0) lgkmcnt(0)
	v_mul_f32_e32 v17, s30, v9
.LBB12_17:
	s_or_b64 exec, exec, s[10:11]
	s_or_b64 s[10:11], vcc, s[4:5]
	v_cndmask_b32_e64 v18, 0, v8, s[10:11]
	s_nor_b64 s[36:37], s[26:27], s[10:11]
	s_and_saveexec_b64 s[10:11], s[36:37]
	s_cbranch_execz .LBB12_19
; %bb.18:
	v_mad_i64_i32 v[8:9], s[36:37], v14, s34, 0
	v_lshl_add_u64 v[2:3], v[8:9], 2, v[2:3]
	flat_load_dword v2, v[2:3]
	s_waitcnt vmcnt(0) lgkmcnt(0)
	v_mul_f32_e32 v18, s30, v2
.LBB12_19:
	s_or_b64 exec, exec, s[10:11]
	v_mov_b32_e32 v2, 0x7f7fffff
	s_or_b64 s[10:11], vcc, s[6:7]
	v_lshl_add_u64 v[0:1], v[0:1], 2, s[22:23]
	v_cndmask_b32_e64 v19, 0, v2, s[10:11]
	s_nor_b64 s[36:37], s[26:27], s[10:11]
	s_and_saveexec_b64 s[10:11], s[36:37]
	s_cbranch_execz .LBB12_21
; %bb.20:
	s_waitcnt lgkmcnt(0)
	v_mad_i64_i32 v[8:9], s[36:37], v15, s35, 0
	v_lshl_add_u64 v[8:9], v[8:9], 2, v[0:1]
	flat_load_dword v3, v[8:9]
	s_waitcnt vmcnt(0) lgkmcnt(0)
	v_mul_f32_e32 v19, s30, v3
.LBB12_21:
	s_or_b64 exec, exec, s[10:11]
	s_load_dwordx2 s[20:21], s[20:21], 0x0
	s_or_b64 vcc, vcc, s[8:9]
	v_cndmask_b32_e32 v20, 0, v2, vcc
	s_nor_b64 s[36:37], s[26:27], vcc
	s_mov_b32 s33, 0
	s_and_saveexec_b64 s[10:11], s[36:37]
	s_cbranch_execz .LBB12_23
; %bb.22:
	s_waitcnt lgkmcnt(0)
	v_mad_i64_i32 v[2:3], s[36:37], v16, s35, 0
	v_lshl_add_u64 v[0:1], v[2:3], 2, v[0:1]
	flat_load_dword v0, v[0:1]
	s_waitcnt vmcnt(0) lgkmcnt(0)
	v_mul_f32_e32 v20, s30, v0
.LBB12_23:
	s_or_b64 exec, exec, s[10:11]
	v_lshlrev_b32_e32 v0, 4, v12
	v_lshl_or_b32 v95, v94, 2, v0
	v_mov_b32_e32 v0, 0x1000
	v_add_u32_e32 v96, 0x1000, v95
	v_lshlrev_b32_e32 v97, 4, v85
	v_lshl_add_u32 v98, v86, 4, v0
	v_mov_b32_e32 v93, 0x7f7fffff
	s_mov_b64 s[10:11], -1
	v_mov_b32_e32 v92, 0x7f7fffff
	v_mov_b32_e32 v91, 0x7f7fffff
	;; [unrolled: 1-line block ×63, first 2 shown]
	ds_write2st64_b32 v95, v4, v5 offset1:4
	ds_write2st64_b32 v95, v6, v7 offset0:16 offset1:20
	s_waitcnt lgkmcnt(0)
	s_barrier
.LBB12_24:                              ; =>This Inner Loop Header: Depth=1
	v_cndmask_b32_e64 v0, 0, 1, s[10:11]
	s_lshl_b32 s10, s33, 2
	v_cmp_ne_u32_e32 vcc, 1, v0
	v_add_u32_e32 v0, s10, v97
	ds_read2st64_b64 v[4:7], v0 offset1:1
	ds_read2st64_b64 v[0:3], v0 offset0:2 offset1:3
	v_add_u32_e32 v8, s10, v98
	ds_read2_b64 v[22:25], v8 offset1:16
	ds_read2_b64 v[100:103], v8 offset0:32 offset1:48
	ds_read2_b64 v[104:107], v8 offset0:64 offset1:80
	;; [unrolled: 1-line block ×7, first 2 shown]
	s_mov_b64 s[10:11], 0
	s_waitcnt lgkmcnt(7)
	v_pk_add_f32 v[26:27], v[4:5], v[22:23]
	s_and_b64 vcc, exec, vcc
	v_min3_f32 v93, v26, v27, v93
	v_pk_add_f32 v[26:27], v[6:7], v[22:23]
	s_mov_b32 s33, 2
	v_min3_f32 v92, v26, v27, v92
	v_pk_add_f32 v[26:27], v[0:1], v[22:23]
	v_pk_add_f32 v[22:23], v[2:3], v[22:23]
	v_min3_f32 v91, v26, v27, v91
	v_min3_f32 v90, v22, v23, v90
	v_pk_add_f32 v[22:23], v[4:5], v[24:25]
	s_nop 0
	v_min3_f32 v89, v22, v23, v89
	v_pk_add_f32 v[22:23], v[6:7], v[24:25]
	s_nop 0
	v_min3_f32 v88, v22, v23, v88
	v_pk_add_f32 v[22:23], v[0:1], v[24:25]
	s_nop 0
	v_min3_f32 v87, v22, v23, v87
	v_pk_add_f32 v[22:23], v[2:3], v[24:25]
	s_nop 0
	v_min3_f32 v84, v22, v23, v84
	s_waitcnt lgkmcnt(6)
	v_pk_add_f32 v[22:23], v[4:5], v[100:101]
	s_nop 0
	v_min3_f32 v83, v22, v23, v83
	v_pk_add_f32 v[22:23], v[6:7], v[100:101]
	s_nop 0
	v_min3_f32 v82, v22, v23, v82
	v_pk_add_f32 v[22:23], v[0:1], v[100:101]
	s_nop 0
	v_min3_f32 v81, v22, v23, v81
	v_pk_add_f32 v[22:23], v[2:3], v[100:101]
	s_nop 0
	v_min3_f32 v80, v22, v23, v80
	v_pk_add_f32 v[22:23], v[4:5], v[102:103]
	s_nop 0
	v_min3_f32 v79, v22, v23, v79
	v_pk_add_f32 v[22:23], v[6:7], v[102:103]
	s_nop 0
	v_min3_f32 v78, v22, v23, v78
	v_pk_add_f32 v[22:23], v[0:1], v[102:103]
	s_nop 0
	v_min3_f32 v77, v22, v23, v77
	v_pk_add_f32 v[22:23], v[2:3], v[102:103]
	s_nop 0
	v_min3_f32 v76, v22, v23, v76
	s_waitcnt lgkmcnt(5)
	v_pk_add_f32 v[22:23], v[4:5], v[104:105]
	s_nop 0
	v_min3_f32 v75, v22, v23, v75
	v_pk_add_f32 v[22:23], v[6:7], v[104:105]
	s_nop 0
	v_min3_f32 v74, v22, v23, v74
	v_pk_add_f32 v[22:23], v[0:1], v[104:105]
	s_nop 0
	v_min3_f32 v73, v22, v23, v73
	v_pk_add_f32 v[22:23], v[2:3], v[104:105]
	s_nop 0
	;; [unrolled: 25-line block ×6, first 2 shown]
	v_min3_f32 v40, v22, v23, v40
	v_pk_add_f32 v[22:23], v[4:5], v[122:123]
	s_nop 0
	v_min3_f32 v39, v22, v23, v39
	v_pk_add_f32 v[22:23], v[6:7], v[122:123]
	s_nop 0
	;; [unrolled: 3-line block ×4, first 2 shown]
	v_min3_f32 v36, v22, v23, v36
	s_waitcnt lgkmcnt(0)
	v_pk_add_f32 v[22:23], v[4:5], v[8:9]
	v_pk_add_f32 v[4:5], v[4:5], v[10:11]
	v_min3_f32 v35, v22, v23, v35
	v_pk_add_f32 v[22:23], v[6:7], v[8:9]
	v_min3_f32 v31, v4, v5, v31
	v_min3_f32 v34, v22, v23, v34
	v_pk_add_f32 v[22:23], v[0:1], v[8:9]
	v_pk_add_f32 v[0:1], v[0:1], v[10:11]
	;; [unrolled: 1-line block ×4, first 2 shown]
	v_min3_f32 v29, v0, v1, v29
	v_pk_add_f32 v[0:1], v[2:3], v[10:11]
	v_min3_f32 v33, v22, v23, v33
	v_min3_f32 v32, v8, v9, v32
	;; [unrolled: 1-line block ×4, first 2 shown]
	s_cbranch_vccz .LBB12_24
; %bb.25:
	v_lshlrev_b32_e32 v0, 2, v94
	v_lshl_or_b32 v0, v12, 4, v0
	s_cmp_lt_i32 s14, 9
	ds_write2st64_b32 v0, v17, v18 offset0:8 offset1:12
	ds_write2st64_b32 v0, v19, v20 offset0:24 offset1:28
	s_waitcnt lgkmcnt(0)
	s_barrier
	s_cbranch_scc1 .LBB12_48
; %bb.26:
	v_add_u32_e32 v99, 0x800, v0
	v_add_u32_e32 v100, 0x1800, v0
	v_mov_b32_e32 v0, 0x800
	v_lshl_add_u32 v101, v85, 4, v0
	v_mov_b32_e32 v0, 0x1800
	s_add_i32 s33, s14, -8
	v_mad_i64_i32 v[20:21], s[10:11], v13, s34, 0
	v_mad_i64_i32 v[22:23], s[10:11], v14, s34, 0
	;; [unrolled: 1-line block ×4, first 2 shown]
	v_lshl_add_u32 v102, v86, 4, v0
	s_mov_b32 s34, 8
	s_mov_b32 s35, 0
	v_mov_b32_e32 v103, 0x7f7fffff
.LBB12_27:                              ; =>This Loop Header: Depth=1
                                        ;     Child Loop BB12_36 Depth 2
                                        ;     Child Loop BB12_46 Depth 2
	v_or_b32_e32 v104, s34, v94
	v_cmp_le_i32_e32 vcc, s14, v104
	v_min_i32_e32 v0, s31, v104
	v_ashrrev_i32_e32 v1, 31, v0
	s_or_b64 s[10:11], s[2:3], vcc
	v_lshl_add_u64 v[2:3], v[0:1], 2, s[24:25]
	v_cndmask_b32_e64 v105, 0, v103, s[10:11]
	s_nor_b64 s[36:37], s[26:27], s[10:11]
	s_and_saveexec_b64 s[10:11], s[36:37]
	s_cbranch_execz .LBB12_29
; %bb.28:                               ;   in Loop: Header=BB12_27 Depth=1
	v_lshl_add_u64 v[4:5], v[20:21], 2, v[2:3]
	flat_load_dword v4, v[4:5]
	s_waitcnt vmcnt(0) lgkmcnt(0)
	v_mul_f32_e32 v105, s30, v4
.LBB12_29:                              ;   in Loop: Header=BB12_27 Depth=1
	s_or_b64 exec, exec, s[10:11]
	s_or_b64 s[10:11], s[4:5], vcc
	v_cndmask_b32_e64 v106, 0, v103, s[10:11]
	s_nor_b64 s[36:37], s[26:27], s[10:11]
	s_and_saveexec_b64 s[10:11], s[36:37]
	s_cbranch_execz .LBB12_31
; %bb.30:                               ;   in Loop: Header=BB12_27 Depth=1
	v_lshl_add_u64 v[2:3], v[22:23], 2, v[2:3]
	flat_load_dword v2, v[2:3]
	s_waitcnt vmcnt(0) lgkmcnt(0)
	v_mul_f32_e32 v106, s30, v2
.LBB12_31:                              ;   in Loop: Header=BB12_27 Depth=1
	s_or_b64 exec, exec, s[10:11]
	s_or_b64 s[10:11], s[6:7], vcc
	v_lshl_add_u64 v[0:1], v[0:1], 2, s[22:23]
	v_cndmask_b32_e64 v107, 0, v103, s[10:11]
	s_nor_b64 s[36:37], s[26:27], s[10:11]
	s_and_saveexec_b64 s[10:11], s[36:37]
	s_cbranch_execz .LBB12_33
; %bb.32:                               ;   in Loop: Header=BB12_27 Depth=1
	v_lshl_add_u64 v[2:3], v[24:25], 2, v[0:1]
	flat_load_dword v2, v[2:3]
	s_waitcnt vmcnt(0) lgkmcnt(0)
	v_mul_f32_e32 v107, s30, v2
.LBB12_33:                              ;   in Loop: Header=BB12_27 Depth=1
	s_or_b64 exec, exec, s[10:11]
	s_or_b64 vcc, s[8:9], vcc
	v_cndmask_b32_e32 v108, 0, v103, vcc
	s_nor_b64 s[36:37], s[26:27], vcc
	s_and_saveexec_b64 s[10:11], s[36:37]
	s_cbranch_execz .LBB12_35
; %bb.34:                               ;   in Loop: Header=BB12_27 Depth=1
	v_lshl_add_u64 v[0:1], v[26:27], 2, v[0:1]
	flat_load_dword v0, v[0:1]
	s_waitcnt vmcnt(0) lgkmcnt(0)
	v_mul_f32_e32 v108, s30, v0
.LBB12_35:                              ;   in Loop: Header=BB12_27 Depth=1
	s_or_b64 exec, exec, s[10:11]
	s_mov_b32 s36, 0
	s_mov_b64 s[10:11], -1
.LBB12_36:                              ;   Parent Loop BB12_27 Depth=1
                                        ; =>  This Inner Loop Header: Depth=2
	v_cndmask_b32_e64 v0, 0, 1, s[10:11]
	s_lshl_b32 s10, s36, 2
	v_cmp_ne_u32_e32 vcc, 1, v0
	v_add_u32_e32 v0, s10, v101
	ds_read2st64_b64 v[4:7], v0 offset1:1
	ds_read2st64_b64 v[0:3], v0 offset0:2 offset1:3
	v_add_u32_e32 v8, s10, v102
	ds_read2_b64 v[110:113], v8 offset1:16
	ds_read2_b64 v[114:117], v8 offset0:32 offset1:48
	ds_read2_b64 v[118:121], v8 offset0:64 offset1:80
	;; [unrolled: 1-line block ×7, first 2 shown]
	s_mov_b64 s[10:11], 0
	s_waitcnt lgkmcnt(7)
	v_pk_add_f32 v[130:131], v[4:5], v[110:111]
	s_and_b64 vcc, exec, vcc
	v_min3_f32 v93, v130, v131, v93
	v_pk_add_f32 v[130:131], v[6:7], v[110:111]
	s_mov_b32 s36, 2
	v_min3_f32 v92, v130, v131, v92
	v_pk_add_f32 v[130:131], v[0:1], v[110:111]
	v_pk_add_f32 v[110:111], v[2:3], v[110:111]
	v_min3_f32 v91, v130, v131, v91
	v_min3_f32 v90, v110, v111, v90
	v_pk_add_f32 v[110:111], v[4:5], v[112:113]
	s_nop 0
	v_min3_f32 v89, v110, v111, v89
	v_pk_add_f32 v[110:111], v[6:7], v[112:113]
	s_nop 0
	v_min3_f32 v88, v110, v111, v88
	v_pk_add_f32 v[110:111], v[0:1], v[112:113]
	s_nop 0
	v_min3_f32 v87, v110, v111, v87
	v_pk_add_f32 v[110:111], v[2:3], v[112:113]
	s_nop 0
	v_min3_f32 v84, v110, v111, v84
	s_waitcnt lgkmcnt(6)
	v_pk_add_f32 v[110:111], v[4:5], v[114:115]
	s_nop 0
	v_min3_f32 v83, v110, v111, v83
	v_pk_add_f32 v[110:111], v[6:7], v[114:115]
	s_nop 0
	v_min3_f32 v82, v110, v111, v82
	v_pk_add_f32 v[110:111], v[0:1], v[114:115]
	s_nop 0
	v_min3_f32 v81, v110, v111, v81
	v_pk_add_f32 v[110:111], v[2:3], v[114:115]
	s_nop 0
	v_min3_f32 v80, v110, v111, v80
	v_pk_add_f32 v[110:111], v[4:5], v[116:117]
	s_nop 0
	v_min3_f32 v79, v110, v111, v79
	v_pk_add_f32 v[110:111], v[6:7], v[116:117]
	s_nop 0
	v_min3_f32 v78, v110, v111, v78
	v_pk_add_f32 v[110:111], v[0:1], v[116:117]
	s_nop 0
	v_min3_f32 v77, v110, v111, v77
	v_pk_add_f32 v[110:111], v[2:3], v[116:117]
	s_nop 0
	v_min3_f32 v76, v110, v111, v76
	s_waitcnt lgkmcnt(5)
	v_pk_add_f32 v[110:111], v[4:5], v[118:119]
	s_nop 0
	v_min3_f32 v75, v110, v111, v75
	v_pk_add_f32 v[110:111], v[6:7], v[118:119]
	s_nop 0
	v_min3_f32 v74, v110, v111, v74
	v_pk_add_f32 v[110:111], v[0:1], v[118:119]
	s_nop 0
	v_min3_f32 v73, v110, v111, v73
	v_pk_add_f32 v[110:111], v[2:3], v[118:119]
	s_nop 0
	;; [unrolled: 25-line block ×4, first 2 shown]
	v_min3_f32 v56, v110, v111, v56
	v_pk_add_f32 v[110:111], v[4:5], v[128:129]
	s_nop 0
	v_min3_f32 v55, v110, v111, v55
	v_pk_add_f32 v[110:111], v[6:7], v[128:129]
	s_nop 0
	;; [unrolled: 3-line block ×4, first 2 shown]
	v_min3_f32 v52, v110, v111, v52
	s_waitcnt lgkmcnt(2)
	v_pk_add_f32 v[110:111], v[4:5], v[16:17]
	s_nop 0
	v_min3_f32 v51, v110, v111, v51
	v_pk_add_f32 v[110:111], v[6:7], v[16:17]
	s_nop 0
	v_min3_f32 v50, v110, v111, v50
	v_pk_add_f32 v[110:111], v[0:1], v[16:17]
	v_pk_add_f32 v[16:17], v[2:3], v[16:17]
	v_min3_f32 v49, v110, v111, v49
	v_min3_f32 v48, v16, v17, v48
	v_pk_add_f32 v[16:17], v[4:5], v[18:19]
	s_nop 0
	v_min3_f32 v47, v16, v17, v47
	v_pk_add_f32 v[16:17], v[6:7], v[18:19]
	s_nop 0
	v_min3_f32 v46, v16, v17, v46
	v_pk_add_f32 v[16:17], v[0:1], v[18:19]
	s_nop 0
	v_min3_f32 v45, v16, v17, v45
	v_pk_add_f32 v[16:17], v[2:3], v[18:19]
	s_nop 0
	v_min3_f32 v44, v16, v17, v44
	s_waitcnt lgkmcnt(1)
	v_pk_add_f32 v[16:17], v[4:5], v[12:13]
	s_nop 0
	v_min3_f32 v43, v16, v17, v43
	v_pk_add_f32 v[16:17], v[6:7], v[12:13]
	s_nop 0
	v_min3_f32 v42, v16, v17, v42
	v_pk_add_f32 v[16:17], v[0:1], v[12:13]
	v_pk_add_f32 v[12:13], v[2:3], v[12:13]
	v_min3_f32 v41, v16, v17, v41
	v_min3_f32 v40, v12, v13, v40
	v_pk_add_f32 v[12:13], v[4:5], v[14:15]
	s_nop 0
	v_min3_f32 v39, v12, v13, v39
	v_pk_add_f32 v[12:13], v[6:7], v[14:15]
	s_nop 0
	;; [unrolled: 3-line block ×4, first 2 shown]
	v_min3_f32 v36, v12, v13, v36
	s_waitcnt lgkmcnt(0)
	v_pk_add_f32 v[12:13], v[4:5], v[8:9]
	v_pk_add_f32 v[4:5], v[4:5], v[10:11]
	v_min3_f32 v35, v12, v13, v35
	v_pk_add_f32 v[12:13], v[6:7], v[8:9]
	v_min3_f32 v31, v4, v5, v31
	v_min3_f32 v34, v12, v13, v34
	v_pk_add_f32 v[12:13], v[0:1], v[8:9]
	v_pk_add_f32 v[0:1], v[0:1], v[10:11]
	;; [unrolled: 1-line block ×4, first 2 shown]
	v_min3_f32 v29, v0, v1, v29
	v_pk_add_f32 v[0:1], v[2:3], v[10:11]
	v_min3_f32 v33, v12, v13, v33
	v_min3_f32 v32, v8, v9, v32
	;; [unrolled: 1-line block ×4, first 2 shown]
	s_cbranch_vccz .LBB12_36
; %bb.37:                               ;   in Loop: Header=BB12_27 Depth=1
	v_or_b32_e32 v0, 4, v104
	v_cmp_le_i32_e32 vcc, s14, v0
	v_min_i32_e32 v0, s31, v0
	v_ashrrev_i32_e32 v1, 31, v0
	s_or_b64 s[10:11], s[2:3], vcc
	v_lshl_add_u64 v[2:3], v[0:1], 2, s[24:25]
	v_cndmask_b32_e64 v12, 0, v103, s[10:11]
	s_nor_b64 s[36:37], s[26:27], s[10:11]
	ds_write2st64_b32 v95, v105, v106 offset1:4
	ds_write2st64_b32 v96, v107, v108 offset1:4
	s_waitcnt lgkmcnt(0)
	s_barrier
	s_and_saveexec_b64 s[10:11], s[36:37]
	s_cbranch_execz .LBB12_39
; %bb.38:                               ;   in Loop: Header=BB12_27 Depth=1
	v_lshl_add_u64 v[4:5], v[20:21], 2, v[2:3]
	flat_load_dword v4, v[4:5]
	s_waitcnt vmcnt(0) lgkmcnt(0)
	v_mul_f32_e32 v12, s30, v4
.LBB12_39:                              ;   in Loop: Header=BB12_27 Depth=1
	s_or_b64 exec, exec, s[10:11]
	s_or_b64 s[10:11], s[4:5], vcc
	v_cndmask_b32_e64 v13, 0, v103, s[10:11]
	s_nor_b64 s[36:37], s[26:27], s[10:11]
	s_and_saveexec_b64 s[10:11], s[36:37]
	s_cbranch_execz .LBB12_41
; %bb.40:                               ;   in Loop: Header=BB12_27 Depth=1
	v_lshl_add_u64 v[2:3], v[22:23], 2, v[2:3]
	flat_load_dword v2, v[2:3]
	s_waitcnt vmcnt(0) lgkmcnt(0)
	v_mul_f32_e32 v13, s30, v2
.LBB12_41:                              ;   in Loop: Header=BB12_27 Depth=1
	s_or_b64 exec, exec, s[10:11]
	s_or_b64 s[10:11], s[6:7], vcc
	v_lshl_add_u64 v[0:1], v[0:1], 2, s[22:23]
	v_cndmask_b32_e64 v14, 0, v103, s[10:11]
	s_nor_b64 s[36:37], s[26:27], s[10:11]
	s_and_saveexec_b64 s[10:11], s[36:37]
	s_cbranch_execz .LBB12_43
; %bb.42:                               ;   in Loop: Header=BB12_27 Depth=1
	v_lshl_add_u64 v[2:3], v[24:25], 2, v[0:1]
	flat_load_dword v2, v[2:3]
	s_waitcnt vmcnt(0) lgkmcnt(0)
	v_mul_f32_e32 v14, s30, v2
.LBB12_43:                              ;   in Loop: Header=BB12_27 Depth=1
	s_or_b64 exec, exec, s[10:11]
	s_or_b64 vcc, s[8:9], vcc
	v_cndmask_b32_e32 v15, 0, v103, vcc
	s_nor_b64 s[36:37], s[26:27], vcc
	s_and_saveexec_b64 s[10:11], s[36:37]
	s_cbranch_execz .LBB12_45
; %bb.44:                               ;   in Loop: Header=BB12_27 Depth=1
	v_lshl_add_u64 v[0:1], v[26:27], 2, v[0:1]
	flat_load_dword v0, v[0:1]
	s_waitcnt vmcnt(0) lgkmcnt(0)
	v_mul_f32_e32 v15, s30, v0
.LBB12_45:                              ;   in Loop: Header=BB12_27 Depth=1
	s_or_b64 exec, exec, s[10:11]
	s_mov_b32 s36, 0
	s_mov_b64 s[10:11], -1
.LBB12_46:                              ;   Parent Loop BB12_27 Depth=1
                                        ; =>  This Inner Loop Header: Depth=2
	v_cndmask_b32_e64 v0, 0, 1, s[10:11]
	s_lshl_b32 s10, s36, 2
	v_cmp_ne_u32_e32 vcc, 1, v0
	v_add_u32_e32 v0, s10, v97
	ds_read2st64_b64 v[4:7], v0 offset1:1
	ds_read2st64_b64 v[0:3], v0 offset0:2 offset1:3
	v_add_u32_e32 v8, s10, v98
	ds_read2_b64 v[16:19], v8 offset1:16
	ds_read2_b64 v[104:107], v8 offset0:32 offset1:48
	ds_read2_b64 v[108:111], v8 offset0:64 offset1:80
	;; [unrolled: 1-line block ×7, first 2 shown]
	s_mov_b64 s[10:11], 0
	s_waitcnt lgkmcnt(7)
	v_pk_add_f32 v[128:129], v[4:5], v[16:17]
	s_and_b64 vcc, exec, vcc
	v_min3_f32 v93, v128, v129, v93
	v_pk_add_f32 v[128:129], v[6:7], v[16:17]
	s_mov_b32 s36, 2
	v_min3_f32 v92, v128, v129, v92
	v_pk_add_f32 v[128:129], v[0:1], v[16:17]
	v_pk_add_f32 v[16:17], v[2:3], v[16:17]
	v_min3_f32 v91, v128, v129, v91
	v_min3_f32 v90, v16, v17, v90
	v_pk_add_f32 v[16:17], v[4:5], v[18:19]
	s_nop 0
	v_min3_f32 v89, v16, v17, v89
	v_pk_add_f32 v[16:17], v[6:7], v[18:19]
	s_nop 0
	v_min3_f32 v88, v16, v17, v88
	v_pk_add_f32 v[16:17], v[0:1], v[18:19]
	s_nop 0
	v_min3_f32 v87, v16, v17, v87
	v_pk_add_f32 v[16:17], v[2:3], v[18:19]
	s_nop 0
	v_min3_f32 v84, v16, v17, v84
	s_waitcnt lgkmcnt(6)
	v_pk_add_f32 v[16:17], v[4:5], v[104:105]
	s_nop 0
	v_min3_f32 v83, v16, v17, v83
	v_pk_add_f32 v[16:17], v[6:7], v[104:105]
	s_nop 0
	v_min3_f32 v82, v16, v17, v82
	v_pk_add_f32 v[16:17], v[0:1], v[104:105]
	s_nop 0
	v_min3_f32 v81, v16, v17, v81
	v_pk_add_f32 v[16:17], v[2:3], v[104:105]
	s_nop 0
	v_min3_f32 v80, v16, v17, v80
	v_pk_add_f32 v[16:17], v[4:5], v[106:107]
	s_nop 0
	v_min3_f32 v79, v16, v17, v79
	v_pk_add_f32 v[16:17], v[6:7], v[106:107]
	s_nop 0
	v_min3_f32 v78, v16, v17, v78
	v_pk_add_f32 v[16:17], v[0:1], v[106:107]
	s_nop 0
	v_min3_f32 v77, v16, v17, v77
	v_pk_add_f32 v[16:17], v[2:3], v[106:107]
	s_nop 0
	v_min3_f32 v76, v16, v17, v76
	s_waitcnt lgkmcnt(5)
	v_pk_add_f32 v[16:17], v[4:5], v[108:109]
	s_nop 0
	v_min3_f32 v75, v16, v17, v75
	v_pk_add_f32 v[16:17], v[6:7], v[108:109]
	s_nop 0
	v_min3_f32 v74, v16, v17, v74
	v_pk_add_f32 v[16:17], v[0:1], v[108:109]
	s_nop 0
	v_min3_f32 v73, v16, v17, v73
	v_pk_add_f32 v[16:17], v[2:3], v[108:109]
	s_nop 0
	;; [unrolled: 25-line block ×6, first 2 shown]
	v_min3_f32 v40, v16, v17, v40
	v_pk_add_f32 v[16:17], v[4:5], v[126:127]
	s_nop 0
	v_min3_f32 v39, v16, v17, v39
	v_pk_add_f32 v[16:17], v[6:7], v[126:127]
	s_nop 0
	;; [unrolled: 3-line block ×4, first 2 shown]
	v_min3_f32 v36, v16, v17, v36
	s_waitcnt lgkmcnt(0)
	v_pk_add_f32 v[16:17], v[4:5], v[8:9]
	v_pk_add_f32 v[4:5], v[4:5], v[10:11]
	v_min3_f32 v35, v16, v17, v35
	v_pk_add_f32 v[16:17], v[6:7], v[8:9]
	v_min3_f32 v31, v4, v5, v31
	v_min3_f32 v34, v16, v17, v34
	v_pk_add_f32 v[16:17], v[0:1], v[8:9]
	v_pk_add_f32 v[0:1], v[0:1], v[10:11]
	;; [unrolled: 1-line block ×4, first 2 shown]
	v_min3_f32 v29, v0, v1, v29
	v_pk_add_f32 v[0:1], v[2:3], v[10:11]
	v_min3_f32 v33, v16, v17, v33
	v_min3_f32 v32, v8, v9, v32
	;; [unrolled: 1-line block ×4, first 2 shown]
	s_cbranch_vccz .LBB12_46
; %bb.47:                               ;   in Loop: Header=BB12_27 Depth=1
	s_add_i32 s34, s34, 8
	s_add_i32 s35, s35, 8
	s_cmp_ge_i32 s35, s33
	ds_write2st64_b32 v99, v12, v13 offset1:4
	ds_write2st64_b32 v100, v14, v15 offset1:4
	s_waitcnt lgkmcnt(0)
	s_barrier
	s_cbranch_scc0 .LBB12_27
.LBB12_48:
	v_mov_b32_e32 v0, 0x800
	v_lshl_add_u32 v12, v85, 4, v0
	v_mov_b32_e32 v0, 0x1800
	v_lshl_add_u32 v13, v86, 4, v0
	s_mov_b32 s4, 0
	s_mov_b64 s[2:3], -1
.LBB12_49:                              ; =>This Inner Loop Header: Depth=1
	v_cndmask_b32_e64 v0, 0, 1, s[2:3]
	s_lshl_b32 s2, s4, 2
	v_cmp_ne_u32_e32 vcc, 1, v0
	v_add_u32_e32 v0, s2, v12
	ds_read2st64_b64 v[4:7], v0 offset1:1
	ds_read2st64_b64 v[0:3], v0 offset0:2 offset1:3
	v_add_u32_e32 v8, s2, v13
	ds_read2_b64 v[14:17], v8 offset1:16
	ds_read2_b64 v[18:21], v8 offset0:32 offset1:48
	ds_read2_b64 v[22:25], v8 offset0:64 offset1:80
	;; [unrolled: 1-line block ×7, first 2 shown]
	s_mov_b64 s[2:3], 0
	s_waitcnt lgkmcnt(7)
	v_pk_add_f32 v[26:27], v[4:5], v[14:15]
	s_and_b64 vcc, exec, vcc
	v_min3_f32 v93, v26, v27, v93
	v_pk_add_f32 v[26:27], v[6:7], v[14:15]
	s_mov_b32 s4, 2
	v_min3_f32 v92, v26, v27, v92
	v_pk_add_f32 v[26:27], v[0:1], v[14:15]
	v_pk_add_f32 v[14:15], v[2:3], v[14:15]
	v_min3_f32 v91, v26, v27, v91
	v_min3_f32 v90, v14, v15, v90
	v_pk_add_f32 v[14:15], v[4:5], v[16:17]
	s_nop 0
	v_min3_f32 v89, v14, v15, v89
	v_pk_add_f32 v[14:15], v[6:7], v[16:17]
	s_nop 0
	v_min3_f32 v88, v14, v15, v88
	v_pk_add_f32 v[14:15], v[0:1], v[16:17]
	s_nop 0
	v_min3_f32 v87, v14, v15, v87
	v_pk_add_f32 v[14:15], v[2:3], v[16:17]
	s_nop 0
	v_min3_f32 v84, v14, v15, v84
	s_waitcnt lgkmcnt(6)
	v_pk_add_f32 v[14:15], v[4:5], v[18:19]
	s_nop 0
	v_min3_f32 v83, v14, v15, v83
	v_pk_add_f32 v[14:15], v[6:7], v[18:19]
	s_nop 0
	v_min3_f32 v82, v14, v15, v82
	v_pk_add_f32 v[14:15], v[0:1], v[18:19]
	s_nop 0
	v_min3_f32 v81, v14, v15, v81
	v_pk_add_f32 v[14:15], v[2:3], v[18:19]
	s_nop 0
	v_min3_f32 v80, v14, v15, v80
	v_pk_add_f32 v[14:15], v[4:5], v[20:21]
	s_nop 0
	v_min3_f32 v79, v14, v15, v79
	v_pk_add_f32 v[14:15], v[6:7], v[20:21]
	s_nop 0
	v_min3_f32 v78, v14, v15, v78
	v_pk_add_f32 v[14:15], v[0:1], v[20:21]
	s_nop 0
	v_min3_f32 v77, v14, v15, v77
	v_pk_add_f32 v[14:15], v[2:3], v[20:21]
	s_nop 0
	v_min3_f32 v76, v14, v15, v76
	s_waitcnt lgkmcnt(5)
	v_pk_add_f32 v[14:15], v[4:5], v[22:23]
	s_nop 0
	v_min3_f32 v75, v14, v15, v75
	v_pk_add_f32 v[14:15], v[6:7], v[22:23]
	s_nop 0
	v_min3_f32 v74, v14, v15, v74
	v_pk_add_f32 v[14:15], v[0:1], v[22:23]
	s_nop 0
	v_min3_f32 v73, v14, v15, v73
	v_pk_add_f32 v[14:15], v[2:3], v[22:23]
	s_nop 0
	;; [unrolled: 25-line block ×6, first 2 shown]
	v_min3_f32 v40, v14, v15, v40
	v_pk_add_f32 v[14:15], v[4:5], v[108:109]
	s_nop 0
	v_min3_f32 v39, v14, v15, v39
	v_pk_add_f32 v[14:15], v[6:7], v[108:109]
	s_nop 0
	;; [unrolled: 3-line block ×4, first 2 shown]
	v_min3_f32 v36, v14, v15, v36
	s_waitcnt lgkmcnt(0)
	v_pk_add_f32 v[14:15], v[4:5], v[8:9]
	v_pk_add_f32 v[4:5], v[4:5], v[10:11]
	v_min3_f32 v35, v14, v15, v35
	v_pk_add_f32 v[14:15], v[6:7], v[8:9]
	v_min3_f32 v31, v4, v5, v31
	v_min3_f32 v34, v14, v15, v34
	v_pk_add_f32 v[14:15], v[0:1], v[8:9]
	v_pk_add_f32 v[0:1], v[0:1], v[10:11]
	;; [unrolled: 1-line block ×4, first 2 shown]
	v_min3_f32 v29, v0, v1, v29
	v_pk_add_f32 v[0:1], v[2:3], v[10:11]
	v_min3_f32 v33, v14, v15, v33
	v_min3_f32 v32, v8, v9, v32
	;; [unrolled: 1-line block ×4, first 2 shown]
	s_cbranch_vccz .LBB12_49
; %bb.50:
	s_load_dwordx2 s[2:3], s[0:1], 0x78
	s_load_dword s23, s[0:1], 0x58
	s_load_dword s22, s[0:1], 0x70
	v_add_u32_e32 v12, s29, v86
	v_add_u32_e32 v0, s15, v85
	s_waitcnt lgkmcnt(0)
	s_lshl_b64 s[0:1], s[2:3], 2
	s_add_u32 s14, s20, s0
	s_addc_u32 s15, s21, s1
	v_mad_i64_i32 v[2:3], s[0:1], v12, s23, 0
	v_lshl_add_u64 v[10:11], v[2:3], 2, s[16:17]
	v_mad_i64_i32 v[2:3], s[0:1], v12, s22, 0
	v_cmp_gt_i32_e64 s[2:3], s12, v0
	v_cmp_gt_i32_e64 s[10:11], s13, v12
	v_lshl_add_u64 v[8:9], v[2:3], 2, s[14:15]
	v_cndmask_b32_e64 v2, 0, 1, s[18:19]
	v_ashrrev_i32_e32 v1, 31, v0
	s_and_b64 s[6:7], s[2:3], s[10:11]
	v_cmp_ne_u32_e64 s[0:1], 1, v2
	s_and_saveexec_b64 s[4:5], s[6:7]
	s_cbranch_execz .LBB12_55
; %bb.51:
	s_and_b64 vcc, exec, s[0:1]
	s_cbranch_vccnz .LBB12_53
; %bb.52:
	v_lshl_add_u64 v[2:3], v[0:1], 2, v[10:11]
	flat_load_dword v2, v[2:3]
	s_waitcnt vmcnt(0) lgkmcnt(0)
	v_mul_f32_e32 v2, s28, v2
	s_branch .LBB12_54
.LBB12_53:
	v_mov_b32_e32 v2, 0
.LBB12_54:
	v_max_f32_e32 v3, v93, v93
	v_max_f32_e32 v2, v2, v2
	v_min_f32_e32 v4, v2, v3
	v_lshl_add_u64 v[2:3], v[0:1], 2, v[8:9]
	flat_store_dword v[2:3], v4
.LBB12_55:
	s_or_b64 exec, exec, s[4:5]
	v_add_u32_e32 v2, 32, v0
	v_cmp_gt_i32_e64 s[4:5], s12, v2
	v_ashrrev_i32_e32 v3, 31, v2
	s_and_b64 s[8:9], s[4:5], s[10:11]
	s_and_saveexec_b64 s[6:7], s[8:9]
	s_cbranch_execz .LBB12_60
; %bb.56:
	s_and_b64 vcc, exec, s[0:1]
	s_cbranch_vccnz .LBB12_58
; %bb.57:
	v_lshl_add_u64 v[4:5], v[2:3], 2, v[10:11]
	flat_load_dword v4, v[4:5]
	s_waitcnt vmcnt(0) lgkmcnt(0)
	v_mul_f32_e32 v4, s28, v4
	s_branch .LBB12_59
.LBB12_58:
	v_mov_b32_e32 v4, 0
.LBB12_59:
	v_max_f32_e32 v5, v92, v92
	v_max_f32_e32 v4, v4, v4
	v_min_f32_e32 v6, v4, v5
	v_lshl_add_u64 v[4:5], v[2:3], 2, v[8:9]
	flat_store_dword v[4:5], v6
.LBB12_60:
	s_or_b64 exec, exec, s[6:7]
	v_add_u32_e32 v4, 64, v0
	v_cmp_gt_i32_e64 s[6:7], s12, v4
	v_ashrrev_i32_e32 v5, 31, v4
	s_and_b64 s[18:19], s[6:7], s[10:11]
	;; [unrolled: 25-line block ×3, first 2 shown]
	s_and_saveexec_b64 s[10:11], s[18:19]
	s_cbranch_execz .LBB12_70
; %bb.66:
	s_and_b64 vcc, exec, s[0:1]
	s_cbranch_vccnz .LBB12_68
; %bb.67:
	v_lshl_add_u64 v[10:11], v[6:7], 2, v[10:11]
	flat_load_dword v10, v[10:11]
	s_waitcnt vmcnt(0) lgkmcnt(0)
	v_mul_f32_e32 v10, s28, v10
	s_branch .LBB12_69
.LBB12_68:
	v_mov_b32_e32 v10, 0
.LBB12_69:
	v_max_f32_e32 v11, v90, v90
	v_max_f32_e32 v10, v10, v10
	v_min_f32_e32 v10, v10, v11
	v_lshl_add_u64 v[8:9], v[6:7], 2, v[8:9]
	flat_store_dword v[8:9], v10
.LBB12_70:
	s_or_b64 exec, exec, s[10:11]
	v_add_u32_e32 v13, 8, v12
	v_mad_i64_i32 v[8:9], s[18:19], v13, s23, 0
	v_cmp_gt_i32_e64 s[10:11], s13, v13
	v_lshl_add_u64 v[10:11], v[8:9], 2, s[16:17]
	v_mad_i64_i32 v[8:9], s[18:19], v13, s22, 0
	v_lshl_add_u64 v[8:9], v[8:9], 2, s[14:15]
	s_and_b64 s[20:21], s[2:3], s[10:11]
	s_and_saveexec_b64 s[18:19], s[20:21]
	s_cbranch_execnz .LBB12_74
; %bb.71:
	s_or_b64 exec, exec, s[18:19]
	s_and_b64 s[20:21], s[4:5], s[10:11]
	s_and_saveexec_b64 s[18:19], s[20:21]
	s_cbranch_execnz .LBB12_78
.LBB12_72:
	s_or_b64 exec, exec, s[18:19]
	s_and_b64 s[20:21], s[6:7], s[10:11]
	s_and_saveexec_b64 s[18:19], s[20:21]
	s_cbranch_execnz .LBB12_82
.LBB12_73:
	s_or_b64 exec, exec, s[18:19]
	s_and_b64 s[18:19], s[8:9], s[10:11]
	s_and_saveexec_b64 s[10:11], s[18:19]
	s_cbranch_execnz .LBB12_86
	s_branch .LBB12_90
.LBB12_74:
	s_and_b64 vcc, exec, s[0:1]
	s_cbranch_vccnz .LBB12_76
; %bb.75:
	v_lshl_add_u64 v[14:15], v[0:1], 2, v[10:11]
	flat_load_dword v13, v[14:15]
	s_waitcnt vmcnt(0) lgkmcnt(0)
	v_mul_f32_e32 v13, s28, v13
	s_branch .LBB12_77
.LBB12_76:
	v_mov_b32_e32 v13, 0
.LBB12_77:
	v_max_f32_e32 v14, v89, v89
	v_max_f32_e32 v13, v13, v13
	v_min_f32_e32 v13, v13, v14
	v_lshl_add_u64 v[14:15], v[0:1], 2, v[8:9]
	flat_store_dword v[14:15], v13
	s_or_b64 exec, exec, s[18:19]
	s_and_b64 s[20:21], s[4:5], s[10:11]
	s_and_saveexec_b64 s[18:19], s[20:21]
	s_cbranch_execz .LBB12_72
.LBB12_78:
	s_and_b64 vcc, exec, s[0:1]
	s_cbranch_vccnz .LBB12_80
; %bb.79:
	v_lshl_add_u64 v[14:15], v[2:3], 2, v[10:11]
	flat_load_dword v13, v[14:15]
	s_waitcnt vmcnt(0) lgkmcnt(0)
	v_mul_f32_e32 v13, s28, v13
	s_branch .LBB12_81
.LBB12_80:
	v_mov_b32_e32 v13, 0
.LBB12_81:
	v_max_f32_e32 v14, v88, v88
	v_max_f32_e32 v13, v13, v13
	v_min_f32_e32 v13, v13, v14
	v_lshl_add_u64 v[14:15], v[2:3], 2, v[8:9]
	flat_store_dword v[14:15], v13
	s_or_b64 exec, exec, s[18:19]
	s_and_b64 s[20:21], s[6:7], s[10:11]
	s_and_saveexec_b64 s[18:19], s[20:21]
	s_cbranch_execz .LBB12_73
.LBB12_82:
	s_and_b64 vcc, exec, s[0:1]
	s_cbranch_vccnz .LBB12_84
; %bb.83:
	v_lshl_add_u64 v[14:15], v[4:5], 2, v[10:11]
	flat_load_dword v13, v[14:15]
	s_waitcnt vmcnt(0) lgkmcnt(0)
	v_mul_f32_e32 v13, s28, v13
	s_branch .LBB12_85
.LBB12_84:
	v_mov_b32_e32 v13, 0
.LBB12_85:
	v_max_f32_e32 v14, v87, v87
	v_max_f32_e32 v13, v13, v13
	v_min_f32_e32 v13, v13, v14
	v_lshl_add_u64 v[14:15], v[4:5], 2, v[8:9]
	flat_store_dword v[14:15], v13
	s_or_b64 exec, exec, s[18:19]
	s_and_b64 s[18:19], s[8:9], s[10:11]
	s_and_saveexec_b64 s[10:11], s[18:19]
	s_cbranch_execz .LBB12_90
.LBB12_86:
	s_and_b64 vcc, exec, s[0:1]
	s_cbranch_vccnz .LBB12_88
; %bb.87:
	v_lshl_add_u64 v[10:11], v[6:7], 2, v[10:11]
	flat_load_dword v10, v[10:11]
	s_waitcnt vmcnt(0) lgkmcnt(0)
	v_mul_f32_e32 v10, s28, v10
	s_branch .LBB12_89
.LBB12_88:
	v_mov_b32_e32 v10, 0
.LBB12_89:
	v_max_f32_e32 v11, v84, v84
	v_max_f32_e32 v10, v10, v10
	v_min_f32_e32 v10, v10, v11
	v_lshl_add_u64 v[8:9], v[6:7], 2, v[8:9]
	flat_store_dword v[8:9], v10
.LBB12_90:
	s_or_b64 exec, exec, s[10:11]
	v_add_u32_e32 v13, 16, v12
	v_mad_i64_i32 v[8:9], s[18:19], v13, s23, 0
	v_cmp_gt_i32_e64 s[10:11], s13, v13
	v_lshl_add_u64 v[10:11], v[8:9], 2, s[16:17]
	v_mad_i64_i32 v[8:9], s[18:19], v13, s22, 0
	v_lshl_add_u64 v[8:9], v[8:9], 2, s[14:15]
	s_and_b64 s[20:21], s[2:3], s[10:11]
	s_and_saveexec_b64 s[18:19], s[20:21]
	s_cbranch_execnz .LBB12_94
; %bb.91:
	s_or_b64 exec, exec, s[18:19]
	s_and_b64 s[20:21], s[4:5], s[10:11]
	s_and_saveexec_b64 s[18:19], s[20:21]
	s_cbranch_execnz .LBB12_98
.LBB12_92:
	s_or_b64 exec, exec, s[18:19]
	s_and_b64 s[20:21], s[6:7], s[10:11]
	s_and_saveexec_b64 s[18:19], s[20:21]
	s_cbranch_execnz .LBB12_102
.LBB12_93:
	s_or_b64 exec, exec, s[18:19]
	s_and_b64 s[18:19], s[8:9], s[10:11]
	s_and_saveexec_b64 s[10:11], s[18:19]
	s_cbranch_execnz .LBB12_106
	s_branch .LBB12_110
.LBB12_94:
	s_and_b64 vcc, exec, s[0:1]
	s_cbranch_vccnz .LBB12_96
; %bb.95:
	v_lshl_add_u64 v[14:15], v[0:1], 2, v[10:11]
	flat_load_dword v13, v[14:15]
	s_waitcnt vmcnt(0) lgkmcnt(0)
	v_mul_f32_e32 v13, s28, v13
	s_branch .LBB12_97
.LBB12_96:
	v_mov_b32_e32 v13, 0
.LBB12_97:
	v_max_f32_e32 v14, v83, v83
	v_max_f32_e32 v13, v13, v13
	v_min_f32_e32 v13, v13, v14
	v_lshl_add_u64 v[14:15], v[0:1], 2, v[8:9]
	flat_store_dword v[14:15], v13
	s_or_b64 exec, exec, s[18:19]
	s_and_b64 s[20:21], s[4:5], s[10:11]
	s_and_saveexec_b64 s[18:19], s[20:21]
	s_cbranch_execz .LBB12_92
.LBB12_98:
	s_and_b64 vcc, exec, s[0:1]
	s_cbranch_vccnz .LBB12_100
; %bb.99:
	v_lshl_add_u64 v[14:15], v[2:3], 2, v[10:11]
	flat_load_dword v13, v[14:15]
	s_waitcnt vmcnt(0) lgkmcnt(0)
	v_mul_f32_e32 v13, s28, v13
	s_branch .LBB12_101
.LBB12_100:
	v_mov_b32_e32 v13, 0
.LBB12_101:
	v_max_f32_e32 v14, v82, v82
	v_max_f32_e32 v13, v13, v13
	v_min_f32_e32 v13, v13, v14
	v_lshl_add_u64 v[14:15], v[2:3], 2, v[8:9]
	flat_store_dword v[14:15], v13
	s_or_b64 exec, exec, s[18:19]
	s_and_b64 s[20:21], s[6:7], s[10:11]
	s_and_saveexec_b64 s[18:19], s[20:21]
	s_cbranch_execz .LBB12_93
.LBB12_102:
	s_and_b64 vcc, exec, s[0:1]
	s_cbranch_vccnz .LBB12_104
; %bb.103:
	v_lshl_add_u64 v[14:15], v[4:5], 2, v[10:11]
	flat_load_dword v13, v[14:15]
	s_waitcnt vmcnt(0) lgkmcnt(0)
	v_mul_f32_e32 v13, s28, v13
	s_branch .LBB12_105
.LBB12_104:
	v_mov_b32_e32 v13, 0
.LBB12_105:
	v_max_f32_e32 v14, v81, v81
	v_max_f32_e32 v13, v13, v13
	v_min_f32_e32 v13, v13, v14
	v_lshl_add_u64 v[14:15], v[4:5], 2, v[8:9]
	flat_store_dword v[14:15], v13
	s_or_b64 exec, exec, s[18:19]
	s_and_b64 s[18:19], s[8:9], s[10:11]
	s_and_saveexec_b64 s[10:11], s[18:19]
	s_cbranch_execz .LBB12_110
.LBB12_106:
	s_and_b64 vcc, exec, s[0:1]
	s_cbranch_vccnz .LBB12_108
; %bb.107:
	v_lshl_add_u64 v[10:11], v[6:7], 2, v[10:11]
	flat_load_dword v10, v[10:11]
	s_waitcnt vmcnt(0) lgkmcnt(0)
	v_mul_f32_e32 v10, s28, v10
	s_branch .LBB12_109
.LBB12_108:
	v_mov_b32_e32 v10, 0
.LBB12_109:
	v_max_f32_e32 v11, v80, v80
	v_max_f32_e32 v10, v10, v10
	v_min_f32_e32 v10, v10, v11
	v_lshl_add_u64 v[8:9], v[6:7], 2, v[8:9]
	flat_store_dword v[8:9], v10
.LBB12_110:
	s_or_b64 exec, exec, s[10:11]
	v_add_u32_e32 v13, 24, v12
	v_mad_i64_i32 v[8:9], s[18:19], v13, s23, 0
	v_cmp_gt_i32_e64 s[10:11], s13, v13
	v_lshl_add_u64 v[10:11], v[8:9], 2, s[16:17]
	v_mad_i64_i32 v[8:9], s[18:19], v13, s22, 0
	v_lshl_add_u64 v[8:9], v[8:9], 2, s[14:15]
	s_and_b64 s[20:21], s[2:3], s[10:11]
	s_and_saveexec_b64 s[18:19], s[20:21]
	s_cbranch_execnz .LBB12_114
; %bb.111:
	s_or_b64 exec, exec, s[18:19]
	s_and_b64 s[20:21], s[4:5], s[10:11]
	s_and_saveexec_b64 s[18:19], s[20:21]
	s_cbranch_execnz .LBB12_118
.LBB12_112:
	s_or_b64 exec, exec, s[18:19]
	s_and_b64 s[20:21], s[6:7], s[10:11]
	s_and_saveexec_b64 s[18:19], s[20:21]
	s_cbranch_execnz .LBB12_122
.LBB12_113:
	s_or_b64 exec, exec, s[18:19]
	s_and_b64 s[18:19], s[8:9], s[10:11]
	s_and_saveexec_b64 s[10:11], s[18:19]
	s_cbranch_execnz .LBB12_126
	s_branch .LBB12_130
.LBB12_114:
	s_and_b64 vcc, exec, s[0:1]
	s_cbranch_vccnz .LBB12_116
; %bb.115:
	v_lshl_add_u64 v[14:15], v[0:1], 2, v[10:11]
	flat_load_dword v13, v[14:15]
	s_waitcnt vmcnt(0) lgkmcnt(0)
	v_mul_f32_e32 v13, s28, v13
	s_branch .LBB12_117
.LBB12_116:
	v_mov_b32_e32 v13, 0
.LBB12_117:
	v_max_f32_e32 v14, v79, v79
	v_max_f32_e32 v13, v13, v13
	v_min_f32_e32 v13, v13, v14
	v_lshl_add_u64 v[14:15], v[0:1], 2, v[8:9]
	flat_store_dword v[14:15], v13
	s_or_b64 exec, exec, s[18:19]
	s_and_b64 s[20:21], s[4:5], s[10:11]
	s_and_saveexec_b64 s[18:19], s[20:21]
	s_cbranch_execz .LBB12_112
.LBB12_118:
	s_and_b64 vcc, exec, s[0:1]
	s_cbranch_vccnz .LBB12_120
; %bb.119:
	v_lshl_add_u64 v[14:15], v[2:3], 2, v[10:11]
	flat_load_dword v13, v[14:15]
	s_waitcnt vmcnt(0) lgkmcnt(0)
	v_mul_f32_e32 v13, s28, v13
	s_branch .LBB12_121
.LBB12_120:
	v_mov_b32_e32 v13, 0
.LBB12_121:
	v_max_f32_e32 v14, v78, v78
	v_max_f32_e32 v13, v13, v13
	v_min_f32_e32 v13, v13, v14
	v_lshl_add_u64 v[14:15], v[2:3], 2, v[8:9]
	flat_store_dword v[14:15], v13
	s_or_b64 exec, exec, s[18:19]
	s_and_b64 s[20:21], s[6:7], s[10:11]
	s_and_saveexec_b64 s[18:19], s[20:21]
	s_cbranch_execz .LBB12_113
.LBB12_122:
	s_and_b64 vcc, exec, s[0:1]
	s_cbranch_vccnz .LBB12_124
; %bb.123:
	v_lshl_add_u64 v[14:15], v[4:5], 2, v[10:11]
	flat_load_dword v13, v[14:15]
	s_waitcnt vmcnt(0) lgkmcnt(0)
	v_mul_f32_e32 v13, s28, v13
	s_branch .LBB12_125
.LBB12_124:
	v_mov_b32_e32 v13, 0
.LBB12_125:
	v_max_f32_e32 v14, v77, v77
	v_max_f32_e32 v13, v13, v13
	v_min_f32_e32 v13, v13, v14
	v_lshl_add_u64 v[14:15], v[4:5], 2, v[8:9]
	flat_store_dword v[14:15], v13
	s_or_b64 exec, exec, s[18:19]
	s_and_b64 s[18:19], s[8:9], s[10:11]
	s_and_saveexec_b64 s[10:11], s[18:19]
	s_cbranch_execz .LBB12_130
.LBB12_126:
	s_and_b64 vcc, exec, s[0:1]
	s_cbranch_vccnz .LBB12_128
; %bb.127:
	v_lshl_add_u64 v[10:11], v[6:7], 2, v[10:11]
	flat_load_dword v10, v[10:11]
	s_waitcnt vmcnt(0) lgkmcnt(0)
	v_mul_f32_e32 v10, s28, v10
	s_branch .LBB12_129
.LBB12_128:
	v_mov_b32_e32 v10, 0
.LBB12_129:
	v_max_f32_e32 v11, v76, v76
	v_max_f32_e32 v10, v10, v10
	v_min_f32_e32 v10, v10, v11
	v_lshl_add_u64 v[8:9], v[6:7], 2, v[8:9]
	flat_store_dword v[8:9], v10
.LBB12_130:
	s_or_b64 exec, exec, s[10:11]
	v_add_u32_e32 v13, 32, v12
	v_mad_i64_i32 v[8:9], s[18:19], v13, s23, 0
	v_cmp_gt_i32_e64 s[10:11], s13, v13
	v_lshl_add_u64 v[10:11], v[8:9], 2, s[16:17]
	v_mad_i64_i32 v[8:9], s[18:19], v13, s22, 0
	v_lshl_add_u64 v[8:9], v[8:9], 2, s[14:15]
	s_and_b64 s[20:21], s[2:3], s[10:11]
	s_and_saveexec_b64 s[18:19], s[20:21]
	s_cbranch_execnz .LBB12_134
; %bb.131:
	s_or_b64 exec, exec, s[18:19]
	s_and_b64 s[20:21], s[4:5], s[10:11]
	s_and_saveexec_b64 s[18:19], s[20:21]
	s_cbranch_execnz .LBB12_138
.LBB12_132:
	s_or_b64 exec, exec, s[18:19]
	s_and_b64 s[20:21], s[6:7], s[10:11]
	s_and_saveexec_b64 s[18:19], s[20:21]
	s_cbranch_execnz .LBB12_142
.LBB12_133:
	s_or_b64 exec, exec, s[18:19]
	s_and_b64 s[18:19], s[8:9], s[10:11]
	s_and_saveexec_b64 s[10:11], s[18:19]
	s_cbranch_execnz .LBB12_146
	s_branch .LBB12_150
.LBB12_134:
	s_and_b64 vcc, exec, s[0:1]
	s_cbranch_vccnz .LBB12_136
; %bb.135:
	v_lshl_add_u64 v[14:15], v[0:1], 2, v[10:11]
	flat_load_dword v13, v[14:15]
	s_waitcnt vmcnt(0) lgkmcnt(0)
	v_mul_f32_e32 v13, s28, v13
	s_branch .LBB12_137
.LBB12_136:
	v_mov_b32_e32 v13, 0
.LBB12_137:
	v_max_f32_e32 v14, v75, v75
	v_max_f32_e32 v13, v13, v13
	v_min_f32_e32 v13, v13, v14
	v_lshl_add_u64 v[14:15], v[0:1], 2, v[8:9]
	flat_store_dword v[14:15], v13
	s_or_b64 exec, exec, s[18:19]
	s_and_b64 s[20:21], s[4:5], s[10:11]
	s_and_saveexec_b64 s[18:19], s[20:21]
	s_cbranch_execz .LBB12_132
.LBB12_138:
	s_and_b64 vcc, exec, s[0:1]
	s_cbranch_vccnz .LBB12_140
; %bb.139:
	v_lshl_add_u64 v[14:15], v[2:3], 2, v[10:11]
	flat_load_dword v13, v[14:15]
	s_waitcnt vmcnt(0) lgkmcnt(0)
	v_mul_f32_e32 v13, s28, v13
	s_branch .LBB12_141
.LBB12_140:
	v_mov_b32_e32 v13, 0
.LBB12_141:
	v_max_f32_e32 v14, v74, v74
	v_max_f32_e32 v13, v13, v13
	v_min_f32_e32 v13, v13, v14
	v_lshl_add_u64 v[14:15], v[2:3], 2, v[8:9]
	flat_store_dword v[14:15], v13
	s_or_b64 exec, exec, s[18:19]
	s_and_b64 s[20:21], s[6:7], s[10:11]
	s_and_saveexec_b64 s[18:19], s[20:21]
	s_cbranch_execz .LBB12_133
.LBB12_142:
	s_and_b64 vcc, exec, s[0:1]
	s_cbranch_vccnz .LBB12_144
; %bb.143:
	v_lshl_add_u64 v[14:15], v[4:5], 2, v[10:11]
	flat_load_dword v13, v[14:15]
	s_waitcnt vmcnt(0) lgkmcnt(0)
	v_mul_f32_e32 v13, s28, v13
	s_branch .LBB12_145
.LBB12_144:
	v_mov_b32_e32 v13, 0
.LBB12_145:
	v_max_f32_e32 v14, v73, v73
	v_max_f32_e32 v13, v13, v13
	v_min_f32_e32 v13, v13, v14
	v_lshl_add_u64 v[14:15], v[4:5], 2, v[8:9]
	flat_store_dword v[14:15], v13
	s_or_b64 exec, exec, s[18:19]
	s_and_b64 s[18:19], s[8:9], s[10:11]
	s_and_saveexec_b64 s[10:11], s[18:19]
	s_cbranch_execz .LBB12_150
.LBB12_146:
	s_and_b64 vcc, exec, s[0:1]
	s_cbranch_vccnz .LBB12_148
; %bb.147:
	v_lshl_add_u64 v[10:11], v[6:7], 2, v[10:11]
	flat_load_dword v10, v[10:11]
	s_waitcnt vmcnt(0) lgkmcnt(0)
	v_mul_f32_e32 v10, s28, v10
	s_branch .LBB12_149
.LBB12_148:
	v_mov_b32_e32 v10, 0
.LBB12_149:
	v_max_f32_e32 v11, v72, v72
	v_max_f32_e32 v10, v10, v10
	v_min_f32_e32 v10, v10, v11
	v_lshl_add_u64 v[8:9], v[6:7], 2, v[8:9]
	flat_store_dword v[8:9], v10
.LBB12_150:
	s_or_b64 exec, exec, s[10:11]
	v_add_u32_e32 v13, 40, v12
	v_mad_i64_i32 v[8:9], s[18:19], v13, s23, 0
	v_cmp_gt_i32_e64 s[10:11], s13, v13
	v_lshl_add_u64 v[10:11], v[8:9], 2, s[16:17]
	v_mad_i64_i32 v[8:9], s[18:19], v13, s22, 0
	v_lshl_add_u64 v[8:9], v[8:9], 2, s[14:15]
	s_and_b64 s[20:21], s[2:3], s[10:11]
	s_and_saveexec_b64 s[18:19], s[20:21]
	s_cbranch_execnz .LBB12_154
; %bb.151:
	s_or_b64 exec, exec, s[18:19]
	s_and_b64 s[20:21], s[4:5], s[10:11]
	s_and_saveexec_b64 s[18:19], s[20:21]
	s_cbranch_execnz .LBB12_158
.LBB12_152:
	s_or_b64 exec, exec, s[18:19]
	s_and_b64 s[20:21], s[6:7], s[10:11]
	s_and_saveexec_b64 s[18:19], s[20:21]
	s_cbranch_execnz .LBB12_162
.LBB12_153:
	s_or_b64 exec, exec, s[18:19]
	s_and_b64 s[18:19], s[8:9], s[10:11]
	s_and_saveexec_b64 s[10:11], s[18:19]
	s_cbranch_execnz .LBB12_166
	s_branch .LBB12_170
.LBB12_154:
	s_and_b64 vcc, exec, s[0:1]
	s_cbranch_vccnz .LBB12_156
; %bb.155:
	v_lshl_add_u64 v[14:15], v[0:1], 2, v[10:11]
	flat_load_dword v13, v[14:15]
	s_waitcnt vmcnt(0) lgkmcnt(0)
	v_mul_f32_e32 v13, s28, v13
	s_branch .LBB12_157
.LBB12_156:
	v_mov_b32_e32 v13, 0
.LBB12_157:
	v_max_f32_e32 v14, v71, v71
	v_max_f32_e32 v13, v13, v13
	v_min_f32_e32 v13, v13, v14
	v_lshl_add_u64 v[14:15], v[0:1], 2, v[8:9]
	flat_store_dword v[14:15], v13
	s_or_b64 exec, exec, s[18:19]
	s_and_b64 s[20:21], s[4:5], s[10:11]
	s_and_saveexec_b64 s[18:19], s[20:21]
	s_cbranch_execz .LBB12_152
.LBB12_158:
	s_and_b64 vcc, exec, s[0:1]
	s_cbranch_vccnz .LBB12_160
; %bb.159:
	v_lshl_add_u64 v[14:15], v[2:3], 2, v[10:11]
	flat_load_dword v13, v[14:15]
	s_waitcnt vmcnt(0) lgkmcnt(0)
	v_mul_f32_e32 v13, s28, v13
	s_branch .LBB12_161
.LBB12_160:
	v_mov_b32_e32 v13, 0
.LBB12_161:
	v_max_f32_e32 v14, v70, v70
	v_max_f32_e32 v13, v13, v13
	v_min_f32_e32 v13, v13, v14
	v_lshl_add_u64 v[14:15], v[2:3], 2, v[8:9]
	flat_store_dword v[14:15], v13
	s_or_b64 exec, exec, s[18:19]
	s_and_b64 s[20:21], s[6:7], s[10:11]
	s_and_saveexec_b64 s[18:19], s[20:21]
	s_cbranch_execz .LBB12_153
.LBB12_162:
	s_and_b64 vcc, exec, s[0:1]
	s_cbranch_vccnz .LBB12_164
; %bb.163:
	v_lshl_add_u64 v[14:15], v[4:5], 2, v[10:11]
	flat_load_dword v13, v[14:15]
	s_waitcnt vmcnt(0) lgkmcnt(0)
	v_mul_f32_e32 v13, s28, v13
	s_branch .LBB12_165
.LBB12_164:
	v_mov_b32_e32 v13, 0
.LBB12_165:
	v_max_f32_e32 v14, v69, v69
	v_max_f32_e32 v13, v13, v13
	v_min_f32_e32 v13, v13, v14
	v_lshl_add_u64 v[14:15], v[4:5], 2, v[8:9]
	flat_store_dword v[14:15], v13
	s_or_b64 exec, exec, s[18:19]
	s_and_b64 s[18:19], s[8:9], s[10:11]
	s_and_saveexec_b64 s[10:11], s[18:19]
	s_cbranch_execz .LBB12_170
.LBB12_166:
	s_and_b64 vcc, exec, s[0:1]
	s_cbranch_vccnz .LBB12_168
; %bb.167:
	v_lshl_add_u64 v[10:11], v[6:7], 2, v[10:11]
	flat_load_dword v10, v[10:11]
	s_waitcnt vmcnt(0) lgkmcnt(0)
	v_mul_f32_e32 v10, s28, v10
	s_branch .LBB12_169
.LBB12_168:
	v_mov_b32_e32 v10, 0
.LBB12_169:
	v_max_f32_e32 v11, v68, v68
	v_max_f32_e32 v10, v10, v10
	v_min_f32_e32 v10, v10, v11
	v_lshl_add_u64 v[8:9], v[6:7], 2, v[8:9]
	flat_store_dword v[8:9], v10
.LBB12_170:
	s_or_b64 exec, exec, s[10:11]
	v_add_u32_e32 v13, 48, v12
	v_mad_i64_i32 v[8:9], s[18:19], v13, s23, 0
	v_cmp_gt_i32_e64 s[10:11], s13, v13
	v_lshl_add_u64 v[10:11], v[8:9], 2, s[16:17]
	v_mad_i64_i32 v[8:9], s[18:19], v13, s22, 0
	v_lshl_add_u64 v[8:9], v[8:9], 2, s[14:15]
	s_and_b64 s[20:21], s[2:3], s[10:11]
	s_and_saveexec_b64 s[18:19], s[20:21]
	s_cbranch_execnz .LBB12_174
; %bb.171:
	s_or_b64 exec, exec, s[18:19]
	s_and_b64 s[20:21], s[4:5], s[10:11]
	s_and_saveexec_b64 s[18:19], s[20:21]
	s_cbranch_execnz .LBB12_178
.LBB12_172:
	s_or_b64 exec, exec, s[18:19]
	s_and_b64 s[20:21], s[6:7], s[10:11]
	s_and_saveexec_b64 s[18:19], s[20:21]
	s_cbranch_execnz .LBB12_182
.LBB12_173:
	s_or_b64 exec, exec, s[18:19]
	s_and_b64 s[18:19], s[8:9], s[10:11]
	s_and_saveexec_b64 s[10:11], s[18:19]
	s_cbranch_execnz .LBB12_186
	s_branch .LBB12_190
.LBB12_174:
	s_and_b64 vcc, exec, s[0:1]
	s_cbranch_vccnz .LBB12_176
; %bb.175:
	v_lshl_add_u64 v[14:15], v[0:1], 2, v[10:11]
	flat_load_dword v13, v[14:15]
	s_waitcnt vmcnt(0) lgkmcnt(0)
	v_mul_f32_e32 v13, s28, v13
	s_branch .LBB12_177
.LBB12_176:
	v_mov_b32_e32 v13, 0
.LBB12_177:
	v_max_f32_e32 v14, v67, v67
	v_max_f32_e32 v13, v13, v13
	v_min_f32_e32 v13, v13, v14
	v_lshl_add_u64 v[14:15], v[0:1], 2, v[8:9]
	flat_store_dword v[14:15], v13
	s_or_b64 exec, exec, s[18:19]
	s_and_b64 s[20:21], s[4:5], s[10:11]
	s_and_saveexec_b64 s[18:19], s[20:21]
	s_cbranch_execz .LBB12_172
.LBB12_178:
	s_and_b64 vcc, exec, s[0:1]
	s_cbranch_vccnz .LBB12_180
; %bb.179:
	v_lshl_add_u64 v[14:15], v[2:3], 2, v[10:11]
	flat_load_dword v13, v[14:15]
	s_waitcnt vmcnt(0) lgkmcnt(0)
	v_mul_f32_e32 v13, s28, v13
	s_branch .LBB12_181
.LBB12_180:
	v_mov_b32_e32 v13, 0
.LBB12_181:
	v_max_f32_e32 v14, v66, v66
	v_max_f32_e32 v13, v13, v13
	v_min_f32_e32 v13, v13, v14
	v_lshl_add_u64 v[14:15], v[2:3], 2, v[8:9]
	flat_store_dword v[14:15], v13
	s_or_b64 exec, exec, s[18:19]
	s_and_b64 s[20:21], s[6:7], s[10:11]
	s_and_saveexec_b64 s[18:19], s[20:21]
	s_cbranch_execz .LBB12_173
.LBB12_182:
	s_and_b64 vcc, exec, s[0:1]
	s_cbranch_vccnz .LBB12_184
; %bb.183:
	v_lshl_add_u64 v[14:15], v[4:5], 2, v[10:11]
	flat_load_dword v13, v[14:15]
	s_waitcnt vmcnt(0) lgkmcnt(0)
	v_mul_f32_e32 v13, s28, v13
	s_branch .LBB12_185
.LBB12_184:
	v_mov_b32_e32 v13, 0
.LBB12_185:
	v_max_f32_e32 v14, v65, v65
	v_max_f32_e32 v13, v13, v13
	v_min_f32_e32 v13, v13, v14
	v_lshl_add_u64 v[14:15], v[4:5], 2, v[8:9]
	flat_store_dword v[14:15], v13
	s_or_b64 exec, exec, s[18:19]
	s_and_b64 s[18:19], s[8:9], s[10:11]
	s_and_saveexec_b64 s[10:11], s[18:19]
	s_cbranch_execz .LBB12_190
.LBB12_186:
	s_and_b64 vcc, exec, s[0:1]
	s_cbranch_vccnz .LBB12_188
; %bb.187:
	v_lshl_add_u64 v[10:11], v[6:7], 2, v[10:11]
	flat_load_dword v10, v[10:11]
	s_waitcnt vmcnt(0) lgkmcnt(0)
	v_mul_f32_e32 v10, s28, v10
	s_branch .LBB12_189
.LBB12_188:
	v_mov_b32_e32 v10, 0
.LBB12_189:
	v_max_f32_e32 v11, v64, v64
	v_max_f32_e32 v10, v10, v10
	v_min_f32_e32 v10, v10, v11
	v_lshl_add_u64 v[8:9], v[6:7], 2, v[8:9]
	flat_store_dword v[8:9], v10
.LBB12_190:
	s_or_b64 exec, exec, s[10:11]
	v_add_u32_e32 v13, 56, v12
	v_mad_i64_i32 v[8:9], s[18:19], v13, s23, 0
	v_cmp_gt_i32_e64 s[10:11], s13, v13
	v_lshl_add_u64 v[10:11], v[8:9], 2, s[16:17]
	v_mad_i64_i32 v[8:9], s[18:19], v13, s22, 0
	v_lshl_add_u64 v[8:9], v[8:9], 2, s[14:15]
	s_and_b64 s[20:21], s[2:3], s[10:11]
	s_and_saveexec_b64 s[18:19], s[20:21]
	s_cbranch_execnz .LBB12_194
; %bb.191:
	s_or_b64 exec, exec, s[18:19]
	s_and_b64 s[20:21], s[4:5], s[10:11]
	s_and_saveexec_b64 s[18:19], s[20:21]
	s_cbranch_execnz .LBB12_198
.LBB12_192:
	s_or_b64 exec, exec, s[18:19]
	s_and_b64 s[20:21], s[6:7], s[10:11]
	s_and_saveexec_b64 s[18:19], s[20:21]
	s_cbranch_execnz .LBB12_202
.LBB12_193:
	s_or_b64 exec, exec, s[18:19]
	s_and_b64 s[18:19], s[8:9], s[10:11]
	s_and_saveexec_b64 s[10:11], s[18:19]
	s_cbranch_execnz .LBB12_206
	s_branch .LBB12_210
.LBB12_194:
	s_and_b64 vcc, exec, s[0:1]
	s_cbranch_vccnz .LBB12_196
; %bb.195:
	v_lshl_add_u64 v[14:15], v[0:1], 2, v[10:11]
	flat_load_dword v13, v[14:15]
	s_waitcnt vmcnt(0) lgkmcnt(0)
	v_mul_f32_e32 v13, s28, v13
	s_branch .LBB12_197
.LBB12_196:
	v_mov_b32_e32 v13, 0
.LBB12_197:
	v_max_f32_e32 v14, v63, v63
	v_max_f32_e32 v13, v13, v13
	v_min_f32_e32 v13, v13, v14
	v_lshl_add_u64 v[14:15], v[0:1], 2, v[8:9]
	flat_store_dword v[14:15], v13
	s_or_b64 exec, exec, s[18:19]
	s_and_b64 s[20:21], s[4:5], s[10:11]
	s_and_saveexec_b64 s[18:19], s[20:21]
	s_cbranch_execz .LBB12_192
.LBB12_198:
	s_and_b64 vcc, exec, s[0:1]
	s_cbranch_vccnz .LBB12_200
; %bb.199:
	v_lshl_add_u64 v[14:15], v[2:3], 2, v[10:11]
	flat_load_dword v13, v[14:15]
	s_waitcnt vmcnt(0) lgkmcnt(0)
	v_mul_f32_e32 v13, s28, v13
	s_branch .LBB12_201
.LBB12_200:
	v_mov_b32_e32 v13, 0
.LBB12_201:
	v_max_f32_e32 v14, v62, v62
	v_max_f32_e32 v13, v13, v13
	v_min_f32_e32 v13, v13, v14
	v_lshl_add_u64 v[14:15], v[2:3], 2, v[8:9]
	flat_store_dword v[14:15], v13
	s_or_b64 exec, exec, s[18:19]
	s_and_b64 s[20:21], s[6:7], s[10:11]
	s_and_saveexec_b64 s[18:19], s[20:21]
	s_cbranch_execz .LBB12_193
.LBB12_202:
	s_and_b64 vcc, exec, s[0:1]
	s_cbranch_vccnz .LBB12_204
; %bb.203:
	v_lshl_add_u64 v[14:15], v[4:5], 2, v[10:11]
	flat_load_dword v13, v[14:15]
	s_waitcnt vmcnt(0) lgkmcnt(0)
	v_mul_f32_e32 v13, s28, v13
	s_branch .LBB12_205
.LBB12_204:
	v_mov_b32_e32 v13, 0
.LBB12_205:
	v_max_f32_e32 v14, v61, v61
	v_max_f32_e32 v13, v13, v13
	v_min_f32_e32 v13, v13, v14
	v_lshl_add_u64 v[14:15], v[4:5], 2, v[8:9]
	flat_store_dword v[14:15], v13
	s_or_b64 exec, exec, s[18:19]
	s_and_b64 s[18:19], s[8:9], s[10:11]
	s_and_saveexec_b64 s[10:11], s[18:19]
	s_cbranch_execz .LBB12_210
.LBB12_206:
	s_and_b64 vcc, exec, s[0:1]
	s_cbranch_vccnz .LBB12_208
; %bb.207:
	v_lshl_add_u64 v[10:11], v[6:7], 2, v[10:11]
	flat_load_dword v10, v[10:11]
	s_waitcnt vmcnt(0) lgkmcnt(0)
	v_mul_f32_e32 v10, s28, v10
	s_branch .LBB12_209
.LBB12_208:
	v_mov_b32_e32 v10, 0
.LBB12_209:
	v_max_f32_e32 v11, v60, v60
	v_max_f32_e32 v10, v10, v10
	v_min_f32_e32 v10, v10, v11
	v_lshl_add_u64 v[8:9], v[6:7], 2, v[8:9]
	flat_store_dword v[8:9], v10
.LBB12_210:
	s_or_b64 exec, exec, s[10:11]
	v_add_u32_e32 v13, 64, v12
	v_mad_i64_i32 v[8:9], s[18:19], v13, s23, 0
	v_cmp_gt_i32_e64 s[10:11], s13, v13
	v_lshl_add_u64 v[10:11], v[8:9], 2, s[16:17]
	v_mad_i64_i32 v[8:9], s[18:19], v13, s22, 0
	v_lshl_add_u64 v[8:9], v[8:9], 2, s[14:15]
	s_and_b64 s[20:21], s[2:3], s[10:11]
	s_and_saveexec_b64 s[18:19], s[20:21]
	s_cbranch_execnz .LBB12_214
; %bb.211:
	s_or_b64 exec, exec, s[18:19]
	s_and_b64 s[20:21], s[4:5], s[10:11]
	s_and_saveexec_b64 s[18:19], s[20:21]
	s_cbranch_execnz .LBB12_218
.LBB12_212:
	s_or_b64 exec, exec, s[18:19]
	s_and_b64 s[20:21], s[6:7], s[10:11]
	s_and_saveexec_b64 s[18:19], s[20:21]
	s_cbranch_execnz .LBB12_222
.LBB12_213:
	s_or_b64 exec, exec, s[18:19]
	s_and_b64 s[18:19], s[8:9], s[10:11]
	s_and_saveexec_b64 s[10:11], s[18:19]
	s_cbranch_execnz .LBB12_226
	s_branch .LBB12_230
.LBB12_214:
	s_and_b64 vcc, exec, s[0:1]
	s_cbranch_vccnz .LBB12_216
; %bb.215:
	v_lshl_add_u64 v[14:15], v[0:1], 2, v[10:11]
	flat_load_dword v13, v[14:15]
	s_waitcnt vmcnt(0) lgkmcnt(0)
	v_mul_f32_e32 v13, s28, v13
	s_branch .LBB12_217
.LBB12_216:
	v_mov_b32_e32 v13, 0
.LBB12_217:
	v_max_f32_e32 v14, v59, v59
	v_max_f32_e32 v13, v13, v13
	v_min_f32_e32 v13, v13, v14
	v_lshl_add_u64 v[14:15], v[0:1], 2, v[8:9]
	flat_store_dword v[14:15], v13
	s_or_b64 exec, exec, s[18:19]
	s_and_b64 s[20:21], s[4:5], s[10:11]
	s_and_saveexec_b64 s[18:19], s[20:21]
	s_cbranch_execz .LBB12_212
.LBB12_218:
	s_and_b64 vcc, exec, s[0:1]
	s_cbranch_vccnz .LBB12_220
; %bb.219:
	v_lshl_add_u64 v[14:15], v[2:3], 2, v[10:11]
	flat_load_dword v13, v[14:15]
	s_waitcnt vmcnt(0) lgkmcnt(0)
	v_mul_f32_e32 v13, s28, v13
	s_branch .LBB12_221
.LBB12_220:
	v_mov_b32_e32 v13, 0
.LBB12_221:
	v_max_f32_e32 v14, v58, v58
	v_max_f32_e32 v13, v13, v13
	v_min_f32_e32 v13, v13, v14
	v_lshl_add_u64 v[14:15], v[2:3], 2, v[8:9]
	flat_store_dword v[14:15], v13
	s_or_b64 exec, exec, s[18:19]
	s_and_b64 s[20:21], s[6:7], s[10:11]
	s_and_saveexec_b64 s[18:19], s[20:21]
	s_cbranch_execz .LBB12_213
.LBB12_222:
	s_and_b64 vcc, exec, s[0:1]
	s_cbranch_vccnz .LBB12_224
; %bb.223:
	v_lshl_add_u64 v[14:15], v[4:5], 2, v[10:11]
	flat_load_dword v13, v[14:15]
	s_waitcnt vmcnt(0) lgkmcnt(0)
	v_mul_f32_e32 v13, s28, v13
	s_branch .LBB12_225
.LBB12_224:
	v_mov_b32_e32 v13, 0
.LBB12_225:
	v_max_f32_e32 v14, v57, v57
	v_max_f32_e32 v13, v13, v13
	v_min_f32_e32 v13, v13, v14
	v_lshl_add_u64 v[14:15], v[4:5], 2, v[8:9]
	flat_store_dword v[14:15], v13
	s_or_b64 exec, exec, s[18:19]
	s_and_b64 s[18:19], s[8:9], s[10:11]
	s_and_saveexec_b64 s[10:11], s[18:19]
	s_cbranch_execz .LBB12_230
.LBB12_226:
	s_and_b64 vcc, exec, s[0:1]
	s_cbranch_vccnz .LBB12_228
; %bb.227:
	v_lshl_add_u64 v[10:11], v[6:7], 2, v[10:11]
	flat_load_dword v10, v[10:11]
	s_waitcnt vmcnt(0) lgkmcnt(0)
	v_mul_f32_e32 v10, s28, v10
	s_branch .LBB12_229
.LBB12_228:
	v_mov_b32_e32 v10, 0
.LBB12_229:
	v_max_f32_e32 v11, v56, v56
	v_max_f32_e32 v10, v10, v10
	v_min_f32_e32 v10, v10, v11
	v_lshl_add_u64 v[8:9], v[6:7], 2, v[8:9]
	flat_store_dword v[8:9], v10
.LBB12_230:
	s_or_b64 exec, exec, s[10:11]
	v_add_u32_e32 v13, 0x48, v12
	v_mad_i64_i32 v[8:9], s[18:19], v13, s23, 0
	v_cmp_gt_i32_e64 s[10:11], s13, v13
	v_lshl_add_u64 v[10:11], v[8:9], 2, s[16:17]
	v_mad_i64_i32 v[8:9], s[18:19], v13, s22, 0
	v_lshl_add_u64 v[8:9], v[8:9], 2, s[14:15]
	s_and_b64 s[20:21], s[2:3], s[10:11]
	s_and_saveexec_b64 s[18:19], s[20:21]
	s_cbranch_execnz .LBB12_234
; %bb.231:
	s_or_b64 exec, exec, s[18:19]
	s_and_b64 s[20:21], s[4:5], s[10:11]
	s_and_saveexec_b64 s[18:19], s[20:21]
	s_cbranch_execnz .LBB12_238
.LBB12_232:
	s_or_b64 exec, exec, s[18:19]
	s_and_b64 s[20:21], s[6:7], s[10:11]
	s_and_saveexec_b64 s[18:19], s[20:21]
	s_cbranch_execnz .LBB12_242
.LBB12_233:
	s_or_b64 exec, exec, s[18:19]
	s_and_b64 s[18:19], s[8:9], s[10:11]
	s_and_saveexec_b64 s[10:11], s[18:19]
	s_cbranch_execnz .LBB12_246
	s_branch .LBB12_250
.LBB12_234:
	s_and_b64 vcc, exec, s[0:1]
	s_cbranch_vccnz .LBB12_236
; %bb.235:
	v_lshl_add_u64 v[14:15], v[0:1], 2, v[10:11]
	flat_load_dword v13, v[14:15]
	s_waitcnt vmcnt(0) lgkmcnt(0)
	v_mul_f32_e32 v13, s28, v13
	s_branch .LBB12_237
.LBB12_236:
	v_mov_b32_e32 v13, 0
.LBB12_237:
	v_max_f32_e32 v14, v55, v55
	v_max_f32_e32 v13, v13, v13
	v_min_f32_e32 v13, v13, v14
	v_lshl_add_u64 v[14:15], v[0:1], 2, v[8:9]
	flat_store_dword v[14:15], v13
	s_or_b64 exec, exec, s[18:19]
	s_and_b64 s[20:21], s[4:5], s[10:11]
	s_and_saveexec_b64 s[18:19], s[20:21]
	s_cbranch_execz .LBB12_232
.LBB12_238:
	s_and_b64 vcc, exec, s[0:1]
	s_cbranch_vccnz .LBB12_240
; %bb.239:
	v_lshl_add_u64 v[14:15], v[2:3], 2, v[10:11]
	flat_load_dword v13, v[14:15]
	s_waitcnt vmcnt(0) lgkmcnt(0)
	v_mul_f32_e32 v13, s28, v13
	s_branch .LBB12_241
.LBB12_240:
	v_mov_b32_e32 v13, 0
.LBB12_241:
	v_max_f32_e32 v14, v54, v54
	v_max_f32_e32 v13, v13, v13
	v_min_f32_e32 v13, v13, v14
	v_lshl_add_u64 v[14:15], v[2:3], 2, v[8:9]
	flat_store_dword v[14:15], v13
	s_or_b64 exec, exec, s[18:19]
	s_and_b64 s[20:21], s[6:7], s[10:11]
	s_and_saveexec_b64 s[18:19], s[20:21]
	s_cbranch_execz .LBB12_233
.LBB12_242:
	s_and_b64 vcc, exec, s[0:1]
	s_cbranch_vccnz .LBB12_244
; %bb.243:
	v_lshl_add_u64 v[14:15], v[4:5], 2, v[10:11]
	flat_load_dword v13, v[14:15]
	s_waitcnt vmcnt(0) lgkmcnt(0)
	v_mul_f32_e32 v13, s28, v13
	s_branch .LBB12_245
.LBB12_244:
	v_mov_b32_e32 v13, 0
.LBB12_245:
	v_max_f32_e32 v14, v53, v53
	v_max_f32_e32 v13, v13, v13
	v_min_f32_e32 v13, v13, v14
	v_lshl_add_u64 v[14:15], v[4:5], 2, v[8:9]
	flat_store_dword v[14:15], v13
	s_or_b64 exec, exec, s[18:19]
	s_and_b64 s[18:19], s[8:9], s[10:11]
	s_and_saveexec_b64 s[10:11], s[18:19]
	s_cbranch_execz .LBB12_250
.LBB12_246:
	s_and_b64 vcc, exec, s[0:1]
	s_cbranch_vccnz .LBB12_248
; %bb.247:
	v_lshl_add_u64 v[10:11], v[6:7], 2, v[10:11]
	flat_load_dword v10, v[10:11]
	s_waitcnt vmcnt(0) lgkmcnt(0)
	v_mul_f32_e32 v10, s28, v10
	s_branch .LBB12_249
.LBB12_248:
	v_mov_b32_e32 v10, 0
.LBB12_249:
	v_max_f32_e32 v11, v52, v52
	v_max_f32_e32 v10, v10, v10
	v_min_f32_e32 v10, v10, v11
	v_lshl_add_u64 v[8:9], v[6:7], 2, v[8:9]
	flat_store_dword v[8:9], v10
.LBB12_250:
	s_or_b64 exec, exec, s[10:11]
	v_add_u32_e32 v13, 0x50, v12
	v_mad_i64_i32 v[8:9], s[18:19], v13, s23, 0
	v_cmp_gt_i32_e64 s[10:11], s13, v13
	v_lshl_add_u64 v[10:11], v[8:9], 2, s[16:17]
	v_mad_i64_i32 v[8:9], s[18:19], v13, s22, 0
	v_lshl_add_u64 v[8:9], v[8:9], 2, s[14:15]
	s_and_b64 s[20:21], s[2:3], s[10:11]
	s_and_saveexec_b64 s[18:19], s[20:21]
	s_cbranch_execnz .LBB12_254
; %bb.251:
	s_or_b64 exec, exec, s[18:19]
	s_and_b64 s[20:21], s[4:5], s[10:11]
	s_and_saveexec_b64 s[18:19], s[20:21]
	s_cbranch_execnz .LBB12_258
.LBB12_252:
	s_or_b64 exec, exec, s[18:19]
	s_and_b64 s[20:21], s[6:7], s[10:11]
	s_and_saveexec_b64 s[18:19], s[20:21]
	s_cbranch_execnz .LBB12_262
.LBB12_253:
	s_or_b64 exec, exec, s[18:19]
	s_and_b64 s[18:19], s[8:9], s[10:11]
	s_and_saveexec_b64 s[10:11], s[18:19]
	s_cbranch_execnz .LBB12_266
	s_branch .LBB12_270
.LBB12_254:
	s_and_b64 vcc, exec, s[0:1]
	s_cbranch_vccnz .LBB12_256
; %bb.255:
	v_lshl_add_u64 v[14:15], v[0:1], 2, v[10:11]
	flat_load_dword v13, v[14:15]
	s_waitcnt vmcnt(0) lgkmcnt(0)
	v_mul_f32_e32 v13, s28, v13
	s_branch .LBB12_257
.LBB12_256:
	v_mov_b32_e32 v13, 0
.LBB12_257:
	v_max_f32_e32 v14, v51, v51
	v_max_f32_e32 v13, v13, v13
	v_min_f32_e32 v13, v13, v14
	v_lshl_add_u64 v[14:15], v[0:1], 2, v[8:9]
	flat_store_dword v[14:15], v13
	s_or_b64 exec, exec, s[18:19]
	s_and_b64 s[20:21], s[4:5], s[10:11]
	s_and_saveexec_b64 s[18:19], s[20:21]
	s_cbranch_execz .LBB12_252
.LBB12_258:
	s_and_b64 vcc, exec, s[0:1]
	s_cbranch_vccnz .LBB12_260
; %bb.259:
	v_lshl_add_u64 v[14:15], v[2:3], 2, v[10:11]
	flat_load_dword v13, v[14:15]
	s_waitcnt vmcnt(0) lgkmcnt(0)
	v_mul_f32_e32 v13, s28, v13
	s_branch .LBB12_261
.LBB12_260:
	v_mov_b32_e32 v13, 0
.LBB12_261:
	v_max_f32_e32 v14, v50, v50
	v_max_f32_e32 v13, v13, v13
	v_min_f32_e32 v13, v13, v14
	v_lshl_add_u64 v[14:15], v[2:3], 2, v[8:9]
	flat_store_dword v[14:15], v13
	s_or_b64 exec, exec, s[18:19]
	s_and_b64 s[20:21], s[6:7], s[10:11]
	s_and_saveexec_b64 s[18:19], s[20:21]
	s_cbranch_execz .LBB12_253
.LBB12_262:
	s_and_b64 vcc, exec, s[0:1]
	s_cbranch_vccnz .LBB12_264
; %bb.263:
	v_lshl_add_u64 v[14:15], v[4:5], 2, v[10:11]
	flat_load_dword v13, v[14:15]
	s_waitcnt vmcnt(0) lgkmcnt(0)
	v_mul_f32_e32 v13, s28, v13
	s_branch .LBB12_265
.LBB12_264:
	v_mov_b32_e32 v13, 0
.LBB12_265:
	v_max_f32_e32 v14, v49, v49
	v_max_f32_e32 v13, v13, v13
	v_min_f32_e32 v13, v13, v14
	v_lshl_add_u64 v[14:15], v[4:5], 2, v[8:9]
	flat_store_dword v[14:15], v13
	s_or_b64 exec, exec, s[18:19]
	s_and_b64 s[18:19], s[8:9], s[10:11]
	s_and_saveexec_b64 s[10:11], s[18:19]
	s_cbranch_execz .LBB12_270
.LBB12_266:
	s_and_b64 vcc, exec, s[0:1]
	s_cbranch_vccnz .LBB12_268
; %bb.267:
	v_lshl_add_u64 v[10:11], v[6:7], 2, v[10:11]
	flat_load_dword v10, v[10:11]
	s_waitcnt vmcnt(0) lgkmcnt(0)
	v_mul_f32_e32 v10, s28, v10
	s_branch .LBB12_269
.LBB12_268:
	v_mov_b32_e32 v10, 0
.LBB12_269:
	v_max_f32_e32 v11, v48, v48
	v_max_f32_e32 v10, v10, v10
	v_min_f32_e32 v10, v10, v11
	v_lshl_add_u64 v[8:9], v[6:7], 2, v[8:9]
	flat_store_dword v[8:9], v10
.LBB12_270:
	s_or_b64 exec, exec, s[10:11]
	v_add_u32_e32 v13, 0x58, v12
	v_mad_i64_i32 v[8:9], s[18:19], v13, s23, 0
	v_cmp_gt_i32_e64 s[10:11], s13, v13
	v_lshl_add_u64 v[10:11], v[8:9], 2, s[16:17]
	v_mad_i64_i32 v[8:9], s[18:19], v13, s22, 0
	v_lshl_add_u64 v[8:9], v[8:9], 2, s[14:15]
	s_and_b64 s[20:21], s[2:3], s[10:11]
	s_and_saveexec_b64 s[18:19], s[20:21]
	s_cbranch_execnz .LBB12_274
; %bb.271:
	s_or_b64 exec, exec, s[18:19]
	s_and_b64 s[20:21], s[4:5], s[10:11]
	s_and_saveexec_b64 s[18:19], s[20:21]
	s_cbranch_execnz .LBB12_278
.LBB12_272:
	s_or_b64 exec, exec, s[18:19]
	s_and_b64 s[20:21], s[6:7], s[10:11]
	s_and_saveexec_b64 s[18:19], s[20:21]
	s_cbranch_execnz .LBB12_282
.LBB12_273:
	s_or_b64 exec, exec, s[18:19]
	s_and_b64 s[18:19], s[8:9], s[10:11]
	s_and_saveexec_b64 s[10:11], s[18:19]
	s_cbranch_execnz .LBB12_286
	s_branch .LBB12_290
.LBB12_274:
	s_and_b64 vcc, exec, s[0:1]
	s_cbranch_vccnz .LBB12_276
; %bb.275:
	v_lshl_add_u64 v[14:15], v[0:1], 2, v[10:11]
	flat_load_dword v13, v[14:15]
	s_waitcnt vmcnt(0) lgkmcnt(0)
	v_mul_f32_e32 v13, s28, v13
	s_branch .LBB12_277
.LBB12_276:
	v_mov_b32_e32 v13, 0
.LBB12_277:
	v_max_f32_e32 v14, v47, v47
	v_max_f32_e32 v13, v13, v13
	v_min_f32_e32 v13, v13, v14
	v_lshl_add_u64 v[14:15], v[0:1], 2, v[8:9]
	flat_store_dword v[14:15], v13
	s_or_b64 exec, exec, s[18:19]
	s_and_b64 s[20:21], s[4:5], s[10:11]
	s_and_saveexec_b64 s[18:19], s[20:21]
	s_cbranch_execz .LBB12_272
.LBB12_278:
	s_and_b64 vcc, exec, s[0:1]
	s_cbranch_vccnz .LBB12_280
; %bb.279:
	v_lshl_add_u64 v[14:15], v[2:3], 2, v[10:11]
	flat_load_dword v13, v[14:15]
	s_waitcnt vmcnt(0) lgkmcnt(0)
	v_mul_f32_e32 v13, s28, v13
	s_branch .LBB12_281
.LBB12_280:
	v_mov_b32_e32 v13, 0
.LBB12_281:
	v_max_f32_e32 v14, v46, v46
	v_max_f32_e32 v13, v13, v13
	v_min_f32_e32 v13, v13, v14
	v_lshl_add_u64 v[14:15], v[2:3], 2, v[8:9]
	flat_store_dword v[14:15], v13
	s_or_b64 exec, exec, s[18:19]
	s_and_b64 s[20:21], s[6:7], s[10:11]
	s_and_saveexec_b64 s[18:19], s[20:21]
	s_cbranch_execz .LBB12_273
.LBB12_282:
	s_and_b64 vcc, exec, s[0:1]
	s_cbranch_vccnz .LBB12_284
; %bb.283:
	v_lshl_add_u64 v[14:15], v[4:5], 2, v[10:11]
	flat_load_dword v13, v[14:15]
	s_waitcnt vmcnt(0) lgkmcnt(0)
	v_mul_f32_e32 v13, s28, v13
	s_branch .LBB12_285
.LBB12_284:
	v_mov_b32_e32 v13, 0
.LBB12_285:
	v_max_f32_e32 v14, v45, v45
	v_max_f32_e32 v13, v13, v13
	v_min_f32_e32 v13, v13, v14
	v_lshl_add_u64 v[14:15], v[4:5], 2, v[8:9]
	flat_store_dword v[14:15], v13
	s_or_b64 exec, exec, s[18:19]
	s_and_b64 s[18:19], s[8:9], s[10:11]
	s_and_saveexec_b64 s[10:11], s[18:19]
	s_cbranch_execz .LBB12_290
.LBB12_286:
	s_and_b64 vcc, exec, s[0:1]
	s_cbranch_vccnz .LBB12_288
; %bb.287:
	v_lshl_add_u64 v[10:11], v[6:7], 2, v[10:11]
	flat_load_dword v10, v[10:11]
	s_waitcnt vmcnt(0) lgkmcnt(0)
	v_mul_f32_e32 v10, s28, v10
	s_branch .LBB12_289
.LBB12_288:
	v_mov_b32_e32 v10, 0
.LBB12_289:
	v_max_f32_e32 v11, v44, v44
	v_max_f32_e32 v10, v10, v10
	v_min_f32_e32 v10, v10, v11
	v_lshl_add_u64 v[8:9], v[6:7], 2, v[8:9]
	flat_store_dword v[8:9], v10
.LBB12_290:
	s_or_b64 exec, exec, s[10:11]
	v_add_u32_e32 v13, 0x60, v12
	v_mad_i64_i32 v[8:9], s[18:19], v13, s23, 0
	v_cmp_gt_i32_e64 s[10:11], s13, v13
	v_lshl_add_u64 v[10:11], v[8:9], 2, s[16:17]
	v_mad_i64_i32 v[8:9], s[18:19], v13, s22, 0
	v_lshl_add_u64 v[8:9], v[8:9], 2, s[14:15]
	s_and_b64 s[20:21], s[2:3], s[10:11]
	s_and_saveexec_b64 s[18:19], s[20:21]
	s_cbranch_execnz .LBB12_294
; %bb.291:
	s_or_b64 exec, exec, s[18:19]
	s_and_b64 s[20:21], s[4:5], s[10:11]
	s_and_saveexec_b64 s[18:19], s[20:21]
	s_cbranch_execnz .LBB12_298
.LBB12_292:
	s_or_b64 exec, exec, s[18:19]
	s_and_b64 s[20:21], s[6:7], s[10:11]
	s_and_saveexec_b64 s[18:19], s[20:21]
	s_cbranch_execnz .LBB12_302
.LBB12_293:
	s_or_b64 exec, exec, s[18:19]
	s_and_b64 s[18:19], s[8:9], s[10:11]
	s_and_saveexec_b64 s[10:11], s[18:19]
	s_cbranch_execnz .LBB12_306
	s_branch .LBB12_310
.LBB12_294:
	s_and_b64 vcc, exec, s[0:1]
	s_cbranch_vccnz .LBB12_296
; %bb.295:
	v_lshl_add_u64 v[14:15], v[0:1], 2, v[10:11]
	flat_load_dword v13, v[14:15]
	s_waitcnt vmcnt(0) lgkmcnt(0)
	v_mul_f32_e32 v13, s28, v13
	s_branch .LBB12_297
.LBB12_296:
	v_mov_b32_e32 v13, 0
.LBB12_297:
	v_max_f32_e32 v14, v43, v43
	v_max_f32_e32 v13, v13, v13
	v_min_f32_e32 v13, v13, v14
	v_lshl_add_u64 v[14:15], v[0:1], 2, v[8:9]
	flat_store_dword v[14:15], v13
	s_or_b64 exec, exec, s[18:19]
	s_and_b64 s[20:21], s[4:5], s[10:11]
	s_and_saveexec_b64 s[18:19], s[20:21]
	s_cbranch_execz .LBB12_292
.LBB12_298:
	s_and_b64 vcc, exec, s[0:1]
	s_cbranch_vccnz .LBB12_300
; %bb.299:
	v_lshl_add_u64 v[14:15], v[2:3], 2, v[10:11]
	flat_load_dword v13, v[14:15]
	s_waitcnt vmcnt(0) lgkmcnt(0)
	v_mul_f32_e32 v13, s28, v13
	s_branch .LBB12_301
.LBB12_300:
	v_mov_b32_e32 v13, 0
.LBB12_301:
	v_max_f32_e32 v14, v42, v42
	v_max_f32_e32 v13, v13, v13
	v_min_f32_e32 v13, v13, v14
	v_lshl_add_u64 v[14:15], v[2:3], 2, v[8:9]
	flat_store_dword v[14:15], v13
	s_or_b64 exec, exec, s[18:19]
	s_and_b64 s[20:21], s[6:7], s[10:11]
	s_and_saveexec_b64 s[18:19], s[20:21]
	s_cbranch_execz .LBB12_293
.LBB12_302:
	s_and_b64 vcc, exec, s[0:1]
	s_cbranch_vccnz .LBB12_304
; %bb.303:
	v_lshl_add_u64 v[14:15], v[4:5], 2, v[10:11]
	flat_load_dword v13, v[14:15]
	s_waitcnt vmcnt(0) lgkmcnt(0)
	v_mul_f32_e32 v13, s28, v13
	s_branch .LBB12_305
.LBB12_304:
	v_mov_b32_e32 v13, 0
.LBB12_305:
	v_max_f32_e32 v14, v41, v41
	v_max_f32_e32 v13, v13, v13
	v_min_f32_e32 v13, v13, v14
	v_lshl_add_u64 v[14:15], v[4:5], 2, v[8:9]
	flat_store_dword v[14:15], v13
	s_or_b64 exec, exec, s[18:19]
	s_and_b64 s[18:19], s[8:9], s[10:11]
	s_and_saveexec_b64 s[10:11], s[18:19]
	s_cbranch_execz .LBB12_310
.LBB12_306:
	s_and_b64 vcc, exec, s[0:1]
	s_cbranch_vccnz .LBB12_308
; %bb.307:
	v_lshl_add_u64 v[10:11], v[6:7], 2, v[10:11]
	flat_load_dword v10, v[10:11]
	s_waitcnt vmcnt(0) lgkmcnt(0)
	v_mul_f32_e32 v10, s28, v10
	s_branch .LBB12_309
.LBB12_308:
	v_mov_b32_e32 v10, 0
.LBB12_309:
	v_max_f32_e32 v11, v40, v40
	v_max_f32_e32 v10, v10, v10
	v_min_f32_e32 v10, v10, v11
	v_lshl_add_u64 v[8:9], v[6:7], 2, v[8:9]
	flat_store_dword v[8:9], v10
.LBB12_310:
	s_or_b64 exec, exec, s[10:11]
	v_add_u32_e32 v13, 0x68, v12
	v_mad_i64_i32 v[8:9], s[18:19], v13, s23, 0
	v_cmp_gt_i32_e64 s[10:11], s13, v13
	v_lshl_add_u64 v[10:11], v[8:9], 2, s[16:17]
	v_mad_i64_i32 v[8:9], s[18:19], v13, s22, 0
	v_lshl_add_u64 v[8:9], v[8:9], 2, s[14:15]
	s_and_b64 s[20:21], s[2:3], s[10:11]
	s_and_saveexec_b64 s[18:19], s[20:21]
	s_cbranch_execnz .LBB12_314
; %bb.311:
	s_or_b64 exec, exec, s[18:19]
	s_and_b64 s[20:21], s[4:5], s[10:11]
	s_and_saveexec_b64 s[18:19], s[20:21]
	s_cbranch_execnz .LBB12_318
.LBB12_312:
	s_or_b64 exec, exec, s[18:19]
	s_and_b64 s[20:21], s[6:7], s[10:11]
	s_and_saveexec_b64 s[18:19], s[20:21]
	s_cbranch_execnz .LBB12_322
.LBB12_313:
	s_or_b64 exec, exec, s[18:19]
	s_and_b64 s[18:19], s[8:9], s[10:11]
	s_and_saveexec_b64 s[10:11], s[18:19]
	s_cbranch_execnz .LBB12_326
	s_branch .LBB12_330
.LBB12_314:
	s_and_b64 vcc, exec, s[0:1]
	s_cbranch_vccnz .LBB12_316
; %bb.315:
	v_lshl_add_u64 v[14:15], v[0:1], 2, v[10:11]
	flat_load_dword v13, v[14:15]
	s_waitcnt vmcnt(0) lgkmcnt(0)
	v_mul_f32_e32 v13, s28, v13
	s_branch .LBB12_317
.LBB12_316:
	v_mov_b32_e32 v13, 0
.LBB12_317:
	v_max_f32_e32 v14, v39, v39
	v_max_f32_e32 v13, v13, v13
	v_min_f32_e32 v13, v13, v14
	v_lshl_add_u64 v[14:15], v[0:1], 2, v[8:9]
	flat_store_dword v[14:15], v13
	s_or_b64 exec, exec, s[18:19]
	s_and_b64 s[20:21], s[4:5], s[10:11]
	s_and_saveexec_b64 s[18:19], s[20:21]
	s_cbranch_execz .LBB12_312
.LBB12_318:
	s_and_b64 vcc, exec, s[0:1]
	s_cbranch_vccnz .LBB12_320
; %bb.319:
	v_lshl_add_u64 v[14:15], v[2:3], 2, v[10:11]
	flat_load_dword v13, v[14:15]
	s_waitcnt vmcnt(0) lgkmcnt(0)
	v_mul_f32_e32 v13, s28, v13
	s_branch .LBB12_321
.LBB12_320:
	v_mov_b32_e32 v13, 0
.LBB12_321:
	v_max_f32_e32 v14, v38, v38
	v_max_f32_e32 v13, v13, v13
	v_min_f32_e32 v13, v13, v14
	v_lshl_add_u64 v[14:15], v[2:3], 2, v[8:9]
	flat_store_dword v[14:15], v13
	s_or_b64 exec, exec, s[18:19]
	s_and_b64 s[20:21], s[6:7], s[10:11]
	s_and_saveexec_b64 s[18:19], s[20:21]
	s_cbranch_execz .LBB12_313
.LBB12_322:
	s_and_b64 vcc, exec, s[0:1]
	s_cbranch_vccnz .LBB12_324
; %bb.323:
	v_lshl_add_u64 v[14:15], v[4:5], 2, v[10:11]
	flat_load_dword v13, v[14:15]
	s_waitcnt vmcnt(0) lgkmcnt(0)
	v_mul_f32_e32 v13, s28, v13
	s_branch .LBB12_325
.LBB12_324:
	v_mov_b32_e32 v13, 0
.LBB12_325:
	v_max_f32_e32 v14, v37, v37
	v_max_f32_e32 v13, v13, v13
	v_min_f32_e32 v13, v13, v14
	v_lshl_add_u64 v[14:15], v[4:5], 2, v[8:9]
	flat_store_dword v[14:15], v13
	s_or_b64 exec, exec, s[18:19]
	s_and_b64 s[18:19], s[8:9], s[10:11]
	s_and_saveexec_b64 s[10:11], s[18:19]
	s_cbranch_execz .LBB12_330
.LBB12_326:
	s_and_b64 vcc, exec, s[0:1]
	s_cbranch_vccnz .LBB12_328
; %bb.327:
	v_lshl_add_u64 v[10:11], v[6:7], 2, v[10:11]
	flat_load_dword v10, v[10:11]
	s_waitcnt vmcnt(0) lgkmcnt(0)
	v_mul_f32_e32 v10, s28, v10
	s_branch .LBB12_329
.LBB12_328:
	v_mov_b32_e32 v10, 0
.LBB12_329:
	v_max_f32_e32 v11, v36, v36
	v_max_f32_e32 v10, v10, v10
	v_min_f32_e32 v10, v10, v11
	v_lshl_add_u64 v[8:9], v[6:7], 2, v[8:9]
	flat_store_dword v[8:9], v10
.LBB12_330:
	s_or_b64 exec, exec, s[10:11]
	v_add_u32_e32 v13, 0x70, v12
	v_mad_i64_i32 v[8:9], s[18:19], v13, s23, 0
	v_cmp_gt_i32_e64 s[10:11], s13, v13
	v_lshl_add_u64 v[10:11], v[8:9], 2, s[16:17]
	v_mad_i64_i32 v[8:9], s[18:19], v13, s22, 0
	v_lshl_add_u64 v[8:9], v[8:9], 2, s[14:15]
	s_and_b64 s[20:21], s[2:3], s[10:11]
	s_and_saveexec_b64 s[18:19], s[20:21]
	s_cbranch_execnz .LBB12_334
; %bb.331:
	s_or_b64 exec, exec, s[18:19]
	s_and_b64 s[20:21], s[4:5], s[10:11]
	s_and_saveexec_b64 s[18:19], s[20:21]
	s_cbranch_execnz .LBB12_338
.LBB12_332:
	s_or_b64 exec, exec, s[18:19]
	s_and_b64 s[20:21], s[6:7], s[10:11]
	s_and_saveexec_b64 s[18:19], s[20:21]
	s_cbranch_execnz .LBB12_342
.LBB12_333:
	s_or_b64 exec, exec, s[18:19]
	s_and_b64 s[18:19], s[8:9], s[10:11]
	s_and_saveexec_b64 s[10:11], s[18:19]
	s_cbranch_execnz .LBB12_346
	s_branch .LBB12_350
.LBB12_334:
	s_and_b64 vcc, exec, s[0:1]
	s_cbranch_vccnz .LBB12_336
; %bb.335:
	v_lshl_add_u64 v[14:15], v[0:1], 2, v[10:11]
	flat_load_dword v13, v[14:15]
	s_waitcnt vmcnt(0) lgkmcnt(0)
	v_mul_f32_e32 v13, s28, v13
	s_branch .LBB12_337
.LBB12_336:
	v_mov_b32_e32 v13, 0
.LBB12_337:
	v_max_f32_e32 v14, v35, v35
	v_max_f32_e32 v13, v13, v13
	v_min_f32_e32 v13, v13, v14
	v_lshl_add_u64 v[14:15], v[0:1], 2, v[8:9]
	flat_store_dword v[14:15], v13
	s_or_b64 exec, exec, s[18:19]
	s_and_b64 s[20:21], s[4:5], s[10:11]
	s_and_saveexec_b64 s[18:19], s[20:21]
	s_cbranch_execz .LBB12_332
.LBB12_338:
	s_and_b64 vcc, exec, s[0:1]
	s_cbranch_vccnz .LBB12_340
; %bb.339:
	v_lshl_add_u64 v[14:15], v[2:3], 2, v[10:11]
	flat_load_dword v13, v[14:15]
	s_waitcnt vmcnt(0) lgkmcnt(0)
	v_mul_f32_e32 v13, s28, v13
	s_branch .LBB12_341
.LBB12_340:
	v_mov_b32_e32 v13, 0
.LBB12_341:
	v_max_f32_e32 v14, v34, v34
	v_max_f32_e32 v13, v13, v13
	v_min_f32_e32 v13, v13, v14
	v_lshl_add_u64 v[14:15], v[2:3], 2, v[8:9]
	flat_store_dword v[14:15], v13
	s_or_b64 exec, exec, s[18:19]
	s_and_b64 s[20:21], s[6:7], s[10:11]
	s_and_saveexec_b64 s[18:19], s[20:21]
	s_cbranch_execz .LBB12_333
.LBB12_342:
	s_and_b64 vcc, exec, s[0:1]
	s_cbranch_vccnz .LBB12_344
; %bb.343:
	v_lshl_add_u64 v[14:15], v[4:5], 2, v[10:11]
	flat_load_dword v13, v[14:15]
	s_waitcnt vmcnt(0) lgkmcnt(0)
	v_mul_f32_e32 v13, s28, v13
	s_branch .LBB12_345
.LBB12_344:
	v_mov_b32_e32 v13, 0
.LBB12_345:
	v_max_f32_e32 v14, v33, v33
	v_max_f32_e32 v13, v13, v13
	v_min_f32_e32 v13, v13, v14
	v_lshl_add_u64 v[14:15], v[4:5], 2, v[8:9]
	flat_store_dword v[14:15], v13
	s_or_b64 exec, exec, s[18:19]
	s_and_b64 s[18:19], s[8:9], s[10:11]
	s_and_saveexec_b64 s[10:11], s[18:19]
	s_cbranch_execz .LBB12_350
.LBB12_346:
	s_and_b64 vcc, exec, s[0:1]
	s_cbranch_vccnz .LBB12_348
; %bb.347:
	v_lshl_add_u64 v[10:11], v[6:7], 2, v[10:11]
	flat_load_dword v10, v[10:11]
	s_waitcnt vmcnt(0) lgkmcnt(0)
	v_mul_f32_e32 v10, s28, v10
	s_branch .LBB12_349
.LBB12_348:
	v_mov_b32_e32 v10, 0
.LBB12_349:
	v_max_f32_e32 v11, v32, v32
	v_max_f32_e32 v10, v10, v10
	v_min_f32_e32 v10, v10, v11
	v_lshl_add_u64 v[8:9], v[6:7], 2, v[8:9]
	flat_store_dword v[8:9], v10
.LBB12_350:
	s_or_b64 exec, exec, s[10:11]
	v_add_u32_e32 v12, 0x78, v12
	v_cmp_gt_i32_e64 s[10:11], s13, v12
	v_mad_i64_i32 v[8:9], s[12:13], v12, s23, 0
	v_lshl_add_u64 v[10:11], v[8:9], 2, s[16:17]
	v_mad_i64_i32 v[8:9], s[12:13], v12, s22, 0
	v_lshl_add_u64 v[8:9], v[8:9], 2, s[14:15]
	s_and_b64 s[12:13], s[2:3], s[10:11]
	s_and_saveexec_b64 s[2:3], s[12:13]
	s_cbranch_execnz .LBB12_355
; %bb.351:
	s_or_b64 exec, exec, s[2:3]
	s_and_b64 s[4:5], s[4:5], s[10:11]
	s_and_saveexec_b64 s[2:3], s[4:5]
	s_cbranch_execnz .LBB12_359
.LBB12_352:
	s_or_b64 exec, exec, s[2:3]
	s_and_b64 s[4:5], s[6:7], s[10:11]
	s_and_saveexec_b64 s[2:3], s[4:5]
	s_cbranch_execnz .LBB12_363
.LBB12_353:
	s_or_b64 exec, exec, s[2:3]
	s_and_b64 s[2:3], s[8:9], s[10:11]
	s_and_saveexec_b64 s[4:5], s[2:3]
	s_cbranch_execnz .LBB12_367
.LBB12_354:
	s_endpgm
.LBB12_355:
	s_and_b64 vcc, exec, s[0:1]
	s_cbranch_vccnz .LBB12_357
; %bb.356:
	v_lshl_add_u64 v[12:13], v[0:1], 2, v[10:11]
	flat_load_dword v12, v[12:13]
	s_waitcnt vmcnt(0) lgkmcnt(0)
	v_mul_f32_e32 v12, s28, v12
	s_branch .LBB12_358
.LBB12_357:
	v_mov_b32_e32 v12, 0
.LBB12_358:
	v_max_f32_e32 v13, v31, v31
	v_max_f32_e32 v12, v12, v12
	v_min_f32_e32 v12, v12, v13
	v_lshl_add_u64 v[0:1], v[0:1], 2, v[8:9]
	flat_store_dword v[0:1], v12
	s_or_b64 exec, exec, s[2:3]
	s_and_b64 s[4:5], s[4:5], s[10:11]
	s_and_saveexec_b64 s[2:3], s[4:5]
	s_cbranch_execz .LBB12_352
.LBB12_359:
	s_and_b64 vcc, exec, s[0:1]
	s_cbranch_vccnz .LBB12_361
; %bb.360:
	v_lshl_add_u64 v[0:1], v[2:3], 2, v[10:11]
	flat_load_dword v0, v[0:1]
	s_waitcnt vmcnt(0) lgkmcnt(0)
	v_mul_f32_e32 v0, s28, v0
	s_branch .LBB12_362
.LBB12_361:
	v_mov_b32_e32 v0, 0
.LBB12_362:
	v_max_f32_e32 v1, v30, v30
	v_max_f32_e32 v0, v0, v0
	v_min_f32_e32 v12, v0, v1
	v_lshl_add_u64 v[0:1], v[2:3], 2, v[8:9]
	flat_store_dword v[0:1], v12
	s_or_b64 exec, exec, s[2:3]
	s_and_b64 s[4:5], s[6:7], s[10:11]
	s_and_saveexec_b64 s[2:3], s[4:5]
	s_cbranch_execz .LBB12_353
.LBB12_363:
	s_and_b64 vcc, exec, s[0:1]
	s_cbranch_vccnz .LBB12_365
; %bb.364:
	v_lshl_add_u64 v[0:1], v[4:5], 2, v[10:11]
	flat_load_dword v0, v[0:1]
	s_waitcnt vmcnt(0) lgkmcnt(0)
	v_mul_f32_e32 v0, s28, v0
	s_branch .LBB12_366
.LBB12_365:
	v_mov_b32_e32 v0, 0
.LBB12_366:
	v_max_f32_e32 v1, v29, v29
	v_max_f32_e32 v0, v0, v0
	v_min_f32_e32 v2, v0, v1
	v_lshl_add_u64 v[0:1], v[4:5], 2, v[8:9]
	flat_store_dword v[0:1], v2
	s_or_b64 exec, exec, s[2:3]
	s_and_b64 s[2:3], s[8:9], s[10:11]
	s_and_saveexec_b64 s[4:5], s[2:3]
	s_cbranch_execz .LBB12_354
.LBB12_367:
	s_and_b64 vcc, exec, s[0:1]
	s_cbranch_vccnz .LBB12_369
; %bb.368:
	v_lshl_add_u64 v[0:1], v[6:7], 2, v[10:11]
	flat_load_dword v0, v[0:1]
	s_waitcnt vmcnt(0) lgkmcnt(0)
	v_mul_f32_e32 v0, s28, v0
	s_branch .LBB12_370
.LBB12_369:
	v_mov_b32_e32 v0, 0
.LBB12_370:
	v_max_f32_e32 v1, v28, v28
	v_max_f32_e32 v0, v0, v0
	v_min_f32_e32 v2, v0, v1
	v_lshl_add_u64 v[0:1], v[6:7], 2, v[8:9]
	flat_store_dword v[0:1], v2
	s_endpgm
	.section	.rodata,"a",@progbits
	.p2align	6, 0x0
	.amdhsa_kernel _ZN12_GLOBAL__N_120geam_min_plus_kernelIf15HIP_vector_typeIfLj2EEfLi32ELi8ELi128ELi128ELi4ELi4ELi64ELi4ELi64ELc84ELc78ELb0ELb1ELb1EPKfKS4_KPfEEviiiT16_PT17_ilSA_ilS8_SA_ilPT18_ili26rocblas_geam_ex_operation_
		.amdhsa_group_segment_fixed_size 8192
		.amdhsa_private_segment_fixed_size 0
		.amdhsa_kernarg_size 136
		.amdhsa_user_sgpr_count 2
		.amdhsa_user_sgpr_dispatch_ptr 0
		.amdhsa_user_sgpr_queue_ptr 0
		.amdhsa_user_sgpr_kernarg_segment_ptr 1
		.amdhsa_user_sgpr_dispatch_id 0
		.amdhsa_user_sgpr_kernarg_preload_length 0
		.amdhsa_user_sgpr_kernarg_preload_offset 0
		.amdhsa_user_sgpr_private_segment_size 0
		.amdhsa_uses_dynamic_stack 0
		.amdhsa_enable_private_segment 0
		.amdhsa_system_sgpr_workgroup_id_x 1
		.amdhsa_system_sgpr_workgroup_id_y 0
		.amdhsa_system_sgpr_workgroup_id_z 1
		.amdhsa_system_sgpr_workgroup_info 0
		.amdhsa_system_vgpr_workitem_id 1
		.amdhsa_next_free_vgpr 132
		.amdhsa_next_free_sgpr 38
		.amdhsa_accum_offset 132
		.amdhsa_reserve_vcc 1
		.amdhsa_float_round_mode_32 0
		.amdhsa_float_round_mode_16_64 0
		.amdhsa_float_denorm_mode_32 3
		.amdhsa_float_denorm_mode_16_64 3
		.amdhsa_dx10_clamp 1
		.amdhsa_ieee_mode 1
		.amdhsa_fp16_overflow 0
		.amdhsa_tg_split 0
		.amdhsa_exception_fp_ieee_invalid_op 0
		.amdhsa_exception_fp_denorm_src 0
		.amdhsa_exception_fp_ieee_div_zero 0
		.amdhsa_exception_fp_ieee_overflow 0
		.amdhsa_exception_fp_ieee_underflow 0
		.amdhsa_exception_fp_ieee_inexact 0
		.amdhsa_exception_int_div_zero 0
	.end_amdhsa_kernel
	.section	.text._ZN12_GLOBAL__N_120geam_min_plus_kernelIf15HIP_vector_typeIfLj2EEfLi32ELi8ELi128ELi128ELi4ELi4ELi64ELi4ELi64ELc84ELc78ELb0ELb1ELb1EPKfKS4_KPfEEviiiT16_PT17_ilSA_ilS8_SA_ilPT18_ili26rocblas_geam_ex_operation_,"axG",@progbits,_ZN12_GLOBAL__N_120geam_min_plus_kernelIf15HIP_vector_typeIfLj2EEfLi32ELi8ELi128ELi128ELi4ELi4ELi64ELi4ELi64ELc84ELc78ELb0ELb1ELb1EPKfKS4_KPfEEviiiT16_PT17_ilSA_ilS8_SA_ilPT18_ili26rocblas_geam_ex_operation_,comdat
.Lfunc_end12:
	.size	_ZN12_GLOBAL__N_120geam_min_plus_kernelIf15HIP_vector_typeIfLj2EEfLi32ELi8ELi128ELi128ELi4ELi4ELi64ELi4ELi64ELc84ELc78ELb0ELb1ELb1EPKfKS4_KPfEEviiiT16_PT17_ilSA_ilS8_SA_ilPT18_ili26rocblas_geam_ex_operation_, .Lfunc_end12-_ZN12_GLOBAL__N_120geam_min_plus_kernelIf15HIP_vector_typeIfLj2EEfLi32ELi8ELi128ELi128ELi4ELi4ELi64ELi4ELi64ELc84ELc78ELb0ELb1ELb1EPKfKS4_KPfEEviiiT16_PT17_ilSA_ilS8_SA_ilPT18_ili26rocblas_geam_ex_operation_
                                        ; -- End function
	.set _ZN12_GLOBAL__N_120geam_min_plus_kernelIf15HIP_vector_typeIfLj2EEfLi32ELi8ELi128ELi128ELi4ELi4ELi64ELi4ELi64ELc84ELc78ELb0ELb1ELb1EPKfKS4_KPfEEviiiT16_PT17_ilSA_ilS8_SA_ilPT18_ili26rocblas_geam_ex_operation_.num_vgpr, 132
	.set _ZN12_GLOBAL__N_120geam_min_plus_kernelIf15HIP_vector_typeIfLj2EEfLi32ELi8ELi128ELi128ELi4ELi4ELi64ELi4ELi64ELc84ELc78ELb0ELb1ELb1EPKfKS4_KPfEEviiiT16_PT17_ilSA_ilS8_SA_ilPT18_ili26rocblas_geam_ex_operation_.num_agpr, 0
	.set _ZN12_GLOBAL__N_120geam_min_plus_kernelIf15HIP_vector_typeIfLj2EEfLi32ELi8ELi128ELi128ELi4ELi4ELi64ELi4ELi64ELc84ELc78ELb0ELb1ELb1EPKfKS4_KPfEEviiiT16_PT17_ilSA_ilS8_SA_ilPT18_ili26rocblas_geam_ex_operation_.numbered_sgpr, 38
	.set _ZN12_GLOBAL__N_120geam_min_plus_kernelIf15HIP_vector_typeIfLj2EEfLi32ELi8ELi128ELi128ELi4ELi4ELi64ELi4ELi64ELc84ELc78ELb0ELb1ELb1EPKfKS4_KPfEEviiiT16_PT17_ilSA_ilS8_SA_ilPT18_ili26rocblas_geam_ex_operation_.num_named_barrier, 0
	.set _ZN12_GLOBAL__N_120geam_min_plus_kernelIf15HIP_vector_typeIfLj2EEfLi32ELi8ELi128ELi128ELi4ELi4ELi64ELi4ELi64ELc84ELc78ELb0ELb1ELb1EPKfKS4_KPfEEviiiT16_PT17_ilSA_ilS8_SA_ilPT18_ili26rocblas_geam_ex_operation_.private_seg_size, 0
	.set _ZN12_GLOBAL__N_120geam_min_plus_kernelIf15HIP_vector_typeIfLj2EEfLi32ELi8ELi128ELi128ELi4ELi4ELi64ELi4ELi64ELc84ELc78ELb0ELb1ELb1EPKfKS4_KPfEEviiiT16_PT17_ilSA_ilS8_SA_ilPT18_ili26rocblas_geam_ex_operation_.uses_vcc, 1
	.set _ZN12_GLOBAL__N_120geam_min_plus_kernelIf15HIP_vector_typeIfLj2EEfLi32ELi8ELi128ELi128ELi4ELi4ELi64ELi4ELi64ELc84ELc78ELb0ELb1ELb1EPKfKS4_KPfEEviiiT16_PT17_ilSA_ilS8_SA_ilPT18_ili26rocblas_geam_ex_operation_.uses_flat_scratch, 0
	.set _ZN12_GLOBAL__N_120geam_min_plus_kernelIf15HIP_vector_typeIfLj2EEfLi32ELi8ELi128ELi128ELi4ELi4ELi64ELi4ELi64ELc84ELc78ELb0ELb1ELb1EPKfKS4_KPfEEviiiT16_PT17_ilSA_ilS8_SA_ilPT18_ili26rocblas_geam_ex_operation_.has_dyn_sized_stack, 0
	.set _ZN12_GLOBAL__N_120geam_min_plus_kernelIf15HIP_vector_typeIfLj2EEfLi32ELi8ELi128ELi128ELi4ELi4ELi64ELi4ELi64ELc84ELc78ELb0ELb1ELb1EPKfKS4_KPfEEviiiT16_PT17_ilSA_ilS8_SA_ilPT18_ili26rocblas_geam_ex_operation_.has_recursion, 0
	.set _ZN12_GLOBAL__N_120geam_min_plus_kernelIf15HIP_vector_typeIfLj2EEfLi32ELi8ELi128ELi128ELi4ELi4ELi64ELi4ELi64ELc84ELc78ELb0ELb1ELb1EPKfKS4_KPfEEviiiT16_PT17_ilSA_ilS8_SA_ilPT18_ili26rocblas_geam_ex_operation_.has_indirect_call, 0
	.section	.AMDGPU.csdata,"",@progbits
; Kernel info:
; codeLenInByte = 14972
; TotalNumSgprs: 44
; NumVgprs: 132
; NumAgprs: 0
; TotalNumVgprs: 132
; ScratchSize: 0
; MemoryBound: 0
; FloatMode: 240
; IeeeMode: 1
; LDSByteSize: 8192 bytes/workgroup (compile time only)
; SGPRBlocks: 5
; VGPRBlocks: 16
; NumSGPRsForWavesPerEU: 44
; NumVGPRsForWavesPerEU: 132
; AccumOffset: 132
; Occupancy: 3
; WaveLimiterHint : 1
; COMPUTE_PGM_RSRC2:SCRATCH_EN: 0
; COMPUTE_PGM_RSRC2:USER_SGPR: 2
; COMPUTE_PGM_RSRC2:TRAP_HANDLER: 0
; COMPUTE_PGM_RSRC2:TGID_X_EN: 1
; COMPUTE_PGM_RSRC2:TGID_Y_EN: 0
; COMPUTE_PGM_RSRC2:TGID_Z_EN: 1
; COMPUTE_PGM_RSRC2:TIDIG_COMP_CNT: 1
; COMPUTE_PGM_RSRC3_GFX90A:ACCUM_OFFSET: 32
; COMPUTE_PGM_RSRC3_GFX90A:TG_SPLIT: 0
	.section	.text._ZN12_GLOBAL__N_120geam_min_plus_kernelIf15HIP_vector_typeIfLj2EEfLi32ELi8ELi128ELi128ELi4ELi4ELi64ELi4ELi64ELc84ELc78ELb1ELb1ELb1EfKPKfKPfEEviiiT16_PT17_ilSA_ilS8_SA_ilPT18_ili26rocblas_geam_ex_operation_,"axG",@progbits,_ZN12_GLOBAL__N_120geam_min_plus_kernelIf15HIP_vector_typeIfLj2EEfLi32ELi8ELi128ELi128ELi4ELi4ELi64ELi4ELi64ELc84ELc78ELb1ELb1ELb1EfKPKfKPfEEviiiT16_PT17_ilSA_ilS8_SA_ilPT18_ili26rocblas_geam_ex_operation_,comdat
	.globl	_ZN12_GLOBAL__N_120geam_min_plus_kernelIf15HIP_vector_typeIfLj2EEfLi32ELi8ELi128ELi128ELi4ELi4ELi64ELi4ELi64ELc84ELc78ELb1ELb1ELb1EfKPKfKPfEEviiiT16_PT17_ilSA_ilS8_SA_ilPT18_ili26rocblas_geam_ex_operation_ ; -- Begin function _ZN12_GLOBAL__N_120geam_min_plus_kernelIf15HIP_vector_typeIfLj2EEfLi32ELi8ELi128ELi128ELi4ELi4ELi64ELi4ELi64ELc84ELc78ELb1ELb1ELb1EfKPKfKPfEEviiiT16_PT17_ilSA_ilS8_SA_ilPT18_ili26rocblas_geam_ex_operation_
	.p2align	8
	.type	_ZN12_GLOBAL__N_120geam_min_plus_kernelIf15HIP_vector_typeIfLj2EEfLi32ELi8ELi128ELi128ELi4ELi4ELi64ELi4ELi64ELc84ELc78ELb1ELb1ELb1EfKPKfKPfEEviiiT16_PT17_ilSA_ilS8_SA_ilPT18_ili26rocblas_geam_ex_operation_,@function
_ZN12_GLOBAL__N_120geam_min_plus_kernelIf15HIP_vector_typeIfLj2EEfLi32ELi8ELi128ELi128ELi4ELi4ELi64ELi4ELi64ELc84ELc78ELb1ELb1ELb1EfKPKfKPfEEviiiT16_PT17_ilSA_ilS8_SA_ilPT18_ili26rocblas_geam_ex_operation_: ; @_ZN12_GLOBAL__N_120geam_min_plus_kernelIf15HIP_vector_typeIfLj2EEfLi32ELi8ELi128ELi128ELi4ELi4ELi64ELi4ELi64ELc84ELc78ELb1ELb1ELb1EfKPKfKPfEEviiiT16_PT17_ilSA_ilS8_SA_ilPT18_ili26rocblas_geam_ex_operation_
; %bb.0:
	s_load_dwordx4 s[12:15], s[0:1], 0x0
	s_load_dwordx4 s[4:7], s[0:1], 0x20
	s_mov_b32 s8, s3
	s_mov_b32 s9, 0
	s_waitcnt lgkmcnt(0)
	v_cmp_eq_f32_e64 s[10:11], s15, 0
	s_and_b64 vcc, exec, s[10:11]
	s_cbranch_vccnz .LBB13_3
; %bb.1:
	s_load_dwordx2 s[16:17], s[0:1], 0x10
	s_lshl_b64 s[18:19], s[8:9], 3
	s_waitcnt lgkmcnt(0)
	s_add_u32 s16, s16, s18
	s_addc_u32 s17, s17, s19
	s_load_dwordx2 s[16:17], s[16:17], 0x0
	s_lshl_b64 s[4:5], s[4:5], 2
	s_waitcnt lgkmcnt(0)
	s_add_u32 s20, s16, s4
	s_addc_u32 s21, s17, s5
	s_andn2_b64 vcc, exec, s[10:11]
	s_cbranch_vccnz .LBB13_4
.LBB13_2:
	s_mov_b32 s11, 0
	s_mov_b32 s10, s8
	s_mov_b64 s[16:17], 0
	s_mov_b64 s[22:23], 0
	s_cbranch_execz .LBB13_5
	s_branch .LBB13_6
.LBB13_3:
	s_mov_b64 s[20:21], 0
	s_andn2_b64 vcc, exec, s[10:11]
	s_cbranch_vccz .LBB13_2
.LBB13_4:
	s_mov_b64 s[10:11], s[8:9]
	s_mov_b64 s[16:17], 0
	;; [unrolled: 1-line block ×3, first 2 shown]
.LBB13_5:
	s_lshl_b64 s[8:9], s[8:9], 3
	s_add_u32 s6, s6, s8
	s_load_dwordx2 s[4:5], s[0:1], 0x38
	s_addc_u32 s7, s7, s9
	s_load_dwordx2 s[6:7], s[6:7], 0x0
	s_waitcnt lgkmcnt(0)
	s_lshl_b64 s[4:5], s[4:5], 2
	s_add_u32 s22, s6, s4
	s_addc_u32 s23, s7, s5
.LBB13_6:
	s_load_dword s26, s[0:1], 0x40
	s_load_dwordx4 s[4:7], s[0:1], 0x58
	s_waitcnt lgkmcnt(0)
	v_cmp_eq_f32_e64 s[8:9], s26, 0
	v_cmp_neq_f32_e64 s[18:19], s26, 0
	s_and_b64 vcc, exec, s[8:9]
	s_cbranch_vccnz .LBB13_8
; %bb.7:
	s_load_dwordx2 s[8:9], s[0:1], 0x48
	s_lshl_b64 s[16:17], s[10:11], 3
	s_waitcnt lgkmcnt(0)
	s_add_u32 s8, s8, s16
	s_addc_u32 s9, s9, s17
	s_load_dwordx2 s[8:9], s[8:9], 0x0
	s_lshl_b64 s[4:5], s[4:5], 2
	s_waitcnt lgkmcnt(0)
	s_add_u32 s16, s8, s4
	s_addc_u32 s17, s9, s5
.LBB13_8:
	s_lshl_b64 s[4:5], s[10:11], 3
	s_add_u32 s10, s6, s4
	s_addc_u32 s11, s7, s5
	s_add_i32 s3, s12, -1
	s_ashr_i32 s4, s3, 31
	s_lshr_b32 s4, s4, 25
	s_add_i32 s3, s3, s4
	s_ashr_i32 s3, s3, 7
	s_add_i32 s4, s3, 1
	v_cvt_f32_u32_e32 v1, s4
	s_not_b32 s3, s3
	v_and_b32_e32 v97, 0x3ff, v0
	v_bfe_u32 v98, v0, 10, 10
	v_rcp_iflag_f32_e32 v1, v1
	s_load_dword s29, s[0:1], 0x18
	v_and_b32_e32 v104, 3, v0
	v_lshl_add_u32 v0, v98, 5, v97
	v_mul_f32_e32 v1, 0x4f7ffffe, v1
	v_cvt_u32_f32_e32 v1, v1
	v_lshrrev_b32_e32 v15, 2, v0
	v_cmp_le_i32_e32 vcc, s14, v104
	v_mov_b32_e32 v13, 0
	v_readfirstlane_b32 s5, v1
	s_mul_i32 s3, s3, s5
	s_mul_hi_u32 s3, s5, s3
	s_add_i32 s5, s5, s3
	s_mul_hi_u32 s3, s2, s5
	s_mul_i32 s5, s3, s4
	s_sub_i32 s5, s2, s5
	s_add_i32 s6, s3, 1
	s_sub_i32 s7, s5, s4
	s_cmp_ge_u32 s5, s4
	s_cselect_b32 s3, s6, s3
	s_cselect_b32 s5, s7, s5
	s_add_i32 s6, s3, 1
	s_cmp_ge_u32 s5, s4
	s_cselect_b32 s8, s6, s3
	s_mul_i32 s3, s8, s4
	s_sub_i32 s2, s2, s3
	s_lshl_b32 s15, s2, 7
	v_add_u32_e32 v14, s15, v15
	v_lshlrev_b32_e32 v12, 2, v104
	v_cmp_le_i32_e64 s[2:3], s12, v14
	v_lshl_add_u64 v[0:1], s[20:21], 0, v[12:13]
	s_nor_b64 s[6:7], vcc, s[2:3]
	v_mov_b32_e32 v4, 0x7f7fffff
	v_mov_b32_e32 v5, 0x7f7fffff
	s_and_saveexec_b64 s[4:5], s[6:7]
	s_cbranch_execz .LBB13_10
; %bb.9:
	s_waitcnt lgkmcnt(0)
	v_mad_i64_i32 v[2:3], s[6:7], v14, s29, 0
	v_lshl_add_u64 v[2:3], v[2:3], 2, v[0:1]
	flat_load_dword v5, v[2:3]
.LBB13_10:
	s_or_b64 exec, exec, s[4:5]
	v_add_u32_e32 v16, 64, v14
	v_cmp_le_i32_e64 s[4:5], s12, v16
	s_nor_b64 s[24:25], vcc, s[4:5]
	s_and_saveexec_b64 s[6:7], s[24:25]
	s_cbranch_execz .LBB13_12
; %bb.11:
	s_waitcnt lgkmcnt(0)
	v_mad_i64_i32 v[2:3], s[24:25], v16, s29, 0
	v_lshl_add_u64 v[2:3], v[2:3], 2, v[0:1]
	flat_load_dword v4, v[2:3]
.LBB13_12:
	s_or_b64 exec, exec, s[6:7]
	s_load_dword s30, s[0:1], 0x30
	s_lshl_b32 s27, s8, 7
	v_add_u32_e32 v17, s27, v15
	v_mov_b32_e32 v13, 0
	v_cmp_le_i32_e64 s[6:7], s13, v17
	v_lshl_add_u64 v[2:3], s[22:23], 0, v[12:13]
	s_nor_b64 s[24:25], vcc, s[6:7]
	v_mov_b32_e32 v6, 0x7f7fffff
	v_mov_b32_e32 v7, 0x7f7fffff
	s_and_saveexec_b64 s[8:9], s[24:25]
	s_cbranch_execz .LBB13_14
; %bb.13:
	s_waitcnt lgkmcnt(0)
	v_mad_i64_i32 v[8:9], s[24:25], v17, s30, 0
	v_lshl_add_u64 v[8:9], v[8:9], 2, v[2:3]
	flat_load_dword v7, v[8:9]
.LBB13_14:
	s_or_b64 exec, exec, s[8:9]
	v_add_u32_e32 v13, 64, v17
	v_cmp_le_i32_e64 s[8:9], s13, v13
	s_nor_b64 s[34:35], vcc, s[8:9]
	s_and_saveexec_b64 s[24:25], s[34:35]
	s_cbranch_execz .LBB13_16
; %bb.15:
	s_waitcnt lgkmcnt(0)
	v_mad_i64_i32 v[8:9], s[34:35], v13, s30, 0
	v_lshl_add_u64 v[8:9], v[8:9], 2, v[2:3]
	flat_load_dword v6, v[8:9]
.LBB13_16:
	s_or_b64 exec, exec, s[24:25]
	v_or_b32_e32 v8, 4, v104
	v_cmp_le_i32_e32 vcc, s14, v8
	s_nor_b64 s[34:35], vcc, s[2:3]
	v_mov_b32_e32 v18, 0x7f7fffff
	v_mov_b32_e32 v19, 0x7f7fffff
	s_and_saveexec_b64 s[24:25], s[34:35]
	s_cbranch_execz .LBB13_18
; %bb.17:
	s_waitcnt lgkmcnt(0)
	v_mad_i64_i32 v[8:9], s[34:35], v14, s29, 0
	v_lshl_add_u64 v[8:9], v[8:9], 2, v[0:1]
	flat_load_dword v19, v[8:9] offset:16
.LBB13_18:
	s_or_b64 exec, exec, s[24:25]
	s_nor_b64 s[34:35], vcc, s[4:5]
	s_and_saveexec_b64 s[24:25], s[34:35]
	s_cbranch_execz .LBB13_20
; %bb.19:
	s_waitcnt lgkmcnt(0)
	v_mad_i64_i32 v[8:9], s[34:35], v16, s29, 0
	v_lshl_add_u64 v[0:1], v[8:9], 2, v[0:1]
	flat_load_dword v18, v[0:1] offset:16
.LBB13_20:
	s_or_b64 exec, exec, s[24:25]
	s_nor_b64 s[34:35], vcc, s[6:7]
	v_mov_b32_e32 v20, 0x7f7fffff
	v_mov_b32_e32 v21, 0x7f7fffff
	s_and_saveexec_b64 s[24:25], s[34:35]
	s_cbranch_execz .LBB13_22
; %bb.21:
	s_waitcnt lgkmcnt(0)
	v_mad_i64_i32 v[0:1], s[34:35], v17, s30, 0
	v_lshl_add_u64 v[0:1], v[0:1], 2, v[2:3]
	flat_load_dword v21, v[0:1] offset:16
.LBB13_22:
	s_or_b64 exec, exec, s[24:25]
	s_load_dwordx2 s[10:11], s[10:11], 0x0
	s_nor_b64 s[34:35], vcc, s[8:9]
	s_and_saveexec_b64 s[24:25], s[34:35]
	s_cbranch_execz .LBB13_24
; %bb.23:
	s_waitcnt lgkmcnt(0)
	v_mad_i64_i32 v[0:1], s[34:35], v13, s30, 0
	v_lshl_add_u64 v[0:1], v[0:1], 2, v[2:3]
	flat_load_dword v20, v[0:1] offset:16
.LBB13_24:
	s_or_b64 exec, exec, s[24:25]
	v_lshlrev_b32_e32 v0, 4, v15
	v_lshl_or_b32 v105, v104, 2, v0
	v_mov_b32_e32 v0, 0x1000
	v_add_u32_e32 v106, 0x1000, v105
	v_lshlrev_b32_e32 v107, 4, v97
	v_lshl_add_u32 v108, v98, 4, v0
	v_mov_b32_e32 v103, 0x7f7fffff
	s_mov_b32 s28, 0
	s_mov_b64 s[24:25], -1
	v_mov_b32_e32 v102, 0x7f7fffff
	v_mov_b32_e32 v101, 0x7f7fffff
	;; [unrolled: 1-line block ×63, first 2 shown]
	s_waitcnt vmcnt(0) lgkmcnt(0)
	ds_write2st64_b32 v105, v5, v4 offset1:4
	ds_write2st64_b32 v105, v7, v6 offset0:16 offset1:20
	s_waitcnt lgkmcnt(0)
	s_barrier
.LBB13_25:                              ; =>This Inner Loop Header: Depth=1
	v_cndmask_b32_e64 v0, 0, 1, s[24:25]
	s_lshl_b32 s24, s28, 2
	v_cmp_ne_u32_e32 vcc, 1, v0
	v_add_u32_e32 v0, s24, v107
	ds_read2st64_b64 v[4:7], v0 offset1:1
	ds_read2st64_b64 v[0:3], v0 offset0:2 offset1:3
	v_add_u32_e32 v8, s24, v108
	ds_read2_b64 v[22:25], v8 offset1:16
	ds_read2_b64 v[26:29], v8 offset0:32 offset1:48
	ds_read2_b64 v[30:33], v8 offset0:64 offset1:80
	;; [unrolled: 1-line block ×7, first 2 shown]
	s_mov_b64 s[24:25], 0
	s_waitcnt lgkmcnt(7)
	v_pk_add_f32 v[122:123], v[4:5], v[22:23]
	s_and_b64 vcc, exec, vcc
	v_min3_f32 v103, v122, v123, v103
	v_pk_add_f32 v[122:123], v[6:7], v[22:23]
	s_mov_b32 s28, 2
	v_min3_f32 v102, v122, v123, v102
	v_pk_add_f32 v[122:123], v[0:1], v[22:23]
	v_pk_add_f32 v[22:23], v[2:3], v[22:23]
	v_min3_f32 v101, v122, v123, v101
	v_min3_f32 v100, v22, v23, v100
	v_pk_add_f32 v[22:23], v[4:5], v[24:25]
	s_nop 0
	v_min3_f32 v99, v22, v23, v99
	v_pk_add_f32 v[22:23], v[6:7], v[24:25]
	s_nop 0
	v_min3_f32 v96, v22, v23, v96
	v_pk_add_f32 v[22:23], v[0:1], v[24:25]
	s_nop 0
	v_min3_f32 v95, v22, v23, v95
	v_pk_add_f32 v[22:23], v[2:3], v[24:25]
	s_nop 0
	v_min3_f32 v94, v22, v23, v94
	s_waitcnt lgkmcnt(6)
	v_pk_add_f32 v[22:23], v[4:5], v[26:27]
	s_nop 0
	v_min3_f32 v93, v22, v23, v93
	v_pk_add_f32 v[22:23], v[6:7], v[26:27]
	s_nop 0
	v_min3_f32 v92, v22, v23, v92
	v_pk_add_f32 v[22:23], v[0:1], v[26:27]
	s_nop 0
	v_min3_f32 v91, v22, v23, v91
	v_pk_add_f32 v[22:23], v[2:3], v[26:27]
	s_nop 0
	v_min3_f32 v90, v22, v23, v90
	v_pk_add_f32 v[22:23], v[4:5], v[28:29]
	s_nop 0
	v_min3_f32 v89, v22, v23, v89
	v_pk_add_f32 v[22:23], v[6:7], v[28:29]
	s_nop 0
	v_min3_f32 v88, v22, v23, v88
	v_pk_add_f32 v[22:23], v[0:1], v[28:29]
	s_nop 0
	v_min3_f32 v87, v22, v23, v87
	v_pk_add_f32 v[22:23], v[2:3], v[28:29]
	s_nop 0
	v_min3_f32 v86, v22, v23, v86
	s_waitcnt lgkmcnt(5)
	v_pk_add_f32 v[22:23], v[4:5], v[30:31]
	s_nop 0
	v_min3_f32 v85, v22, v23, v85
	v_pk_add_f32 v[22:23], v[6:7], v[30:31]
	s_nop 0
	v_min3_f32 v84, v22, v23, v84
	v_pk_add_f32 v[22:23], v[0:1], v[30:31]
	s_nop 0
	v_min3_f32 v83, v22, v23, v83
	v_pk_add_f32 v[22:23], v[2:3], v[30:31]
	s_nop 0
	;; [unrolled: 25-line block ×6, first 2 shown]
	v_min3_f32 v50, v22, v23, v50
	v_pk_add_f32 v[22:23], v[4:5], v[120:121]
	s_nop 0
	v_min3_f32 v49, v22, v23, v49
	v_pk_add_f32 v[22:23], v[6:7], v[120:121]
	s_nop 0
	;; [unrolled: 3-line block ×4, first 2 shown]
	v_min3_f32 v46, v22, v23, v46
	s_waitcnt lgkmcnt(0)
	v_pk_add_f32 v[22:23], v[4:5], v[8:9]
	v_pk_add_f32 v[4:5], v[4:5], v[10:11]
	v_min3_f32 v45, v22, v23, v45
	v_pk_add_f32 v[22:23], v[6:7], v[8:9]
	v_min3_f32 v41, v4, v5, v41
	v_min3_f32 v44, v22, v23, v44
	v_pk_add_f32 v[22:23], v[0:1], v[8:9]
	v_pk_add_f32 v[0:1], v[0:1], v[10:11]
	;; [unrolled: 1-line block ×4, first 2 shown]
	v_min3_f32 v39, v0, v1, v39
	v_pk_add_f32 v[0:1], v[2:3], v[10:11]
	v_min3_f32 v43, v22, v23, v43
	v_min3_f32 v42, v8, v9, v42
	;; [unrolled: 1-line block ×4, first 2 shown]
	s_cbranch_vccz .LBB13_25
; %bb.26:
	v_lshl_or_b32 v0, v15, 4, v12
	s_cmp_lt_i32 s14, 9
	ds_write2st64_b32 v0, v19, v18 offset0:8 offset1:12
	ds_write2st64_b32 v0, v21, v20 offset0:24 offset1:28
	s_waitcnt lgkmcnt(0)
	s_barrier
	s_cbranch_scc1 .LBB13_49
; %bb.27:
	v_add_u32_e32 v109, 0x800, v0
	v_add_u32_e32 v110, 0x1800, v0
	v_mov_b32_e32 v0, 0x800
	v_lshl_add_u32 v111, v97, 4, v0
	v_mov_b32_e32 v0, 0x1800
	s_add_i32 s28, s14, -8
	v_mad_i64_i32 v[20:21], s[24:25], v14, s29, 0
	v_mad_i64_i32 v[22:23], s[24:25], v16, s29, 0
	;; [unrolled: 1-line block ×4, first 2 shown]
	v_lshl_add_u32 v112, v98, 4, v0
	s_mov_b32 s29, 8
	s_mov_b32 s30, 0
	v_mov_b32_e32 v29, 0
.LBB13_28:                              ; =>This Loop Header: Depth=1
                                        ;     Child Loop BB13_37 Depth 2
                                        ;     Child Loop BB13_47 Depth 2
	v_or_b32_e32 v28, s29, v104
	v_cmp_le_i32_e32 vcc, s14, v28
	v_lshl_add_u64 v[0:1], v[28:29], 2, s[20:21]
	s_nor_b64 s[34:35], s[2:3], vcc
	v_mov_b32_e32 v113, 0x7f7fffff
	v_lshl_add_u64 v[30:31], v[20:21], 2, v[0:1]
	v_mov_b32_e32 v114, 0x7f7fffff
	s_and_saveexec_b64 s[24:25], s[34:35]
	s_cbranch_execz .LBB13_30
; %bb.29:                               ;   in Loop: Header=BB13_28 Depth=1
	flat_load_dword v114, v[30:31]
.LBB13_30:                              ;   in Loop: Header=BB13_28 Depth=1
	s_or_b64 exec, exec, s[24:25]
	s_nor_b64 s[34:35], s[4:5], vcc
	v_lshl_add_u64 v[32:33], v[22:23], 2, v[0:1]
	s_and_saveexec_b64 s[24:25], s[34:35]
	s_cbranch_execz .LBB13_32
; %bb.31:                               ;   in Loop: Header=BB13_28 Depth=1
	flat_load_dword v113, v[32:33]
.LBB13_32:                              ;   in Loop: Header=BB13_28 Depth=1
	s_or_b64 exec, exec, s[24:25]
	v_lshl_add_u64 v[0:1], v[28:29], 2, s[22:23]
	s_nor_b64 s[34:35], s[6:7], vcc
	v_mov_b32_e32 v115, 0x7f7fffff
	v_lshl_add_u64 v[34:35], v[24:25], 2, v[0:1]
	v_mov_b32_e32 v116, 0x7f7fffff
	s_and_saveexec_b64 s[24:25], s[34:35]
	s_cbranch_execz .LBB13_34
; %bb.33:                               ;   in Loop: Header=BB13_28 Depth=1
	flat_load_dword v116, v[34:35]
.LBB13_34:                              ;   in Loop: Header=BB13_28 Depth=1
	s_or_b64 exec, exec, s[24:25]
	s_nor_b64 s[34:35], s[8:9], vcc
	v_lshl_add_u64 v[36:37], v[26:27], 2, v[0:1]
	s_and_saveexec_b64 s[24:25], s[34:35]
	s_cbranch_execz .LBB13_36
; %bb.35:                               ;   in Loop: Header=BB13_28 Depth=1
	flat_load_dword v115, v[36:37]
.LBB13_36:                              ;   in Loop: Header=BB13_28 Depth=1
	s_or_b64 exec, exec, s[24:25]
	s_mov_b32 s31, 0
	s_mov_b64 s[24:25], -1
.LBB13_37:                              ;   Parent Loop BB13_28 Depth=1
                                        ; =>  This Inner Loop Header: Depth=2
	v_cndmask_b32_e64 v0, 0, 1, s[24:25]
	s_lshl_b32 s24, s31, 2
	v_cmp_ne_u32_e32 vcc, 1, v0
	v_add_u32_e32 v0, s24, v111
	ds_read2st64_b64 v[4:7], v0 offset1:1
	ds_read2st64_b64 v[0:3], v0 offset0:2 offset1:3
	v_add_u32_e32 v8, s24, v112
	ds_read2_b64 v[118:121], v8 offset1:16
	ds_read2_b64 v[122:125], v8 offset0:32 offset1:48
	ds_read2_b64 v[126:129], v8 offset0:64 offset1:80
	;; [unrolled: 1-line block ×7, first 2 shown]
	s_mov_b64 s[24:25], 0
	s_waitcnt lgkmcnt(0)
	v_pk_add_f32 v[138:139], v[4:5], v[118:119]
	s_and_b64 vcc, exec, vcc
	v_min3_f32 v103, v138, v139, v103
	v_pk_add_f32 v[138:139], v[6:7], v[118:119]
	s_mov_b32 s31, 2
	v_min3_f32 v102, v138, v139, v102
	v_pk_add_f32 v[138:139], v[0:1], v[118:119]
	v_pk_add_f32 v[118:119], v[2:3], v[118:119]
	v_min3_f32 v101, v138, v139, v101
	v_min3_f32 v100, v118, v119, v100
	v_pk_add_f32 v[118:119], v[4:5], v[120:121]
	s_nop 0
	v_min3_f32 v99, v118, v119, v99
	v_pk_add_f32 v[118:119], v[6:7], v[120:121]
	s_nop 0
	v_min3_f32 v96, v118, v119, v96
	v_pk_add_f32 v[118:119], v[0:1], v[120:121]
	s_nop 0
	v_min3_f32 v95, v118, v119, v95
	v_pk_add_f32 v[118:119], v[2:3], v[120:121]
	s_nop 0
	v_min3_f32 v94, v118, v119, v94
	v_pk_add_f32 v[118:119], v[4:5], v[122:123]
	s_nop 0
	v_min3_f32 v93, v118, v119, v93
	v_pk_add_f32 v[118:119], v[6:7], v[122:123]
	s_nop 0
	v_min3_f32 v92, v118, v119, v92
	v_pk_add_f32 v[118:119], v[0:1], v[122:123]
	s_nop 0
	v_min3_f32 v91, v118, v119, v91
	v_pk_add_f32 v[118:119], v[2:3], v[122:123]
	s_nop 0
	v_min3_f32 v90, v118, v119, v90
	v_pk_add_f32 v[118:119], v[4:5], v[124:125]
	s_nop 0
	v_min3_f32 v89, v118, v119, v89
	v_pk_add_f32 v[118:119], v[6:7], v[124:125]
	s_nop 0
	v_min3_f32 v88, v118, v119, v88
	v_pk_add_f32 v[118:119], v[0:1], v[124:125]
	s_nop 0
	v_min3_f32 v87, v118, v119, v87
	v_pk_add_f32 v[118:119], v[2:3], v[124:125]
	s_nop 0
	v_min3_f32 v86, v118, v119, v86
	v_pk_add_f32 v[118:119], v[4:5], v[126:127]
	s_nop 0
	v_min3_f32 v85, v118, v119, v85
	v_pk_add_f32 v[118:119], v[6:7], v[126:127]
	s_nop 0
	v_min3_f32 v84, v118, v119, v84
	v_pk_add_f32 v[118:119], v[0:1], v[126:127]
	s_nop 0
	v_min3_f32 v83, v118, v119, v83
	v_pk_add_f32 v[118:119], v[2:3], v[126:127]
	s_nop 0
	v_min3_f32 v82, v118, v119, v82
	v_pk_add_f32 v[118:119], v[4:5], v[128:129]
	s_nop 0
	v_min3_f32 v81, v118, v119, v81
	v_pk_add_f32 v[118:119], v[6:7], v[128:129]
	s_nop 0
	v_min3_f32 v80, v118, v119, v80
	v_pk_add_f32 v[118:119], v[0:1], v[128:129]
	s_nop 0
	v_min3_f32 v79, v118, v119, v79
	v_pk_add_f32 v[118:119], v[2:3], v[128:129]
	s_nop 0
	v_min3_f32 v78, v118, v119, v78
	v_pk_add_f32 v[118:119], v[4:5], v[130:131]
	s_nop 0
	v_min3_f32 v77, v118, v119, v77
	v_pk_add_f32 v[118:119], v[6:7], v[130:131]
	s_nop 0
	v_min3_f32 v76, v118, v119, v76
	v_pk_add_f32 v[118:119], v[0:1], v[130:131]
	s_nop 0
	v_min3_f32 v75, v118, v119, v75
	v_pk_add_f32 v[118:119], v[2:3], v[130:131]
	s_nop 0
	v_min3_f32 v74, v118, v119, v74
	v_pk_add_f32 v[118:119], v[4:5], v[132:133]
	s_nop 0
	v_min3_f32 v73, v118, v119, v73
	v_pk_add_f32 v[118:119], v[6:7], v[132:133]
	s_nop 0
	v_min3_f32 v72, v118, v119, v72
	v_pk_add_f32 v[118:119], v[0:1], v[132:133]
	s_nop 0
	v_min3_f32 v71, v118, v119, v71
	v_pk_add_f32 v[118:119], v[2:3], v[132:133]
	s_nop 0
	v_min3_f32 v70, v118, v119, v70
	v_pk_add_f32 v[118:119], v[4:5], v[134:135]
	s_nop 0
	v_min3_f32 v69, v118, v119, v69
	v_pk_add_f32 v[118:119], v[6:7], v[134:135]
	s_nop 0
	v_min3_f32 v68, v118, v119, v68
	v_pk_add_f32 v[118:119], v[0:1], v[134:135]
	s_nop 0
	v_min3_f32 v67, v118, v119, v67
	v_pk_add_f32 v[118:119], v[2:3], v[134:135]
	s_nop 0
	v_min3_f32 v66, v118, v119, v66
	v_pk_add_f32 v[118:119], v[4:5], v[136:137]
	s_nop 0
	v_min3_f32 v65, v118, v119, v65
	v_pk_add_f32 v[118:119], v[6:7], v[136:137]
	s_nop 0
	v_min3_f32 v64, v118, v119, v64
	v_pk_add_f32 v[118:119], v[0:1], v[136:137]
	s_nop 0
	v_min3_f32 v63, v118, v119, v63
	v_pk_add_f32 v[118:119], v[2:3], v[136:137]
	s_nop 0
	v_min3_f32 v62, v118, v119, v62
	v_pk_add_f32 v[118:119], v[4:5], v[16:17]
	s_nop 0
	v_min3_f32 v61, v118, v119, v61
	v_pk_add_f32 v[118:119], v[6:7], v[16:17]
	s_nop 0
	v_min3_f32 v60, v118, v119, v60
	v_pk_add_f32 v[118:119], v[0:1], v[16:17]
	v_pk_add_f32 v[16:17], v[2:3], v[16:17]
	v_min3_f32 v59, v118, v119, v59
	v_min3_f32 v58, v16, v17, v58
	v_pk_add_f32 v[16:17], v[4:5], v[18:19]
	s_nop 0
	v_min3_f32 v57, v16, v17, v57
	v_pk_add_f32 v[16:17], v[6:7], v[18:19]
	s_nop 0
	;; [unrolled: 3-line block ×6, first 2 shown]
	v_min3_f32 v52, v16, v17, v52
	v_pk_add_f32 v[16:17], v[0:1], v[12:13]
	v_pk_add_f32 v[12:13], v[2:3], v[12:13]
	v_min3_f32 v51, v16, v17, v51
	v_min3_f32 v50, v12, v13, v50
	v_pk_add_f32 v[12:13], v[4:5], v[14:15]
	s_nop 0
	v_min3_f32 v49, v12, v13, v49
	v_pk_add_f32 v[12:13], v[6:7], v[14:15]
	s_nop 0
	;; [unrolled: 3-line block ×4, first 2 shown]
	v_min3_f32 v46, v12, v13, v46
	v_pk_add_f32 v[12:13], v[4:5], v[8:9]
	v_pk_add_f32 v[4:5], v[4:5], v[10:11]
	v_min3_f32 v45, v12, v13, v45
	v_pk_add_f32 v[12:13], v[6:7], v[8:9]
	v_min3_f32 v41, v4, v5, v41
	v_min3_f32 v44, v12, v13, v44
	v_pk_add_f32 v[12:13], v[0:1], v[8:9]
	v_pk_add_f32 v[0:1], v[0:1], v[10:11]
	;; [unrolled: 1-line block ×4, first 2 shown]
	v_min3_f32 v39, v0, v1, v39
	v_pk_add_f32 v[0:1], v[2:3], v[10:11]
	v_min3_f32 v43, v12, v13, v43
	v_min3_f32 v42, v8, v9, v42
	;; [unrolled: 1-line block ×4, first 2 shown]
	s_cbranch_vccz .LBB13_37
; %bb.38:                               ;   in Loop: Header=BB13_28 Depth=1
	v_or_b32_e32 v0, 4, v28
	v_cmp_le_i32_e32 vcc, s14, v0
	s_nor_b64 s[34:35], s[2:3], vcc
	v_mov_b32_e32 v12, 0x7f7fffff
	v_mov_b32_e32 v13, 0x7f7fffff
	s_waitcnt vmcnt(0)
	ds_write2st64_b32 v105, v114, v113 offset1:4
	ds_write2st64_b32 v106, v116, v115 offset1:4
	s_waitcnt lgkmcnt(0)
	s_barrier
	s_and_saveexec_b64 s[24:25], s[34:35]
	s_cbranch_execz .LBB13_40
; %bb.39:                               ;   in Loop: Header=BB13_28 Depth=1
	flat_load_dword v13, v[30:31] offset:16
.LBB13_40:                              ;   in Loop: Header=BB13_28 Depth=1
	s_or_b64 exec, exec, s[24:25]
	s_nor_b64 s[34:35], s[4:5], vcc
	s_and_saveexec_b64 s[24:25], s[34:35]
	s_cbranch_execz .LBB13_42
; %bb.41:                               ;   in Loop: Header=BB13_28 Depth=1
	flat_load_dword v12, v[32:33] offset:16
.LBB13_42:                              ;   in Loop: Header=BB13_28 Depth=1
	s_or_b64 exec, exec, s[24:25]
	s_nor_b64 s[34:35], s[6:7], vcc
	v_mov_b32_e32 v14, 0x7f7fffff
	v_mov_b32_e32 v15, 0x7f7fffff
	s_and_saveexec_b64 s[24:25], s[34:35]
	s_cbranch_execz .LBB13_44
; %bb.43:                               ;   in Loop: Header=BB13_28 Depth=1
	flat_load_dword v15, v[34:35] offset:16
.LBB13_44:                              ;   in Loop: Header=BB13_28 Depth=1
	s_or_b64 exec, exec, s[24:25]
	s_nor_b64 s[34:35], s[8:9], vcc
	s_and_saveexec_b64 s[24:25], s[34:35]
	s_cbranch_execz .LBB13_46
; %bb.45:                               ;   in Loop: Header=BB13_28 Depth=1
	flat_load_dword v14, v[36:37] offset:16
.LBB13_46:                              ;   in Loop: Header=BB13_28 Depth=1
	s_or_b64 exec, exec, s[24:25]
	s_mov_b32 s31, 0
	s_mov_b64 s[24:25], -1
.LBB13_47:                              ;   Parent Loop BB13_28 Depth=1
                                        ; =>  This Inner Loop Header: Depth=2
	v_cndmask_b32_e64 v0, 0, 1, s[24:25]
	s_lshl_b32 s24, s31, 2
	v_cmp_ne_u32_e32 vcc, 1, v0
	v_add_u32_e32 v0, s24, v107
	ds_read2st64_b64 v[4:7], v0 offset1:1
	ds_read2st64_b64 v[0:3], v0 offset0:2 offset1:3
	v_add_u32_e32 v8, s24, v108
	ds_read2_b64 v[16:19], v8 offset1:16
	ds_read2_b64 v[30:33], v8 offset0:32 offset1:48
	ds_read2_b64 v[34:37], v8 offset0:64 offset1:80
	;; [unrolled: 1-line block ×7, first 2 shown]
	s_mov_b64 s[24:25], 0
	s_waitcnt lgkmcnt(0)
	v_pk_add_f32 v[130:131], v[4:5], v[16:17]
	s_and_b64 vcc, exec, vcc
	v_min3_f32 v103, v130, v131, v103
	v_pk_add_f32 v[130:131], v[6:7], v[16:17]
	s_mov_b32 s31, 2
	v_min3_f32 v102, v130, v131, v102
	v_pk_add_f32 v[130:131], v[0:1], v[16:17]
	v_pk_add_f32 v[16:17], v[2:3], v[16:17]
	v_min3_f32 v101, v130, v131, v101
	v_min3_f32 v100, v16, v17, v100
	v_pk_add_f32 v[16:17], v[4:5], v[18:19]
	s_nop 0
	v_min3_f32 v99, v16, v17, v99
	v_pk_add_f32 v[16:17], v[6:7], v[18:19]
	s_nop 0
	;; [unrolled: 3-line block ×52, first 2 shown]
	v_min3_f32 v46, v16, v17, v46
	v_pk_add_f32 v[16:17], v[4:5], v[8:9]
	v_pk_add_f32 v[4:5], v[4:5], v[10:11]
	v_min3_f32 v45, v16, v17, v45
	v_pk_add_f32 v[16:17], v[6:7], v[8:9]
	v_min3_f32 v41, v4, v5, v41
	v_min3_f32 v44, v16, v17, v44
	v_pk_add_f32 v[16:17], v[0:1], v[8:9]
	v_pk_add_f32 v[0:1], v[0:1], v[10:11]
	;; [unrolled: 1-line block ×4, first 2 shown]
	v_min3_f32 v39, v0, v1, v39
	v_pk_add_f32 v[0:1], v[2:3], v[10:11]
	v_min3_f32 v43, v16, v17, v43
	v_min3_f32 v42, v8, v9, v42
	;; [unrolled: 1-line block ×4, first 2 shown]
	s_cbranch_vccz .LBB13_47
; %bb.48:                               ;   in Loop: Header=BB13_28 Depth=1
	s_add_i32 s29, s29, 8
	s_add_i32 s30, s30, 8
	s_cmp_ge_i32 s30, s28
	s_waitcnt vmcnt(0)
	ds_write2st64_b32 v109, v13, v12 offset1:4
	ds_write2st64_b32 v110, v15, v14 offset1:4
	s_waitcnt lgkmcnt(0)
	s_barrier
	s_cbranch_scc0 .LBB13_28
.LBB13_49:
	v_mov_b32_e32 v0, 0x800
	v_lshl_add_u32 v12, v97, 4, v0
	v_mov_b32_e32 v0, 0x1800
	v_lshl_add_u32 v13, v98, 4, v0
	s_mov_b32 s4, 0
	s_mov_b64 s[2:3], -1
.LBB13_50:                              ; =>This Inner Loop Header: Depth=1
	v_cndmask_b32_e64 v0, 0, 1, s[2:3]
	s_lshl_b32 s2, s4, 2
	v_cmp_ne_u32_e32 vcc, 1, v0
	v_add_u32_e32 v0, s2, v12
	ds_read2st64_b64 v[4:7], v0 offset1:1
	ds_read2st64_b64 v[0:3], v0 offset0:2 offset1:3
	v_add_u32_e32 v8, s2, v13
	ds_read2_b64 v[14:17], v8 offset1:16
	ds_read2_b64 v[18:21], v8 offset0:32 offset1:48
	ds_read2_b64 v[22:25], v8 offset0:64 offset1:80
	;; [unrolled: 1-line block ×7, first 2 shown]
	s_mov_b64 s[2:3], 0
	s_waitcnt lgkmcnt(7)
	v_pk_add_f32 v[108:109], v[4:5], v[14:15]
	s_and_b64 vcc, exec, vcc
	v_min3_f32 v103, v108, v109, v103
	v_pk_add_f32 v[108:109], v[6:7], v[14:15]
	s_mov_b32 s4, 2
	v_min3_f32 v102, v108, v109, v102
	v_pk_add_f32 v[108:109], v[0:1], v[14:15]
	v_pk_add_f32 v[14:15], v[2:3], v[14:15]
	v_min3_f32 v101, v108, v109, v101
	v_min3_f32 v100, v14, v15, v100
	v_pk_add_f32 v[14:15], v[4:5], v[16:17]
	s_nop 0
	v_min3_f32 v99, v14, v15, v99
	v_pk_add_f32 v[14:15], v[6:7], v[16:17]
	s_nop 0
	v_min3_f32 v96, v14, v15, v96
	v_pk_add_f32 v[14:15], v[0:1], v[16:17]
	s_nop 0
	v_min3_f32 v95, v14, v15, v95
	v_pk_add_f32 v[14:15], v[2:3], v[16:17]
	s_nop 0
	v_min3_f32 v94, v14, v15, v94
	s_waitcnt lgkmcnt(6)
	v_pk_add_f32 v[14:15], v[4:5], v[18:19]
	s_nop 0
	v_min3_f32 v93, v14, v15, v93
	v_pk_add_f32 v[14:15], v[6:7], v[18:19]
	s_nop 0
	v_min3_f32 v92, v14, v15, v92
	v_pk_add_f32 v[14:15], v[0:1], v[18:19]
	s_nop 0
	v_min3_f32 v91, v14, v15, v91
	v_pk_add_f32 v[14:15], v[2:3], v[18:19]
	s_nop 0
	v_min3_f32 v90, v14, v15, v90
	v_pk_add_f32 v[14:15], v[4:5], v[20:21]
	s_nop 0
	v_min3_f32 v89, v14, v15, v89
	v_pk_add_f32 v[14:15], v[6:7], v[20:21]
	s_nop 0
	v_min3_f32 v88, v14, v15, v88
	v_pk_add_f32 v[14:15], v[0:1], v[20:21]
	s_nop 0
	v_min3_f32 v87, v14, v15, v87
	v_pk_add_f32 v[14:15], v[2:3], v[20:21]
	s_nop 0
	v_min3_f32 v86, v14, v15, v86
	s_waitcnt lgkmcnt(5)
	v_pk_add_f32 v[14:15], v[4:5], v[22:23]
	s_nop 0
	v_min3_f32 v85, v14, v15, v85
	v_pk_add_f32 v[14:15], v[6:7], v[22:23]
	s_nop 0
	v_min3_f32 v84, v14, v15, v84
	v_pk_add_f32 v[14:15], v[0:1], v[22:23]
	s_nop 0
	v_min3_f32 v83, v14, v15, v83
	v_pk_add_f32 v[14:15], v[2:3], v[22:23]
	s_nop 0
	v_min3_f32 v82, v14, v15, v82
	v_pk_add_f32 v[14:15], v[4:5], v[24:25]
	s_nop 0
	v_min3_f32 v81, v14, v15, v81
	v_pk_add_f32 v[14:15], v[6:7], v[24:25]
	s_nop 0
	v_min3_f32 v80, v14, v15, v80
	v_pk_add_f32 v[14:15], v[0:1], v[24:25]
	s_nop 0
	v_min3_f32 v79, v14, v15, v79
	v_pk_add_f32 v[14:15], v[2:3], v[24:25]
	s_nop 0
	v_min3_f32 v78, v14, v15, v78
	s_waitcnt lgkmcnt(4)
	v_pk_add_f32 v[14:15], v[4:5], v[26:27]
	s_nop 0
	v_min3_f32 v77, v14, v15, v77
	v_pk_add_f32 v[14:15], v[6:7], v[26:27]
	s_nop 0
	v_min3_f32 v76, v14, v15, v76
	v_pk_add_f32 v[14:15], v[0:1], v[26:27]
	s_nop 0
	v_min3_f32 v75, v14, v15, v75
	v_pk_add_f32 v[14:15], v[2:3], v[26:27]
	s_nop 0
	v_min3_f32 v74, v14, v15, v74
	v_pk_add_f32 v[14:15], v[4:5], v[28:29]
	s_nop 0
	v_min3_f32 v73, v14, v15, v73
	v_pk_add_f32 v[14:15], v[6:7], v[28:29]
	s_nop 0
	v_min3_f32 v72, v14, v15, v72
	v_pk_add_f32 v[14:15], v[0:1], v[28:29]
	s_nop 0
	v_min3_f32 v71, v14, v15, v71
	v_pk_add_f32 v[14:15], v[2:3], v[28:29]
	s_nop 0
	v_min3_f32 v70, v14, v15, v70
	s_waitcnt lgkmcnt(3)
	v_pk_add_f32 v[14:15], v[4:5], v[30:31]
	s_nop 0
	v_min3_f32 v69, v14, v15, v69
	v_pk_add_f32 v[14:15], v[6:7], v[30:31]
	s_nop 0
	v_min3_f32 v68, v14, v15, v68
	v_pk_add_f32 v[14:15], v[0:1], v[30:31]
	s_nop 0
	v_min3_f32 v67, v14, v15, v67
	v_pk_add_f32 v[14:15], v[2:3], v[30:31]
	s_nop 0
	v_min3_f32 v66, v14, v15, v66
	v_pk_add_f32 v[14:15], v[4:5], v[32:33]
	s_nop 0
	v_min3_f32 v65, v14, v15, v65
	v_pk_add_f32 v[14:15], v[6:7], v[32:33]
	s_nop 0
	v_min3_f32 v64, v14, v15, v64
	v_pk_add_f32 v[14:15], v[0:1], v[32:33]
	s_nop 0
	v_min3_f32 v63, v14, v15, v63
	v_pk_add_f32 v[14:15], v[2:3], v[32:33]
	s_nop 0
	v_min3_f32 v62, v14, v15, v62
	s_waitcnt lgkmcnt(2)
	v_pk_add_f32 v[14:15], v[4:5], v[34:35]
	s_nop 0
	v_min3_f32 v61, v14, v15, v61
	v_pk_add_f32 v[14:15], v[6:7], v[34:35]
	s_nop 0
	v_min3_f32 v60, v14, v15, v60
	v_pk_add_f32 v[14:15], v[0:1], v[34:35]
	s_nop 0
	v_min3_f32 v59, v14, v15, v59
	v_pk_add_f32 v[14:15], v[2:3], v[34:35]
	s_nop 0
	v_min3_f32 v58, v14, v15, v58
	v_pk_add_f32 v[14:15], v[4:5], v[36:37]
	s_nop 0
	v_min3_f32 v57, v14, v15, v57
	v_pk_add_f32 v[14:15], v[6:7], v[36:37]
	s_nop 0
	v_min3_f32 v56, v14, v15, v56
	v_pk_add_f32 v[14:15], v[0:1], v[36:37]
	s_nop 0
	v_min3_f32 v55, v14, v15, v55
	v_pk_add_f32 v[14:15], v[2:3], v[36:37]
	s_nop 0
	v_min3_f32 v54, v14, v15, v54
	s_waitcnt lgkmcnt(1)
	v_pk_add_f32 v[14:15], v[4:5], v[104:105]
	s_nop 0
	v_min3_f32 v53, v14, v15, v53
	v_pk_add_f32 v[14:15], v[6:7], v[104:105]
	s_nop 0
	v_min3_f32 v52, v14, v15, v52
	v_pk_add_f32 v[14:15], v[0:1], v[104:105]
	s_nop 0
	v_min3_f32 v51, v14, v15, v51
	v_pk_add_f32 v[14:15], v[2:3], v[104:105]
	s_nop 0
	v_min3_f32 v50, v14, v15, v50
	v_pk_add_f32 v[14:15], v[4:5], v[106:107]
	s_nop 0
	v_min3_f32 v49, v14, v15, v49
	v_pk_add_f32 v[14:15], v[6:7], v[106:107]
	s_nop 0
	;; [unrolled: 3-line block ×4, first 2 shown]
	v_min3_f32 v46, v14, v15, v46
	s_waitcnt lgkmcnt(0)
	v_pk_add_f32 v[14:15], v[4:5], v[8:9]
	v_pk_add_f32 v[4:5], v[4:5], v[10:11]
	v_min3_f32 v45, v14, v15, v45
	v_pk_add_f32 v[14:15], v[6:7], v[8:9]
	v_min3_f32 v41, v4, v5, v41
	v_min3_f32 v44, v14, v15, v44
	v_pk_add_f32 v[14:15], v[0:1], v[8:9]
	v_pk_add_f32 v[0:1], v[0:1], v[10:11]
	;; [unrolled: 1-line block ×4, first 2 shown]
	v_min3_f32 v39, v0, v1, v39
	v_pk_add_f32 v[0:1], v[2:3], v[10:11]
	v_min3_f32 v43, v14, v15, v43
	v_min3_f32 v42, v8, v9, v42
	;; [unrolled: 1-line block ×4, first 2 shown]
	s_cbranch_vccz .LBB13_50
; %bb.51:
	s_load_dwordx2 s[2:3], s[0:1], 0x70
	s_load_dword s21, s[0:1], 0x50
	s_load_dword s20, s[0:1], 0x68
	v_add_u32_e32 v12, s27, v98
	v_add_u32_e32 v0, s15, v97
	s_waitcnt lgkmcnt(0)
	s_lshl_b64 s[0:1], s[2:3], 2
	s_add_u32 s14, s10, s0
	s_addc_u32 s15, s11, s1
	v_mad_i64_i32 v[2:3], s[0:1], v12, s21, 0
	v_lshl_add_u64 v[10:11], v[2:3], 2, s[16:17]
	v_mad_i64_i32 v[2:3], s[0:1], v12, s20, 0
	v_cmp_gt_i32_e64 s[2:3], s12, v0
	v_cmp_gt_i32_e64 s[10:11], s13, v12
	v_lshl_add_u64 v[8:9], v[2:3], 2, s[14:15]
	v_cndmask_b32_e64 v2, 0, 1, s[18:19]
	v_ashrrev_i32_e32 v1, 31, v0
	s_and_b64 s[6:7], s[2:3], s[10:11]
	v_cmp_ne_u32_e64 s[0:1], 1, v2
	s_and_saveexec_b64 s[4:5], s[6:7]
	s_cbranch_execz .LBB13_56
; %bb.52:
	s_and_b64 vcc, exec, s[0:1]
	s_cbranch_vccnz .LBB13_54
; %bb.53:
	v_lshl_add_u64 v[2:3], v[0:1], 2, v[10:11]
	flat_load_dword v2, v[2:3]
	s_waitcnt vmcnt(0) lgkmcnt(0)
	v_mul_f32_e32 v2, s26, v2
	s_branch .LBB13_55
.LBB13_54:
	v_mov_b32_e32 v2, 0
.LBB13_55:
	v_max_f32_e32 v3, v103, v103
	v_max_f32_e32 v2, v2, v2
	v_min_f32_e32 v4, v2, v3
	v_lshl_add_u64 v[2:3], v[0:1], 2, v[8:9]
	flat_store_dword v[2:3], v4
.LBB13_56:
	s_or_b64 exec, exec, s[4:5]
	v_add_u32_e32 v2, 32, v0
	v_cmp_gt_i32_e64 s[4:5], s12, v2
	v_ashrrev_i32_e32 v3, 31, v2
	s_and_b64 s[8:9], s[4:5], s[10:11]
	s_and_saveexec_b64 s[6:7], s[8:9]
	s_cbranch_execz .LBB13_61
; %bb.57:
	s_and_b64 vcc, exec, s[0:1]
	s_cbranch_vccnz .LBB13_59
; %bb.58:
	v_lshl_add_u64 v[4:5], v[2:3], 2, v[10:11]
	flat_load_dword v4, v[4:5]
	s_waitcnt vmcnt(0) lgkmcnt(0)
	v_mul_f32_e32 v4, s26, v4
	s_branch .LBB13_60
.LBB13_59:
	v_mov_b32_e32 v4, 0
.LBB13_60:
	v_max_f32_e32 v5, v102, v102
	v_max_f32_e32 v4, v4, v4
	v_min_f32_e32 v6, v4, v5
	v_lshl_add_u64 v[4:5], v[2:3], 2, v[8:9]
	flat_store_dword v[4:5], v6
.LBB13_61:
	s_or_b64 exec, exec, s[6:7]
	v_add_u32_e32 v4, 64, v0
	v_cmp_gt_i32_e64 s[6:7], s12, v4
	v_ashrrev_i32_e32 v5, 31, v4
	s_and_b64 s[18:19], s[6:7], s[10:11]
	;; [unrolled: 25-line block ×3, first 2 shown]
	s_and_saveexec_b64 s[10:11], s[18:19]
	s_cbranch_execz .LBB13_71
; %bb.67:
	s_and_b64 vcc, exec, s[0:1]
	s_cbranch_vccnz .LBB13_69
; %bb.68:
	v_lshl_add_u64 v[10:11], v[6:7], 2, v[10:11]
	flat_load_dword v10, v[10:11]
	s_waitcnt vmcnt(0) lgkmcnt(0)
	v_mul_f32_e32 v10, s26, v10
	s_branch .LBB13_70
.LBB13_69:
	v_mov_b32_e32 v10, 0
.LBB13_70:
	v_max_f32_e32 v11, v100, v100
	v_max_f32_e32 v10, v10, v10
	v_min_f32_e32 v10, v10, v11
	v_lshl_add_u64 v[8:9], v[6:7], 2, v[8:9]
	flat_store_dword v[8:9], v10
.LBB13_71:
	s_or_b64 exec, exec, s[10:11]
	v_add_u32_e32 v13, 8, v12
	v_mad_i64_i32 v[8:9], s[18:19], v13, s21, 0
	v_cmp_gt_i32_e64 s[10:11], s13, v13
	v_lshl_add_u64 v[10:11], v[8:9], 2, s[16:17]
	v_mad_i64_i32 v[8:9], s[18:19], v13, s20, 0
	v_lshl_add_u64 v[8:9], v[8:9], 2, s[14:15]
	s_and_b64 s[22:23], s[2:3], s[10:11]
	s_and_saveexec_b64 s[18:19], s[22:23]
	s_cbranch_execnz .LBB13_75
; %bb.72:
	s_or_b64 exec, exec, s[18:19]
	s_and_b64 s[22:23], s[4:5], s[10:11]
	s_and_saveexec_b64 s[18:19], s[22:23]
	s_cbranch_execnz .LBB13_79
.LBB13_73:
	s_or_b64 exec, exec, s[18:19]
	s_and_b64 s[22:23], s[6:7], s[10:11]
	s_and_saveexec_b64 s[18:19], s[22:23]
	s_cbranch_execnz .LBB13_83
.LBB13_74:
	s_or_b64 exec, exec, s[18:19]
	s_and_b64 s[18:19], s[8:9], s[10:11]
	s_and_saveexec_b64 s[10:11], s[18:19]
	s_cbranch_execnz .LBB13_87
	s_branch .LBB13_91
.LBB13_75:
	s_and_b64 vcc, exec, s[0:1]
	s_cbranch_vccnz .LBB13_77
; %bb.76:
	v_lshl_add_u64 v[14:15], v[0:1], 2, v[10:11]
	flat_load_dword v13, v[14:15]
	s_waitcnt vmcnt(0) lgkmcnt(0)
	v_mul_f32_e32 v13, s26, v13
	s_branch .LBB13_78
.LBB13_77:
	v_mov_b32_e32 v13, 0
.LBB13_78:
	v_max_f32_e32 v14, v99, v99
	v_max_f32_e32 v13, v13, v13
	v_min_f32_e32 v13, v13, v14
	v_lshl_add_u64 v[14:15], v[0:1], 2, v[8:9]
	flat_store_dword v[14:15], v13
	s_or_b64 exec, exec, s[18:19]
	s_and_b64 s[22:23], s[4:5], s[10:11]
	s_and_saveexec_b64 s[18:19], s[22:23]
	s_cbranch_execz .LBB13_73
.LBB13_79:
	s_and_b64 vcc, exec, s[0:1]
	s_cbranch_vccnz .LBB13_81
; %bb.80:
	v_lshl_add_u64 v[14:15], v[2:3], 2, v[10:11]
	flat_load_dword v13, v[14:15]
	s_waitcnt vmcnt(0) lgkmcnt(0)
	v_mul_f32_e32 v13, s26, v13
	s_branch .LBB13_82
.LBB13_81:
	v_mov_b32_e32 v13, 0
.LBB13_82:
	v_max_f32_e32 v14, v96, v96
	v_max_f32_e32 v13, v13, v13
	v_min_f32_e32 v13, v13, v14
	v_lshl_add_u64 v[14:15], v[2:3], 2, v[8:9]
	flat_store_dword v[14:15], v13
	s_or_b64 exec, exec, s[18:19]
	s_and_b64 s[22:23], s[6:7], s[10:11]
	s_and_saveexec_b64 s[18:19], s[22:23]
	s_cbranch_execz .LBB13_74
.LBB13_83:
	s_and_b64 vcc, exec, s[0:1]
	s_cbranch_vccnz .LBB13_85
; %bb.84:
	v_lshl_add_u64 v[14:15], v[4:5], 2, v[10:11]
	flat_load_dword v13, v[14:15]
	s_waitcnt vmcnt(0) lgkmcnt(0)
	v_mul_f32_e32 v13, s26, v13
	s_branch .LBB13_86
.LBB13_85:
	v_mov_b32_e32 v13, 0
.LBB13_86:
	v_max_f32_e32 v14, v95, v95
	v_max_f32_e32 v13, v13, v13
	v_min_f32_e32 v13, v13, v14
	v_lshl_add_u64 v[14:15], v[4:5], 2, v[8:9]
	flat_store_dword v[14:15], v13
	s_or_b64 exec, exec, s[18:19]
	s_and_b64 s[18:19], s[8:9], s[10:11]
	s_and_saveexec_b64 s[10:11], s[18:19]
	s_cbranch_execz .LBB13_91
.LBB13_87:
	s_and_b64 vcc, exec, s[0:1]
	s_cbranch_vccnz .LBB13_89
; %bb.88:
	v_lshl_add_u64 v[10:11], v[6:7], 2, v[10:11]
	flat_load_dword v10, v[10:11]
	s_waitcnt vmcnt(0) lgkmcnt(0)
	v_mul_f32_e32 v10, s26, v10
	s_branch .LBB13_90
.LBB13_89:
	v_mov_b32_e32 v10, 0
.LBB13_90:
	v_max_f32_e32 v11, v94, v94
	v_max_f32_e32 v10, v10, v10
	v_min_f32_e32 v10, v10, v11
	v_lshl_add_u64 v[8:9], v[6:7], 2, v[8:9]
	flat_store_dword v[8:9], v10
.LBB13_91:
	s_or_b64 exec, exec, s[10:11]
	v_add_u32_e32 v13, 16, v12
	v_mad_i64_i32 v[8:9], s[18:19], v13, s21, 0
	v_cmp_gt_i32_e64 s[10:11], s13, v13
	v_lshl_add_u64 v[10:11], v[8:9], 2, s[16:17]
	v_mad_i64_i32 v[8:9], s[18:19], v13, s20, 0
	v_lshl_add_u64 v[8:9], v[8:9], 2, s[14:15]
	s_and_b64 s[22:23], s[2:3], s[10:11]
	s_and_saveexec_b64 s[18:19], s[22:23]
	s_cbranch_execnz .LBB13_95
; %bb.92:
	s_or_b64 exec, exec, s[18:19]
	s_and_b64 s[22:23], s[4:5], s[10:11]
	s_and_saveexec_b64 s[18:19], s[22:23]
	s_cbranch_execnz .LBB13_99
.LBB13_93:
	s_or_b64 exec, exec, s[18:19]
	s_and_b64 s[22:23], s[6:7], s[10:11]
	s_and_saveexec_b64 s[18:19], s[22:23]
	s_cbranch_execnz .LBB13_103
.LBB13_94:
	s_or_b64 exec, exec, s[18:19]
	s_and_b64 s[18:19], s[8:9], s[10:11]
	s_and_saveexec_b64 s[10:11], s[18:19]
	s_cbranch_execnz .LBB13_107
	s_branch .LBB13_111
.LBB13_95:
	s_and_b64 vcc, exec, s[0:1]
	s_cbranch_vccnz .LBB13_97
; %bb.96:
	v_lshl_add_u64 v[14:15], v[0:1], 2, v[10:11]
	flat_load_dword v13, v[14:15]
	s_waitcnt vmcnt(0) lgkmcnt(0)
	v_mul_f32_e32 v13, s26, v13
	s_branch .LBB13_98
.LBB13_97:
	v_mov_b32_e32 v13, 0
.LBB13_98:
	v_max_f32_e32 v14, v93, v93
	v_max_f32_e32 v13, v13, v13
	v_min_f32_e32 v13, v13, v14
	v_lshl_add_u64 v[14:15], v[0:1], 2, v[8:9]
	flat_store_dword v[14:15], v13
	s_or_b64 exec, exec, s[18:19]
	s_and_b64 s[22:23], s[4:5], s[10:11]
	s_and_saveexec_b64 s[18:19], s[22:23]
	s_cbranch_execz .LBB13_93
.LBB13_99:
	s_and_b64 vcc, exec, s[0:1]
	s_cbranch_vccnz .LBB13_101
; %bb.100:
	v_lshl_add_u64 v[14:15], v[2:3], 2, v[10:11]
	flat_load_dword v13, v[14:15]
	s_waitcnt vmcnt(0) lgkmcnt(0)
	v_mul_f32_e32 v13, s26, v13
	s_branch .LBB13_102
.LBB13_101:
	v_mov_b32_e32 v13, 0
.LBB13_102:
	v_max_f32_e32 v14, v92, v92
	v_max_f32_e32 v13, v13, v13
	v_min_f32_e32 v13, v13, v14
	v_lshl_add_u64 v[14:15], v[2:3], 2, v[8:9]
	flat_store_dword v[14:15], v13
	s_or_b64 exec, exec, s[18:19]
	s_and_b64 s[22:23], s[6:7], s[10:11]
	s_and_saveexec_b64 s[18:19], s[22:23]
	s_cbranch_execz .LBB13_94
.LBB13_103:
	s_and_b64 vcc, exec, s[0:1]
	s_cbranch_vccnz .LBB13_105
; %bb.104:
	v_lshl_add_u64 v[14:15], v[4:5], 2, v[10:11]
	flat_load_dword v13, v[14:15]
	s_waitcnt vmcnt(0) lgkmcnt(0)
	v_mul_f32_e32 v13, s26, v13
	s_branch .LBB13_106
.LBB13_105:
	v_mov_b32_e32 v13, 0
.LBB13_106:
	v_max_f32_e32 v14, v91, v91
	v_max_f32_e32 v13, v13, v13
	v_min_f32_e32 v13, v13, v14
	v_lshl_add_u64 v[14:15], v[4:5], 2, v[8:9]
	flat_store_dword v[14:15], v13
	s_or_b64 exec, exec, s[18:19]
	s_and_b64 s[18:19], s[8:9], s[10:11]
	s_and_saveexec_b64 s[10:11], s[18:19]
	s_cbranch_execz .LBB13_111
.LBB13_107:
	s_and_b64 vcc, exec, s[0:1]
	s_cbranch_vccnz .LBB13_109
; %bb.108:
	v_lshl_add_u64 v[10:11], v[6:7], 2, v[10:11]
	flat_load_dword v10, v[10:11]
	s_waitcnt vmcnt(0) lgkmcnt(0)
	v_mul_f32_e32 v10, s26, v10
	s_branch .LBB13_110
.LBB13_109:
	v_mov_b32_e32 v10, 0
.LBB13_110:
	v_max_f32_e32 v11, v90, v90
	v_max_f32_e32 v10, v10, v10
	v_min_f32_e32 v10, v10, v11
	v_lshl_add_u64 v[8:9], v[6:7], 2, v[8:9]
	flat_store_dword v[8:9], v10
.LBB13_111:
	s_or_b64 exec, exec, s[10:11]
	v_add_u32_e32 v13, 24, v12
	v_mad_i64_i32 v[8:9], s[18:19], v13, s21, 0
	v_cmp_gt_i32_e64 s[10:11], s13, v13
	v_lshl_add_u64 v[10:11], v[8:9], 2, s[16:17]
	v_mad_i64_i32 v[8:9], s[18:19], v13, s20, 0
	v_lshl_add_u64 v[8:9], v[8:9], 2, s[14:15]
	s_and_b64 s[22:23], s[2:3], s[10:11]
	s_and_saveexec_b64 s[18:19], s[22:23]
	s_cbranch_execnz .LBB13_115
; %bb.112:
	s_or_b64 exec, exec, s[18:19]
	s_and_b64 s[22:23], s[4:5], s[10:11]
	s_and_saveexec_b64 s[18:19], s[22:23]
	s_cbranch_execnz .LBB13_119
.LBB13_113:
	s_or_b64 exec, exec, s[18:19]
	s_and_b64 s[22:23], s[6:7], s[10:11]
	s_and_saveexec_b64 s[18:19], s[22:23]
	s_cbranch_execnz .LBB13_123
.LBB13_114:
	s_or_b64 exec, exec, s[18:19]
	s_and_b64 s[18:19], s[8:9], s[10:11]
	s_and_saveexec_b64 s[10:11], s[18:19]
	s_cbranch_execnz .LBB13_127
	s_branch .LBB13_131
.LBB13_115:
	s_and_b64 vcc, exec, s[0:1]
	s_cbranch_vccnz .LBB13_117
; %bb.116:
	v_lshl_add_u64 v[14:15], v[0:1], 2, v[10:11]
	flat_load_dword v13, v[14:15]
	s_waitcnt vmcnt(0) lgkmcnt(0)
	v_mul_f32_e32 v13, s26, v13
	s_branch .LBB13_118
.LBB13_117:
	v_mov_b32_e32 v13, 0
.LBB13_118:
	v_max_f32_e32 v14, v89, v89
	v_max_f32_e32 v13, v13, v13
	v_min_f32_e32 v13, v13, v14
	v_lshl_add_u64 v[14:15], v[0:1], 2, v[8:9]
	flat_store_dword v[14:15], v13
	s_or_b64 exec, exec, s[18:19]
	s_and_b64 s[22:23], s[4:5], s[10:11]
	s_and_saveexec_b64 s[18:19], s[22:23]
	s_cbranch_execz .LBB13_113
.LBB13_119:
	s_and_b64 vcc, exec, s[0:1]
	s_cbranch_vccnz .LBB13_121
; %bb.120:
	v_lshl_add_u64 v[14:15], v[2:3], 2, v[10:11]
	flat_load_dword v13, v[14:15]
	s_waitcnt vmcnt(0) lgkmcnt(0)
	v_mul_f32_e32 v13, s26, v13
	s_branch .LBB13_122
.LBB13_121:
	v_mov_b32_e32 v13, 0
.LBB13_122:
	v_max_f32_e32 v14, v88, v88
	v_max_f32_e32 v13, v13, v13
	v_min_f32_e32 v13, v13, v14
	v_lshl_add_u64 v[14:15], v[2:3], 2, v[8:9]
	flat_store_dword v[14:15], v13
	s_or_b64 exec, exec, s[18:19]
	s_and_b64 s[22:23], s[6:7], s[10:11]
	s_and_saveexec_b64 s[18:19], s[22:23]
	s_cbranch_execz .LBB13_114
.LBB13_123:
	s_and_b64 vcc, exec, s[0:1]
	s_cbranch_vccnz .LBB13_125
; %bb.124:
	v_lshl_add_u64 v[14:15], v[4:5], 2, v[10:11]
	flat_load_dword v13, v[14:15]
	s_waitcnt vmcnt(0) lgkmcnt(0)
	v_mul_f32_e32 v13, s26, v13
	s_branch .LBB13_126
.LBB13_125:
	v_mov_b32_e32 v13, 0
.LBB13_126:
	v_max_f32_e32 v14, v87, v87
	v_max_f32_e32 v13, v13, v13
	v_min_f32_e32 v13, v13, v14
	v_lshl_add_u64 v[14:15], v[4:5], 2, v[8:9]
	flat_store_dword v[14:15], v13
	s_or_b64 exec, exec, s[18:19]
	s_and_b64 s[18:19], s[8:9], s[10:11]
	s_and_saveexec_b64 s[10:11], s[18:19]
	s_cbranch_execz .LBB13_131
.LBB13_127:
	s_and_b64 vcc, exec, s[0:1]
	s_cbranch_vccnz .LBB13_129
; %bb.128:
	v_lshl_add_u64 v[10:11], v[6:7], 2, v[10:11]
	flat_load_dword v10, v[10:11]
	s_waitcnt vmcnt(0) lgkmcnt(0)
	v_mul_f32_e32 v10, s26, v10
	s_branch .LBB13_130
.LBB13_129:
	v_mov_b32_e32 v10, 0
.LBB13_130:
	v_max_f32_e32 v11, v86, v86
	v_max_f32_e32 v10, v10, v10
	v_min_f32_e32 v10, v10, v11
	v_lshl_add_u64 v[8:9], v[6:7], 2, v[8:9]
	flat_store_dword v[8:9], v10
.LBB13_131:
	s_or_b64 exec, exec, s[10:11]
	v_add_u32_e32 v13, 32, v12
	v_mad_i64_i32 v[8:9], s[18:19], v13, s21, 0
	v_cmp_gt_i32_e64 s[10:11], s13, v13
	v_lshl_add_u64 v[10:11], v[8:9], 2, s[16:17]
	v_mad_i64_i32 v[8:9], s[18:19], v13, s20, 0
	v_lshl_add_u64 v[8:9], v[8:9], 2, s[14:15]
	s_and_b64 s[22:23], s[2:3], s[10:11]
	s_and_saveexec_b64 s[18:19], s[22:23]
	s_cbranch_execnz .LBB13_135
; %bb.132:
	s_or_b64 exec, exec, s[18:19]
	s_and_b64 s[22:23], s[4:5], s[10:11]
	s_and_saveexec_b64 s[18:19], s[22:23]
	s_cbranch_execnz .LBB13_139
.LBB13_133:
	s_or_b64 exec, exec, s[18:19]
	s_and_b64 s[22:23], s[6:7], s[10:11]
	s_and_saveexec_b64 s[18:19], s[22:23]
	s_cbranch_execnz .LBB13_143
.LBB13_134:
	s_or_b64 exec, exec, s[18:19]
	s_and_b64 s[18:19], s[8:9], s[10:11]
	s_and_saveexec_b64 s[10:11], s[18:19]
	s_cbranch_execnz .LBB13_147
	s_branch .LBB13_151
.LBB13_135:
	s_and_b64 vcc, exec, s[0:1]
	s_cbranch_vccnz .LBB13_137
; %bb.136:
	v_lshl_add_u64 v[14:15], v[0:1], 2, v[10:11]
	flat_load_dword v13, v[14:15]
	s_waitcnt vmcnt(0) lgkmcnt(0)
	v_mul_f32_e32 v13, s26, v13
	s_branch .LBB13_138
.LBB13_137:
	v_mov_b32_e32 v13, 0
.LBB13_138:
	v_max_f32_e32 v14, v85, v85
	v_max_f32_e32 v13, v13, v13
	v_min_f32_e32 v13, v13, v14
	v_lshl_add_u64 v[14:15], v[0:1], 2, v[8:9]
	flat_store_dword v[14:15], v13
	s_or_b64 exec, exec, s[18:19]
	s_and_b64 s[22:23], s[4:5], s[10:11]
	s_and_saveexec_b64 s[18:19], s[22:23]
	s_cbranch_execz .LBB13_133
.LBB13_139:
	s_and_b64 vcc, exec, s[0:1]
	s_cbranch_vccnz .LBB13_141
; %bb.140:
	v_lshl_add_u64 v[14:15], v[2:3], 2, v[10:11]
	flat_load_dword v13, v[14:15]
	s_waitcnt vmcnt(0) lgkmcnt(0)
	v_mul_f32_e32 v13, s26, v13
	s_branch .LBB13_142
.LBB13_141:
	v_mov_b32_e32 v13, 0
.LBB13_142:
	v_max_f32_e32 v14, v84, v84
	v_max_f32_e32 v13, v13, v13
	v_min_f32_e32 v13, v13, v14
	v_lshl_add_u64 v[14:15], v[2:3], 2, v[8:9]
	flat_store_dword v[14:15], v13
	s_or_b64 exec, exec, s[18:19]
	s_and_b64 s[22:23], s[6:7], s[10:11]
	s_and_saveexec_b64 s[18:19], s[22:23]
	s_cbranch_execz .LBB13_134
.LBB13_143:
	s_and_b64 vcc, exec, s[0:1]
	s_cbranch_vccnz .LBB13_145
; %bb.144:
	v_lshl_add_u64 v[14:15], v[4:5], 2, v[10:11]
	flat_load_dword v13, v[14:15]
	s_waitcnt vmcnt(0) lgkmcnt(0)
	v_mul_f32_e32 v13, s26, v13
	s_branch .LBB13_146
.LBB13_145:
	v_mov_b32_e32 v13, 0
.LBB13_146:
	v_max_f32_e32 v14, v83, v83
	v_max_f32_e32 v13, v13, v13
	v_min_f32_e32 v13, v13, v14
	v_lshl_add_u64 v[14:15], v[4:5], 2, v[8:9]
	flat_store_dword v[14:15], v13
	s_or_b64 exec, exec, s[18:19]
	s_and_b64 s[18:19], s[8:9], s[10:11]
	s_and_saveexec_b64 s[10:11], s[18:19]
	s_cbranch_execz .LBB13_151
.LBB13_147:
	s_and_b64 vcc, exec, s[0:1]
	s_cbranch_vccnz .LBB13_149
; %bb.148:
	v_lshl_add_u64 v[10:11], v[6:7], 2, v[10:11]
	flat_load_dword v10, v[10:11]
	s_waitcnt vmcnt(0) lgkmcnt(0)
	v_mul_f32_e32 v10, s26, v10
	s_branch .LBB13_150
.LBB13_149:
	v_mov_b32_e32 v10, 0
.LBB13_150:
	v_max_f32_e32 v11, v82, v82
	v_max_f32_e32 v10, v10, v10
	v_min_f32_e32 v10, v10, v11
	v_lshl_add_u64 v[8:9], v[6:7], 2, v[8:9]
	flat_store_dword v[8:9], v10
.LBB13_151:
	s_or_b64 exec, exec, s[10:11]
	v_add_u32_e32 v13, 40, v12
	v_mad_i64_i32 v[8:9], s[18:19], v13, s21, 0
	v_cmp_gt_i32_e64 s[10:11], s13, v13
	v_lshl_add_u64 v[10:11], v[8:9], 2, s[16:17]
	v_mad_i64_i32 v[8:9], s[18:19], v13, s20, 0
	v_lshl_add_u64 v[8:9], v[8:9], 2, s[14:15]
	s_and_b64 s[22:23], s[2:3], s[10:11]
	s_and_saveexec_b64 s[18:19], s[22:23]
	s_cbranch_execnz .LBB13_155
; %bb.152:
	s_or_b64 exec, exec, s[18:19]
	s_and_b64 s[22:23], s[4:5], s[10:11]
	s_and_saveexec_b64 s[18:19], s[22:23]
	s_cbranch_execnz .LBB13_159
.LBB13_153:
	s_or_b64 exec, exec, s[18:19]
	s_and_b64 s[22:23], s[6:7], s[10:11]
	s_and_saveexec_b64 s[18:19], s[22:23]
	s_cbranch_execnz .LBB13_163
.LBB13_154:
	s_or_b64 exec, exec, s[18:19]
	s_and_b64 s[18:19], s[8:9], s[10:11]
	s_and_saveexec_b64 s[10:11], s[18:19]
	s_cbranch_execnz .LBB13_167
	s_branch .LBB13_171
.LBB13_155:
	s_and_b64 vcc, exec, s[0:1]
	s_cbranch_vccnz .LBB13_157
; %bb.156:
	v_lshl_add_u64 v[14:15], v[0:1], 2, v[10:11]
	flat_load_dword v13, v[14:15]
	s_waitcnt vmcnt(0) lgkmcnt(0)
	v_mul_f32_e32 v13, s26, v13
	s_branch .LBB13_158
.LBB13_157:
	v_mov_b32_e32 v13, 0
.LBB13_158:
	v_max_f32_e32 v14, v81, v81
	v_max_f32_e32 v13, v13, v13
	v_min_f32_e32 v13, v13, v14
	v_lshl_add_u64 v[14:15], v[0:1], 2, v[8:9]
	flat_store_dword v[14:15], v13
	s_or_b64 exec, exec, s[18:19]
	s_and_b64 s[22:23], s[4:5], s[10:11]
	s_and_saveexec_b64 s[18:19], s[22:23]
	s_cbranch_execz .LBB13_153
.LBB13_159:
	s_and_b64 vcc, exec, s[0:1]
	s_cbranch_vccnz .LBB13_161
; %bb.160:
	v_lshl_add_u64 v[14:15], v[2:3], 2, v[10:11]
	flat_load_dword v13, v[14:15]
	s_waitcnt vmcnt(0) lgkmcnt(0)
	v_mul_f32_e32 v13, s26, v13
	s_branch .LBB13_162
.LBB13_161:
	v_mov_b32_e32 v13, 0
.LBB13_162:
	v_max_f32_e32 v14, v80, v80
	v_max_f32_e32 v13, v13, v13
	v_min_f32_e32 v13, v13, v14
	v_lshl_add_u64 v[14:15], v[2:3], 2, v[8:9]
	flat_store_dword v[14:15], v13
	s_or_b64 exec, exec, s[18:19]
	s_and_b64 s[22:23], s[6:7], s[10:11]
	s_and_saveexec_b64 s[18:19], s[22:23]
	s_cbranch_execz .LBB13_154
.LBB13_163:
	s_and_b64 vcc, exec, s[0:1]
	s_cbranch_vccnz .LBB13_165
; %bb.164:
	v_lshl_add_u64 v[14:15], v[4:5], 2, v[10:11]
	flat_load_dword v13, v[14:15]
	s_waitcnt vmcnt(0) lgkmcnt(0)
	v_mul_f32_e32 v13, s26, v13
	s_branch .LBB13_166
.LBB13_165:
	v_mov_b32_e32 v13, 0
.LBB13_166:
	v_max_f32_e32 v14, v79, v79
	v_max_f32_e32 v13, v13, v13
	v_min_f32_e32 v13, v13, v14
	v_lshl_add_u64 v[14:15], v[4:5], 2, v[8:9]
	flat_store_dword v[14:15], v13
	s_or_b64 exec, exec, s[18:19]
	s_and_b64 s[18:19], s[8:9], s[10:11]
	s_and_saveexec_b64 s[10:11], s[18:19]
	s_cbranch_execz .LBB13_171
.LBB13_167:
	s_and_b64 vcc, exec, s[0:1]
	s_cbranch_vccnz .LBB13_169
; %bb.168:
	v_lshl_add_u64 v[10:11], v[6:7], 2, v[10:11]
	flat_load_dword v10, v[10:11]
	s_waitcnt vmcnt(0) lgkmcnt(0)
	v_mul_f32_e32 v10, s26, v10
	s_branch .LBB13_170
.LBB13_169:
	v_mov_b32_e32 v10, 0
.LBB13_170:
	v_max_f32_e32 v11, v78, v78
	v_max_f32_e32 v10, v10, v10
	v_min_f32_e32 v10, v10, v11
	v_lshl_add_u64 v[8:9], v[6:7], 2, v[8:9]
	flat_store_dword v[8:9], v10
.LBB13_171:
	s_or_b64 exec, exec, s[10:11]
	v_add_u32_e32 v13, 48, v12
	v_mad_i64_i32 v[8:9], s[18:19], v13, s21, 0
	v_cmp_gt_i32_e64 s[10:11], s13, v13
	v_lshl_add_u64 v[10:11], v[8:9], 2, s[16:17]
	v_mad_i64_i32 v[8:9], s[18:19], v13, s20, 0
	v_lshl_add_u64 v[8:9], v[8:9], 2, s[14:15]
	s_and_b64 s[22:23], s[2:3], s[10:11]
	s_and_saveexec_b64 s[18:19], s[22:23]
	s_cbranch_execnz .LBB13_175
; %bb.172:
	s_or_b64 exec, exec, s[18:19]
	s_and_b64 s[22:23], s[4:5], s[10:11]
	s_and_saveexec_b64 s[18:19], s[22:23]
	s_cbranch_execnz .LBB13_179
.LBB13_173:
	s_or_b64 exec, exec, s[18:19]
	s_and_b64 s[22:23], s[6:7], s[10:11]
	s_and_saveexec_b64 s[18:19], s[22:23]
	s_cbranch_execnz .LBB13_183
.LBB13_174:
	s_or_b64 exec, exec, s[18:19]
	s_and_b64 s[18:19], s[8:9], s[10:11]
	s_and_saveexec_b64 s[10:11], s[18:19]
	s_cbranch_execnz .LBB13_187
	s_branch .LBB13_191
.LBB13_175:
	s_and_b64 vcc, exec, s[0:1]
	s_cbranch_vccnz .LBB13_177
; %bb.176:
	v_lshl_add_u64 v[14:15], v[0:1], 2, v[10:11]
	flat_load_dword v13, v[14:15]
	s_waitcnt vmcnt(0) lgkmcnt(0)
	v_mul_f32_e32 v13, s26, v13
	s_branch .LBB13_178
.LBB13_177:
	v_mov_b32_e32 v13, 0
.LBB13_178:
	v_max_f32_e32 v14, v77, v77
	v_max_f32_e32 v13, v13, v13
	v_min_f32_e32 v13, v13, v14
	v_lshl_add_u64 v[14:15], v[0:1], 2, v[8:9]
	flat_store_dword v[14:15], v13
	s_or_b64 exec, exec, s[18:19]
	s_and_b64 s[22:23], s[4:5], s[10:11]
	s_and_saveexec_b64 s[18:19], s[22:23]
	s_cbranch_execz .LBB13_173
.LBB13_179:
	s_and_b64 vcc, exec, s[0:1]
	s_cbranch_vccnz .LBB13_181
; %bb.180:
	v_lshl_add_u64 v[14:15], v[2:3], 2, v[10:11]
	flat_load_dword v13, v[14:15]
	s_waitcnt vmcnt(0) lgkmcnt(0)
	v_mul_f32_e32 v13, s26, v13
	s_branch .LBB13_182
.LBB13_181:
	v_mov_b32_e32 v13, 0
.LBB13_182:
	v_max_f32_e32 v14, v76, v76
	v_max_f32_e32 v13, v13, v13
	v_min_f32_e32 v13, v13, v14
	v_lshl_add_u64 v[14:15], v[2:3], 2, v[8:9]
	flat_store_dword v[14:15], v13
	s_or_b64 exec, exec, s[18:19]
	s_and_b64 s[22:23], s[6:7], s[10:11]
	s_and_saveexec_b64 s[18:19], s[22:23]
	s_cbranch_execz .LBB13_174
.LBB13_183:
	s_and_b64 vcc, exec, s[0:1]
	s_cbranch_vccnz .LBB13_185
; %bb.184:
	v_lshl_add_u64 v[14:15], v[4:5], 2, v[10:11]
	flat_load_dword v13, v[14:15]
	s_waitcnt vmcnt(0) lgkmcnt(0)
	v_mul_f32_e32 v13, s26, v13
	s_branch .LBB13_186
.LBB13_185:
	v_mov_b32_e32 v13, 0
.LBB13_186:
	v_max_f32_e32 v14, v75, v75
	v_max_f32_e32 v13, v13, v13
	v_min_f32_e32 v13, v13, v14
	v_lshl_add_u64 v[14:15], v[4:5], 2, v[8:9]
	flat_store_dword v[14:15], v13
	s_or_b64 exec, exec, s[18:19]
	s_and_b64 s[18:19], s[8:9], s[10:11]
	s_and_saveexec_b64 s[10:11], s[18:19]
	s_cbranch_execz .LBB13_191
.LBB13_187:
	s_and_b64 vcc, exec, s[0:1]
	s_cbranch_vccnz .LBB13_189
; %bb.188:
	v_lshl_add_u64 v[10:11], v[6:7], 2, v[10:11]
	flat_load_dword v10, v[10:11]
	s_waitcnt vmcnt(0) lgkmcnt(0)
	v_mul_f32_e32 v10, s26, v10
	s_branch .LBB13_190
.LBB13_189:
	v_mov_b32_e32 v10, 0
.LBB13_190:
	v_max_f32_e32 v11, v74, v74
	v_max_f32_e32 v10, v10, v10
	v_min_f32_e32 v10, v10, v11
	v_lshl_add_u64 v[8:9], v[6:7], 2, v[8:9]
	flat_store_dword v[8:9], v10
.LBB13_191:
	s_or_b64 exec, exec, s[10:11]
	v_add_u32_e32 v13, 56, v12
	v_mad_i64_i32 v[8:9], s[18:19], v13, s21, 0
	v_cmp_gt_i32_e64 s[10:11], s13, v13
	v_lshl_add_u64 v[10:11], v[8:9], 2, s[16:17]
	v_mad_i64_i32 v[8:9], s[18:19], v13, s20, 0
	v_lshl_add_u64 v[8:9], v[8:9], 2, s[14:15]
	s_and_b64 s[22:23], s[2:3], s[10:11]
	s_and_saveexec_b64 s[18:19], s[22:23]
	s_cbranch_execnz .LBB13_195
; %bb.192:
	s_or_b64 exec, exec, s[18:19]
	s_and_b64 s[22:23], s[4:5], s[10:11]
	s_and_saveexec_b64 s[18:19], s[22:23]
	s_cbranch_execnz .LBB13_199
.LBB13_193:
	s_or_b64 exec, exec, s[18:19]
	s_and_b64 s[22:23], s[6:7], s[10:11]
	s_and_saveexec_b64 s[18:19], s[22:23]
	s_cbranch_execnz .LBB13_203
.LBB13_194:
	s_or_b64 exec, exec, s[18:19]
	s_and_b64 s[18:19], s[8:9], s[10:11]
	s_and_saveexec_b64 s[10:11], s[18:19]
	s_cbranch_execnz .LBB13_207
	s_branch .LBB13_211
.LBB13_195:
	s_and_b64 vcc, exec, s[0:1]
	s_cbranch_vccnz .LBB13_197
; %bb.196:
	v_lshl_add_u64 v[14:15], v[0:1], 2, v[10:11]
	flat_load_dword v13, v[14:15]
	s_waitcnt vmcnt(0) lgkmcnt(0)
	v_mul_f32_e32 v13, s26, v13
	s_branch .LBB13_198
.LBB13_197:
	v_mov_b32_e32 v13, 0
.LBB13_198:
	v_max_f32_e32 v14, v73, v73
	v_max_f32_e32 v13, v13, v13
	v_min_f32_e32 v13, v13, v14
	v_lshl_add_u64 v[14:15], v[0:1], 2, v[8:9]
	flat_store_dword v[14:15], v13
	s_or_b64 exec, exec, s[18:19]
	s_and_b64 s[22:23], s[4:5], s[10:11]
	s_and_saveexec_b64 s[18:19], s[22:23]
	s_cbranch_execz .LBB13_193
.LBB13_199:
	s_and_b64 vcc, exec, s[0:1]
	s_cbranch_vccnz .LBB13_201
; %bb.200:
	v_lshl_add_u64 v[14:15], v[2:3], 2, v[10:11]
	flat_load_dword v13, v[14:15]
	s_waitcnt vmcnt(0) lgkmcnt(0)
	v_mul_f32_e32 v13, s26, v13
	s_branch .LBB13_202
.LBB13_201:
	v_mov_b32_e32 v13, 0
.LBB13_202:
	v_max_f32_e32 v14, v72, v72
	v_max_f32_e32 v13, v13, v13
	v_min_f32_e32 v13, v13, v14
	v_lshl_add_u64 v[14:15], v[2:3], 2, v[8:9]
	flat_store_dword v[14:15], v13
	s_or_b64 exec, exec, s[18:19]
	s_and_b64 s[22:23], s[6:7], s[10:11]
	s_and_saveexec_b64 s[18:19], s[22:23]
	s_cbranch_execz .LBB13_194
.LBB13_203:
	s_and_b64 vcc, exec, s[0:1]
	s_cbranch_vccnz .LBB13_205
; %bb.204:
	v_lshl_add_u64 v[14:15], v[4:5], 2, v[10:11]
	flat_load_dword v13, v[14:15]
	s_waitcnt vmcnt(0) lgkmcnt(0)
	v_mul_f32_e32 v13, s26, v13
	s_branch .LBB13_206
.LBB13_205:
	v_mov_b32_e32 v13, 0
.LBB13_206:
	v_max_f32_e32 v14, v71, v71
	v_max_f32_e32 v13, v13, v13
	v_min_f32_e32 v13, v13, v14
	v_lshl_add_u64 v[14:15], v[4:5], 2, v[8:9]
	flat_store_dword v[14:15], v13
	s_or_b64 exec, exec, s[18:19]
	s_and_b64 s[18:19], s[8:9], s[10:11]
	s_and_saveexec_b64 s[10:11], s[18:19]
	s_cbranch_execz .LBB13_211
.LBB13_207:
	s_and_b64 vcc, exec, s[0:1]
	s_cbranch_vccnz .LBB13_209
; %bb.208:
	v_lshl_add_u64 v[10:11], v[6:7], 2, v[10:11]
	flat_load_dword v10, v[10:11]
	s_waitcnt vmcnt(0) lgkmcnt(0)
	v_mul_f32_e32 v10, s26, v10
	s_branch .LBB13_210
.LBB13_209:
	v_mov_b32_e32 v10, 0
.LBB13_210:
	v_max_f32_e32 v11, v70, v70
	v_max_f32_e32 v10, v10, v10
	v_min_f32_e32 v10, v10, v11
	v_lshl_add_u64 v[8:9], v[6:7], 2, v[8:9]
	flat_store_dword v[8:9], v10
.LBB13_211:
	s_or_b64 exec, exec, s[10:11]
	v_add_u32_e32 v13, 64, v12
	v_mad_i64_i32 v[8:9], s[18:19], v13, s21, 0
	v_cmp_gt_i32_e64 s[10:11], s13, v13
	v_lshl_add_u64 v[10:11], v[8:9], 2, s[16:17]
	v_mad_i64_i32 v[8:9], s[18:19], v13, s20, 0
	v_lshl_add_u64 v[8:9], v[8:9], 2, s[14:15]
	s_and_b64 s[22:23], s[2:3], s[10:11]
	s_and_saveexec_b64 s[18:19], s[22:23]
	s_cbranch_execnz .LBB13_215
; %bb.212:
	s_or_b64 exec, exec, s[18:19]
	s_and_b64 s[22:23], s[4:5], s[10:11]
	s_and_saveexec_b64 s[18:19], s[22:23]
	s_cbranch_execnz .LBB13_219
.LBB13_213:
	s_or_b64 exec, exec, s[18:19]
	s_and_b64 s[22:23], s[6:7], s[10:11]
	s_and_saveexec_b64 s[18:19], s[22:23]
	s_cbranch_execnz .LBB13_223
.LBB13_214:
	s_or_b64 exec, exec, s[18:19]
	s_and_b64 s[18:19], s[8:9], s[10:11]
	s_and_saveexec_b64 s[10:11], s[18:19]
	s_cbranch_execnz .LBB13_227
	s_branch .LBB13_231
.LBB13_215:
	s_and_b64 vcc, exec, s[0:1]
	s_cbranch_vccnz .LBB13_217
; %bb.216:
	v_lshl_add_u64 v[14:15], v[0:1], 2, v[10:11]
	flat_load_dword v13, v[14:15]
	s_waitcnt vmcnt(0) lgkmcnt(0)
	v_mul_f32_e32 v13, s26, v13
	s_branch .LBB13_218
.LBB13_217:
	v_mov_b32_e32 v13, 0
.LBB13_218:
	v_max_f32_e32 v14, v69, v69
	v_max_f32_e32 v13, v13, v13
	v_min_f32_e32 v13, v13, v14
	v_lshl_add_u64 v[14:15], v[0:1], 2, v[8:9]
	flat_store_dword v[14:15], v13
	s_or_b64 exec, exec, s[18:19]
	s_and_b64 s[22:23], s[4:5], s[10:11]
	s_and_saveexec_b64 s[18:19], s[22:23]
	s_cbranch_execz .LBB13_213
.LBB13_219:
	s_and_b64 vcc, exec, s[0:1]
	s_cbranch_vccnz .LBB13_221
; %bb.220:
	v_lshl_add_u64 v[14:15], v[2:3], 2, v[10:11]
	flat_load_dword v13, v[14:15]
	s_waitcnt vmcnt(0) lgkmcnt(0)
	v_mul_f32_e32 v13, s26, v13
	s_branch .LBB13_222
.LBB13_221:
	v_mov_b32_e32 v13, 0
.LBB13_222:
	v_max_f32_e32 v14, v68, v68
	v_max_f32_e32 v13, v13, v13
	v_min_f32_e32 v13, v13, v14
	v_lshl_add_u64 v[14:15], v[2:3], 2, v[8:9]
	flat_store_dword v[14:15], v13
	s_or_b64 exec, exec, s[18:19]
	s_and_b64 s[22:23], s[6:7], s[10:11]
	s_and_saveexec_b64 s[18:19], s[22:23]
	s_cbranch_execz .LBB13_214
.LBB13_223:
	s_and_b64 vcc, exec, s[0:1]
	s_cbranch_vccnz .LBB13_225
; %bb.224:
	v_lshl_add_u64 v[14:15], v[4:5], 2, v[10:11]
	flat_load_dword v13, v[14:15]
	s_waitcnt vmcnt(0) lgkmcnt(0)
	v_mul_f32_e32 v13, s26, v13
	s_branch .LBB13_226
.LBB13_225:
	v_mov_b32_e32 v13, 0
.LBB13_226:
	v_max_f32_e32 v14, v67, v67
	v_max_f32_e32 v13, v13, v13
	v_min_f32_e32 v13, v13, v14
	v_lshl_add_u64 v[14:15], v[4:5], 2, v[8:9]
	flat_store_dword v[14:15], v13
	s_or_b64 exec, exec, s[18:19]
	s_and_b64 s[18:19], s[8:9], s[10:11]
	s_and_saveexec_b64 s[10:11], s[18:19]
	s_cbranch_execz .LBB13_231
.LBB13_227:
	s_and_b64 vcc, exec, s[0:1]
	s_cbranch_vccnz .LBB13_229
; %bb.228:
	v_lshl_add_u64 v[10:11], v[6:7], 2, v[10:11]
	flat_load_dword v10, v[10:11]
	s_waitcnt vmcnt(0) lgkmcnt(0)
	v_mul_f32_e32 v10, s26, v10
	s_branch .LBB13_230
.LBB13_229:
	v_mov_b32_e32 v10, 0
.LBB13_230:
	v_max_f32_e32 v11, v66, v66
	v_max_f32_e32 v10, v10, v10
	v_min_f32_e32 v10, v10, v11
	v_lshl_add_u64 v[8:9], v[6:7], 2, v[8:9]
	flat_store_dword v[8:9], v10
.LBB13_231:
	s_or_b64 exec, exec, s[10:11]
	v_add_u32_e32 v13, 0x48, v12
	v_mad_i64_i32 v[8:9], s[18:19], v13, s21, 0
	v_cmp_gt_i32_e64 s[10:11], s13, v13
	v_lshl_add_u64 v[10:11], v[8:9], 2, s[16:17]
	v_mad_i64_i32 v[8:9], s[18:19], v13, s20, 0
	v_lshl_add_u64 v[8:9], v[8:9], 2, s[14:15]
	s_and_b64 s[22:23], s[2:3], s[10:11]
	s_and_saveexec_b64 s[18:19], s[22:23]
	s_cbranch_execnz .LBB13_235
; %bb.232:
	s_or_b64 exec, exec, s[18:19]
	s_and_b64 s[22:23], s[4:5], s[10:11]
	s_and_saveexec_b64 s[18:19], s[22:23]
	s_cbranch_execnz .LBB13_239
.LBB13_233:
	s_or_b64 exec, exec, s[18:19]
	s_and_b64 s[22:23], s[6:7], s[10:11]
	s_and_saveexec_b64 s[18:19], s[22:23]
	s_cbranch_execnz .LBB13_243
.LBB13_234:
	s_or_b64 exec, exec, s[18:19]
	s_and_b64 s[18:19], s[8:9], s[10:11]
	s_and_saveexec_b64 s[10:11], s[18:19]
	s_cbranch_execnz .LBB13_247
	s_branch .LBB13_251
.LBB13_235:
	s_and_b64 vcc, exec, s[0:1]
	s_cbranch_vccnz .LBB13_237
; %bb.236:
	v_lshl_add_u64 v[14:15], v[0:1], 2, v[10:11]
	flat_load_dword v13, v[14:15]
	s_waitcnt vmcnt(0) lgkmcnt(0)
	v_mul_f32_e32 v13, s26, v13
	s_branch .LBB13_238
.LBB13_237:
	v_mov_b32_e32 v13, 0
.LBB13_238:
	v_max_f32_e32 v14, v65, v65
	v_max_f32_e32 v13, v13, v13
	v_min_f32_e32 v13, v13, v14
	v_lshl_add_u64 v[14:15], v[0:1], 2, v[8:9]
	flat_store_dword v[14:15], v13
	s_or_b64 exec, exec, s[18:19]
	s_and_b64 s[22:23], s[4:5], s[10:11]
	s_and_saveexec_b64 s[18:19], s[22:23]
	s_cbranch_execz .LBB13_233
.LBB13_239:
	s_and_b64 vcc, exec, s[0:1]
	s_cbranch_vccnz .LBB13_241
; %bb.240:
	v_lshl_add_u64 v[14:15], v[2:3], 2, v[10:11]
	flat_load_dword v13, v[14:15]
	s_waitcnt vmcnt(0) lgkmcnt(0)
	v_mul_f32_e32 v13, s26, v13
	s_branch .LBB13_242
.LBB13_241:
	v_mov_b32_e32 v13, 0
.LBB13_242:
	v_max_f32_e32 v14, v64, v64
	v_max_f32_e32 v13, v13, v13
	v_min_f32_e32 v13, v13, v14
	v_lshl_add_u64 v[14:15], v[2:3], 2, v[8:9]
	flat_store_dword v[14:15], v13
	s_or_b64 exec, exec, s[18:19]
	s_and_b64 s[22:23], s[6:7], s[10:11]
	s_and_saveexec_b64 s[18:19], s[22:23]
	s_cbranch_execz .LBB13_234
.LBB13_243:
	s_and_b64 vcc, exec, s[0:1]
	s_cbranch_vccnz .LBB13_245
; %bb.244:
	v_lshl_add_u64 v[14:15], v[4:5], 2, v[10:11]
	flat_load_dword v13, v[14:15]
	s_waitcnt vmcnt(0) lgkmcnt(0)
	v_mul_f32_e32 v13, s26, v13
	s_branch .LBB13_246
.LBB13_245:
	v_mov_b32_e32 v13, 0
.LBB13_246:
	v_max_f32_e32 v14, v63, v63
	v_max_f32_e32 v13, v13, v13
	v_min_f32_e32 v13, v13, v14
	v_lshl_add_u64 v[14:15], v[4:5], 2, v[8:9]
	flat_store_dword v[14:15], v13
	s_or_b64 exec, exec, s[18:19]
	s_and_b64 s[18:19], s[8:9], s[10:11]
	s_and_saveexec_b64 s[10:11], s[18:19]
	s_cbranch_execz .LBB13_251
.LBB13_247:
	s_and_b64 vcc, exec, s[0:1]
	s_cbranch_vccnz .LBB13_249
; %bb.248:
	v_lshl_add_u64 v[10:11], v[6:7], 2, v[10:11]
	flat_load_dword v10, v[10:11]
	s_waitcnt vmcnt(0) lgkmcnt(0)
	v_mul_f32_e32 v10, s26, v10
	s_branch .LBB13_250
.LBB13_249:
	v_mov_b32_e32 v10, 0
.LBB13_250:
	v_max_f32_e32 v11, v62, v62
	v_max_f32_e32 v10, v10, v10
	v_min_f32_e32 v10, v10, v11
	v_lshl_add_u64 v[8:9], v[6:7], 2, v[8:9]
	flat_store_dword v[8:9], v10
.LBB13_251:
	s_or_b64 exec, exec, s[10:11]
	v_add_u32_e32 v13, 0x50, v12
	v_mad_i64_i32 v[8:9], s[18:19], v13, s21, 0
	v_cmp_gt_i32_e64 s[10:11], s13, v13
	v_lshl_add_u64 v[10:11], v[8:9], 2, s[16:17]
	v_mad_i64_i32 v[8:9], s[18:19], v13, s20, 0
	v_lshl_add_u64 v[8:9], v[8:9], 2, s[14:15]
	s_and_b64 s[22:23], s[2:3], s[10:11]
	s_and_saveexec_b64 s[18:19], s[22:23]
	s_cbranch_execnz .LBB13_255
; %bb.252:
	s_or_b64 exec, exec, s[18:19]
	s_and_b64 s[22:23], s[4:5], s[10:11]
	s_and_saveexec_b64 s[18:19], s[22:23]
	s_cbranch_execnz .LBB13_259
.LBB13_253:
	s_or_b64 exec, exec, s[18:19]
	s_and_b64 s[22:23], s[6:7], s[10:11]
	s_and_saveexec_b64 s[18:19], s[22:23]
	s_cbranch_execnz .LBB13_263
.LBB13_254:
	s_or_b64 exec, exec, s[18:19]
	s_and_b64 s[18:19], s[8:9], s[10:11]
	s_and_saveexec_b64 s[10:11], s[18:19]
	s_cbranch_execnz .LBB13_267
	s_branch .LBB13_271
.LBB13_255:
	s_and_b64 vcc, exec, s[0:1]
	s_cbranch_vccnz .LBB13_257
; %bb.256:
	v_lshl_add_u64 v[14:15], v[0:1], 2, v[10:11]
	flat_load_dword v13, v[14:15]
	s_waitcnt vmcnt(0) lgkmcnt(0)
	v_mul_f32_e32 v13, s26, v13
	s_branch .LBB13_258
.LBB13_257:
	v_mov_b32_e32 v13, 0
.LBB13_258:
	v_max_f32_e32 v14, v61, v61
	v_max_f32_e32 v13, v13, v13
	v_min_f32_e32 v13, v13, v14
	v_lshl_add_u64 v[14:15], v[0:1], 2, v[8:9]
	flat_store_dword v[14:15], v13
	s_or_b64 exec, exec, s[18:19]
	s_and_b64 s[22:23], s[4:5], s[10:11]
	s_and_saveexec_b64 s[18:19], s[22:23]
	s_cbranch_execz .LBB13_253
.LBB13_259:
	s_and_b64 vcc, exec, s[0:1]
	s_cbranch_vccnz .LBB13_261
; %bb.260:
	v_lshl_add_u64 v[14:15], v[2:3], 2, v[10:11]
	flat_load_dword v13, v[14:15]
	s_waitcnt vmcnt(0) lgkmcnt(0)
	v_mul_f32_e32 v13, s26, v13
	s_branch .LBB13_262
.LBB13_261:
	v_mov_b32_e32 v13, 0
.LBB13_262:
	v_max_f32_e32 v14, v60, v60
	v_max_f32_e32 v13, v13, v13
	v_min_f32_e32 v13, v13, v14
	v_lshl_add_u64 v[14:15], v[2:3], 2, v[8:9]
	flat_store_dword v[14:15], v13
	s_or_b64 exec, exec, s[18:19]
	s_and_b64 s[22:23], s[6:7], s[10:11]
	s_and_saveexec_b64 s[18:19], s[22:23]
	s_cbranch_execz .LBB13_254
.LBB13_263:
	s_and_b64 vcc, exec, s[0:1]
	s_cbranch_vccnz .LBB13_265
; %bb.264:
	v_lshl_add_u64 v[14:15], v[4:5], 2, v[10:11]
	flat_load_dword v13, v[14:15]
	s_waitcnt vmcnt(0) lgkmcnt(0)
	v_mul_f32_e32 v13, s26, v13
	s_branch .LBB13_266
.LBB13_265:
	v_mov_b32_e32 v13, 0
.LBB13_266:
	v_max_f32_e32 v14, v59, v59
	v_max_f32_e32 v13, v13, v13
	v_min_f32_e32 v13, v13, v14
	v_lshl_add_u64 v[14:15], v[4:5], 2, v[8:9]
	flat_store_dword v[14:15], v13
	s_or_b64 exec, exec, s[18:19]
	s_and_b64 s[18:19], s[8:9], s[10:11]
	s_and_saveexec_b64 s[10:11], s[18:19]
	s_cbranch_execz .LBB13_271
.LBB13_267:
	s_and_b64 vcc, exec, s[0:1]
	s_cbranch_vccnz .LBB13_269
; %bb.268:
	v_lshl_add_u64 v[10:11], v[6:7], 2, v[10:11]
	flat_load_dword v10, v[10:11]
	s_waitcnt vmcnt(0) lgkmcnt(0)
	v_mul_f32_e32 v10, s26, v10
	s_branch .LBB13_270
.LBB13_269:
	v_mov_b32_e32 v10, 0
.LBB13_270:
	v_max_f32_e32 v11, v58, v58
	v_max_f32_e32 v10, v10, v10
	v_min_f32_e32 v10, v10, v11
	v_lshl_add_u64 v[8:9], v[6:7], 2, v[8:9]
	flat_store_dword v[8:9], v10
.LBB13_271:
	s_or_b64 exec, exec, s[10:11]
	v_add_u32_e32 v13, 0x58, v12
	v_mad_i64_i32 v[8:9], s[18:19], v13, s21, 0
	v_cmp_gt_i32_e64 s[10:11], s13, v13
	v_lshl_add_u64 v[10:11], v[8:9], 2, s[16:17]
	v_mad_i64_i32 v[8:9], s[18:19], v13, s20, 0
	v_lshl_add_u64 v[8:9], v[8:9], 2, s[14:15]
	s_and_b64 s[22:23], s[2:3], s[10:11]
	s_and_saveexec_b64 s[18:19], s[22:23]
	s_cbranch_execnz .LBB13_275
; %bb.272:
	s_or_b64 exec, exec, s[18:19]
	s_and_b64 s[22:23], s[4:5], s[10:11]
	s_and_saveexec_b64 s[18:19], s[22:23]
	s_cbranch_execnz .LBB13_279
.LBB13_273:
	s_or_b64 exec, exec, s[18:19]
	s_and_b64 s[22:23], s[6:7], s[10:11]
	s_and_saveexec_b64 s[18:19], s[22:23]
	s_cbranch_execnz .LBB13_283
.LBB13_274:
	s_or_b64 exec, exec, s[18:19]
	s_and_b64 s[18:19], s[8:9], s[10:11]
	s_and_saveexec_b64 s[10:11], s[18:19]
	s_cbranch_execnz .LBB13_287
	s_branch .LBB13_291
.LBB13_275:
	s_and_b64 vcc, exec, s[0:1]
	s_cbranch_vccnz .LBB13_277
; %bb.276:
	v_lshl_add_u64 v[14:15], v[0:1], 2, v[10:11]
	flat_load_dword v13, v[14:15]
	s_waitcnt vmcnt(0) lgkmcnt(0)
	v_mul_f32_e32 v13, s26, v13
	s_branch .LBB13_278
.LBB13_277:
	v_mov_b32_e32 v13, 0
.LBB13_278:
	v_max_f32_e32 v14, v57, v57
	v_max_f32_e32 v13, v13, v13
	v_min_f32_e32 v13, v13, v14
	v_lshl_add_u64 v[14:15], v[0:1], 2, v[8:9]
	flat_store_dword v[14:15], v13
	s_or_b64 exec, exec, s[18:19]
	s_and_b64 s[22:23], s[4:5], s[10:11]
	s_and_saveexec_b64 s[18:19], s[22:23]
	s_cbranch_execz .LBB13_273
.LBB13_279:
	s_and_b64 vcc, exec, s[0:1]
	s_cbranch_vccnz .LBB13_281
; %bb.280:
	v_lshl_add_u64 v[14:15], v[2:3], 2, v[10:11]
	flat_load_dword v13, v[14:15]
	s_waitcnt vmcnt(0) lgkmcnt(0)
	v_mul_f32_e32 v13, s26, v13
	s_branch .LBB13_282
.LBB13_281:
	v_mov_b32_e32 v13, 0
.LBB13_282:
	v_max_f32_e32 v14, v56, v56
	v_max_f32_e32 v13, v13, v13
	v_min_f32_e32 v13, v13, v14
	v_lshl_add_u64 v[14:15], v[2:3], 2, v[8:9]
	flat_store_dword v[14:15], v13
	s_or_b64 exec, exec, s[18:19]
	s_and_b64 s[22:23], s[6:7], s[10:11]
	s_and_saveexec_b64 s[18:19], s[22:23]
	s_cbranch_execz .LBB13_274
.LBB13_283:
	s_and_b64 vcc, exec, s[0:1]
	s_cbranch_vccnz .LBB13_285
; %bb.284:
	v_lshl_add_u64 v[14:15], v[4:5], 2, v[10:11]
	flat_load_dword v13, v[14:15]
	s_waitcnt vmcnt(0) lgkmcnt(0)
	v_mul_f32_e32 v13, s26, v13
	s_branch .LBB13_286
.LBB13_285:
	v_mov_b32_e32 v13, 0
.LBB13_286:
	v_max_f32_e32 v14, v55, v55
	v_max_f32_e32 v13, v13, v13
	v_min_f32_e32 v13, v13, v14
	v_lshl_add_u64 v[14:15], v[4:5], 2, v[8:9]
	flat_store_dword v[14:15], v13
	s_or_b64 exec, exec, s[18:19]
	s_and_b64 s[18:19], s[8:9], s[10:11]
	s_and_saveexec_b64 s[10:11], s[18:19]
	s_cbranch_execz .LBB13_291
.LBB13_287:
	s_and_b64 vcc, exec, s[0:1]
	s_cbranch_vccnz .LBB13_289
; %bb.288:
	v_lshl_add_u64 v[10:11], v[6:7], 2, v[10:11]
	flat_load_dword v10, v[10:11]
	s_waitcnt vmcnt(0) lgkmcnt(0)
	v_mul_f32_e32 v10, s26, v10
	s_branch .LBB13_290
.LBB13_289:
	v_mov_b32_e32 v10, 0
.LBB13_290:
	v_max_f32_e32 v11, v54, v54
	v_max_f32_e32 v10, v10, v10
	v_min_f32_e32 v10, v10, v11
	v_lshl_add_u64 v[8:9], v[6:7], 2, v[8:9]
	flat_store_dword v[8:9], v10
.LBB13_291:
	s_or_b64 exec, exec, s[10:11]
	v_add_u32_e32 v13, 0x60, v12
	v_mad_i64_i32 v[8:9], s[18:19], v13, s21, 0
	v_cmp_gt_i32_e64 s[10:11], s13, v13
	v_lshl_add_u64 v[10:11], v[8:9], 2, s[16:17]
	v_mad_i64_i32 v[8:9], s[18:19], v13, s20, 0
	v_lshl_add_u64 v[8:9], v[8:9], 2, s[14:15]
	s_and_b64 s[22:23], s[2:3], s[10:11]
	s_and_saveexec_b64 s[18:19], s[22:23]
	s_cbranch_execnz .LBB13_295
; %bb.292:
	s_or_b64 exec, exec, s[18:19]
	s_and_b64 s[22:23], s[4:5], s[10:11]
	s_and_saveexec_b64 s[18:19], s[22:23]
	s_cbranch_execnz .LBB13_299
.LBB13_293:
	s_or_b64 exec, exec, s[18:19]
	s_and_b64 s[22:23], s[6:7], s[10:11]
	s_and_saveexec_b64 s[18:19], s[22:23]
	s_cbranch_execnz .LBB13_303
.LBB13_294:
	s_or_b64 exec, exec, s[18:19]
	s_and_b64 s[18:19], s[8:9], s[10:11]
	s_and_saveexec_b64 s[10:11], s[18:19]
	s_cbranch_execnz .LBB13_307
	s_branch .LBB13_311
.LBB13_295:
	s_and_b64 vcc, exec, s[0:1]
	s_cbranch_vccnz .LBB13_297
; %bb.296:
	v_lshl_add_u64 v[14:15], v[0:1], 2, v[10:11]
	flat_load_dword v13, v[14:15]
	s_waitcnt vmcnt(0) lgkmcnt(0)
	v_mul_f32_e32 v13, s26, v13
	s_branch .LBB13_298
.LBB13_297:
	v_mov_b32_e32 v13, 0
.LBB13_298:
	v_max_f32_e32 v14, v53, v53
	v_max_f32_e32 v13, v13, v13
	v_min_f32_e32 v13, v13, v14
	v_lshl_add_u64 v[14:15], v[0:1], 2, v[8:9]
	flat_store_dword v[14:15], v13
	s_or_b64 exec, exec, s[18:19]
	s_and_b64 s[22:23], s[4:5], s[10:11]
	s_and_saveexec_b64 s[18:19], s[22:23]
	s_cbranch_execz .LBB13_293
.LBB13_299:
	s_and_b64 vcc, exec, s[0:1]
	s_cbranch_vccnz .LBB13_301
; %bb.300:
	v_lshl_add_u64 v[14:15], v[2:3], 2, v[10:11]
	flat_load_dword v13, v[14:15]
	s_waitcnt vmcnt(0) lgkmcnt(0)
	v_mul_f32_e32 v13, s26, v13
	s_branch .LBB13_302
.LBB13_301:
	v_mov_b32_e32 v13, 0
.LBB13_302:
	v_max_f32_e32 v14, v52, v52
	v_max_f32_e32 v13, v13, v13
	v_min_f32_e32 v13, v13, v14
	v_lshl_add_u64 v[14:15], v[2:3], 2, v[8:9]
	flat_store_dword v[14:15], v13
	s_or_b64 exec, exec, s[18:19]
	s_and_b64 s[22:23], s[6:7], s[10:11]
	s_and_saveexec_b64 s[18:19], s[22:23]
	s_cbranch_execz .LBB13_294
.LBB13_303:
	s_and_b64 vcc, exec, s[0:1]
	s_cbranch_vccnz .LBB13_305
; %bb.304:
	v_lshl_add_u64 v[14:15], v[4:5], 2, v[10:11]
	flat_load_dword v13, v[14:15]
	s_waitcnt vmcnt(0) lgkmcnt(0)
	v_mul_f32_e32 v13, s26, v13
	s_branch .LBB13_306
.LBB13_305:
	v_mov_b32_e32 v13, 0
.LBB13_306:
	v_max_f32_e32 v14, v51, v51
	v_max_f32_e32 v13, v13, v13
	v_min_f32_e32 v13, v13, v14
	v_lshl_add_u64 v[14:15], v[4:5], 2, v[8:9]
	flat_store_dword v[14:15], v13
	s_or_b64 exec, exec, s[18:19]
	s_and_b64 s[18:19], s[8:9], s[10:11]
	s_and_saveexec_b64 s[10:11], s[18:19]
	s_cbranch_execz .LBB13_311
.LBB13_307:
	s_and_b64 vcc, exec, s[0:1]
	s_cbranch_vccnz .LBB13_309
; %bb.308:
	v_lshl_add_u64 v[10:11], v[6:7], 2, v[10:11]
	flat_load_dword v10, v[10:11]
	s_waitcnt vmcnt(0) lgkmcnt(0)
	v_mul_f32_e32 v10, s26, v10
	s_branch .LBB13_310
.LBB13_309:
	v_mov_b32_e32 v10, 0
.LBB13_310:
	v_max_f32_e32 v11, v50, v50
	v_max_f32_e32 v10, v10, v10
	v_min_f32_e32 v10, v10, v11
	v_lshl_add_u64 v[8:9], v[6:7], 2, v[8:9]
	flat_store_dword v[8:9], v10
.LBB13_311:
	s_or_b64 exec, exec, s[10:11]
	v_add_u32_e32 v13, 0x68, v12
	v_mad_i64_i32 v[8:9], s[18:19], v13, s21, 0
	v_cmp_gt_i32_e64 s[10:11], s13, v13
	v_lshl_add_u64 v[10:11], v[8:9], 2, s[16:17]
	v_mad_i64_i32 v[8:9], s[18:19], v13, s20, 0
	v_lshl_add_u64 v[8:9], v[8:9], 2, s[14:15]
	s_and_b64 s[22:23], s[2:3], s[10:11]
	s_and_saveexec_b64 s[18:19], s[22:23]
	s_cbranch_execnz .LBB13_315
; %bb.312:
	s_or_b64 exec, exec, s[18:19]
	s_and_b64 s[22:23], s[4:5], s[10:11]
	s_and_saveexec_b64 s[18:19], s[22:23]
	s_cbranch_execnz .LBB13_319
.LBB13_313:
	s_or_b64 exec, exec, s[18:19]
	s_and_b64 s[22:23], s[6:7], s[10:11]
	s_and_saveexec_b64 s[18:19], s[22:23]
	s_cbranch_execnz .LBB13_323
.LBB13_314:
	s_or_b64 exec, exec, s[18:19]
	s_and_b64 s[18:19], s[8:9], s[10:11]
	s_and_saveexec_b64 s[10:11], s[18:19]
	s_cbranch_execnz .LBB13_327
	s_branch .LBB13_331
.LBB13_315:
	s_and_b64 vcc, exec, s[0:1]
	s_cbranch_vccnz .LBB13_317
; %bb.316:
	v_lshl_add_u64 v[14:15], v[0:1], 2, v[10:11]
	flat_load_dword v13, v[14:15]
	s_waitcnt vmcnt(0) lgkmcnt(0)
	v_mul_f32_e32 v13, s26, v13
	s_branch .LBB13_318
.LBB13_317:
	v_mov_b32_e32 v13, 0
.LBB13_318:
	v_max_f32_e32 v14, v49, v49
	v_max_f32_e32 v13, v13, v13
	v_min_f32_e32 v13, v13, v14
	v_lshl_add_u64 v[14:15], v[0:1], 2, v[8:9]
	flat_store_dword v[14:15], v13
	s_or_b64 exec, exec, s[18:19]
	s_and_b64 s[22:23], s[4:5], s[10:11]
	s_and_saveexec_b64 s[18:19], s[22:23]
	s_cbranch_execz .LBB13_313
.LBB13_319:
	s_and_b64 vcc, exec, s[0:1]
	s_cbranch_vccnz .LBB13_321
; %bb.320:
	v_lshl_add_u64 v[14:15], v[2:3], 2, v[10:11]
	flat_load_dword v13, v[14:15]
	s_waitcnt vmcnt(0) lgkmcnt(0)
	v_mul_f32_e32 v13, s26, v13
	s_branch .LBB13_322
.LBB13_321:
	v_mov_b32_e32 v13, 0
.LBB13_322:
	v_max_f32_e32 v14, v48, v48
	v_max_f32_e32 v13, v13, v13
	v_min_f32_e32 v13, v13, v14
	v_lshl_add_u64 v[14:15], v[2:3], 2, v[8:9]
	flat_store_dword v[14:15], v13
	s_or_b64 exec, exec, s[18:19]
	s_and_b64 s[22:23], s[6:7], s[10:11]
	s_and_saveexec_b64 s[18:19], s[22:23]
	s_cbranch_execz .LBB13_314
.LBB13_323:
	s_and_b64 vcc, exec, s[0:1]
	s_cbranch_vccnz .LBB13_325
; %bb.324:
	v_lshl_add_u64 v[14:15], v[4:5], 2, v[10:11]
	flat_load_dword v13, v[14:15]
	s_waitcnt vmcnt(0) lgkmcnt(0)
	v_mul_f32_e32 v13, s26, v13
	s_branch .LBB13_326
.LBB13_325:
	v_mov_b32_e32 v13, 0
.LBB13_326:
	v_max_f32_e32 v14, v47, v47
	v_max_f32_e32 v13, v13, v13
	v_min_f32_e32 v13, v13, v14
	v_lshl_add_u64 v[14:15], v[4:5], 2, v[8:9]
	flat_store_dword v[14:15], v13
	s_or_b64 exec, exec, s[18:19]
	s_and_b64 s[18:19], s[8:9], s[10:11]
	s_and_saveexec_b64 s[10:11], s[18:19]
	s_cbranch_execz .LBB13_331
.LBB13_327:
	s_and_b64 vcc, exec, s[0:1]
	s_cbranch_vccnz .LBB13_329
; %bb.328:
	v_lshl_add_u64 v[10:11], v[6:7], 2, v[10:11]
	flat_load_dword v10, v[10:11]
	s_waitcnt vmcnt(0) lgkmcnt(0)
	v_mul_f32_e32 v10, s26, v10
	s_branch .LBB13_330
.LBB13_329:
	v_mov_b32_e32 v10, 0
.LBB13_330:
	v_max_f32_e32 v11, v46, v46
	v_max_f32_e32 v10, v10, v10
	v_min_f32_e32 v10, v10, v11
	v_lshl_add_u64 v[8:9], v[6:7], 2, v[8:9]
	flat_store_dword v[8:9], v10
.LBB13_331:
	s_or_b64 exec, exec, s[10:11]
	v_add_u32_e32 v13, 0x70, v12
	v_mad_i64_i32 v[8:9], s[18:19], v13, s21, 0
	v_cmp_gt_i32_e64 s[10:11], s13, v13
	v_lshl_add_u64 v[10:11], v[8:9], 2, s[16:17]
	v_mad_i64_i32 v[8:9], s[18:19], v13, s20, 0
	v_lshl_add_u64 v[8:9], v[8:9], 2, s[14:15]
	s_and_b64 s[22:23], s[2:3], s[10:11]
	s_and_saveexec_b64 s[18:19], s[22:23]
	s_cbranch_execnz .LBB13_335
; %bb.332:
	s_or_b64 exec, exec, s[18:19]
	s_and_b64 s[22:23], s[4:5], s[10:11]
	s_and_saveexec_b64 s[18:19], s[22:23]
	s_cbranch_execnz .LBB13_339
.LBB13_333:
	s_or_b64 exec, exec, s[18:19]
	s_and_b64 s[22:23], s[6:7], s[10:11]
	s_and_saveexec_b64 s[18:19], s[22:23]
	s_cbranch_execnz .LBB13_343
.LBB13_334:
	s_or_b64 exec, exec, s[18:19]
	s_and_b64 s[18:19], s[8:9], s[10:11]
	s_and_saveexec_b64 s[10:11], s[18:19]
	s_cbranch_execnz .LBB13_347
	s_branch .LBB13_351
.LBB13_335:
	s_and_b64 vcc, exec, s[0:1]
	s_cbranch_vccnz .LBB13_337
; %bb.336:
	v_lshl_add_u64 v[14:15], v[0:1], 2, v[10:11]
	flat_load_dword v13, v[14:15]
	s_waitcnt vmcnt(0) lgkmcnt(0)
	v_mul_f32_e32 v13, s26, v13
	s_branch .LBB13_338
.LBB13_337:
	v_mov_b32_e32 v13, 0
.LBB13_338:
	v_max_f32_e32 v14, v45, v45
	v_max_f32_e32 v13, v13, v13
	v_min_f32_e32 v13, v13, v14
	v_lshl_add_u64 v[14:15], v[0:1], 2, v[8:9]
	flat_store_dword v[14:15], v13
	s_or_b64 exec, exec, s[18:19]
	s_and_b64 s[22:23], s[4:5], s[10:11]
	s_and_saveexec_b64 s[18:19], s[22:23]
	s_cbranch_execz .LBB13_333
.LBB13_339:
	s_and_b64 vcc, exec, s[0:1]
	s_cbranch_vccnz .LBB13_341
; %bb.340:
	v_lshl_add_u64 v[14:15], v[2:3], 2, v[10:11]
	flat_load_dword v13, v[14:15]
	s_waitcnt vmcnt(0) lgkmcnt(0)
	v_mul_f32_e32 v13, s26, v13
	s_branch .LBB13_342
.LBB13_341:
	v_mov_b32_e32 v13, 0
.LBB13_342:
	v_max_f32_e32 v14, v44, v44
	v_max_f32_e32 v13, v13, v13
	v_min_f32_e32 v13, v13, v14
	v_lshl_add_u64 v[14:15], v[2:3], 2, v[8:9]
	flat_store_dword v[14:15], v13
	s_or_b64 exec, exec, s[18:19]
	s_and_b64 s[22:23], s[6:7], s[10:11]
	s_and_saveexec_b64 s[18:19], s[22:23]
	s_cbranch_execz .LBB13_334
.LBB13_343:
	s_and_b64 vcc, exec, s[0:1]
	s_cbranch_vccnz .LBB13_345
; %bb.344:
	v_lshl_add_u64 v[14:15], v[4:5], 2, v[10:11]
	flat_load_dword v13, v[14:15]
	s_waitcnt vmcnt(0) lgkmcnt(0)
	v_mul_f32_e32 v13, s26, v13
	s_branch .LBB13_346
.LBB13_345:
	v_mov_b32_e32 v13, 0
.LBB13_346:
	v_max_f32_e32 v14, v43, v43
	v_max_f32_e32 v13, v13, v13
	v_min_f32_e32 v13, v13, v14
	v_lshl_add_u64 v[14:15], v[4:5], 2, v[8:9]
	flat_store_dword v[14:15], v13
	s_or_b64 exec, exec, s[18:19]
	s_and_b64 s[18:19], s[8:9], s[10:11]
	s_and_saveexec_b64 s[10:11], s[18:19]
	s_cbranch_execz .LBB13_351
.LBB13_347:
	s_and_b64 vcc, exec, s[0:1]
	s_cbranch_vccnz .LBB13_349
; %bb.348:
	v_lshl_add_u64 v[10:11], v[6:7], 2, v[10:11]
	flat_load_dword v10, v[10:11]
	s_waitcnt vmcnt(0) lgkmcnt(0)
	v_mul_f32_e32 v10, s26, v10
	s_branch .LBB13_350
.LBB13_349:
	v_mov_b32_e32 v10, 0
.LBB13_350:
	v_max_f32_e32 v11, v42, v42
	v_max_f32_e32 v10, v10, v10
	v_min_f32_e32 v10, v10, v11
	v_lshl_add_u64 v[8:9], v[6:7], 2, v[8:9]
	flat_store_dword v[8:9], v10
.LBB13_351:
	s_or_b64 exec, exec, s[10:11]
	v_add_u32_e32 v12, 0x78, v12
	v_cmp_gt_i32_e64 s[10:11], s13, v12
	v_mad_i64_i32 v[8:9], s[12:13], v12, s21, 0
	v_lshl_add_u64 v[10:11], v[8:9], 2, s[16:17]
	v_mad_i64_i32 v[8:9], s[12:13], v12, s20, 0
	v_lshl_add_u64 v[8:9], v[8:9], 2, s[14:15]
	s_and_b64 s[12:13], s[2:3], s[10:11]
	s_and_saveexec_b64 s[2:3], s[12:13]
	s_cbranch_execnz .LBB13_356
; %bb.352:
	s_or_b64 exec, exec, s[2:3]
	s_and_b64 s[4:5], s[4:5], s[10:11]
	s_and_saveexec_b64 s[2:3], s[4:5]
	s_cbranch_execnz .LBB13_360
.LBB13_353:
	s_or_b64 exec, exec, s[2:3]
	s_and_b64 s[4:5], s[6:7], s[10:11]
	s_and_saveexec_b64 s[2:3], s[4:5]
	s_cbranch_execnz .LBB13_364
.LBB13_354:
	s_or_b64 exec, exec, s[2:3]
	s_and_b64 s[2:3], s[8:9], s[10:11]
	s_and_saveexec_b64 s[4:5], s[2:3]
	s_cbranch_execnz .LBB13_368
.LBB13_355:
	s_endpgm
.LBB13_356:
	s_and_b64 vcc, exec, s[0:1]
	s_cbranch_vccnz .LBB13_358
; %bb.357:
	v_lshl_add_u64 v[12:13], v[0:1], 2, v[10:11]
	flat_load_dword v12, v[12:13]
	s_waitcnt vmcnt(0) lgkmcnt(0)
	v_mul_f32_e32 v12, s26, v12
	s_branch .LBB13_359
.LBB13_358:
	v_mov_b32_e32 v12, 0
.LBB13_359:
	v_max_f32_e32 v13, v41, v41
	v_max_f32_e32 v12, v12, v12
	v_min_f32_e32 v12, v12, v13
	v_lshl_add_u64 v[0:1], v[0:1], 2, v[8:9]
	flat_store_dword v[0:1], v12
	s_or_b64 exec, exec, s[2:3]
	s_and_b64 s[4:5], s[4:5], s[10:11]
	s_and_saveexec_b64 s[2:3], s[4:5]
	s_cbranch_execz .LBB13_353
.LBB13_360:
	s_and_b64 vcc, exec, s[0:1]
	s_cbranch_vccnz .LBB13_362
; %bb.361:
	v_lshl_add_u64 v[0:1], v[2:3], 2, v[10:11]
	flat_load_dword v0, v[0:1]
	s_waitcnt vmcnt(0) lgkmcnt(0)
	v_mul_f32_e32 v0, s26, v0
	s_branch .LBB13_363
.LBB13_362:
	v_mov_b32_e32 v0, 0
.LBB13_363:
	v_max_f32_e32 v1, v40, v40
	v_max_f32_e32 v0, v0, v0
	v_min_f32_e32 v12, v0, v1
	v_lshl_add_u64 v[0:1], v[2:3], 2, v[8:9]
	flat_store_dword v[0:1], v12
	s_or_b64 exec, exec, s[2:3]
	s_and_b64 s[4:5], s[6:7], s[10:11]
	s_and_saveexec_b64 s[2:3], s[4:5]
	s_cbranch_execz .LBB13_354
.LBB13_364:
	s_and_b64 vcc, exec, s[0:1]
	s_cbranch_vccnz .LBB13_366
; %bb.365:
	v_lshl_add_u64 v[0:1], v[4:5], 2, v[10:11]
	flat_load_dword v0, v[0:1]
	s_waitcnt vmcnt(0) lgkmcnt(0)
	v_mul_f32_e32 v0, s26, v0
	s_branch .LBB13_367
.LBB13_366:
	v_mov_b32_e32 v0, 0
.LBB13_367:
	v_max_f32_e32 v1, v39, v39
	v_max_f32_e32 v0, v0, v0
	v_min_f32_e32 v2, v0, v1
	v_lshl_add_u64 v[0:1], v[4:5], 2, v[8:9]
	flat_store_dword v[0:1], v2
	s_or_b64 exec, exec, s[2:3]
	s_and_b64 s[2:3], s[8:9], s[10:11]
	s_and_saveexec_b64 s[4:5], s[2:3]
	s_cbranch_execz .LBB13_355
.LBB13_368:
	s_and_b64 vcc, exec, s[0:1]
	s_cbranch_vccnz .LBB13_370
; %bb.369:
	v_lshl_add_u64 v[0:1], v[6:7], 2, v[10:11]
	flat_load_dword v0, v[0:1]
	s_waitcnt vmcnt(0) lgkmcnt(0)
	v_mul_f32_e32 v0, s26, v0
	s_branch .LBB13_371
.LBB13_370:
	v_mov_b32_e32 v0, 0
.LBB13_371:
	v_max_f32_e32 v1, v38, v38
	v_max_f32_e32 v0, v0, v0
	v_min_f32_e32 v2, v0, v1
	v_lshl_add_u64 v[0:1], v[6:7], 2, v[8:9]
	flat_store_dword v[0:1], v2
	s_endpgm
	.section	.rodata,"a",@progbits
	.p2align	6, 0x0
	.amdhsa_kernel _ZN12_GLOBAL__N_120geam_min_plus_kernelIf15HIP_vector_typeIfLj2EEfLi32ELi8ELi128ELi128ELi4ELi4ELi64ELi4ELi64ELc84ELc78ELb1ELb1ELb1EfKPKfKPfEEviiiT16_PT17_ilSA_ilS8_SA_ilPT18_ili26rocblas_geam_ex_operation_
		.amdhsa_group_segment_fixed_size 8192
		.amdhsa_private_segment_fixed_size 0
		.amdhsa_kernarg_size 128
		.amdhsa_user_sgpr_count 2
		.amdhsa_user_sgpr_dispatch_ptr 0
		.amdhsa_user_sgpr_queue_ptr 0
		.amdhsa_user_sgpr_kernarg_segment_ptr 1
		.amdhsa_user_sgpr_dispatch_id 0
		.amdhsa_user_sgpr_kernarg_preload_length 0
		.amdhsa_user_sgpr_kernarg_preload_offset 0
		.amdhsa_user_sgpr_private_segment_size 0
		.amdhsa_uses_dynamic_stack 0
		.amdhsa_enable_private_segment 0
		.amdhsa_system_sgpr_workgroup_id_x 1
		.amdhsa_system_sgpr_workgroup_id_y 0
		.amdhsa_system_sgpr_workgroup_id_z 1
		.amdhsa_system_sgpr_workgroup_info 0
		.amdhsa_system_vgpr_workitem_id 1
		.amdhsa_next_free_vgpr 140
		.amdhsa_next_free_sgpr 36
		.amdhsa_accum_offset 140
		.amdhsa_reserve_vcc 1
		.amdhsa_float_round_mode_32 0
		.amdhsa_float_round_mode_16_64 0
		.amdhsa_float_denorm_mode_32 3
		.amdhsa_float_denorm_mode_16_64 3
		.amdhsa_dx10_clamp 1
		.amdhsa_ieee_mode 1
		.amdhsa_fp16_overflow 0
		.amdhsa_tg_split 0
		.amdhsa_exception_fp_ieee_invalid_op 0
		.amdhsa_exception_fp_denorm_src 0
		.amdhsa_exception_fp_ieee_div_zero 0
		.amdhsa_exception_fp_ieee_overflow 0
		.amdhsa_exception_fp_ieee_underflow 0
		.amdhsa_exception_fp_ieee_inexact 0
		.amdhsa_exception_int_div_zero 0
	.end_amdhsa_kernel
	.section	.text._ZN12_GLOBAL__N_120geam_min_plus_kernelIf15HIP_vector_typeIfLj2EEfLi32ELi8ELi128ELi128ELi4ELi4ELi64ELi4ELi64ELc84ELc78ELb1ELb1ELb1EfKPKfKPfEEviiiT16_PT17_ilSA_ilS8_SA_ilPT18_ili26rocblas_geam_ex_operation_,"axG",@progbits,_ZN12_GLOBAL__N_120geam_min_plus_kernelIf15HIP_vector_typeIfLj2EEfLi32ELi8ELi128ELi128ELi4ELi4ELi64ELi4ELi64ELc84ELc78ELb1ELb1ELb1EfKPKfKPfEEviiiT16_PT17_ilSA_ilS8_SA_ilPT18_ili26rocblas_geam_ex_operation_,comdat
.Lfunc_end13:
	.size	_ZN12_GLOBAL__N_120geam_min_plus_kernelIf15HIP_vector_typeIfLj2EEfLi32ELi8ELi128ELi128ELi4ELi4ELi64ELi4ELi64ELc84ELc78ELb1ELb1ELb1EfKPKfKPfEEviiiT16_PT17_ilSA_ilS8_SA_ilPT18_ili26rocblas_geam_ex_operation_, .Lfunc_end13-_ZN12_GLOBAL__N_120geam_min_plus_kernelIf15HIP_vector_typeIfLj2EEfLi32ELi8ELi128ELi128ELi4ELi4ELi64ELi4ELi64ELc84ELc78ELb1ELb1ELb1EfKPKfKPfEEviiiT16_PT17_ilSA_ilS8_SA_ilPT18_ili26rocblas_geam_ex_operation_
                                        ; -- End function
	.set _ZN12_GLOBAL__N_120geam_min_plus_kernelIf15HIP_vector_typeIfLj2EEfLi32ELi8ELi128ELi128ELi4ELi4ELi64ELi4ELi64ELc84ELc78ELb1ELb1ELb1EfKPKfKPfEEviiiT16_PT17_ilSA_ilS8_SA_ilPT18_ili26rocblas_geam_ex_operation_.num_vgpr, 140
	.set _ZN12_GLOBAL__N_120geam_min_plus_kernelIf15HIP_vector_typeIfLj2EEfLi32ELi8ELi128ELi128ELi4ELi4ELi64ELi4ELi64ELc84ELc78ELb1ELb1ELb1EfKPKfKPfEEviiiT16_PT17_ilSA_ilS8_SA_ilPT18_ili26rocblas_geam_ex_operation_.num_agpr, 0
	.set _ZN12_GLOBAL__N_120geam_min_plus_kernelIf15HIP_vector_typeIfLj2EEfLi32ELi8ELi128ELi128ELi4ELi4ELi64ELi4ELi64ELc84ELc78ELb1ELb1ELb1EfKPKfKPfEEviiiT16_PT17_ilSA_ilS8_SA_ilPT18_ili26rocblas_geam_ex_operation_.numbered_sgpr, 36
	.set _ZN12_GLOBAL__N_120geam_min_plus_kernelIf15HIP_vector_typeIfLj2EEfLi32ELi8ELi128ELi128ELi4ELi4ELi64ELi4ELi64ELc84ELc78ELb1ELb1ELb1EfKPKfKPfEEviiiT16_PT17_ilSA_ilS8_SA_ilPT18_ili26rocblas_geam_ex_operation_.num_named_barrier, 0
	.set _ZN12_GLOBAL__N_120geam_min_plus_kernelIf15HIP_vector_typeIfLj2EEfLi32ELi8ELi128ELi128ELi4ELi4ELi64ELi4ELi64ELc84ELc78ELb1ELb1ELb1EfKPKfKPfEEviiiT16_PT17_ilSA_ilS8_SA_ilPT18_ili26rocblas_geam_ex_operation_.private_seg_size, 0
	.set _ZN12_GLOBAL__N_120geam_min_plus_kernelIf15HIP_vector_typeIfLj2EEfLi32ELi8ELi128ELi128ELi4ELi4ELi64ELi4ELi64ELc84ELc78ELb1ELb1ELb1EfKPKfKPfEEviiiT16_PT17_ilSA_ilS8_SA_ilPT18_ili26rocblas_geam_ex_operation_.uses_vcc, 1
	.set _ZN12_GLOBAL__N_120geam_min_plus_kernelIf15HIP_vector_typeIfLj2EEfLi32ELi8ELi128ELi128ELi4ELi4ELi64ELi4ELi64ELc84ELc78ELb1ELb1ELb1EfKPKfKPfEEviiiT16_PT17_ilSA_ilS8_SA_ilPT18_ili26rocblas_geam_ex_operation_.uses_flat_scratch, 0
	.set _ZN12_GLOBAL__N_120geam_min_plus_kernelIf15HIP_vector_typeIfLj2EEfLi32ELi8ELi128ELi128ELi4ELi4ELi64ELi4ELi64ELc84ELc78ELb1ELb1ELb1EfKPKfKPfEEviiiT16_PT17_ilSA_ilS8_SA_ilPT18_ili26rocblas_geam_ex_operation_.has_dyn_sized_stack, 0
	.set _ZN12_GLOBAL__N_120geam_min_plus_kernelIf15HIP_vector_typeIfLj2EEfLi32ELi8ELi128ELi128ELi4ELi4ELi64ELi4ELi64ELc84ELc78ELb1ELb1ELb1EfKPKfKPfEEviiiT16_PT17_ilSA_ilS8_SA_ilPT18_ili26rocblas_geam_ex_operation_.has_recursion, 0
	.set _ZN12_GLOBAL__N_120geam_min_plus_kernelIf15HIP_vector_typeIfLj2EEfLi32ELi8ELi128ELi128ELi4ELi4ELi64ELi4ELi64ELc84ELc78ELb1ELb1ELb1EfKPKfKPfEEviiiT16_PT17_ilSA_ilS8_SA_ilPT18_ili26rocblas_geam_ex_operation_.has_indirect_call, 0
	.section	.AMDGPU.csdata,"",@progbits
; Kernel info:
; codeLenInByte = 14628
; TotalNumSgprs: 42
; NumVgprs: 140
; NumAgprs: 0
; TotalNumVgprs: 140
; ScratchSize: 0
; MemoryBound: 0
; FloatMode: 240
; IeeeMode: 1
; LDSByteSize: 8192 bytes/workgroup (compile time only)
; SGPRBlocks: 5
; VGPRBlocks: 17
; NumSGPRsForWavesPerEU: 42
; NumVGPRsForWavesPerEU: 140
; AccumOffset: 140
; Occupancy: 3
; WaveLimiterHint : 1
; COMPUTE_PGM_RSRC2:SCRATCH_EN: 0
; COMPUTE_PGM_RSRC2:USER_SGPR: 2
; COMPUTE_PGM_RSRC2:TRAP_HANDLER: 0
; COMPUTE_PGM_RSRC2:TGID_X_EN: 1
; COMPUTE_PGM_RSRC2:TGID_Y_EN: 0
; COMPUTE_PGM_RSRC2:TGID_Z_EN: 1
; COMPUTE_PGM_RSRC2:TIDIG_COMP_CNT: 1
; COMPUTE_PGM_RSRC3_GFX90A:ACCUM_OFFSET: 34
; COMPUTE_PGM_RSRC3_GFX90A:TG_SPLIT: 0
	.section	.text._ZN12_GLOBAL__N_120geam_min_plus_kernelIf15HIP_vector_typeIfLj2EEfLi32ELi8ELi128ELi128ELi4ELi4ELi64ELi4ELi64ELc84ELc78ELb0ELb1ELb1EfKPKfKPfEEviiiT16_PT17_ilSA_ilS8_SA_ilPT18_ili26rocblas_geam_ex_operation_,"axG",@progbits,_ZN12_GLOBAL__N_120geam_min_plus_kernelIf15HIP_vector_typeIfLj2EEfLi32ELi8ELi128ELi128ELi4ELi4ELi64ELi4ELi64ELc84ELc78ELb0ELb1ELb1EfKPKfKPfEEviiiT16_PT17_ilSA_ilS8_SA_ilPT18_ili26rocblas_geam_ex_operation_,comdat
	.globl	_ZN12_GLOBAL__N_120geam_min_plus_kernelIf15HIP_vector_typeIfLj2EEfLi32ELi8ELi128ELi128ELi4ELi4ELi64ELi4ELi64ELc84ELc78ELb0ELb1ELb1EfKPKfKPfEEviiiT16_PT17_ilSA_ilS8_SA_ilPT18_ili26rocblas_geam_ex_operation_ ; -- Begin function _ZN12_GLOBAL__N_120geam_min_plus_kernelIf15HIP_vector_typeIfLj2EEfLi32ELi8ELi128ELi128ELi4ELi4ELi64ELi4ELi64ELc84ELc78ELb0ELb1ELb1EfKPKfKPfEEviiiT16_PT17_ilSA_ilS8_SA_ilPT18_ili26rocblas_geam_ex_operation_
	.p2align	8
	.type	_ZN12_GLOBAL__N_120geam_min_plus_kernelIf15HIP_vector_typeIfLj2EEfLi32ELi8ELi128ELi128ELi4ELi4ELi64ELi4ELi64ELc84ELc78ELb0ELb1ELb1EfKPKfKPfEEviiiT16_PT17_ilSA_ilS8_SA_ilPT18_ili26rocblas_geam_ex_operation_,@function
_ZN12_GLOBAL__N_120geam_min_plus_kernelIf15HIP_vector_typeIfLj2EEfLi32ELi8ELi128ELi128ELi4ELi4ELi64ELi4ELi64ELc84ELc78ELb0ELb1ELb1EfKPKfKPfEEviiiT16_PT17_ilSA_ilS8_SA_ilPT18_ili26rocblas_geam_ex_operation_: ; @_ZN12_GLOBAL__N_120geam_min_plus_kernelIf15HIP_vector_typeIfLj2EEfLi32ELi8ELi128ELi128ELi4ELi4ELi64ELi4ELi64ELc84ELc78ELb0ELb1ELb1EfKPKfKPfEEviiiT16_PT17_ilSA_ilS8_SA_ilPT18_ili26rocblas_geam_ex_operation_
; %bb.0:
	s_load_dwordx4 s[12:15], s[0:1], 0x0
	s_load_dwordx4 s[4:7], s[0:1], 0x20
	s_mov_b32 s8, s3
	s_mov_b32 s9, 0
	s_waitcnt lgkmcnt(0)
	v_cmp_eq_f32_e64 s[10:11], s15, 0
	s_and_b64 vcc, exec, s[10:11]
	s_cbranch_vccnz .LBB14_3
; %bb.1:
	s_load_dwordx2 s[16:17], s[0:1], 0x10
	s_lshl_b64 s[18:19], s[8:9], 3
	s_waitcnt lgkmcnt(0)
	s_add_u32 s16, s16, s18
	s_addc_u32 s17, s17, s19
	s_load_dwordx2 s[16:17], s[16:17], 0x0
	s_lshl_b64 s[4:5], s[4:5], 2
	s_waitcnt lgkmcnt(0)
	s_add_u32 s22, s16, s4
	s_addc_u32 s23, s17, s5
	s_andn2_b64 vcc, exec, s[10:11]
	s_cbranch_vccnz .LBB14_4
.LBB14_2:
	s_mov_b32 s11, 0
	s_mov_b32 s10, s8
	s_mov_b64 s[16:17], 0
	s_mov_b64 s[24:25], 0
	s_cbranch_execz .LBB14_5
	s_branch .LBB14_6
.LBB14_3:
	s_mov_b64 s[22:23], 0
	s_andn2_b64 vcc, exec, s[10:11]
	s_cbranch_vccz .LBB14_2
.LBB14_4:
	s_mov_b64 s[10:11], s[8:9]
	s_mov_b64 s[16:17], 0
	;; [unrolled: 1-line block ×3, first 2 shown]
.LBB14_5:
	s_lshl_b64 s[8:9], s[8:9], 3
	s_add_u32 s6, s6, s8
	s_load_dwordx2 s[4:5], s[0:1], 0x38
	s_addc_u32 s7, s7, s9
	s_load_dwordx2 s[6:7], s[6:7], 0x0
	s_waitcnt lgkmcnt(0)
	s_lshl_b64 s[4:5], s[4:5], 2
	s_add_u32 s24, s6, s4
	s_addc_u32 s25, s7, s5
.LBB14_6:
	s_load_dword s28, s[0:1], 0x40
	s_load_dwordx4 s[4:7], s[0:1], 0x58
	s_waitcnt lgkmcnt(0)
	v_cmp_eq_f32_e64 s[8:9], s28, 0
	v_cmp_neq_f32_e64 s[18:19], s28, 0
	s_and_b64 vcc, exec, s[8:9]
	s_cbranch_vccnz .LBB14_8
; %bb.7:
	s_load_dwordx2 s[8:9], s[0:1], 0x48
	s_lshl_b64 s[16:17], s[10:11], 3
	s_waitcnt lgkmcnt(0)
	s_add_u32 s8, s8, s16
	s_addc_u32 s9, s9, s17
	s_load_dwordx2 s[8:9], s[8:9], 0x0
	s_lshl_b64 s[4:5], s[4:5], 2
	s_waitcnt lgkmcnt(0)
	s_add_u32 s16, s8, s4
	s_addc_u32 s17, s9, s5
.LBB14_8:
	s_lshl_b64 s[4:5], s[10:11], 3
	s_add_u32 s20, s6, s4
	s_addc_u32 s21, s7, s5
	s_add_i32 s3, s12, -1
	s_ashr_i32 s4, s3, 31
	s_lshr_b32 s4, s4, 25
	s_add_i32 s3, s3, s4
	s_ashr_i32 s3, s3, 7
	s_add_i32 s4, s3, 1
	v_cvt_f32_u32_e32 v1, s4
	s_not_b32 s3, s3
	v_and_b32_e32 v85, 0x3ff, v0
	v_bfe_u32 v86, v0, 10, 10
	v_rcp_iflag_f32_e32 v1, v1
	v_and_b32_e32 v94, 3, v0
	v_lshl_add_u32 v0, v86, 5, v85
	s_load_dword s34, s[0:1], 0x18
	v_mul_f32_e32 v1, 0x4f7ffffe, v1
	v_cvt_u32_f32_e32 v1, v1
	v_lshrrev_b32_e32 v13, 2, v0
	v_cmp_le_i32_e32 vcc, s14, v94
	v_cmp_eq_f32_e64 s[26:27], s15, 0
	v_readfirstlane_b32 s5, v1
	s_mul_i32 s3, s3, s5
	s_mul_hi_u32 s3, s5, s3
	s_add_i32 s5, s5, s3
	s_mul_hi_u32 s3, s2, s5
	s_mul_i32 s5, s3, s4
	s_sub_i32 s5, s2, s5
	s_add_i32 s6, s3, 1
	s_sub_i32 s7, s5, s4
	s_cmp_ge_u32 s5, s4
	s_cselect_b32 s3, s6, s3
	s_cselect_b32 s5, s7, s5
	s_add_i32 s6, s3, 1
	s_cmp_ge_u32 s5, s4
	s_cselect_b32 s8, s6, s3
	s_mul_i32 s3, s8, s4
	s_sub_i32 s2, s2, s3
	s_lshl_b32 s29, s2, 7
	v_add_u32_e32 v12, s29, v13
	s_add_i32 s31, s14, -1
	v_min_i32_e32 v0, s31, v94
	v_cmp_le_i32_e64 s[2:3], s12, v12
	v_ashrrev_i32_e32 v1, 31, v0
	v_mov_b32_e32 v5, 0x7f7fffff
	s_or_b64 s[4:5], vcc, s[2:3]
	v_lshl_add_u64 v[2:3], v[0:1], 2, s[22:23]
	v_cndmask_b32_e64 v4, 0, v5, s[4:5]
	s_nor_b64 s[6:7], s[26:27], s[4:5]
	s_and_saveexec_b64 s[4:5], s[6:7]
	s_cbranch_execz .LBB14_10
; %bb.9:
	s_waitcnt lgkmcnt(0)
	v_mad_i64_i32 v[6:7], s[6:7], v12, s34, 0
	v_lshl_add_u64 v[6:7], v[6:7], 2, v[2:3]
	flat_load_dword v4, v[6:7]
	s_waitcnt vmcnt(0) lgkmcnt(0)
	v_mul_f32_e32 v4, s15, v4
.LBB14_10:
	s_or_b64 exec, exec, s[4:5]
	v_add_u32_e32 v14, 64, v12
	v_cmp_le_i32_e64 s[4:5], s12, v14
	s_or_b64 s[6:7], vcc, s[4:5]
	v_cndmask_b32_e64 v5, 0, v5, s[6:7]
	s_nor_b64 s[10:11], s[26:27], s[6:7]
	s_and_saveexec_b64 s[6:7], s[10:11]
	s_cbranch_execz .LBB14_12
; %bb.11:
	s_waitcnt lgkmcnt(0)
	v_mad_i64_i32 v[6:7], s[10:11], v14, s34, 0
	v_lshl_add_u64 v[2:3], v[6:7], 2, v[2:3]
	flat_load_dword v2, v[2:3]
	s_waitcnt vmcnt(0) lgkmcnt(0)
	v_mul_f32_e32 v5, s15, v2
.LBB14_12:
	s_or_b64 exec, exec, s[6:7]
	s_load_dword s35, s[0:1], 0x30
	s_lshl_b32 s30, s8, 7
	v_add_u32_e32 v15, s30, v13
	v_cmp_le_i32_e64 s[6:7], s13, v15
	v_mov_b32_e32 v2, 0x7f7fffff
	s_or_b64 s[8:9], vcc, s[6:7]
	v_lshl_add_u64 v[0:1], v[0:1], 2, s[24:25]
	v_cndmask_b32_e64 v6, 0, v2, s[8:9]
	s_nor_b64 s[10:11], s[26:27], s[8:9]
	s_and_saveexec_b64 s[8:9], s[10:11]
	s_cbranch_execz .LBB14_14
; %bb.13:
	s_waitcnt lgkmcnt(0)
	v_mad_i64_i32 v[6:7], s[10:11], v15, s35, 0
	v_lshl_add_u64 v[6:7], v[6:7], 2, v[0:1]
	flat_load_dword v3, v[6:7]
	s_waitcnt vmcnt(0) lgkmcnt(0)
	v_mul_f32_e32 v6, s15, v3
.LBB14_14:
	s_or_b64 exec, exec, s[8:9]
	v_add_u32_e32 v16, 64, v15
	v_cmp_le_i32_e64 s[8:9], s13, v16
	s_or_b64 vcc, vcc, s[8:9]
	v_cndmask_b32_e32 v7, 0, v2, vcc
	s_nor_b64 s[36:37], s[26:27], vcc
	s_and_saveexec_b64 s[10:11], s[36:37]
	s_cbranch_execz .LBB14_16
; %bb.15:
	s_waitcnt lgkmcnt(0)
	v_mad_i64_i32 v[2:3], s[36:37], v16, s35, 0
	v_lshl_add_u64 v[0:1], v[2:3], 2, v[0:1]
	flat_load_dword v0, v[0:1]
	s_waitcnt vmcnt(0) lgkmcnt(0)
	v_mul_f32_e32 v7, s15, v0
.LBB14_16:
	s_or_b64 exec, exec, s[10:11]
	v_or_b32_e32 v0, 4, v94
	v_cmp_le_i32_e32 vcc, s14, v0
	v_min_i32_e32 v0, s31, v0
	v_ashrrev_i32_e32 v1, 31, v0
	v_mov_b32_e32 v8, 0x7f7fffff
	s_or_b64 s[10:11], vcc, s[2:3]
	v_lshl_add_u64 v[2:3], v[0:1], 2, s[22:23]
	v_cndmask_b32_e64 v17, 0, v8, s[10:11]
	s_nor_b64 s[36:37], s[26:27], s[10:11]
	s_and_saveexec_b64 s[10:11], s[36:37]
	s_cbranch_execz .LBB14_18
; %bb.17:
	s_waitcnt lgkmcnt(0)
	v_mad_i64_i32 v[10:11], s[36:37], v12, s34, 0
	v_lshl_add_u64 v[10:11], v[10:11], 2, v[2:3]
	flat_load_dword v9, v[10:11]
	s_waitcnt vmcnt(0) lgkmcnt(0)
	v_mul_f32_e32 v17, s15, v9
.LBB14_18:
	s_or_b64 exec, exec, s[10:11]
	s_or_b64 s[10:11], vcc, s[4:5]
	v_cndmask_b32_e64 v18, 0, v8, s[10:11]
	s_nor_b64 s[36:37], s[26:27], s[10:11]
	s_and_saveexec_b64 s[10:11], s[36:37]
	s_cbranch_execz .LBB14_20
; %bb.19:
	s_waitcnt lgkmcnt(0)
	v_mad_i64_i32 v[8:9], s[36:37], v14, s34, 0
	v_lshl_add_u64 v[2:3], v[8:9], 2, v[2:3]
	flat_load_dword v2, v[2:3]
	s_waitcnt vmcnt(0) lgkmcnt(0)
	v_mul_f32_e32 v18, s15, v2
.LBB14_20:
	s_or_b64 exec, exec, s[10:11]
	v_mov_b32_e32 v2, 0x7f7fffff
	s_or_b64 s[10:11], vcc, s[6:7]
	v_lshl_add_u64 v[0:1], v[0:1], 2, s[24:25]
	v_cndmask_b32_e64 v19, 0, v2, s[10:11]
	s_nor_b64 s[36:37], s[26:27], s[10:11]
	s_and_saveexec_b64 s[10:11], s[36:37]
	s_cbranch_execz .LBB14_22
; %bb.21:
	s_waitcnt lgkmcnt(0)
	v_mad_i64_i32 v[8:9], s[36:37], v15, s35, 0
	v_lshl_add_u64 v[8:9], v[8:9], 2, v[0:1]
	flat_load_dword v3, v[8:9]
	s_waitcnt vmcnt(0) lgkmcnt(0)
	v_mul_f32_e32 v19, s15, v3
.LBB14_22:
	s_or_b64 exec, exec, s[10:11]
	s_load_dwordx2 s[20:21], s[20:21], 0x0
	s_or_b64 vcc, vcc, s[8:9]
	v_cndmask_b32_e32 v20, 0, v2, vcc
	s_nor_b64 s[36:37], s[26:27], vcc
	s_mov_b32 s33, 0
	s_and_saveexec_b64 s[10:11], s[36:37]
	s_cbranch_execz .LBB14_24
; %bb.23:
	s_waitcnt lgkmcnt(0)
	v_mad_i64_i32 v[2:3], s[36:37], v16, s35, 0
	v_lshl_add_u64 v[0:1], v[2:3], 2, v[0:1]
	flat_load_dword v0, v[0:1]
	s_waitcnt vmcnt(0) lgkmcnt(0)
	v_mul_f32_e32 v20, s15, v0
.LBB14_24:
	s_or_b64 exec, exec, s[10:11]
	v_lshlrev_b32_e32 v0, 4, v13
	v_lshl_or_b32 v95, v94, 2, v0
	v_mov_b32_e32 v0, 0x1000
	v_add_u32_e32 v96, 0x1000, v95
	v_lshlrev_b32_e32 v97, 4, v85
	v_lshl_add_u32 v98, v86, 4, v0
	v_mov_b32_e32 v93, 0x7f7fffff
	s_mov_b64 s[10:11], -1
	v_mov_b32_e32 v92, 0x7f7fffff
	v_mov_b32_e32 v91, 0x7f7fffff
	;; [unrolled: 1-line block ×63, first 2 shown]
	ds_write2st64_b32 v95, v4, v5 offset1:4
	ds_write2st64_b32 v95, v6, v7 offset0:16 offset1:20
	s_waitcnt lgkmcnt(0)
	s_barrier
.LBB14_25:                              ; =>This Inner Loop Header: Depth=1
	v_cndmask_b32_e64 v0, 0, 1, s[10:11]
	s_lshl_b32 s10, s33, 2
	v_cmp_ne_u32_e32 vcc, 1, v0
	v_add_u32_e32 v0, s10, v97
	ds_read2st64_b64 v[4:7], v0 offset1:1
	ds_read2st64_b64 v[0:3], v0 offset0:2 offset1:3
	v_add_u32_e32 v8, s10, v98
	ds_read2_b64 v[22:25], v8 offset1:16
	ds_read2_b64 v[100:103], v8 offset0:32 offset1:48
	ds_read2_b64 v[104:107], v8 offset0:64 offset1:80
	;; [unrolled: 1-line block ×7, first 2 shown]
	s_mov_b64 s[10:11], 0
	s_waitcnt lgkmcnt(7)
	v_pk_add_f32 v[26:27], v[4:5], v[22:23]
	s_and_b64 vcc, exec, vcc
	v_min3_f32 v93, v26, v27, v93
	v_pk_add_f32 v[26:27], v[6:7], v[22:23]
	s_mov_b32 s33, 2
	v_min3_f32 v92, v26, v27, v92
	v_pk_add_f32 v[26:27], v[0:1], v[22:23]
	v_pk_add_f32 v[22:23], v[2:3], v[22:23]
	v_min3_f32 v91, v26, v27, v91
	v_min3_f32 v90, v22, v23, v90
	v_pk_add_f32 v[22:23], v[4:5], v[24:25]
	s_nop 0
	v_min3_f32 v89, v22, v23, v89
	v_pk_add_f32 v[22:23], v[6:7], v[24:25]
	s_nop 0
	v_min3_f32 v88, v22, v23, v88
	v_pk_add_f32 v[22:23], v[0:1], v[24:25]
	s_nop 0
	v_min3_f32 v87, v22, v23, v87
	v_pk_add_f32 v[22:23], v[2:3], v[24:25]
	s_nop 0
	v_min3_f32 v84, v22, v23, v84
	s_waitcnt lgkmcnt(6)
	v_pk_add_f32 v[22:23], v[4:5], v[100:101]
	s_nop 0
	v_min3_f32 v83, v22, v23, v83
	v_pk_add_f32 v[22:23], v[6:7], v[100:101]
	s_nop 0
	v_min3_f32 v82, v22, v23, v82
	v_pk_add_f32 v[22:23], v[0:1], v[100:101]
	s_nop 0
	v_min3_f32 v81, v22, v23, v81
	v_pk_add_f32 v[22:23], v[2:3], v[100:101]
	s_nop 0
	v_min3_f32 v80, v22, v23, v80
	v_pk_add_f32 v[22:23], v[4:5], v[102:103]
	s_nop 0
	v_min3_f32 v79, v22, v23, v79
	v_pk_add_f32 v[22:23], v[6:7], v[102:103]
	s_nop 0
	v_min3_f32 v78, v22, v23, v78
	v_pk_add_f32 v[22:23], v[0:1], v[102:103]
	s_nop 0
	v_min3_f32 v77, v22, v23, v77
	v_pk_add_f32 v[22:23], v[2:3], v[102:103]
	s_nop 0
	v_min3_f32 v76, v22, v23, v76
	s_waitcnt lgkmcnt(5)
	v_pk_add_f32 v[22:23], v[4:5], v[104:105]
	s_nop 0
	v_min3_f32 v75, v22, v23, v75
	v_pk_add_f32 v[22:23], v[6:7], v[104:105]
	s_nop 0
	v_min3_f32 v74, v22, v23, v74
	v_pk_add_f32 v[22:23], v[0:1], v[104:105]
	s_nop 0
	v_min3_f32 v73, v22, v23, v73
	v_pk_add_f32 v[22:23], v[2:3], v[104:105]
	s_nop 0
	;; [unrolled: 25-line block ×6, first 2 shown]
	v_min3_f32 v40, v22, v23, v40
	v_pk_add_f32 v[22:23], v[4:5], v[122:123]
	s_nop 0
	v_min3_f32 v39, v22, v23, v39
	v_pk_add_f32 v[22:23], v[6:7], v[122:123]
	s_nop 0
	;; [unrolled: 3-line block ×4, first 2 shown]
	v_min3_f32 v36, v22, v23, v36
	s_waitcnt lgkmcnt(0)
	v_pk_add_f32 v[22:23], v[4:5], v[8:9]
	v_pk_add_f32 v[4:5], v[4:5], v[10:11]
	v_min3_f32 v35, v22, v23, v35
	v_pk_add_f32 v[22:23], v[6:7], v[8:9]
	v_min3_f32 v31, v4, v5, v31
	v_min3_f32 v34, v22, v23, v34
	v_pk_add_f32 v[22:23], v[0:1], v[8:9]
	v_pk_add_f32 v[0:1], v[0:1], v[10:11]
	;; [unrolled: 1-line block ×4, first 2 shown]
	v_min3_f32 v29, v0, v1, v29
	v_pk_add_f32 v[0:1], v[2:3], v[10:11]
	v_min3_f32 v33, v22, v23, v33
	v_min3_f32 v32, v8, v9, v32
	;; [unrolled: 1-line block ×4, first 2 shown]
	s_cbranch_vccz .LBB14_25
; %bb.26:
	v_lshlrev_b32_e32 v0, 2, v94
	v_lshl_or_b32 v0, v13, 4, v0
	s_cmp_lt_i32 s14, 9
	ds_write2st64_b32 v0, v17, v18 offset0:8 offset1:12
	ds_write2st64_b32 v0, v19, v20 offset0:24 offset1:28
	s_waitcnt lgkmcnt(0)
	s_barrier
	s_cbranch_scc1 .LBB14_49
; %bb.27:
	v_add_u32_e32 v99, 0x800, v0
	v_add_u32_e32 v100, 0x1800, v0
	v_mov_b32_e32 v0, 0x800
	v_lshl_add_u32 v101, v85, 4, v0
	v_mov_b32_e32 v0, 0x1800
	s_add_i32 s33, s14, -8
	v_mad_i64_i32 v[20:21], s[10:11], v12, s34, 0
	v_mad_i64_i32 v[22:23], s[10:11], v14, s34, 0
	v_mad_i64_i32 v[24:25], s[10:11], v15, s35, 0
	v_mad_i64_i32 v[26:27], s[10:11], v16, s35, 0
	v_lshl_add_u32 v102, v86, 4, v0
	s_mov_b32 s34, 8
	s_mov_b32 s35, 0
	v_mov_b32_e32 v103, 0x7f7fffff
.LBB14_28:                              ; =>This Loop Header: Depth=1
                                        ;     Child Loop BB14_37 Depth 2
                                        ;     Child Loop BB14_47 Depth 2
	v_or_b32_e32 v104, s34, v94
	v_cmp_le_i32_e32 vcc, s14, v104
	v_min_i32_e32 v0, s31, v104
	v_ashrrev_i32_e32 v1, 31, v0
	s_or_b64 s[10:11], s[2:3], vcc
	v_lshl_add_u64 v[2:3], v[0:1], 2, s[22:23]
	v_cndmask_b32_e64 v105, 0, v103, s[10:11]
	s_nor_b64 s[36:37], s[26:27], s[10:11]
	s_and_saveexec_b64 s[10:11], s[36:37]
	s_cbranch_execz .LBB14_30
; %bb.29:                               ;   in Loop: Header=BB14_28 Depth=1
	v_lshl_add_u64 v[4:5], v[20:21], 2, v[2:3]
	flat_load_dword v4, v[4:5]
	s_waitcnt vmcnt(0) lgkmcnt(0)
	v_mul_f32_e32 v105, s15, v4
.LBB14_30:                              ;   in Loop: Header=BB14_28 Depth=1
	s_or_b64 exec, exec, s[10:11]
	s_or_b64 s[10:11], s[4:5], vcc
	v_cndmask_b32_e64 v106, 0, v103, s[10:11]
	s_nor_b64 s[36:37], s[26:27], s[10:11]
	s_and_saveexec_b64 s[10:11], s[36:37]
	s_cbranch_execz .LBB14_32
; %bb.31:                               ;   in Loop: Header=BB14_28 Depth=1
	v_lshl_add_u64 v[2:3], v[22:23], 2, v[2:3]
	flat_load_dword v2, v[2:3]
	s_waitcnt vmcnt(0) lgkmcnt(0)
	v_mul_f32_e32 v106, s15, v2
.LBB14_32:                              ;   in Loop: Header=BB14_28 Depth=1
	s_or_b64 exec, exec, s[10:11]
	s_or_b64 s[10:11], s[6:7], vcc
	v_lshl_add_u64 v[0:1], v[0:1], 2, s[24:25]
	v_cndmask_b32_e64 v107, 0, v103, s[10:11]
	s_nor_b64 s[36:37], s[26:27], s[10:11]
	s_and_saveexec_b64 s[10:11], s[36:37]
	s_cbranch_execz .LBB14_34
; %bb.33:                               ;   in Loop: Header=BB14_28 Depth=1
	v_lshl_add_u64 v[2:3], v[24:25], 2, v[0:1]
	flat_load_dword v2, v[2:3]
	s_waitcnt vmcnt(0) lgkmcnt(0)
	v_mul_f32_e32 v107, s15, v2
.LBB14_34:                              ;   in Loop: Header=BB14_28 Depth=1
	s_or_b64 exec, exec, s[10:11]
	s_or_b64 vcc, s[8:9], vcc
	v_cndmask_b32_e32 v108, 0, v103, vcc
	s_nor_b64 s[36:37], s[26:27], vcc
	s_and_saveexec_b64 s[10:11], s[36:37]
	s_cbranch_execz .LBB14_36
; %bb.35:                               ;   in Loop: Header=BB14_28 Depth=1
	v_lshl_add_u64 v[0:1], v[26:27], 2, v[0:1]
	flat_load_dword v0, v[0:1]
	s_waitcnt vmcnt(0) lgkmcnt(0)
	v_mul_f32_e32 v108, s15, v0
.LBB14_36:                              ;   in Loop: Header=BB14_28 Depth=1
	s_or_b64 exec, exec, s[10:11]
	s_mov_b32 s36, 0
	s_mov_b64 s[10:11], -1
.LBB14_37:                              ;   Parent Loop BB14_28 Depth=1
                                        ; =>  This Inner Loop Header: Depth=2
	v_cndmask_b32_e64 v0, 0, 1, s[10:11]
	s_lshl_b32 s10, s36, 2
	v_cmp_ne_u32_e32 vcc, 1, v0
	v_add_u32_e32 v0, s10, v101
	ds_read2st64_b64 v[4:7], v0 offset1:1
	ds_read2st64_b64 v[0:3], v0 offset0:2 offset1:3
	v_add_u32_e32 v8, s10, v102
	ds_read2_b64 v[110:113], v8 offset1:16
	ds_read2_b64 v[114:117], v8 offset0:32 offset1:48
	ds_read2_b64 v[118:121], v8 offset0:64 offset1:80
	ds_read2_b64 v[122:125], v8 offset0:96 offset1:112
	ds_read2_b64 v[126:129], v8 offset0:128 offset1:144
	ds_read2_b64 v[16:19], v8 offset0:160 offset1:176
	ds_read2_b64 v[12:15], v8 offset0:192 offset1:208
	ds_read2_b64 v[8:11], v8 offset0:224 offset1:240
	s_mov_b64 s[10:11], 0
	s_waitcnt lgkmcnt(7)
	v_pk_add_f32 v[130:131], v[4:5], v[110:111]
	s_and_b64 vcc, exec, vcc
	v_min3_f32 v93, v130, v131, v93
	v_pk_add_f32 v[130:131], v[6:7], v[110:111]
	s_mov_b32 s36, 2
	v_min3_f32 v92, v130, v131, v92
	v_pk_add_f32 v[130:131], v[0:1], v[110:111]
	v_pk_add_f32 v[110:111], v[2:3], v[110:111]
	v_min3_f32 v91, v130, v131, v91
	v_min3_f32 v90, v110, v111, v90
	v_pk_add_f32 v[110:111], v[4:5], v[112:113]
	s_nop 0
	v_min3_f32 v89, v110, v111, v89
	v_pk_add_f32 v[110:111], v[6:7], v[112:113]
	s_nop 0
	v_min3_f32 v88, v110, v111, v88
	v_pk_add_f32 v[110:111], v[0:1], v[112:113]
	s_nop 0
	v_min3_f32 v87, v110, v111, v87
	v_pk_add_f32 v[110:111], v[2:3], v[112:113]
	s_nop 0
	v_min3_f32 v84, v110, v111, v84
	s_waitcnt lgkmcnt(6)
	v_pk_add_f32 v[110:111], v[4:5], v[114:115]
	s_nop 0
	v_min3_f32 v83, v110, v111, v83
	v_pk_add_f32 v[110:111], v[6:7], v[114:115]
	s_nop 0
	v_min3_f32 v82, v110, v111, v82
	v_pk_add_f32 v[110:111], v[0:1], v[114:115]
	s_nop 0
	v_min3_f32 v81, v110, v111, v81
	v_pk_add_f32 v[110:111], v[2:3], v[114:115]
	s_nop 0
	v_min3_f32 v80, v110, v111, v80
	v_pk_add_f32 v[110:111], v[4:5], v[116:117]
	s_nop 0
	v_min3_f32 v79, v110, v111, v79
	v_pk_add_f32 v[110:111], v[6:7], v[116:117]
	s_nop 0
	v_min3_f32 v78, v110, v111, v78
	v_pk_add_f32 v[110:111], v[0:1], v[116:117]
	s_nop 0
	v_min3_f32 v77, v110, v111, v77
	v_pk_add_f32 v[110:111], v[2:3], v[116:117]
	s_nop 0
	v_min3_f32 v76, v110, v111, v76
	s_waitcnt lgkmcnt(5)
	v_pk_add_f32 v[110:111], v[4:5], v[118:119]
	s_nop 0
	v_min3_f32 v75, v110, v111, v75
	v_pk_add_f32 v[110:111], v[6:7], v[118:119]
	s_nop 0
	v_min3_f32 v74, v110, v111, v74
	v_pk_add_f32 v[110:111], v[0:1], v[118:119]
	s_nop 0
	v_min3_f32 v73, v110, v111, v73
	v_pk_add_f32 v[110:111], v[2:3], v[118:119]
	s_nop 0
	;; [unrolled: 25-line block ×4, first 2 shown]
	v_min3_f32 v56, v110, v111, v56
	v_pk_add_f32 v[110:111], v[4:5], v[128:129]
	s_nop 0
	v_min3_f32 v55, v110, v111, v55
	v_pk_add_f32 v[110:111], v[6:7], v[128:129]
	s_nop 0
	;; [unrolled: 3-line block ×4, first 2 shown]
	v_min3_f32 v52, v110, v111, v52
	s_waitcnt lgkmcnt(2)
	v_pk_add_f32 v[110:111], v[4:5], v[16:17]
	s_nop 0
	v_min3_f32 v51, v110, v111, v51
	v_pk_add_f32 v[110:111], v[6:7], v[16:17]
	s_nop 0
	v_min3_f32 v50, v110, v111, v50
	v_pk_add_f32 v[110:111], v[0:1], v[16:17]
	v_pk_add_f32 v[16:17], v[2:3], v[16:17]
	v_min3_f32 v49, v110, v111, v49
	v_min3_f32 v48, v16, v17, v48
	v_pk_add_f32 v[16:17], v[4:5], v[18:19]
	s_nop 0
	v_min3_f32 v47, v16, v17, v47
	v_pk_add_f32 v[16:17], v[6:7], v[18:19]
	s_nop 0
	;; [unrolled: 3-line block ×4, first 2 shown]
	v_min3_f32 v44, v16, v17, v44
	s_waitcnt lgkmcnt(1)
	v_pk_add_f32 v[16:17], v[4:5], v[12:13]
	s_nop 0
	v_min3_f32 v43, v16, v17, v43
	v_pk_add_f32 v[16:17], v[6:7], v[12:13]
	s_nop 0
	v_min3_f32 v42, v16, v17, v42
	v_pk_add_f32 v[16:17], v[0:1], v[12:13]
	v_pk_add_f32 v[12:13], v[2:3], v[12:13]
	v_min3_f32 v41, v16, v17, v41
	v_min3_f32 v40, v12, v13, v40
	v_pk_add_f32 v[12:13], v[4:5], v[14:15]
	s_nop 0
	v_min3_f32 v39, v12, v13, v39
	v_pk_add_f32 v[12:13], v[6:7], v[14:15]
	s_nop 0
	;; [unrolled: 3-line block ×4, first 2 shown]
	v_min3_f32 v36, v12, v13, v36
	s_waitcnt lgkmcnt(0)
	v_pk_add_f32 v[12:13], v[4:5], v[8:9]
	v_pk_add_f32 v[4:5], v[4:5], v[10:11]
	v_min3_f32 v35, v12, v13, v35
	v_pk_add_f32 v[12:13], v[6:7], v[8:9]
	v_min3_f32 v31, v4, v5, v31
	v_min3_f32 v34, v12, v13, v34
	v_pk_add_f32 v[12:13], v[0:1], v[8:9]
	v_pk_add_f32 v[0:1], v[0:1], v[10:11]
	;; [unrolled: 1-line block ×4, first 2 shown]
	v_min3_f32 v29, v0, v1, v29
	v_pk_add_f32 v[0:1], v[2:3], v[10:11]
	v_min3_f32 v33, v12, v13, v33
	v_min3_f32 v32, v8, v9, v32
	;; [unrolled: 1-line block ×4, first 2 shown]
	s_cbranch_vccz .LBB14_37
; %bb.38:                               ;   in Loop: Header=BB14_28 Depth=1
	v_or_b32_e32 v0, 4, v104
	v_cmp_le_i32_e32 vcc, s14, v0
	v_min_i32_e32 v0, s31, v0
	v_ashrrev_i32_e32 v1, 31, v0
	s_or_b64 s[10:11], s[2:3], vcc
	v_lshl_add_u64 v[2:3], v[0:1], 2, s[22:23]
	v_cndmask_b32_e64 v12, 0, v103, s[10:11]
	s_nor_b64 s[36:37], s[26:27], s[10:11]
	ds_write2st64_b32 v95, v105, v106 offset1:4
	ds_write2st64_b32 v96, v107, v108 offset1:4
	s_waitcnt lgkmcnt(0)
	s_barrier
	s_and_saveexec_b64 s[10:11], s[36:37]
	s_cbranch_execz .LBB14_40
; %bb.39:                               ;   in Loop: Header=BB14_28 Depth=1
	v_lshl_add_u64 v[4:5], v[20:21], 2, v[2:3]
	flat_load_dword v4, v[4:5]
	s_waitcnt vmcnt(0) lgkmcnt(0)
	v_mul_f32_e32 v12, s15, v4
.LBB14_40:                              ;   in Loop: Header=BB14_28 Depth=1
	s_or_b64 exec, exec, s[10:11]
	s_or_b64 s[10:11], s[4:5], vcc
	v_cndmask_b32_e64 v13, 0, v103, s[10:11]
	s_nor_b64 s[36:37], s[26:27], s[10:11]
	s_and_saveexec_b64 s[10:11], s[36:37]
	s_cbranch_execz .LBB14_42
; %bb.41:                               ;   in Loop: Header=BB14_28 Depth=1
	v_lshl_add_u64 v[2:3], v[22:23], 2, v[2:3]
	flat_load_dword v2, v[2:3]
	s_waitcnt vmcnt(0) lgkmcnt(0)
	v_mul_f32_e32 v13, s15, v2
.LBB14_42:                              ;   in Loop: Header=BB14_28 Depth=1
	s_or_b64 exec, exec, s[10:11]
	s_or_b64 s[10:11], s[6:7], vcc
	v_lshl_add_u64 v[0:1], v[0:1], 2, s[24:25]
	v_cndmask_b32_e64 v14, 0, v103, s[10:11]
	s_nor_b64 s[36:37], s[26:27], s[10:11]
	s_and_saveexec_b64 s[10:11], s[36:37]
	s_cbranch_execz .LBB14_44
; %bb.43:                               ;   in Loop: Header=BB14_28 Depth=1
	v_lshl_add_u64 v[2:3], v[24:25], 2, v[0:1]
	flat_load_dword v2, v[2:3]
	s_waitcnt vmcnt(0) lgkmcnt(0)
	v_mul_f32_e32 v14, s15, v2
.LBB14_44:                              ;   in Loop: Header=BB14_28 Depth=1
	s_or_b64 exec, exec, s[10:11]
	s_or_b64 vcc, s[8:9], vcc
	v_cndmask_b32_e32 v15, 0, v103, vcc
	s_nor_b64 s[36:37], s[26:27], vcc
	s_and_saveexec_b64 s[10:11], s[36:37]
	s_cbranch_execz .LBB14_46
; %bb.45:                               ;   in Loop: Header=BB14_28 Depth=1
	v_lshl_add_u64 v[0:1], v[26:27], 2, v[0:1]
	flat_load_dword v0, v[0:1]
	s_waitcnt vmcnt(0) lgkmcnt(0)
	v_mul_f32_e32 v15, s15, v0
.LBB14_46:                              ;   in Loop: Header=BB14_28 Depth=1
	s_or_b64 exec, exec, s[10:11]
	s_mov_b32 s36, 0
	s_mov_b64 s[10:11], -1
.LBB14_47:                              ;   Parent Loop BB14_28 Depth=1
                                        ; =>  This Inner Loop Header: Depth=2
	v_cndmask_b32_e64 v0, 0, 1, s[10:11]
	s_lshl_b32 s10, s36, 2
	v_cmp_ne_u32_e32 vcc, 1, v0
	v_add_u32_e32 v0, s10, v97
	ds_read2st64_b64 v[4:7], v0 offset1:1
	ds_read2st64_b64 v[0:3], v0 offset0:2 offset1:3
	v_add_u32_e32 v8, s10, v98
	ds_read2_b64 v[16:19], v8 offset1:16
	ds_read2_b64 v[104:107], v8 offset0:32 offset1:48
	ds_read2_b64 v[108:111], v8 offset0:64 offset1:80
	;; [unrolled: 1-line block ×7, first 2 shown]
	s_mov_b64 s[10:11], 0
	s_waitcnt lgkmcnt(7)
	v_pk_add_f32 v[128:129], v[4:5], v[16:17]
	s_and_b64 vcc, exec, vcc
	v_min3_f32 v93, v128, v129, v93
	v_pk_add_f32 v[128:129], v[6:7], v[16:17]
	s_mov_b32 s36, 2
	v_min3_f32 v92, v128, v129, v92
	v_pk_add_f32 v[128:129], v[0:1], v[16:17]
	v_pk_add_f32 v[16:17], v[2:3], v[16:17]
	v_min3_f32 v91, v128, v129, v91
	v_min3_f32 v90, v16, v17, v90
	v_pk_add_f32 v[16:17], v[4:5], v[18:19]
	s_nop 0
	v_min3_f32 v89, v16, v17, v89
	v_pk_add_f32 v[16:17], v[6:7], v[18:19]
	s_nop 0
	v_min3_f32 v88, v16, v17, v88
	v_pk_add_f32 v[16:17], v[0:1], v[18:19]
	s_nop 0
	v_min3_f32 v87, v16, v17, v87
	v_pk_add_f32 v[16:17], v[2:3], v[18:19]
	s_nop 0
	v_min3_f32 v84, v16, v17, v84
	s_waitcnt lgkmcnt(6)
	v_pk_add_f32 v[16:17], v[4:5], v[104:105]
	s_nop 0
	v_min3_f32 v83, v16, v17, v83
	v_pk_add_f32 v[16:17], v[6:7], v[104:105]
	s_nop 0
	v_min3_f32 v82, v16, v17, v82
	v_pk_add_f32 v[16:17], v[0:1], v[104:105]
	s_nop 0
	v_min3_f32 v81, v16, v17, v81
	v_pk_add_f32 v[16:17], v[2:3], v[104:105]
	s_nop 0
	v_min3_f32 v80, v16, v17, v80
	v_pk_add_f32 v[16:17], v[4:5], v[106:107]
	s_nop 0
	v_min3_f32 v79, v16, v17, v79
	v_pk_add_f32 v[16:17], v[6:7], v[106:107]
	s_nop 0
	v_min3_f32 v78, v16, v17, v78
	v_pk_add_f32 v[16:17], v[0:1], v[106:107]
	s_nop 0
	v_min3_f32 v77, v16, v17, v77
	v_pk_add_f32 v[16:17], v[2:3], v[106:107]
	s_nop 0
	v_min3_f32 v76, v16, v17, v76
	s_waitcnt lgkmcnt(5)
	v_pk_add_f32 v[16:17], v[4:5], v[108:109]
	s_nop 0
	v_min3_f32 v75, v16, v17, v75
	v_pk_add_f32 v[16:17], v[6:7], v[108:109]
	s_nop 0
	v_min3_f32 v74, v16, v17, v74
	v_pk_add_f32 v[16:17], v[0:1], v[108:109]
	s_nop 0
	v_min3_f32 v73, v16, v17, v73
	v_pk_add_f32 v[16:17], v[2:3], v[108:109]
	s_nop 0
	v_min3_f32 v72, v16, v17, v72
	v_pk_add_f32 v[16:17], v[4:5], v[110:111]
	s_nop 0
	v_min3_f32 v71, v16, v17, v71
	v_pk_add_f32 v[16:17], v[6:7], v[110:111]
	s_nop 0
	v_min3_f32 v70, v16, v17, v70
	v_pk_add_f32 v[16:17], v[0:1], v[110:111]
	s_nop 0
	v_min3_f32 v69, v16, v17, v69
	v_pk_add_f32 v[16:17], v[2:3], v[110:111]
	s_nop 0
	v_min3_f32 v68, v16, v17, v68
	s_waitcnt lgkmcnt(4)
	v_pk_add_f32 v[16:17], v[4:5], v[112:113]
	s_nop 0
	v_min3_f32 v67, v16, v17, v67
	v_pk_add_f32 v[16:17], v[6:7], v[112:113]
	s_nop 0
	v_min3_f32 v66, v16, v17, v66
	v_pk_add_f32 v[16:17], v[0:1], v[112:113]
	s_nop 0
	v_min3_f32 v65, v16, v17, v65
	v_pk_add_f32 v[16:17], v[2:3], v[112:113]
	s_nop 0
	v_min3_f32 v64, v16, v17, v64
	v_pk_add_f32 v[16:17], v[4:5], v[114:115]
	s_nop 0
	v_min3_f32 v63, v16, v17, v63
	v_pk_add_f32 v[16:17], v[6:7], v[114:115]
	s_nop 0
	v_min3_f32 v62, v16, v17, v62
	v_pk_add_f32 v[16:17], v[0:1], v[114:115]
	s_nop 0
	v_min3_f32 v61, v16, v17, v61
	v_pk_add_f32 v[16:17], v[2:3], v[114:115]
	s_nop 0
	v_min3_f32 v60, v16, v17, v60
	s_waitcnt lgkmcnt(3)
	v_pk_add_f32 v[16:17], v[4:5], v[116:117]
	s_nop 0
	v_min3_f32 v59, v16, v17, v59
	v_pk_add_f32 v[16:17], v[6:7], v[116:117]
	s_nop 0
	v_min3_f32 v58, v16, v17, v58
	v_pk_add_f32 v[16:17], v[0:1], v[116:117]
	s_nop 0
	v_min3_f32 v57, v16, v17, v57
	v_pk_add_f32 v[16:17], v[2:3], v[116:117]
	s_nop 0
	v_min3_f32 v56, v16, v17, v56
	v_pk_add_f32 v[16:17], v[4:5], v[118:119]
	s_nop 0
	v_min3_f32 v55, v16, v17, v55
	v_pk_add_f32 v[16:17], v[6:7], v[118:119]
	s_nop 0
	v_min3_f32 v54, v16, v17, v54
	v_pk_add_f32 v[16:17], v[0:1], v[118:119]
	s_nop 0
	v_min3_f32 v53, v16, v17, v53
	v_pk_add_f32 v[16:17], v[2:3], v[118:119]
	s_nop 0
	v_min3_f32 v52, v16, v17, v52
	s_waitcnt lgkmcnt(2)
	v_pk_add_f32 v[16:17], v[4:5], v[120:121]
	s_nop 0
	v_min3_f32 v51, v16, v17, v51
	v_pk_add_f32 v[16:17], v[6:7], v[120:121]
	s_nop 0
	v_min3_f32 v50, v16, v17, v50
	v_pk_add_f32 v[16:17], v[0:1], v[120:121]
	s_nop 0
	v_min3_f32 v49, v16, v17, v49
	v_pk_add_f32 v[16:17], v[2:3], v[120:121]
	s_nop 0
	v_min3_f32 v48, v16, v17, v48
	v_pk_add_f32 v[16:17], v[4:5], v[122:123]
	s_nop 0
	v_min3_f32 v47, v16, v17, v47
	v_pk_add_f32 v[16:17], v[6:7], v[122:123]
	s_nop 0
	v_min3_f32 v46, v16, v17, v46
	v_pk_add_f32 v[16:17], v[0:1], v[122:123]
	s_nop 0
	v_min3_f32 v45, v16, v17, v45
	v_pk_add_f32 v[16:17], v[2:3], v[122:123]
	s_nop 0
	v_min3_f32 v44, v16, v17, v44
	s_waitcnt lgkmcnt(1)
	v_pk_add_f32 v[16:17], v[4:5], v[124:125]
	s_nop 0
	v_min3_f32 v43, v16, v17, v43
	v_pk_add_f32 v[16:17], v[6:7], v[124:125]
	s_nop 0
	v_min3_f32 v42, v16, v17, v42
	v_pk_add_f32 v[16:17], v[0:1], v[124:125]
	s_nop 0
	v_min3_f32 v41, v16, v17, v41
	v_pk_add_f32 v[16:17], v[2:3], v[124:125]
	s_nop 0
	v_min3_f32 v40, v16, v17, v40
	v_pk_add_f32 v[16:17], v[4:5], v[126:127]
	s_nop 0
	v_min3_f32 v39, v16, v17, v39
	v_pk_add_f32 v[16:17], v[6:7], v[126:127]
	s_nop 0
	;; [unrolled: 3-line block ×4, first 2 shown]
	v_min3_f32 v36, v16, v17, v36
	s_waitcnt lgkmcnt(0)
	v_pk_add_f32 v[16:17], v[4:5], v[8:9]
	v_pk_add_f32 v[4:5], v[4:5], v[10:11]
	v_min3_f32 v35, v16, v17, v35
	v_pk_add_f32 v[16:17], v[6:7], v[8:9]
	v_min3_f32 v31, v4, v5, v31
	v_min3_f32 v34, v16, v17, v34
	v_pk_add_f32 v[16:17], v[0:1], v[8:9]
	v_pk_add_f32 v[0:1], v[0:1], v[10:11]
	;; [unrolled: 1-line block ×4, first 2 shown]
	v_min3_f32 v29, v0, v1, v29
	v_pk_add_f32 v[0:1], v[2:3], v[10:11]
	v_min3_f32 v33, v16, v17, v33
	v_min3_f32 v32, v8, v9, v32
	v_min3_f32 v30, v4, v5, v30
	v_min3_f32 v28, v0, v1, v28
	s_cbranch_vccz .LBB14_47
; %bb.48:                               ;   in Loop: Header=BB14_28 Depth=1
	s_add_i32 s34, s34, 8
	s_add_i32 s35, s35, 8
	s_cmp_ge_i32 s35, s33
	ds_write2st64_b32 v99, v12, v13 offset1:4
	ds_write2st64_b32 v100, v14, v15 offset1:4
	s_waitcnt lgkmcnt(0)
	s_barrier
	s_cbranch_scc0 .LBB14_28
.LBB14_49:
	v_mov_b32_e32 v0, 0x800
	v_lshl_add_u32 v12, v85, 4, v0
	v_mov_b32_e32 v0, 0x1800
	v_lshl_add_u32 v13, v86, 4, v0
	s_mov_b32 s4, 0
	s_mov_b64 s[2:3], -1
.LBB14_50:                              ; =>This Inner Loop Header: Depth=1
	v_cndmask_b32_e64 v0, 0, 1, s[2:3]
	s_lshl_b32 s2, s4, 2
	v_cmp_ne_u32_e32 vcc, 1, v0
	v_add_u32_e32 v0, s2, v12
	ds_read2st64_b64 v[4:7], v0 offset1:1
	ds_read2st64_b64 v[0:3], v0 offset0:2 offset1:3
	v_add_u32_e32 v8, s2, v13
	ds_read2_b64 v[14:17], v8 offset1:16
	ds_read2_b64 v[18:21], v8 offset0:32 offset1:48
	ds_read2_b64 v[22:25], v8 offset0:64 offset1:80
	;; [unrolled: 1-line block ×7, first 2 shown]
	s_mov_b64 s[2:3], 0
	s_waitcnt lgkmcnt(7)
	v_pk_add_f32 v[26:27], v[4:5], v[14:15]
	s_and_b64 vcc, exec, vcc
	v_min3_f32 v93, v26, v27, v93
	v_pk_add_f32 v[26:27], v[6:7], v[14:15]
	s_mov_b32 s4, 2
	v_min3_f32 v92, v26, v27, v92
	v_pk_add_f32 v[26:27], v[0:1], v[14:15]
	v_pk_add_f32 v[14:15], v[2:3], v[14:15]
	v_min3_f32 v91, v26, v27, v91
	v_min3_f32 v90, v14, v15, v90
	v_pk_add_f32 v[14:15], v[4:5], v[16:17]
	s_nop 0
	v_min3_f32 v89, v14, v15, v89
	v_pk_add_f32 v[14:15], v[6:7], v[16:17]
	s_nop 0
	v_min3_f32 v88, v14, v15, v88
	v_pk_add_f32 v[14:15], v[0:1], v[16:17]
	s_nop 0
	v_min3_f32 v87, v14, v15, v87
	v_pk_add_f32 v[14:15], v[2:3], v[16:17]
	s_nop 0
	v_min3_f32 v84, v14, v15, v84
	s_waitcnt lgkmcnt(6)
	v_pk_add_f32 v[14:15], v[4:5], v[18:19]
	s_nop 0
	v_min3_f32 v83, v14, v15, v83
	v_pk_add_f32 v[14:15], v[6:7], v[18:19]
	s_nop 0
	v_min3_f32 v82, v14, v15, v82
	v_pk_add_f32 v[14:15], v[0:1], v[18:19]
	s_nop 0
	v_min3_f32 v81, v14, v15, v81
	v_pk_add_f32 v[14:15], v[2:3], v[18:19]
	s_nop 0
	v_min3_f32 v80, v14, v15, v80
	v_pk_add_f32 v[14:15], v[4:5], v[20:21]
	s_nop 0
	v_min3_f32 v79, v14, v15, v79
	v_pk_add_f32 v[14:15], v[6:7], v[20:21]
	s_nop 0
	v_min3_f32 v78, v14, v15, v78
	v_pk_add_f32 v[14:15], v[0:1], v[20:21]
	s_nop 0
	v_min3_f32 v77, v14, v15, v77
	v_pk_add_f32 v[14:15], v[2:3], v[20:21]
	s_nop 0
	v_min3_f32 v76, v14, v15, v76
	s_waitcnt lgkmcnt(5)
	v_pk_add_f32 v[14:15], v[4:5], v[22:23]
	s_nop 0
	v_min3_f32 v75, v14, v15, v75
	v_pk_add_f32 v[14:15], v[6:7], v[22:23]
	s_nop 0
	v_min3_f32 v74, v14, v15, v74
	v_pk_add_f32 v[14:15], v[0:1], v[22:23]
	s_nop 0
	v_min3_f32 v73, v14, v15, v73
	v_pk_add_f32 v[14:15], v[2:3], v[22:23]
	s_nop 0
	;; [unrolled: 25-line block ×6, first 2 shown]
	v_min3_f32 v40, v14, v15, v40
	v_pk_add_f32 v[14:15], v[4:5], v[108:109]
	s_nop 0
	v_min3_f32 v39, v14, v15, v39
	v_pk_add_f32 v[14:15], v[6:7], v[108:109]
	s_nop 0
	;; [unrolled: 3-line block ×4, first 2 shown]
	v_min3_f32 v36, v14, v15, v36
	s_waitcnt lgkmcnt(0)
	v_pk_add_f32 v[14:15], v[4:5], v[8:9]
	v_pk_add_f32 v[4:5], v[4:5], v[10:11]
	v_min3_f32 v35, v14, v15, v35
	v_pk_add_f32 v[14:15], v[6:7], v[8:9]
	v_min3_f32 v31, v4, v5, v31
	v_min3_f32 v34, v14, v15, v34
	v_pk_add_f32 v[14:15], v[0:1], v[8:9]
	v_pk_add_f32 v[0:1], v[0:1], v[10:11]
	;; [unrolled: 1-line block ×4, first 2 shown]
	v_min3_f32 v29, v0, v1, v29
	v_pk_add_f32 v[0:1], v[2:3], v[10:11]
	v_min3_f32 v33, v14, v15, v33
	v_min3_f32 v32, v8, v9, v32
	;; [unrolled: 1-line block ×4, first 2 shown]
	s_cbranch_vccz .LBB14_50
; %bb.51:
	s_load_dwordx2 s[2:3], s[0:1], 0x70
	s_load_dword s23, s[0:1], 0x50
	s_load_dword s22, s[0:1], 0x68
	v_add_u32_e32 v12, s30, v86
	v_add_u32_e32 v0, s29, v85
	s_waitcnt lgkmcnt(0)
	s_lshl_b64 s[0:1], s[2:3], 2
	s_add_u32 s14, s20, s0
	s_addc_u32 s15, s21, s1
	v_mad_i64_i32 v[2:3], s[0:1], v12, s23, 0
	v_lshl_add_u64 v[10:11], v[2:3], 2, s[16:17]
	v_mad_i64_i32 v[2:3], s[0:1], v12, s22, 0
	v_cmp_gt_i32_e64 s[2:3], s12, v0
	v_cmp_gt_i32_e64 s[10:11], s13, v12
	v_lshl_add_u64 v[8:9], v[2:3], 2, s[14:15]
	v_cndmask_b32_e64 v2, 0, 1, s[18:19]
	v_ashrrev_i32_e32 v1, 31, v0
	s_and_b64 s[6:7], s[2:3], s[10:11]
	v_cmp_ne_u32_e64 s[0:1], 1, v2
	s_and_saveexec_b64 s[4:5], s[6:7]
	s_cbranch_execz .LBB14_56
; %bb.52:
	s_and_b64 vcc, exec, s[0:1]
	s_cbranch_vccnz .LBB14_54
; %bb.53:
	v_lshl_add_u64 v[2:3], v[0:1], 2, v[10:11]
	flat_load_dword v2, v[2:3]
	s_waitcnt vmcnt(0) lgkmcnt(0)
	v_mul_f32_e32 v2, s28, v2
	s_branch .LBB14_55
.LBB14_54:
	v_mov_b32_e32 v2, 0
.LBB14_55:
	v_max_f32_e32 v3, v93, v93
	v_max_f32_e32 v2, v2, v2
	v_min_f32_e32 v4, v2, v3
	v_lshl_add_u64 v[2:3], v[0:1], 2, v[8:9]
	flat_store_dword v[2:3], v4
.LBB14_56:
	s_or_b64 exec, exec, s[4:5]
	v_add_u32_e32 v2, 32, v0
	v_cmp_gt_i32_e64 s[4:5], s12, v2
	v_ashrrev_i32_e32 v3, 31, v2
	s_and_b64 s[8:9], s[4:5], s[10:11]
	s_and_saveexec_b64 s[6:7], s[8:9]
	s_cbranch_execz .LBB14_61
; %bb.57:
	s_and_b64 vcc, exec, s[0:1]
	s_cbranch_vccnz .LBB14_59
; %bb.58:
	v_lshl_add_u64 v[4:5], v[2:3], 2, v[10:11]
	flat_load_dword v4, v[4:5]
	s_waitcnt vmcnt(0) lgkmcnt(0)
	v_mul_f32_e32 v4, s28, v4
	s_branch .LBB14_60
.LBB14_59:
	v_mov_b32_e32 v4, 0
.LBB14_60:
	v_max_f32_e32 v5, v92, v92
	v_max_f32_e32 v4, v4, v4
	v_min_f32_e32 v6, v4, v5
	v_lshl_add_u64 v[4:5], v[2:3], 2, v[8:9]
	flat_store_dword v[4:5], v6
.LBB14_61:
	s_or_b64 exec, exec, s[6:7]
	v_add_u32_e32 v4, 64, v0
	v_cmp_gt_i32_e64 s[6:7], s12, v4
	v_ashrrev_i32_e32 v5, 31, v4
	s_and_b64 s[18:19], s[6:7], s[10:11]
	;; [unrolled: 25-line block ×3, first 2 shown]
	s_and_saveexec_b64 s[10:11], s[18:19]
	s_cbranch_execz .LBB14_71
; %bb.67:
	s_and_b64 vcc, exec, s[0:1]
	s_cbranch_vccnz .LBB14_69
; %bb.68:
	v_lshl_add_u64 v[10:11], v[6:7], 2, v[10:11]
	flat_load_dword v10, v[10:11]
	s_waitcnt vmcnt(0) lgkmcnt(0)
	v_mul_f32_e32 v10, s28, v10
	s_branch .LBB14_70
.LBB14_69:
	v_mov_b32_e32 v10, 0
.LBB14_70:
	v_max_f32_e32 v11, v90, v90
	v_max_f32_e32 v10, v10, v10
	v_min_f32_e32 v10, v10, v11
	v_lshl_add_u64 v[8:9], v[6:7], 2, v[8:9]
	flat_store_dword v[8:9], v10
.LBB14_71:
	s_or_b64 exec, exec, s[10:11]
	v_add_u32_e32 v13, 8, v12
	v_mad_i64_i32 v[8:9], s[18:19], v13, s23, 0
	v_cmp_gt_i32_e64 s[10:11], s13, v13
	v_lshl_add_u64 v[10:11], v[8:9], 2, s[16:17]
	v_mad_i64_i32 v[8:9], s[18:19], v13, s22, 0
	v_lshl_add_u64 v[8:9], v[8:9], 2, s[14:15]
	s_and_b64 s[20:21], s[2:3], s[10:11]
	s_and_saveexec_b64 s[18:19], s[20:21]
	s_cbranch_execnz .LBB14_75
; %bb.72:
	s_or_b64 exec, exec, s[18:19]
	s_and_b64 s[20:21], s[4:5], s[10:11]
	s_and_saveexec_b64 s[18:19], s[20:21]
	s_cbranch_execnz .LBB14_79
.LBB14_73:
	s_or_b64 exec, exec, s[18:19]
	s_and_b64 s[20:21], s[6:7], s[10:11]
	s_and_saveexec_b64 s[18:19], s[20:21]
	s_cbranch_execnz .LBB14_83
.LBB14_74:
	s_or_b64 exec, exec, s[18:19]
	s_and_b64 s[18:19], s[8:9], s[10:11]
	s_and_saveexec_b64 s[10:11], s[18:19]
	s_cbranch_execnz .LBB14_87
	s_branch .LBB14_91
.LBB14_75:
	s_and_b64 vcc, exec, s[0:1]
	s_cbranch_vccnz .LBB14_77
; %bb.76:
	v_lshl_add_u64 v[14:15], v[0:1], 2, v[10:11]
	flat_load_dword v13, v[14:15]
	s_waitcnt vmcnt(0) lgkmcnt(0)
	v_mul_f32_e32 v13, s28, v13
	s_branch .LBB14_78
.LBB14_77:
	v_mov_b32_e32 v13, 0
.LBB14_78:
	v_max_f32_e32 v14, v89, v89
	v_max_f32_e32 v13, v13, v13
	v_min_f32_e32 v13, v13, v14
	v_lshl_add_u64 v[14:15], v[0:1], 2, v[8:9]
	flat_store_dword v[14:15], v13
	s_or_b64 exec, exec, s[18:19]
	s_and_b64 s[20:21], s[4:5], s[10:11]
	s_and_saveexec_b64 s[18:19], s[20:21]
	s_cbranch_execz .LBB14_73
.LBB14_79:
	s_and_b64 vcc, exec, s[0:1]
	s_cbranch_vccnz .LBB14_81
; %bb.80:
	v_lshl_add_u64 v[14:15], v[2:3], 2, v[10:11]
	flat_load_dword v13, v[14:15]
	s_waitcnt vmcnt(0) lgkmcnt(0)
	v_mul_f32_e32 v13, s28, v13
	s_branch .LBB14_82
.LBB14_81:
	v_mov_b32_e32 v13, 0
.LBB14_82:
	v_max_f32_e32 v14, v88, v88
	v_max_f32_e32 v13, v13, v13
	v_min_f32_e32 v13, v13, v14
	v_lshl_add_u64 v[14:15], v[2:3], 2, v[8:9]
	flat_store_dword v[14:15], v13
	s_or_b64 exec, exec, s[18:19]
	s_and_b64 s[20:21], s[6:7], s[10:11]
	s_and_saveexec_b64 s[18:19], s[20:21]
	s_cbranch_execz .LBB14_74
.LBB14_83:
	s_and_b64 vcc, exec, s[0:1]
	s_cbranch_vccnz .LBB14_85
; %bb.84:
	v_lshl_add_u64 v[14:15], v[4:5], 2, v[10:11]
	flat_load_dword v13, v[14:15]
	s_waitcnt vmcnt(0) lgkmcnt(0)
	v_mul_f32_e32 v13, s28, v13
	s_branch .LBB14_86
.LBB14_85:
	v_mov_b32_e32 v13, 0
.LBB14_86:
	v_max_f32_e32 v14, v87, v87
	v_max_f32_e32 v13, v13, v13
	v_min_f32_e32 v13, v13, v14
	v_lshl_add_u64 v[14:15], v[4:5], 2, v[8:9]
	flat_store_dword v[14:15], v13
	s_or_b64 exec, exec, s[18:19]
	s_and_b64 s[18:19], s[8:9], s[10:11]
	s_and_saveexec_b64 s[10:11], s[18:19]
	s_cbranch_execz .LBB14_91
.LBB14_87:
	s_and_b64 vcc, exec, s[0:1]
	s_cbranch_vccnz .LBB14_89
; %bb.88:
	v_lshl_add_u64 v[10:11], v[6:7], 2, v[10:11]
	flat_load_dword v10, v[10:11]
	s_waitcnt vmcnt(0) lgkmcnt(0)
	v_mul_f32_e32 v10, s28, v10
	s_branch .LBB14_90
.LBB14_89:
	v_mov_b32_e32 v10, 0
.LBB14_90:
	v_max_f32_e32 v11, v84, v84
	v_max_f32_e32 v10, v10, v10
	v_min_f32_e32 v10, v10, v11
	v_lshl_add_u64 v[8:9], v[6:7], 2, v[8:9]
	flat_store_dword v[8:9], v10
.LBB14_91:
	s_or_b64 exec, exec, s[10:11]
	v_add_u32_e32 v13, 16, v12
	v_mad_i64_i32 v[8:9], s[18:19], v13, s23, 0
	v_cmp_gt_i32_e64 s[10:11], s13, v13
	v_lshl_add_u64 v[10:11], v[8:9], 2, s[16:17]
	v_mad_i64_i32 v[8:9], s[18:19], v13, s22, 0
	v_lshl_add_u64 v[8:9], v[8:9], 2, s[14:15]
	s_and_b64 s[20:21], s[2:3], s[10:11]
	s_and_saveexec_b64 s[18:19], s[20:21]
	s_cbranch_execnz .LBB14_95
; %bb.92:
	s_or_b64 exec, exec, s[18:19]
	s_and_b64 s[20:21], s[4:5], s[10:11]
	s_and_saveexec_b64 s[18:19], s[20:21]
	s_cbranch_execnz .LBB14_99
.LBB14_93:
	s_or_b64 exec, exec, s[18:19]
	s_and_b64 s[20:21], s[6:7], s[10:11]
	s_and_saveexec_b64 s[18:19], s[20:21]
	s_cbranch_execnz .LBB14_103
.LBB14_94:
	s_or_b64 exec, exec, s[18:19]
	s_and_b64 s[18:19], s[8:9], s[10:11]
	s_and_saveexec_b64 s[10:11], s[18:19]
	s_cbranch_execnz .LBB14_107
	s_branch .LBB14_111
.LBB14_95:
	s_and_b64 vcc, exec, s[0:1]
	s_cbranch_vccnz .LBB14_97
; %bb.96:
	v_lshl_add_u64 v[14:15], v[0:1], 2, v[10:11]
	flat_load_dword v13, v[14:15]
	s_waitcnt vmcnt(0) lgkmcnt(0)
	v_mul_f32_e32 v13, s28, v13
	s_branch .LBB14_98
.LBB14_97:
	v_mov_b32_e32 v13, 0
.LBB14_98:
	v_max_f32_e32 v14, v83, v83
	v_max_f32_e32 v13, v13, v13
	v_min_f32_e32 v13, v13, v14
	v_lshl_add_u64 v[14:15], v[0:1], 2, v[8:9]
	flat_store_dword v[14:15], v13
	s_or_b64 exec, exec, s[18:19]
	s_and_b64 s[20:21], s[4:5], s[10:11]
	s_and_saveexec_b64 s[18:19], s[20:21]
	s_cbranch_execz .LBB14_93
.LBB14_99:
	s_and_b64 vcc, exec, s[0:1]
	s_cbranch_vccnz .LBB14_101
; %bb.100:
	v_lshl_add_u64 v[14:15], v[2:3], 2, v[10:11]
	flat_load_dword v13, v[14:15]
	s_waitcnt vmcnt(0) lgkmcnt(0)
	v_mul_f32_e32 v13, s28, v13
	s_branch .LBB14_102
.LBB14_101:
	v_mov_b32_e32 v13, 0
.LBB14_102:
	v_max_f32_e32 v14, v82, v82
	v_max_f32_e32 v13, v13, v13
	v_min_f32_e32 v13, v13, v14
	v_lshl_add_u64 v[14:15], v[2:3], 2, v[8:9]
	flat_store_dword v[14:15], v13
	s_or_b64 exec, exec, s[18:19]
	s_and_b64 s[20:21], s[6:7], s[10:11]
	s_and_saveexec_b64 s[18:19], s[20:21]
	s_cbranch_execz .LBB14_94
.LBB14_103:
	s_and_b64 vcc, exec, s[0:1]
	s_cbranch_vccnz .LBB14_105
; %bb.104:
	v_lshl_add_u64 v[14:15], v[4:5], 2, v[10:11]
	flat_load_dword v13, v[14:15]
	s_waitcnt vmcnt(0) lgkmcnt(0)
	v_mul_f32_e32 v13, s28, v13
	s_branch .LBB14_106
.LBB14_105:
	v_mov_b32_e32 v13, 0
.LBB14_106:
	v_max_f32_e32 v14, v81, v81
	v_max_f32_e32 v13, v13, v13
	v_min_f32_e32 v13, v13, v14
	v_lshl_add_u64 v[14:15], v[4:5], 2, v[8:9]
	flat_store_dword v[14:15], v13
	s_or_b64 exec, exec, s[18:19]
	s_and_b64 s[18:19], s[8:9], s[10:11]
	s_and_saveexec_b64 s[10:11], s[18:19]
	s_cbranch_execz .LBB14_111
.LBB14_107:
	s_and_b64 vcc, exec, s[0:1]
	s_cbranch_vccnz .LBB14_109
; %bb.108:
	v_lshl_add_u64 v[10:11], v[6:7], 2, v[10:11]
	flat_load_dword v10, v[10:11]
	s_waitcnt vmcnt(0) lgkmcnt(0)
	v_mul_f32_e32 v10, s28, v10
	s_branch .LBB14_110
.LBB14_109:
	v_mov_b32_e32 v10, 0
.LBB14_110:
	v_max_f32_e32 v11, v80, v80
	v_max_f32_e32 v10, v10, v10
	v_min_f32_e32 v10, v10, v11
	v_lshl_add_u64 v[8:9], v[6:7], 2, v[8:9]
	flat_store_dword v[8:9], v10
.LBB14_111:
	s_or_b64 exec, exec, s[10:11]
	v_add_u32_e32 v13, 24, v12
	v_mad_i64_i32 v[8:9], s[18:19], v13, s23, 0
	v_cmp_gt_i32_e64 s[10:11], s13, v13
	v_lshl_add_u64 v[10:11], v[8:9], 2, s[16:17]
	v_mad_i64_i32 v[8:9], s[18:19], v13, s22, 0
	v_lshl_add_u64 v[8:9], v[8:9], 2, s[14:15]
	s_and_b64 s[20:21], s[2:3], s[10:11]
	s_and_saveexec_b64 s[18:19], s[20:21]
	s_cbranch_execnz .LBB14_115
; %bb.112:
	s_or_b64 exec, exec, s[18:19]
	s_and_b64 s[20:21], s[4:5], s[10:11]
	s_and_saveexec_b64 s[18:19], s[20:21]
	s_cbranch_execnz .LBB14_119
.LBB14_113:
	s_or_b64 exec, exec, s[18:19]
	s_and_b64 s[20:21], s[6:7], s[10:11]
	s_and_saveexec_b64 s[18:19], s[20:21]
	s_cbranch_execnz .LBB14_123
.LBB14_114:
	s_or_b64 exec, exec, s[18:19]
	s_and_b64 s[18:19], s[8:9], s[10:11]
	s_and_saveexec_b64 s[10:11], s[18:19]
	s_cbranch_execnz .LBB14_127
	s_branch .LBB14_131
.LBB14_115:
	s_and_b64 vcc, exec, s[0:1]
	s_cbranch_vccnz .LBB14_117
; %bb.116:
	v_lshl_add_u64 v[14:15], v[0:1], 2, v[10:11]
	flat_load_dword v13, v[14:15]
	s_waitcnt vmcnt(0) lgkmcnt(0)
	v_mul_f32_e32 v13, s28, v13
	s_branch .LBB14_118
.LBB14_117:
	v_mov_b32_e32 v13, 0
.LBB14_118:
	v_max_f32_e32 v14, v79, v79
	v_max_f32_e32 v13, v13, v13
	v_min_f32_e32 v13, v13, v14
	v_lshl_add_u64 v[14:15], v[0:1], 2, v[8:9]
	flat_store_dword v[14:15], v13
	s_or_b64 exec, exec, s[18:19]
	s_and_b64 s[20:21], s[4:5], s[10:11]
	s_and_saveexec_b64 s[18:19], s[20:21]
	s_cbranch_execz .LBB14_113
.LBB14_119:
	s_and_b64 vcc, exec, s[0:1]
	s_cbranch_vccnz .LBB14_121
; %bb.120:
	v_lshl_add_u64 v[14:15], v[2:3], 2, v[10:11]
	flat_load_dword v13, v[14:15]
	s_waitcnt vmcnt(0) lgkmcnt(0)
	v_mul_f32_e32 v13, s28, v13
	s_branch .LBB14_122
.LBB14_121:
	v_mov_b32_e32 v13, 0
.LBB14_122:
	v_max_f32_e32 v14, v78, v78
	v_max_f32_e32 v13, v13, v13
	v_min_f32_e32 v13, v13, v14
	v_lshl_add_u64 v[14:15], v[2:3], 2, v[8:9]
	flat_store_dword v[14:15], v13
	s_or_b64 exec, exec, s[18:19]
	s_and_b64 s[20:21], s[6:7], s[10:11]
	s_and_saveexec_b64 s[18:19], s[20:21]
	s_cbranch_execz .LBB14_114
.LBB14_123:
	s_and_b64 vcc, exec, s[0:1]
	s_cbranch_vccnz .LBB14_125
; %bb.124:
	v_lshl_add_u64 v[14:15], v[4:5], 2, v[10:11]
	flat_load_dword v13, v[14:15]
	s_waitcnt vmcnt(0) lgkmcnt(0)
	v_mul_f32_e32 v13, s28, v13
	s_branch .LBB14_126
.LBB14_125:
	v_mov_b32_e32 v13, 0
.LBB14_126:
	v_max_f32_e32 v14, v77, v77
	v_max_f32_e32 v13, v13, v13
	v_min_f32_e32 v13, v13, v14
	v_lshl_add_u64 v[14:15], v[4:5], 2, v[8:9]
	flat_store_dword v[14:15], v13
	s_or_b64 exec, exec, s[18:19]
	s_and_b64 s[18:19], s[8:9], s[10:11]
	s_and_saveexec_b64 s[10:11], s[18:19]
	s_cbranch_execz .LBB14_131
.LBB14_127:
	s_and_b64 vcc, exec, s[0:1]
	s_cbranch_vccnz .LBB14_129
; %bb.128:
	v_lshl_add_u64 v[10:11], v[6:7], 2, v[10:11]
	flat_load_dword v10, v[10:11]
	s_waitcnt vmcnt(0) lgkmcnt(0)
	v_mul_f32_e32 v10, s28, v10
	s_branch .LBB14_130
.LBB14_129:
	v_mov_b32_e32 v10, 0
.LBB14_130:
	v_max_f32_e32 v11, v76, v76
	v_max_f32_e32 v10, v10, v10
	v_min_f32_e32 v10, v10, v11
	v_lshl_add_u64 v[8:9], v[6:7], 2, v[8:9]
	flat_store_dword v[8:9], v10
.LBB14_131:
	s_or_b64 exec, exec, s[10:11]
	v_add_u32_e32 v13, 32, v12
	v_mad_i64_i32 v[8:9], s[18:19], v13, s23, 0
	v_cmp_gt_i32_e64 s[10:11], s13, v13
	v_lshl_add_u64 v[10:11], v[8:9], 2, s[16:17]
	v_mad_i64_i32 v[8:9], s[18:19], v13, s22, 0
	v_lshl_add_u64 v[8:9], v[8:9], 2, s[14:15]
	s_and_b64 s[20:21], s[2:3], s[10:11]
	s_and_saveexec_b64 s[18:19], s[20:21]
	s_cbranch_execnz .LBB14_135
; %bb.132:
	s_or_b64 exec, exec, s[18:19]
	s_and_b64 s[20:21], s[4:5], s[10:11]
	s_and_saveexec_b64 s[18:19], s[20:21]
	s_cbranch_execnz .LBB14_139
.LBB14_133:
	s_or_b64 exec, exec, s[18:19]
	s_and_b64 s[20:21], s[6:7], s[10:11]
	s_and_saveexec_b64 s[18:19], s[20:21]
	s_cbranch_execnz .LBB14_143
.LBB14_134:
	s_or_b64 exec, exec, s[18:19]
	s_and_b64 s[18:19], s[8:9], s[10:11]
	s_and_saveexec_b64 s[10:11], s[18:19]
	s_cbranch_execnz .LBB14_147
	s_branch .LBB14_151
.LBB14_135:
	s_and_b64 vcc, exec, s[0:1]
	s_cbranch_vccnz .LBB14_137
; %bb.136:
	v_lshl_add_u64 v[14:15], v[0:1], 2, v[10:11]
	flat_load_dword v13, v[14:15]
	s_waitcnt vmcnt(0) lgkmcnt(0)
	v_mul_f32_e32 v13, s28, v13
	s_branch .LBB14_138
.LBB14_137:
	v_mov_b32_e32 v13, 0
.LBB14_138:
	v_max_f32_e32 v14, v75, v75
	v_max_f32_e32 v13, v13, v13
	v_min_f32_e32 v13, v13, v14
	v_lshl_add_u64 v[14:15], v[0:1], 2, v[8:9]
	flat_store_dword v[14:15], v13
	s_or_b64 exec, exec, s[18:19]
	s_and_b64 s[20:21], s[4:5], s[10:11]
	s_and_saveexec_b64 s[18:19], s[20:21]
	s_cbranch_execz .LBB14_133
.LBB14_139:
	s_and_b64 vcc, exec, s[0:1]
	s_cbranch_vccnz .LBB14_141
; %bb.140:
	v_lshl_add_u64 v[14:15], v[2:3], 2, v[10:11]
	flat_load_dword v13, v[14:15]
	s_waitcnt vmcnt(0) lgkmcnt(0)
	v_mul_f32_e32 v13, s28, v13
	s_branch .LBB14_142
.LBB14_141:
	v_mov_b32_e32 v13, 0
.LBB14_142:
	v_max_f32_e32 v14, v74, v74
	v_max_f32_e32 v13, v13, v13
	v_min_f32_e32 v13, v13, v14
	v_lshl_add_u64 v[14:15], v[2:3], 2, v[8:9]
	flat_store_dword v[14:15], v13
	s_or_b64 exec, exec, s[18:19]
	s_and_b64 s[20:21], s[6:7], s[10:11]
	s_and_saveexec_b64 s[18:19], s[20:21]
	s_cbranch_execz .LBB14_134
.LBB14_143:
	s_and_b64 vcc, exec, s[0:1]
	s_cbranch_vccnz .LBB14_145
; %bb.144:
	v_lshl_add_u64 v[14:15], v[4:5], 2, v[10:11]
	flat_load_dword v13, v[14:15]
	s_waitcnt vmcnt(0) lgkmcnt(0)
	v_mul_f32_e32 v13, s28, v13
	s_branch .LBB14_146
.LBB14_145:
	v_mov_b32_e32 v13, 0
.LBB14_146:
	v_max_f32_e32 v14, v73, v73
	v_max_f32_e32 v13, v13, v13
	v_min_f32_e32 v13, v13, v14
	v_lshl_add_u64 v[14:15], v[4:5], 2, v[8:9]
	flat_store_dword v[14:15], v13
	s_or_b64 exec, exec, s[18:19]
	s_and_b64 s[18:19], s[8:9], s[10:11]
	s_and_saveexec_b64 s[10:11], s[18:19]
	s_cbranch_execz .LBB14_151
.LBB14_147:
	s_and_b64 vcc, exec, s[0:1]
	s_cbranch_vccnz .LBB14_149
; %bb.148:
	v_lshl_add_u64 v[10:11], v[6:7], 2, v[10:11]
	flat_load_dword v10, v[10:11]
	s_waitcnt vmcnt(0) lgkmcnt(0)
	v_mul_f32_e32 v10, s28, v10
	s_branch .LBB14_150
.LBB14_149:
	v_mov_b32_e32 v10, 0
.LBB14_150:
	v_max_f32_e32 v11, v72, v72
	v_max_f32_e32 v10, v10, v10
	v_min_f32_e32 v10, v10, v11
	v_lshl_add_u64 v[8:9], v[6:7], 2, v[8:9]
	flat_store_dword v[8:9], v10
.LBB14_151:
	s_or_b64 exec, exec, s[10:11]
	v_add_u32_e32 v13, 40, v12
	v_mad_i64_i32 v[8:9], s[18:19], v13, s23, 0
	v_cmp_gt_i32_e64 s[10:11], s13, v13
	v_lshl_add_u64 v[10:11], v[8:9], 2, s[16:17]
	v_mad_i64_i32 v[8:9], s[18:19], v13, s22, 0
	v_lshl_add_u64 v[8:9], v[8:9], 2, s[14:15]
	s_and_b64 s[20:21], s[2:3], s[10:11]
	s_and_saveexec_b64 s[18:19], s[20:21]
	s_cbranch_execnz .LBB14_155
; %bb.152:
	s_or_b64 exec, exec, s[18:19]
	s_and_b64 s[20:21], s[4:5], s[10:11]
	s_and_saveexec_b64 s[18:19], s[20:21]
	s_cbranch_execnz .LBB14_159
.LBB14_153:
	s_or_b64 exec, exec, s[18:19]
	s_and_b64 s[20:21], s[6:7], s[10:11]
	s_and_saveexec_b64 s[18:19], s[20:21]
	s_cbranch_execnz .LBB14_163
.LBB14_154:
	s_or_b64 exec, exec, s[18:19]
	s_and_b64 s[18:19], s[8:9], s[10:11]
	s_and_saveexec_b64 s[10:11], s[18:19]
	s_cbranch_execnz .LBB14_167
	s_branch .LBB14_171
.LBB14_155:
	s_and_b64 vcc, exec, s[0:1]
	s_cbranch_vccnz .LBB14_157
; %bb.156:
	v_lshl_add_u64 v[14:15], v[0:1], 2, v[10:11]
	flat_load_dword v13, v[14:15]
	s_waitcnt vmcnt(0) lgkmcnt(0)
	v_mul_f32_e32 v13, s28, v13
	s_branch .LBB14_158
.LBB14_157:
	v_mov_b32_e32 v13, 0
.LBB14_158:
	v_max_f32_e32 v14, v71, v71
	v_max_f32_e32 v13, v13, v13
	v_min_f32_e32 v13, v13, v14
	v_lshl_add_u64 v[14:15], v[0:1], 2, v[8:9]
	flat_store_dword v[14:15], v13
	s_or_b64 exec, exec, s[18:19]
	s_and_b64 s[20:21], s[4:5], s[10:11]
	s_and_saveexec_b64 s[18:19], s[20:21]
	s_cbranch_execz .LBB14_153
.LBB14_159:
	s_and_b64 vcc, exec, s[0:1]
	s_cbranch_vccnz .LBB14_161
; %bb.160:
	v_lshl_add_u64 v[14:15], v[2:3], 2, v[10:11]
	flat_load_dword v13, v[14:15]
	s_waitcnt vmcnt(0) lgkmcnt(0)
	v_mul_f32_e32 v13, s28, v13
	s_branch .LBB14_162
.LBB14_161:
	v_mov_b32_e32 v13, 0
.LBB14_162:
	v_max_f32_e32 v14, v70, v70
	v_max_f32_e32 v13, v13, v13
	v_min_f32_e32 v13, v13, v14
	v_lshl_add_u64 v[14:15], v[2:3], 2, v[8:9]
	flat_store_dword v[14:15], v13
	s_or_b64 exec, exec, s[18:19]
	s_and_b64 s[20:21], s[6:7], s[10:11]
	s_and_saveexec_b64 s[18:19], s[20:21]
	s_cbranch_execz .LBB14_154
.LBB14_163:
	s_and_b64 vcc, exec, s[0:1]
	s_cbranch_vccnz .LBB14_165
; %bb.164:
	v_lshl_add_u64 v[14:15], v[4:5], 2, v[10:11]
	flat_load_dword v13, v[14:15]
	s_waitcnt vmcnt(0) lgkmcnt(0)
	v_mul_f32_e32 v13, s28, v13
	s_branch .LBB14_166
.LBB14_165:
	v_mov_b32_e32 v13, 0
.LBB14_166:
	v_max_f32_e32 v14, v69, v69
	v_max_f32_e32 v13, v13, v13
	v_min_f32_e32 v13, v13, v14
	v_lshl_add_u64 v[14:15], v[4:5], 2, v[8:9]
	flat_store_dword v[14:15], v13
	s_or_b64 exec, exec, s[18:19]
	s_and_b64 s[18:19], s[8:9], s[10:11]
	s_and_saveexec_b64 s[10:11], s[18:19]
	s_cbranch_execz .LBB14_171
.LBB14_167:
	s_and_b64 vcc, exec, s[0:1]
	s_cbranch_vccnz .LBB14_169
; %bb.168:
	v_lshl_add_u64 v[10:11], v[6:7], 2, v[10:11]
	flat_load_dword v10, v[10:11]
	s_waitcnt vmcnt(0) lgkmcnt(0)
	v_mul_f32_e32 v10, s28, v10
	s_branch .LBB14_170
.LBB14_169:
	v_mov_b32_e32 v10, 0
.LBB14_170:
	v_max_f32_e32 v11, v68, v68
	v_max_f32_e32 v10, v10, v10
	v_min_f32_e32 v10, v10, v11
	v_lshl_add_u64 v[8:9], v[6:7], 2, v[8:9]
	flat_store_dword v[8:9], v10
.LBB14_171:
	s_or_b64 exec, exec, s[10:11]
	v_add_u32_e32 v13, 48, v12
	v_mad_i64_i32 v[8:9], s[18:19], v13, s23, 0
	v_cmp_gt_i32_e64 s[10:11], s13, v13
	v_lshl_add_u64 v[10:11], v[8:9], 2, s[16:17]
	v_mad_i64_i32 v[8:9], s[18:19], v13, s22, 0
	v_lshl_add_u64 v[8:9], v[8:9], 2, s[14:15]
	s_and_b64 s[20:21], s[2:3], s[10:11]
	s_and_saveexec_b64 s[18:19], s[20:21]
	s_cbranch_execnz .LBB14_175
; %bb.172:
	s_or_b64 exec, exec, s[18:19]
	s_and_b64 s[20:21], s[4:5], s[10:11]
	s_and_saveexec_b64 s[18:19], s[20:21]
	s_cbranch_execnz .LBB14_179
.LBB14_173:
	s_or_b64 exec, exec, s[18:19]
	s_and_b64 s[20:21], s[6:7], s[10:11]
	s_and_saveexec_b64 s[18:19], s[20:21]
	s_cbranch_execnz .LBB14_183
.LBB14_174:
	s_or_b64 exec, exec, s[18:19]
	s_and_b64 s[18:19], s[8:9], s[10:11]
	s_and_saveexec_b64 s[10:11], s[18:19]
	s_cbranch_execnz .LBB14_187
	s_branch .LBB14_191
.LBB14_175:
	s_and_b64 vcc, exec, s[0:1]
	s_cbranch_vccnz .LBB14_177
; %bb.176:
	v_lshl_add_u64 v[14:15], v[0:1], 2, v[10:11]
	flat_load_dword v13, v[14:15]
	s_waitcnt vmcnt(0) lgkmcnt(0)
	v_mul_f32_e32 v13, s28, v13
	s_branch .LBB14_178
.LBB14_177:
	v_mov_b32_e32 v13, 0
.LBB14_178:
	v_max_f32_e32 v14, v67, v67
	v_max_f32_e32 v13, v13, v13
	v_min_f32_e32 v13, v13, v14
	v_lshl_add_u64 v[14:15], v[0:1], 2, v[8:9]
	flat_store_dword v[14:15], v13
	s_or_b64 exec, exec, s[18:19]
	s_and_b64 s[20:21], s[4:5], s[10:11]
	s_and_saveexec_b64 s[18:19], s[20:21]
	s_cbranch_execz .LBB14_173
.LBB14_179:
	s_and_b64 vcc, exec, s[0:1]
	s_cbranch_vccnz .LBB14_181
; %bb.180:
	v_lshl_add_u64 v[14:15], v[2:3], 2, v[10:11]
	flat_load_dword v13, v[14:15]
	s_waitcnt vmcnt(0) lgkmcnt(0)
	v_mul_f32_e32 v13, s28, v13
	s_branch .LBB14_182
.LBB14_181:
	v_mov_b32_e32 v13, 0
.LBB14_182:
	v_max_f32_e32 v14, v66, v66
	v_max_f32_e32 v13, v13, v13
	v_min_f32_e32 v13, v13, v14
	v_lshl_add_u64 v[14:15], v[2:3], 2, v[8:9]
	flat_store_dword v[14:15], v13
	s_or_b64 exec, exec, s[18:19]
	s_and_b64 s[20:21], s[6:7], s[10:11]
	s_and_saveexec_b64 s[18:19], s[20:21]
	s_cbranch_execz .LBB14_174
.LBB14_183:
	s_and_b64 vcc, exec, s[0:1]
	s_cbranch_vccnz .LBB14_185
; %bb.184:
	v_lshl_add_u64 v[14:15], v[4:5], 2, v[10:11]
	flat_load_dword v13, v[14:15]
	s_waitcnt vmcnt(0) lgkmcnt(0)
	v_mul_f32_e32 v13, s28, v13
	s_branch .LBB14_186
.LBB14_185:
	v_mov_b32_e32 v13, 0
.LBB14_186:
	v_max_f32_e32 v14, v65, v65
	v_max_f32_e32 v13, v13, v13
	v_min_f32_e32 v13, v13, v14
	v_lshl_add_u64 v[14:15], v[4:5], 2, v[8:9]
	flat_store_dword v[14:15], v13
	s_or_b64 exec, exec, s[18:19]
	s_and_b64 s[18:19], s[8:9], s[10:11]
	s_and_saveexec_b64 s[10:11], s[18:19]
	s_cbranch_execz .LBB14_191
.LBB14_187:
	s_and_b64 vcc, exec, s[0:1]
	s_cbranch_vccnz .LBB14_189
; %bb.188:
	v_lshl_add_u64 v[10:11], v[6:7], 2, v[10:11]
	flat_load_dword v10, v[10:11]
	s_waitcnt vmcnt(0) lgkmcnt(0)
	v_mul_f32_e32 v10, s28, v10
	s_branch .LBB14_190
.LBB14_189:
	v_mov_b32_e32 v10, 0
.LBB14_190:
	v_max_f32_e32 v11, v64, v64
	v_max_f32_e32 v10, v10, v10
	v_min_f32_e32 v10, v10, v11
	v_lshl_add_u64 v[8:9], v[6:7], 2, v[8:9]
	flat_store_dword v[8:9], v10
.LBB14_191:
	s_or_b64 exec, exec, s[10:11]
	v_add_u32_e32 v13, 56, v12
	v_mad_i64_i32 v[8:9], s[18:19], v13, s23, 0
	v_cmp_gt_i32_e64 s[10:11], s13, v13
	v_lshl_add_u64 v[10:11], v[8:9], 2, s[16:17]
	v_mad_i64_i32 v[8:9], s[18:19], v13, s22, 0
	v_lshl_add_u64 v[8:9], v[8:9], 2, s[14:15]
	s_and_b64 s[20:21], s[2:3], s[10:11]
	s_and_saveexec_b64 s[18:19], s[20:21]
	s_cbranch_execnz .LBB14_195
; %bb.192:
	s_or_b64 exec, exec, s[18:19]
	s_and_b64 s[20:21], s[4:5], s[10:11]
	s_and_saveexec_b64 s[18:19], s[20:21]
	s_cbranch_execnz .LBB14_199
.LBB14_193:
	s_or_b64 exec, exec, s[18:19]
	s_and_b64 s[20:21], s[6:7], s[10:11]
	s_and_saveexec_b64 s[18:19], s[20:21]
	s_cbranch_execnz .LBB14_203
.LBB14_194:
	s_or_b64 exec, exec, s[18:19]
	s_and_b64 s[18:19], s[8:9], s[10:11]
	s_and_saveexec_b64 s[10:11], s[18:19]
	s_cbranch_execnz .LBB14_207
	s_branch .LBB14_211
.LBB14_195:
	s_and_b64 vcc, exec, s[0:1]
	s_cbranch_vccnz .LBB14_197
; %bb.196:
	v_lshl_add_u64 v[14:15], v[0:1], 2, v[10:11]
	flat_load_dword v13, v[14:15]
	s_waitcnt vmcnt(0) lgkmcnt(0)
	v_mul_f32_e32 v13, s28, v13
	s_branch .LBB14_198
.LBB14_197:
	v_mov_b32_e32 v13, 0
.LBB14_198:
	v_max_f32_e32 v14, v63, v63
	v_max_f32_e32 v13, v13, v13
	v_min_f32_e32 v13, v13, v14
	v_lshl_add_u64 v[14:15], v[0:1], 2, v[8:9]
	flat_store_dword v[14:15], v13
	s_or_b64 exec, exec, s[18:19]
	s_and_b64 s[20:21], s[4:5], s[10:11]
	s_and_saveexec_b64 s[18:19], s[20:21]
	s_cbranch_execz .LBB14_193
.LBB14_199:
	s_and_b64 vcc, exec, s[0:1]
	s_cbranch_vccnz .LBB14_201
; %bb.200:
	v_lshl_add_u64 v[14:15], v[2:3], 2, v[10:11]
	flat_load_dword v13, v[14:15]
	s_waitcnt vmcnt(0) lgkmcnt(0)
	v_mul_f32_e32 v13, s28, v13
	s_branch .LBB14_202
.LBB14_201:
	v_mov_b32_e32 v13, 0
.LBB14_202:
	v_max_f32_e32 v14, v62, v62
	v_max_f32_e32 v13, v13, v13
	v_min_f32_e32 v13, v13, v14
	v_lshl_add_u64 v[14:15], v[2:3], 2, v[8:9]
	flat_store_dword v[14:15], v13
	s_or_b64 exec, exec, s[18:19]
	s_and_b64 s[20:21], s[6:7], s[10:11]
	s_and_saveexec_b64 s[18:19], s[20:21]
	s_cbranch_execz .LBB14_194
.LBB14_203:
	s_and_b64 vcc, exec, s[0:1]
	s_cbranch_vccnz .LBB14_205
; %bb.204:
	v_lshl_add_u64 v[14:15], v[4:5], 2, v[10:11]
	flat_load_dword v13, v[14:15]
	s_waitcnt vmcnt(0) lgkmcnt(0)
	v_mul_f32_e32 v13, s28, v13
	s_branch .LBB14_206
.LBB14_205:
	v_mov_b32_e32 v13, 0
.LBB14_206:
	v_max_f32_e32 v14, v61, v61
	v_max_f32_e32 v13, v13, v13
	v_min_f32_e32 v13, v13, v14
	v_lshl_add_u64 v[14:15], v[4:5], 2, v[8:9]
	flat_store_dword v[14:15], v13
	s_or_b64 exec, exec, s[18:19]
	s_and_b64 s[18:19], s[8:9], s[10:11]
	s_and_saveexec_b64 s[10:11], s[18:19]
	s_cbranch_execz .LBB14_211
.LBB14_207:
	s_and_b64 vcc, exec, s[0:1]
	s_cbranch_vccnz .LBB14_209
; %bb.208:
	v_lshl_add_u64 v[10:11], v[6:7], 2, v[10:11]
	flat_load_dword v10, v[10:11]
	s_waitcnt vmcnt(0) lgkmcnt(0)
	v_mul_f32_e32 v10, s28, v10
	s_branch .LBB14_210
.LBB14_209:
	v_mov_b32_e32 v10, 0
.LBB14_210:
	v_max_f32_e32 v11, v60, v60
	v_max_f32_e32 v10, v10, v10
	v_min_f32_e32 v10, v10, v11
	v_lshl_add_u64 v[8:9], v[6:7], 2, v[8:9]
	flat_store_dword v[8:9], v10
.LBB14_211:
	s_or_b64 exec, exec, s[10:11]
	v_add_u32_e32 v13, 64, v12
	v_mad_i64_i32 v[8:9], s[18:19], v13, s23, 0
	v_cmp_gt_i32_e64 s[10:11], s13, v13
	v_lshl_add_u64 v[10:11], v[8:9], 2, s[16:17]
	v_mad_i64_i32 v[8:9], s[18:19], v13, s22, 0
	v_lshl_add_u64 v[8:9], v[8:9], 2, s[14:15]
	s_and_b64 s[20:21], s[2:3], s[10:11]
	s_and_saveexec_b64 s[18:19], s[20:21]
	s_cbranch_execnz .LBB14_215
; %bb.212:
	s_or_b64 exec, exec, s[18:19]
	s_and_b64 s[20:21], s[4:5], s[10:11]
	s_and_saveexec_b64 s[18:19], s[20:21]
	s_cbranch_execnz .LBB14_219
.LBB14_213:
	s_or_b64 exec, exec, s[18:19]
	s_and_b64 s[20:21], s[6:7], s[10:11]
	s_and_saveexec_b64 s[18:19], s[20:21]
	s_cbranch_execnz .LBB14_223
.LBB14_214:
	s_or_b64 exec, exec, s[18:19]
	s_and_b64 s[18:19], s[8:9], s[10:11]
	s_and_saveexec_b64 s[10:11], s[18:19]
	s_cbranch_execnz .LBB14_227
	s_branch .LBB14_231
.LBB14_215:
	s_and_b64 vcc, exec, s[0:1]
	s_cbranch_vccnz .LBB14_217
; %bb.216:
	v_lshl_add_u64 v[14:15], v[0:1], 2, v[10:11]
	flat_load_dword v13, v[14:15]
	s_waitcnt vmcnt(0) lgkmcnt(0)
	v_mul_f32_e32 v13, s28, v13
	s_branch .LBB14_218
.LBB14_217:
	v_mov_b32_e32 v13, 0
.LBB14_218:
	v_max_f32_e32 v14, v59, v59
	v_max_f32_e32 v13, v13, v13
	v_min_f32_e32 v13, v13, v14
	v_lshl_add_u64 v[14:15], v[0:1], 2, v[8:9]
	flat_store_dword v[14:15], v13
	s_or_b64 exec, exec, s[18:19]
	s_and_b64 s[20:21], s[4:5], s[10:11]
	s_and_saveexec_b64 s[18:19], s[20:21]
	s_cbranch_execz .LBB14_213
.LBB14_219:
	s_and_b64 vcc, exec, s[0:1]
	s_cbranch_vccnz .LBB14_221
; %bb.220:
	v_lshl_add_u64 v[14:15], v[2:3], 2, v[10:11]
	flat_load_dword v13, v[14:15]
	s_waitcnt vmcnt(0) lgkmcnt(0)
	v_mul_f32_e32 v13, s28, v13
	s_branch .LBB14_222
.LBB14_221:
	v_mov_b32_e32 v13, 0
.LBB14_222:
	v_max_f32_e32 v14, v58, v58
	v_max_f32_e32 v13, v13, v13
	v_min_f32_e32 v13, v13, v14
	v_lshl_add_u64 v[14:15], v[2:3], 2, v[8:9]
	flat_store_dword v[14:15], v13
	s_or_b64 exec, exec, s[18:19]
	s_and_b64 s[20:21], s[6:7], s[10:11]
	s_and_saveexec_b64 s[18:19], s[20:21]
	s_cbranch_execz .LBB14_214
.LBB14_223:
	s_and_b64 vcc, exec, s[0:1]
	s_cbranch_vccnz .LBB14_225
; %bb.224:
	v_lshl_add_u64 v[14:15], v[4:5], 2, v[10:11]
	flat_load_dword v13, v[14:15]
	s_waitcnt vmcnt(0) lgkmcnt(0)
	v_mul_f32_e32 v13, s28, v13
	s_branch .LBB14_226
.LBB14_225:
	v_mov_b32_e32 v13, 0
.LBB14_226:
	v_max_f32_e32 v14, v57, v57
	v_max_f32_e32 v13, v13, v13
	v_min_f32_e32 v13, v13, v14
	v_lshl_add_u64 v[14:15], v[4:5], 2, v[8:9]
	flat_store_dword v[14:15], v13
	s_or_b64 exec, exec, s[18:19]
	s_and_b64 s[18:19], s[8:9], s[10:11]
	s_and_saveexec_b64 s[10:11], s[18:19]
	s_cbranch_execz .LBB14_231
.LBB14_227:
	s_and_b64 vcc, exec, s[0:1]
	s_cbranch_vccnz .LBB14_229
; %bb.228:
	v_lshl_add_u64 v[10:11], v[6:7], 2, v[10:11]
	flat_load_dword v10, v[10:11]
	s_waitcnt vmcnt(0) lgkmcnt(0)
	v_mul_f32_e32 v10, s28, v10
	s_branch .LBB14_230
.LBB14_229:
	v_mov_b32_e32 v10, 0
.LBB14_230:
	v_max_f32_e32 v11, v56, v56
	v_max_f32_e32 v10, v10, v10
	v_min_f32_e32 v10, v10, v11
	v_lshl_add_u64 v[8:9], v[6:7], 2, v[8:9]
	flat_store_dword v[8:9], v10
.LBB14_231:
	s_or_b64 exec, exec, s[10:11]
	v_add_u32_e32 v13, 0x48, v12
	v_mad_i64_i32 v[8:9], s[18:19], v13, s23, 0
	v_cmp_gt_i32_e64 s[10:11], s13, v13
	v_lshl_add_u64 v[10:11], v[8:9], 2, s[16:17]
	v_mad_i64_i32 v[8:9], s[18:19], v13, s22, 0
	v_lshl_add_u64 v[8:9], v[8:9], 2, s[14:15]
	s_and_b64 s[20:21], s[2:3], s[10:11]
	s_and_saveexec_b64 s[18:19], s[20:21]
	s_cbranch_execnz .LBB14_235
; %bb.232:
	s_or_b64 exec, exec, s[18:19]
	s_and_b64 s[20:21], s[4:5], s[10:11]
	s_and_saveexec_b64 s[18:19], s[20:21]
	s_cbranch_execnz .LBB14_239
.LBB14_233:
	s_or_b64 exec, exec, s[18:19]
	s_and_b64 s[20:21], s[6:7], s[10:11]
	s_and_saveexec_b64 s[18:19], s[20:21]
	s_cbranch_execnz .LBB14_243
.LBB14_234:
	s_or_b64 exec, exec, s[18:19]
	s_and_b64 s[18:19], s[8:9], s[10:11]
	s_and_saveexec_b64 s[10:11], s[18:19]
	s_cbranch_execnz .LBB14_247
	s_branch .LBB14_251
.LBB14_235:
	s_and_b64 vcc, exec, s[0:1]
	s_cbranch_vccnz .LBB14_237
; %bb.236:
	v_lshl_add_u64 v[14:15], v[0:1], 2, v[10:11]
	flat_load_dword v13, v[14:15]
	s_waitcnt vmcnt(0) lgkmcnt(0)
	v_mul_f32_e32 v13, s28, v13
	s_branch .LBB14_238
.LBB14_237:
	v_mov_b32_e32 v13, 0
.LBB14_238:
	v_max_f32_e32 v14, v55, v55
	v_max_f32_e32 v13, v13, v13
	v_min_f32_e32 v13, v13, v14
	v_lshl_add_u64 v[14:15], v[0:1], 2, v[8:9]
	flat_store_dword v[14:15], v13
	s_or_b64 exec, exec, s[18:19]
	s_and_b64 s[20:21], s[4:5], s[10:11]
	s_and_saveexec_b64 s[18:19], s[20:21]
	s_cbranch_execz .LBB14_233
.LBB14_239:
	s_and_b64 vcc, exec, s[0:1]
	s_cbranch_vccnz .LBB14_241
; %bb.240:
	v_lshl_add_u64 v[14:15], v[2:3], 2, v[10:11]
	flat_load_dword v13, v[14:15]
	s_waitcnt vmcnt(0) lgkmcnt(0)
	v_mul_f32_e32 v13, s28, v13
	s_branch .LBB14_242
.LBB14_241:
	v_mov_b32_e32 v13, 0
.LBB14_242:
	v_max_f32_e32 v14, v54, v54
	v_max_f32_e32 v13, v13, v13
	v_min_f32_e32 v13, v13, v14
	v_lshl_add_u64 v[14:15], v[2:3], 2, v[8:9]
	flat_store_dword v[14:15], v13
	s_or_b64 exec, exec, s[18:19]
	s_and_b64 s[20:21], s[6:7], s[10:11]
	s_and_saveexec_b64 s[18:19], s[20:21]
	s_cbranch_execz .LBB14_234
.LBB14_243:
	s_and_b64 vcc, exec, s[0:1]
	s_cbranch_vccnz .LBB14_245
; %bb.244:
	v_lshl_add_u64 v[14:15], v[4:5], 2, v[10:11]
	flat_load_dword v13, v[14:15]
	s_waitcnt vmcnt(0) lgkmcnt(0)
	v_mul_f32_e32 v13, s28, v13
	s_branch .LBB14_246
.LBB14_245:
	v_mov_b32_e32 v13, 0
.LBB14_246:
	v_max_f32_e32 v14, v53, v53
	v_max_f32_e32 v13, v13, v13
	v_min_f32_e32 v13, v13, v14
	v_lshl_add_u64 v[14:15], v[4:5], 2, v[8:9]
	flat_store_dword v[14:15], v13
	s_or_b64 exec, exec, s[18:19]
	s_and_b64 s[18:19], s[8:9], s[10:11]
	s_and_saveexec_b64 s[10:11], s[18:19]
	s_cbranch_execz .LBB14_251
.LBB14_247:
	s_and_b64 vcc, exec, s[0:1]
	s_cbranch_vccnz .LBB14_249
; %bb.248:
	v_lshl_add_u64 v[10:11], v[6:7], 2, v[10:11]
	flat_load_dword v10, v[10:11]
	s_waitcnt vmcnt(0) lgkmcnt(0)
	v_mul_f32_e32 v10, s28, v10
	s_branch .LBB14_250
.LBB14_249:
	v_mov_b32_e32 v10, 0
.LBB14_250:
	v_max_f32_e32 v11, v52, v52
	v_max_f32_e32 v10, v10, v10
	v_min_f32_e32 v10, v10, v11
	v_lshl_add_u64 v[8:9], v[6:7], 2, v[8:9]
	flat_store_dword v[8:9], v10
.LBB14_251:
	s_or_b64 exec, exec, s[10:11]
	v_add_u32_e32 v13, 0x50, v12
	v_mad_i64_i32 v[8:9], s[18:19], v13, s23, 0
	v_cmp_gt_i32_e64 s[10:11], s13, v13
	v_lshl_add_u64 v[10:11], v[8:9], 2, s[16:17]
	v_mad_i64_i32 v[8:9], s[18:19], v13, s22, 0
	v_lshl_add_u64 v[8:9], v[8:9], 2, s[14:15]
	s_and_b64 s[20:21], s[2:3], s[10:11]
	s_and_saveexec_b64 s[18:19], s[20:21]
	s_cbranch_execnz .LBB14_255
; %bb.252:
	s_or_b64 exec, exec, s[18:19]
	s_and_b64 s[20:21], s[4:5], s[10:11]
	s_and_saveexec_b64 s[18:19], s[20:21]
	s_cbranch_execnz .LBB14_259
.LBB14_253:
	s_or_b64 exec, exec, s[18:19]
	s_and_b64 s[20:21], s[6:7], s[10:11]
	s_and_saveexec_b64 s[18:19], s[20:21]
	s_cbranch_execnz .LBB14_263
.LBB14_254:
	s_or_b64 exec, exec, s[18:19]
	s_and_b64 s[18:19], s[8:9], s[10:11]
	s_and_saveexec_b64 s[10:11], s[18:19]
	s_cbranch_execnz .LBB14_267
	s_branch .LBB14_271
.LBB14_255:
	s_and_b64 vcc, exec, s[0:1]
	s_cbranch_vccnz .LBB14_257
; %bb.256:
	v_lshl_add_u64 v[14:15], v[0:1], 2, v[10:11]
	flat_load_dword v13, v[14:15]
	s_waitcnt vmcnt(0) lgkmcnt(0)
	v_mul_f32_e32 v13, s28, v13
	s_branch .LBB14_258
.LBB14_257:
	v_mov_b32_e32 v13, 0
.LBB14_258:
	v_max_f32_e32 v14, v51, v51
	v_max_f32_e32 v13, v13, v13
	v_min_f32_e32 v13, v13, v14
	v_lshl_add_u64 v[14:15], v[0:1], 2, v[8:9]
	flat_store_dword v[14:15], v13
	s_or_b64 exec, exec, s[18:19]
	s_and_b64 s[20:21], s[4:5], s[10:11]
	s_and_saveexec_b64 s[18:19], s[20:21]
	s_cbranch_execz .LBB14_253
.LBB14_259:
	s_and_b64 vcc, exec, s[0:1]
	s_cbranch_vccnz .LBB14_261
; %bb.260:
	v_lshl_add_u64 v[14:15], v[2:3], 2, v[10:11]
	flat_load_dword v13, v[14:15]
	s_waitcnt vmcnt(0) lgkmcnt(0)
	v_mul_f32_e32 v13, s28, v13
	s_branch .LBB14_262
.LBB14_261:
	v_mov_b32_e32 v13, 0
.LBB14_262:
	v_max_f32_e32 v14, v50, v50
	v_max_f32_e32 v13, v13, v13
	v_min_f32_e32 v13, v13, v14
	v_lshl_add_u64 v[14:15], v[2:3], 2, v[8:9]
	flat_store_dword v[14:15], v13
	s_or_b64 exec, exec, s[18:19]
	s_and_b64 s[20:21], s[6:7], s[10:11]
	s_and_saveexec_b64 s[18:19], s[20:21]
	s_cbranch_execz .LBB14_254
.LBB14_263:
	s_and_b64 vcc, exec, s[0:1]
	s_cbranch_vccnz .LBB14_265
; %bb.264:
	v_lshl_add_u64 v[14:15], v[4:5], 2, v[10:11]
	flat_load_dword v13, v[14:15]
	s_waitcnt vmcnt(0) lgkmcnt(0)
	v_mul_f32_e32 v13, s28, v13
	s_branch .LBB14_266
.LBB14_265:
	v_mov_b32_e32 v13, 0
.LBB14_266:
	v_max_f32_e32 v14, v49, v49
	v_max_f32_e32 v13, v13, v13
	v_min_f32_e32 v13, v13, v14
	v_lshl_add_u64 v[14:15], v[4:5], 2, v[8:9]
	flat_store_dword v[14:15], v13
	s_or_b64 exec, exec, s[18:19]
	s_and_b64 s[18:19], s[8:9], s[10:11]
	s_and_saveexec_b64 s[10:11], s[18:19]
	s_cbranch_execz .LBB14_271
.LBB14_267:
	s_and_b64 vcc, exec, s[0:1]
	s_cbranch_vccnz .LBB14_269
; %bb.268:
	v_lshl_add_u64 v[10:11], v[6:7], 2, v[10:11]
	flat_load_dword v10, v[10:11]
	s_waitcnt vmcnt(0) lgkmcnt(0)
	v_mul_f32_e32 v10, s28, v10
	s_branch .LBB14_270
.LBB14_269:
	v_mov_b32_e32 v10, 0
.LBB14_270:
	v_max_f32_e32 v11, v48, v48
	v_max_f32_e32 v10, v10, v10
	v_min_f32_e32 v10, v10, v11
	v_lshl_add_u64 v[8:9], v[6:7], 2, v[8:9]
	flat_store_dword v[8:9], v10
.LBB14_271:
	s_or_b64 exec, exec, s[10:11]
	v_add_u32_e32 v13, 0x58, v12
	v_mad_i64_i32 v[8:9], s[18:19], v13, s23, 0
	v_cmp_gt_i32_e64 s[10:11], s13, v13
	v_lshl_add_u64 v[10:11], v[8:9], 2, s[16:17]
	v_mad_i64_i32 v[8:9], s[18:19], v13, s22, 0
	v_lshl_add_u64 v[8:9], v[8:9], 2, s[14:15]
	s_and_b64 s[20:21], s[2:3], s[10:11]
	s_and_saveexec_b64 s[18:19], s[20:21]
	s_cbranch_execnz .LBB14_275
; %bb.272:
	s_or_b64 exec, exec, s[18:19]
	s_and_b64 s[20:21], s[4:5], s[10:11]
	s_and_saveexec_b64 s[18:19], s[20:21]
	s_cbranch_execnz .LBB14_279
.LBB14_273:
	s_or_b64 exec, exec, s[18:19]
	s_and_b64 s[20:21], s[6:7], s[10:11]
	s_and_saveexec_b64 s[18:19], s[20:21]
	s_cbranch_execnz .LBB14_283
.LBB14_274:
	s_or_b64 exec, exec, s[18:19]
	s_and_b64 s[18:19], s[8:9], s[10:11]
	s_and_saveexec_b64 s[10:11], s[18:19]
	s_cbranch_execnz .LBB14_287
	s_branch .LBB14_291
.LBB14_275:
	s_and_b64 vcc, exec, s[0:1]
	s_cbranch_vccnz .LBB14_277
; %bb.276:
	v_lshl_add_u64 v[14:15], v[0:1], 2, v[10:11]
	flat_load_dword v13, v[14:15]
	s_waitcnt vmcnt(0) lgkmcnt(0)
	v_mul_f32_e32 v13, s28, v13
	s_branch .LBB14_278
.LBB14_277:
	v_mov_b32_e32 v13, 0
.LBB14_278:
	v_max_f32_e32 v14, v47, v47
	v_max_f32_e32 v13, v13, v13
	v_min_f32_e32 v13, v13, v14
	v_lshl_add_u64 v[14:15], v[0:1], 2, v[8:9]
	flat_store_dword v[14:15], v13
	s_or_b64 exec, exec, s[18:19]
	s_and_b64 s[20:21], s[4:5], s[10:11]
	s_and_saveexec_b64 s[18:19], s[20:21]
	s_cbranch_execz .LBB14_273
.LBB14_279:
	s_and_b64 vcc, exec, s[0:1]
	s_cbranch_vccnz .LBB14_281
; %bb.280:
	v_lshl_add_u64 v[14:15], v[2:3], 2, v[10:11]
	flat_load_dword v13, v[14:15]
	s_waitcnt vmcnt(0) lgkmcnt(0)
	v_mul_f32_e32 v13, s28, v13
	s_branch .LBB14_282
.LBB14_281:
	v_mov_b32_e32 v13, 0
.LBB14_282:
	v_max_f32_e32 v14, v46, v46
	v_max_f32_e32 v13, v13, v13
	v_min_f32_e32 v13, v13, v14
	v_lshl_add_u64 v[14:15], v[2:3], 2, v[8:9]
	flat_store_dword v[14:15], v13
	s_or_b64 exec, exec, s[18:19]
	s_and_b64 s[20:21], s[6:7], s[10:11]
	s_and_saveexec_b64 s[18:19], s[20:21]
	s_cbranch_execz .LBB14_274
.LBB14_283:
	s_and_b64 vcc, exec, s[0:1]
	s_cbranch_vccnz .LBB14_285
; %bb.284:
	v_lshl_add_u64 v[14:15], v[4:5], 2, v[10:11]
	flat_load_dword v13, v[14:15]
	s_waitcnt vmcnt(0) lgkmcnt(0)
	v_mul_f32_e32 v13, s28, v13
	s_branch .LBB14_286
.LBB14_285:
	v_mov_b32_e32 v13, 0
.LBB14_286:
	v_max_f32_e32 v14, v45, v45
	v_max_f32_e32 v13, v13, v13
	v_min_f32_e32 v13, v13, v14
	v_lshl_add_u64 v[14:15], v[4:5], 2, v[8:9]
	flat_store_dword v[14:15], v13
	s_or_b64 exec, exec, s[18:19]
	s_and_b64 s[18:19], s[8:9], s[10:11]
	s_and_saveexec_b64 s[10:11], s[18:19]
	s_cbranch_execz .LBB14_291
.LBB14_287:
	s_and_b64 vcc, exec, s[0:1]
	s_cbranch_vccnz .LBB14_289
; %bb.288:
	v_lshl_add_u64 v[10:11], v[6:7], 2, v[10:11]
	flat_load_dword v10, v[10:11]
	s_waitcnt vmcnt(0) lgkmcnt(0)
	v_mul_f32_e32 v10, s28, v10
	s_branch .LBB14_290
.LBB14_289:
	v_mov_b32_e32 v10, 0
.LBB14_290:
	v_max_f32_e32 v11, v44, v44
	v_max_f32_e32 v10, v10, v10
	v_min_f32_e32 v10, v10, v11
	v_lshl_add_u64 v[8:9], v[6:7], 2, v[8:9]
	flat_store_dword v[8:9], v10
.LBB14_291:
	s_or_b64 exec, exec, s[10:11]
	v_add_u32_e32 v13, 0x60, v12
	v_mad_i64_i32 v[8:9], s[18:19], v13, s23, 0
	v_cmp_gt_i32_e64 s[10:11], s13, v13
	v_lshl_add_u64 v[10:11], v[8:9], 2, s[16:17]
	v_mad_i64_i32 v[8:9], s[18:19], v13, s22, 0
	v_lshl_add_u64 v[8:9], v[8:9], 2, s[14:15]
	s_and_b64 s[20:21], s[2:3], s[10:11]
	s_and_saveexec_b64 s[18:19], s[20:21]
	s_cbranch_execnz .LBB14_295
; %bb.292:
	s_or_b64 exec, exec, s[18:19]
	s_and_b64 s[20:21], s[4:5], s[10:11]
	s_and_saveexec_b64 s[18:19], s[20:21]
	s_cbranch_execnz .LBB14_299
.LBB14_293:
	s_or_b64 exec, exec, s[18:19]
	s_and_b64 s[20:21], s[6:7], s[10:11]
	s_and_saveexec_b64 s[18:19], s[20:21]
	s_cbranch_execnz .LBB14_303
.LBB14_294:
	s_or_b64 exec, exec, s[18:19]
	s_and_b64 s[18:19], s[8:9], s[10:11]
	s_and_saveexec_b64 s[10:11], s[18:19]
	s_cbranch_execnz .LBB14_307
	s_branch .LBB14_311
.LBB14_295:
	s_and_b64 vcc, exec, s[0:1]
	s_cbranch_vccnz .LBB14_297
; %bb.296:
	v_lshl_add_u64 v[14:15], v[0:1], 2, v[10:11]
	flat_load_dword v13, v[14:15]
	s_waitcnt vmcnt(0) lgkmcnt(0)
	v_mul_f32_e32 v13, s28, v13
	s_branch .LBB14_298
.LBB14_297:
	v_mov_b32_e32 v13, 0
.LBB14_298:
	v_max_f32_e32 v14, v43, v43
	v_max_f32_e32 v13, v13, v13
	v_min_f32_e32 v13, v13, v14
	v_lshl_add_u64 v[14:15], v[0:1], 2, v[8:9]
	flat_store_dword v[14:15], v13
	s_or_b64 exec, exec, s[18:19]
	s_and_b64 s[20:21], s[4:5], s[10:11]
	s_and_saveexec_b64 s[18:19], s[20:21]
	s_cbranch_execz .LBB14_293
.LBB14_299:
	s_and_b64 vcc, exec, s[0:1]
	s_cbranch_vccnz .LBB14_301
; %bb.300:
	v_lshl_add_u64 v[14:15], v[2:3], 2, v[10:11]
	flat_load_dword v13, v[14:15]
	s_waitcnt vmcnt(0) lgkmcnt(0)
	v_mul_f32_e32 v13, s28, v13
	s_branch .LBB14_302
.LBB14_301:
	v_mov_b32_e32 v13, 0
.LBB14_302:
	v_max_f32_e32 v14, v42, v42
	v_max_f32_e32 v13, v13, v13
	v_min_f32_e32 v13, v13, v14
	v_lshl_add_u64 v[14:15], v[2:3], 2, v[8:9]
	flat_store_dword v[14:15], v13
	s_or_b64 exec, exec, s[18:19]
	s_and_b64 s[20:21], s[6:7], s[10:11]
	s_and_saveexec_b64 s[18:19], s[20:21]
	s_cbranch_execz .LBB14_294
.LBB14_303:
	s_and_b64 vcc, exec, s[0:1]
	s_cbranch_vccnz .LBB14_305
; %bb.304:
	v_lshl_add_u64 v[14:15], v[4:5], 2, v[10:11]
	flat_load_dword v13, v[14:15]
	s_waitcnt vmcnt(0) lgkmcnt(0)
	v_mul_f32_e32 v13, s28, v13
	s_branch .LBB14_306
.LBB14_305:
	v_mov_b32_e32 v13, 0
.LBB14_306:
	v_max_f32_e32 v14, v41, v41
	v_max_f32_e32 v13, v13, v13
	v_min_f32_e32 v13, v13, v14
	v_lshl_add_u64 v[14:15], v[4:5], 2, v[8:9]
	flat_store_dword v[14:15], v13
	s_or_b64 exec, exec, s[18:19]
	s_and_b64 s[18:19], s[8:9], s[10:11]
	s_and_saveexec_b64 s[10:11], s[18:19]
	s_cbranch_execz .LBB14_311
.LBB14_307:
	s_and_b64 vcc, exec, s[0:1]
	s_cbranch_vccnz .LBB14_309
; %bb.308:
	v_lshl_add_u64 v[10:11], v[6:7], 2, v[10:11]
	flat_load_dword v10, v[10:11]
	s_waitcnt vmcnt(0) lgkmcnt(0)
	v_mul_f32_e32 v10, s28, v10
	s_branch .LBB14_310
.LBB14_309:
	v_mov_b32_e32 v10, 0
.LBB14_310:
	v_max_f32_e32 v11, v40, v40
	v_max_f32_e32 v10, v10, v10
	v_min_f32_e32 v10, v10, v11
	v_lshl_add_u64 v[8:9], v[6:7], 2, v[8:9]
	flat_store_dword v[8:9], v10
.LBB14_311:
	s_or_b64 exec, exec, s[10:11]
	v_add_u32_e32 v13, 0x68, v12
	v_mad_i64_i32 v[8:9], s[18:19], v13, s23, 0
	v_cmp_gt_i32_e64 s[10:11], s13, v13
	v_lshl_add_u64 v[10:11], v[8:9], 2, s[16:17]
	v_mad_i64_i32 v[8:9], s[18:19], v13, s22, 0
	v_lshl_add_u64 v[8:9], v[8:9], 2, s[14:15]
	s_and_b64 s[20:21], s[2:3], s[10:11]
	s_and_saveexec_b64 s[18:19], s[20:21]
	s_cbranch_execnz .LBB14_315
; %bb.312:
	s_or_b64 exec, exec, s[18:19]
	s_and_b64 s[20:21], s[4:5], s[10:11]
	s_and_saveexec_b64 s[18:19], s[20:21]
	s_cbranch_execnz .LBB14_319
.LBB14_313:
	s_or_b64 exec, exec, s[18:19]
	s_and_b64 s[20:21], s[6:7], s[10:11]
	s_and_saveexec_b64 s[18:19], s[20:21]
	s_cbranch_execnz .LBB14_323
.LBB14_314:
	s_or_b64 exec, exec, s[18:19]
	s_and_b64 s[18:19], s[8:9], s[10:11]
	s_and_saveexec_b64 s[10:11], s[18:19]
	s_cbranch_execnz .LBB14_327
	s_branch .LBB14_331
.LBB14_315:
	s_and_b64 vcc, exec, s[0:1]
	s_cbranch_vccnz .LBB14_317
; %bb.316:
	v_lshl_add_u64 v[14:15], v[0:1], 2, v[10:11]
	flat_load_dword v13, v[14:15]
	s_waitcnt vmcnt(0) lgkmcnt(0)
	v_mul_f32_e32 v13, s28, v13
	s_branch .LBB14_318
.LBB14_317:
	v_mov_b32_e32 v13, 0
.LBB14_318:
	v_max_f32_e32 v14, v39, v39
	v_max_f32_e32 v13, v13, v13
	v_min_f32_e32 v13, v13, v14
	v_lshl_add_u64 v[14:15], v[0:1], 2, v[8:9]
	flat_store_dword v[14:15], v13
	s_or_b64 exec, exec, s[18:19]
	s_and_b64 s[20:21], s[4:5], s[10:11]
	s_and_saveexec_b64 s[18:19], s[20:21]
	s_cbranch_execz .LBB14_313
.LBB14_319:
	s_and_b64 vcc, exec, s[0:1]
	s_cbranch_vccnz .LBB14_321
; %bb.320:
	v_lshl_add_u64 v[14:15], v[2:3], 2, v[10:11]
	flat_load_dword v13, v[14:15]
	s_waitcnt vmcnt(0) lgkmcnt(0)
	v_mul_f32_e32 v13, s28, v13
	s_branch .LBB14_322
.LBB14_321:
	v_mov_b32_e32 v13, 0
.LBB14_322:
	v_max_f32_e32 v14, v38, v38
	v_max_f32_e32 v13, v13, v13
	v_min_f32_e32 v13, v13, v14
	v_lshl_add_u64 v[14:15], v[2:3], 2, v[8:9]
	flat_store_dword v[14:15], v13
	s_or_b64 exec, exec, s[18:19]
	s_and_b64 s[20:21], s[6:7], s[10:11]
	s_and_saveexec_b64 s[18:19], s[20:21]
	s_cbranch_execz .LBB14_314
.LBB14_323:
	s_and_b64 vcc, exec, s[0:1]
	s_cbranch_vccnz .LBB14_325
; %bb.324:
	v_lshl_add_u64 v[14:15], v[4:5], 2, v[10:11]
	flat_load_dword v13, v[14:15]
	s_waitcnt vmcnt(0) lgkmcnt(0)
	v_mul_f32_e32 v13, s28, v13
	s_branch .LBB14_326
.LBB14_325:
	v_mov_b32_e32 v13, 0
.LBB14_326:
	v_max_f32_e32 v14, v37, v37
	v_max_f32_e32 v13, v13, v13
	v_min_f32_e32 v13, v13, v14
	v_lshl_add_u64 v[14:15], v[4:5], 2, v[8:9]
	flat_store_dword v[14:15], v13
	s_or_b64 exec, exec, s[18:19]
	s_and_b64 s[18:19], s[8:9], s[10:11]
	s_and_saveexec_b64 s[10:11], s[18:19]
	s_cbranch_execz .LBB14_331
.LBB14_327:
	s_and_b64 vcc, exec, s[0:1]
	s_cbranch_vccnz .LBB14_329
; %bb.328:
	v_lshl_add_u64 v[10:11], v[6:7], 2, v[10:11]
	flat_load_dword v10, v[10:11]
	s_waitcnt vmcnt(0) lgkmcnt(0)
	v_mul_f32_e32 v10, s28, v10
	s_branch .LBB14_330
.LBB14_329:
	v_mov_b32_e32 v10, 0
.LBB14_330:
	v_max_f32_e32 v11, v36, v36
	v_max_f32_e32 v10, v10, v10
	v_min_f32_e32 v10, v10, v11
	v_lshl_add_u64 v[8:9], v[6:7], 2, v[8:9]
	flat_store_dword v[8:9], v10
.LBB14_331:
	s_or_b64 exec, exec, s[10:11]
	v_add_u32_e32 v13, 0x70, v12
	v_mad_i64_i32 v[8:9], s[18:19], v13, s23, 0
	v_cmp_gt_i32_e64 s[10:11], s13, v13
	v_lshl_add_u64 v[10:11], v[8:9], 2, s[16:17]
	v_mad_i64_i32 v[8:9], s[18:19], v13, s22, 0
	v_lshl_add_u64 v[8:9], v[8:9], 2, s[14:15]
	s_and_b64 s[20:21], s[2:3], s[10:11]
	s_and_saveexec_b64 s[18:19], s[20:21]
	s_cbranch_execnz .LBB14_335
; %bb.332:
	s_or_b64 exec, exec, s[18:19]
	s_and_b64 s[20:21], s[4:5], s[10:11]
	s_and_saveexec_b64 s[18:19], s[20:21]
	s_cbranch_execnz .LBB14_339
.LBB14_333:
	s_or_b64 exec, exec, s[18:19]
	s_and_b64 s[20:21], s[6:7], s[10:11]
	s_and_saveexec_b64 s[18:19], s[20:21]
	s_cbranch_execnz .LBB14_343
.LBB14_334:
	s_or_b64 exec, exec, s[18:19]
	s_and_b64 s[18:19], s[8:9], s[10:11]
	s_and_saveexec_b64 s[10:11], s[18:19]
	s_cbranch_execnz .LBB14_347
	s_branch .LBB14_351
.LBB14_335:
	s_and_b64 vcc, exec, s[0:1]
	s_cbranch_vccnz .LBB14_337
; %bb.336:
	v_lshl_add_u64 v[14:15], v[0:1], 2, v[10:11]
	flat_load_dword v13, v[14:15]
	s_waitcnt vmcnt(0) lgkmcnt(0)
	v_mul_f32_e32 v13, s28, v13
	s_branch .LBB14_338
.LBB14_337:
	v_mov_b32_e32 v13, 0
.LBB14_338:
	v_max_f32_e32 v14, v35, v35
	v_max_f32_e32 v13, v13, v13
	v_min_f32_e32 v13, v13, v14
	v_lshl_add_u64 v[14:15], v[0:1], 2, v[8:9]
	flat_store_dword v[14:15], v13
	s_or_b64 exec, exec, s[18:19]
	s_and_b64 s[20:21], s[4:5], s[10:11]
	s_and_saveexec_b64 s[18:19], s[20:21]
	s_cbranch_execz .LBB14_333
.LBB14_339:
	s_and_b64 vcc, exec, s[0:1]
	s_cbranch_vccnz .LBB14_341
; %bb.340:
	v_lshl_add_u64 v[14:15], v[2:3], 2, v[10:11]
	flat_load_dword v13, v[14:15]
	s_waitcnt vmcnt(0) lgkmcnt(0)
	v_mul_f32_e32 v13, s28, v13
	s_branch .LBB14_342
.LBB14_341:
	v_mov_b32_e32 v13, 0
.LBB14_342:
	v_max_f32_e32 v14, v34, v34
	v_max_f32_e32 v13, v13, v13
	v_min_f32_e32 v13, v13, v14
	v_lshl_add_u64 v[14:15], v[2:3], 2, v[8:9]
	flat_store_dword v[14:15], v13
	s_or_b64 exec, exec, s[18:19]
	s_and_b64 s[20:21], s[6:7], s[10:11]
	s_and_saveexec_b64 s[18:19], s[20:21]
	s_cbranch_execz .LBB14_334
.LBB14_343:
	s_and_b64 vcc, exec, s[0:1]
	s_cbranch_vccnz .LBB14_345
; %bb.344:
	v_lshl_add_u64 v[14:15], v[4:5], 2, v[10:11]
	flat_load_dword v13, v[14:15]
	s_waitcnt vmcnt(0) lgkmcnt(0)
	v_mul_f32_e32 v13, s28, v13
	s_branch .LBB14_346
.LBB14_345:
	v_mov_b32_e32 v13, 0
.LBB14_346:
	v_max_f32_e32 v14, v33, v33
	v_max_f32_e32 v13, v13, v13
	v_min_f32_e32 v13, v13, v14
	v_lshl_add_u64 v[14:15], v[4:5], 2, v[8:9]
	flat_store_dword v[14:15], v13
	s_or_b64 exec, exec, s[18:19]
	s_and_b64 s[18:19], s[8:9], s[10:11]
	s_and_saveexec_b64 s[10:11], s[18:19]
	s_cbranch_execz .LBB14_351
.LBB14_347:
	s_and_b64 vcc, exec, s[0:1]
	s_cbranch_vccnz .LBB14_349
; %bb.348:
	v_lshl_add_u64 v[10:11], v[6:7], 2, v[10:11]
	flat_load_dword v10, v[10:11]
	s_waitcnt vmcnt(0) lgkmcnt(0)
	v_mul_f32_e32 v10, s28, v10
	s_branch .LBB14_350
.LBB14_349:
	v_mov_b32_e32 v10, 0
.LBB14_350:
	v_max_f32_e32 v11, v32, v32
	v_max_f32_e32 v10, v10, v10
	v_min_f32_e32 v10, v10, v11
	v_lshl_add_u64 v[8:9], v[6:7], 2, v[8:9]
	flat_store_dword v[8:9], v10
.LBB14_351:
	s_or_b64 exec, exec, s[10:11]
	v_add_u32_e32 v12, 0x78, v12
	v_cmp_gt_i32_e64 s[10:11], s13, v12
	v_mad_i64_i32 v[8:9], s[12:13], v12, s23, 0
	v_lshl_add_u64 v[10:11], v[8:9], 2, s[16:17]
	v_mad_i64_i32 v[8:9], s[12:13], v12, s22, 0
	v_lshl_add_u64 v[8:9], v[8:9], 2, s[14:15]
	s_and_b64 s[12:13], s[2:3], s[10:11]
	s_and_saveexec_b64 s[2:3], s[12:13]
	s_cbranch_execnz .LBB14_356
; %bb.352:
	s_or_b64 exec, exec, s[2:3]
	s_and_b64 s[4:5], s[4:5], s[10:11]
	s_and_saveexec_b64 s[2:3], s[4:5]
	s_cbranch_execnz .LBB14_360
.LBB14_353:
	s_or_b64 exec, exec, s[2:3]
	s_and_b64 s[4:5], s[6:7], s[10:11]
	s_and_saveexec_b64 s[2:3], s[4:5]
	s_cbranch_execnz .LBB14_364
.LBB14_354:
	s_or_b64 exec, exec, s[2:3]
	s_and_b64 s[2:3], s[8:9], s[10:11]
	s_and_saveexec_b64 s[4:5], s[2:3]
	s_cbranch_execnz .LBB14_368
.LBB14_355:
	s_endpgm
.LBB14_356:
	s_and_b64 vcc, exec, s[0:1]
	s_cbranch_vccnz .LBB14_358
; %bb.357:
	v_lshl_add_u64 v[12:13], v[0:1], 2, v[10:11]
	flat_load_dword v12, v[12:13]
	s_waitcnt vmcnt(0) lgkmcnt(0)
	v_mul_f32_e32 v12, s28, v12
	s_branch .LBB14_359
.LBB14_358:
	v_mov_b32_e32 v12, 0
.LBB14_359:
	v_max_f32_e32 v13, v31, v31
	v_max_f32_e32 v12, v12, v12
	v_min_f32_e32 v12, v12, v13
	v_lshl_add_u64 v[0:1], v[0:1], 2, v[8:9]
	flat_store_dword v[0:1], v12
	s_or_b64 exec, exec, s[2:3]
	s_and_b64 s[4:5], s[4:5], s[10:11]
	s_and_saveexec_b64 s[2:3], s[4:5]
	s_cbranch_execz .LBB14_353
.LBB14_360:
	s_and_b64 vcc, exec, s[0:1]
	s_cbranch_vccnz .LBB14_362
; %bb.361:
	v_lshl_add_u64 v[0:1], v[2:3], 2, v[10:11]
	flat_load_dword v0, v[0:1]
	s_waitcnt vmcnt(0) lgkmcnt(0)
	v_mul_f32_e32 v0, s28, v0
	s_branch .LBB14_363
.LBB14_362:
	v_mov_b32_e32 v0, 0
.LBB14_363:
	v_max_f32_e32 v1, v30, v30
	v_max_f32_e32 v0, v0, v0
	v_min_f32_e32 v12, v0, v1
	v_lshl_add_u64 v[0:1], v[2:3], 2, v[8:9]
	flat_store_dword v[0:1], v12
	s_or_b64 exec, exec, s[2:3]
	s_and_b64 s[4:5], s[6:7], s[10:11]
	s_and_saveexec_b64 s[2:3], s[4:5]
	s_cbranch_execz .LBB14_354
.LBB14_364:
	s_and_b64 vcc, exec, s[0:1]
	s_cbranch_vccnz .LBB14_366
; %bb.365:
	v_lshl_add_u64 v[0:1], v[4:5], 2, v[10:11]
	flat_load_dword v0, v[0:1]
	s_waitcnt vmcnt(0) lgkmcnt(0)
	v_mul_f32_e32 v0, s28, v0
	s_branch .LBB14_367
.LBB14_366:
	v_mov_b32_e32 v0, 0
.LBB14_367:
	v_max_f32_e32 v1, v29, v29
	v_max_f32_e32 v0, v0, v0
	v_min_f32_e32 v2, v0, v1
	v_lshl_add_u64 v[0:1], v[4:5], 2, v[8:9]
	flat_store_dword v[0:1], v2
	s_or_b64 exec, exec, s[2:3]
	s_and_b64 s[2:3], s[8:9], s[10:11]
	s_and_saveexec_b64 s[4:5], s[2:3]
	s_cbranch_execz .LBB14_355
.LBB14_368:
	s_and_b64 vcc, exec, s[0:1]
	s_cbranch_vccnz .LBB14_370
; %bb.369:
	v_lshl_add_u64 v[0:1], v[6:7], 2, v[10:11]
	flat_load_dword v0, v[0:1]
	s_waitcnt vmcnt(0) lgkmcnt(0)
	v_mul_f32_e32 v0, s28, v0
	s_branch .LBB14_371
.LBB14_370:
	v_mov_b32_e32 v0, 0
.LBB14_371:
	v_max_f32_e32 v1, v28, v28
	v_max_f32_e32 v0, v0, v0
	v_min_f32_e32 v2, v0, v1
	v_lshl_add_u64 v[0:1], v[6:7], 2, v[8:9]
	flat_store_dword v[0:1], v2
	s_endpgm
	.section	.rodata,"a",@progbits
	.p2align	6, 0x0
	.amdhsa_kernel _ZN12_GLOBAL__N_120geam_min_plus_kernelIf15HIP_vector_typeIfLj2EEfLi32ELi8ELi128ELi128ELi4ELi4ELi64ELi4ELi64ELc84ELc78ELb0ELb1ELb1EfKPKfKPfEEviiiT16_PT17_ilSA_ilS8_SA_ilPT18_ili26rocblas_geam_ex_operation_
		.amdhsa_group_segment_fixed_size 8192
		.amdhsa_private_segment_fixed_size 0
		.amdhsa_kernarg_size 128
		.amdhsa_user_sgpr_count 2
		.amdhsa_user_sgpr_dispatch_ptr 0
		.amdhsa_user_sgpr_queue_ptr 0
		.amdhsa_user_sgpr_kernarg_segment_ptr 1
		.amdhsa_user_sgpr_dispatch_id 0
		.amdhsa_user_sgpr_kernarg_preload_length 0
		.amdhsa_user_sgpr_kernarg_preload_offset 0
		.amdhsa_user_sgpr_private_segment_size 0
		.amdhsa_uses_dynamic_stack 0
		.amdhsa_enable_private_segment 0
		.amdhsa_system_sgpr_workgroup_id_x 1
		.amdhsa_system_sgpr_workgroup_id_y 0
		.amdhsa_system_sgpr_workgroup_id_z 1
		.amdhsa_system_sgpr_workgroup_info 0
		.amdhsa_system_vgpr_workitem_id 1
		.amdhsa_next_free_vgpr 132
		.amdhsa_next_free_sgpr 38
		.amdhsa_accum_offset 132
		.amdhsa_reserve_vcc 1
		.amdhsa_float_round_mode_32 0
		.amdhsa_float_round_mode_16_64 0
		.amdhsa_float_denorm_mode_32 3
		.amdhsa_float_denorm_mode_16_64 3
		.amdhsa_dx10_clamp 1
		.amdhsa_ieee_mode 1
		.amdhsa_fp16_overflow 0
		.amdhsa_tg_split 0
		.amdhsa_exception_fp_ieee_invalid_op 0
		.amdhsa_exception_fp_denorm_src 0
		.amdhsa_exception_fp_ieee_div_zero 0
		.amdhsa_exception_fp_ieee_overflow 0
		.amdhsa_exception_fp_ieee_underflow 0
		.amdhsa_exception_fp_ieee_inexact 0
		.amdhsa_exception_int_div_zero 0
	.end_amdhsa_kernel
	.section	.text._ZN12_GLOBAL__N_120geam_min_plus_kernelIf15HIP_vector_typeIfLj2EEfLi32ELi8ELi128ELi128ELi4ELi4ELi64ELi4ELi64ELc84ELc78ELb0ELb1ELb1EfKPKfKPfEEviiiT16_PT17_ilSA_ilS8_SA_ilPT18_ili26rocblas_geam_ex_operation_,"axG",@progbits,_ZN12_GLOBAL__N_120geam_min_plus_kernelIf15HIP_vector_typeIfLj2EEfLi32ELi8ELi128ELi128ELi4ELi4ELi64ELi4ELi64ELc84ELc78ELb0ELb1ELb1EfKPKfKPfEEviiiT16_PT17_ilSA_ilS8_SA_ilPT18_ili26rocblas_geam_ex_operation_,comdat
.Lfunc_end14:
	.size	_ZN12_GLOBAL__N_120geam_min_plus_kernelIf15HIP_vector_typeIfLj2EEfLi32ELi8ELi128ELi128ELi4ELi4ELi64ELi4ELi64ELc84ELc78ELb0ELb1ELb1EfKPKfKPfEEviiiT16_PT17_ilSA_ilS8_SA_ilPT18_ili26rocblas_geam_ex_operation_, .Lfunc_end14-_ZN12_GLOBAL__N_120geam_min_plus_kernelIf15HIP_vector_typeIfLj2EEfLi32ELi8ELi128ELi128ELi4ELi4ELi64ELi4ELi64ELc84ELc78ELb0ELb1ELb1EfKPKfKPfEEviiiT16_PT17_ilSA_ilS8_SA_ilPT18_ili26rocblas_geam_ex_operation_
                                        ; -- End function
	.set _ZN12_GLOBAL__N_120geam_min_plus_kernelIf15HIP_vector_typeIfLj2EEfLi32ELi8ELi128ELi128ELi4ELi4ELi64ELi4ELi64ELc84ELc78ELb0ELb1ELb1EfKPKfKPfEEviiiT16_PT17_ilSA_ilS8_SA_ilPT18_ili26rocblas_geam_ex_operation_.num_vgpr, 132
	.set _ZN12_GLOBAL__N_120geam_min_plus_kernelIf15HIP_vector_typeIfLj2EEfLi32ELi8ELi128ELi128ELi4ELi4ELi64ELi4ELi64ELc84ELc78ELb0ELb1ELb1EfKPKfKPfEEviiiT16_PT17_ilSA_ilS8_SA_ilPT18_ili26rocblas_geam_ex_operation_.num_agpr, 0
	.set _ZN12_GLOBAL__N_120geam_min_plus_kernelIf15HIP_vector_typeIfLj2EEfLi32ELi8ELi128ELi128ELi4ELi4ELi64ELi4ELi64ELc84ELc78ELb0ELb1ELb1EfKPKfKPfEEviiiT16_PT17_ilSA_ilS8_SA_ilPT18_ili26rocblas_geam_ex_operation_.numbered_sgpr, 38
	.set _ZN12_GLOBAL__N_120geam_min_plus_kernelIf15HIP_vector_typeIfLj2EEfLi32ELi8ELi128ELi128ELi4ELi4ELi64ELi4ELi64ELc84ELc78ELb0ELb1ELb1EfKPKfKPfEEviiiT16_PT17_ilSA_ilS8_SA_ilPT18_ili26rocblas_geam_ex_operation_.num_named_barrier, 0
	.set _ZN12_GLOBAL__N_120geam_min_plus_kernelIf15HIP_vector_typeIfLj2EEfLi32ELi8ELi128ELi128ELi4ELi4ELi64ELi4ELi64ELc84ELc78ELb0ELb1ELb1EfKPKfKPfEEviiiT16_PT17_ilSA_ilS8_SA_ilPT18_ili26rocblas_geam_ex_operation_.private_seg_size, 0
	.set _ZN12_GLOBAL__N_120geam_min_plus_kernelIf15HIP_vector_typeIfLj2EEfLi32ELi8ELi128ELi128ELi4ELi4ELi64ELi4ELi64ELc84ELc78ELb0ELb1ELb1EfKPKfKPfEEviiiT16_PT17_ilSA_ilS8_SA_ilPT18_ili26rocblas_geam_ex_operation_.uses_vcc, 1
	.set _ZN12_GLOBAL__N_120geam_min_plus_kernelIf15HIP_vector_typeIfLj2EEfLi32ELi8ELi128ELi128ELi4ELi4ELi64ELi4ELi64ELc84ELc78ELb0ELb1ELb1EfKPKfKPfEEviiiT16_PT17_ilSA_ilS8_SA_ilPT18_ili26rocblas_geam_ex_operation_.uses_flat_scratch, 0
	.set _ZN12_GLOBAL__N_120geam_min_plus_kernelIf15HIP_vector_typeIfLj2EEfLi32ELi8ELi128ELi128ELi4ELi4ELi64ELi4ELi64ELc84ELc78ELb0ELb1ELb1EfKPKfKPfEEviiiT16_PT17_ilSA_ilS8_SA_ilPT18_ili26rocblas_geam_ex_operation_.has_dyn_sized_stack, 0
	.set _ZN12_GLOBAL__N_120geam_min_plus_kernelIf15HIP_vector_typeIfLj2EEfLi32ELi8ELi128ELi128ELi4ELi4ELi64ELi4ELi64ELc84ELc78ELb0ELb1ELb1EfKPKfKPfEEviiiT16_PT17_ilSA_ilS8_SA_ilPT18_ili26rocblas_geam_ex_operation_.has_recursion, 0
	.set _ZN12_GLOBAL__N_120geam_min_plus_kernelIf15HIP_vector_typeIfLj2EEfLi32ELi8ELi128ELi128ELi4ELi4ELi64ELi4ELi64ELc84ELc78ELb0ELb1ELb1EfKPKfKPfEEviiiT16_PT17_ilSA_ilS8_SA_ilPT18_ili26rocblas_geam_ex_operation_.has_indirect_call, 0
	.section	.AMDGPU.csdata,"",@progbits
; Kernel info:
; codeLenInByte = 14984
; TotalNumSgprs: 44
; NumVgprs: 132
; NumAgprs: 0
; TotalNumVgprs: 132
; ScratchSize: 0
; MemoryBound: 0
; FloatMode: 240
; IeeeMode: 1
; LDSByteSize: 8192 bytes/workgroup (compile time only)
; SGPRBlocks: 5
; VGPRBlocks: 16
; NumSGPRsForWavesPerEU: 44
; NumVGPRsForWavesPerEU: 132
; AccumOffset: 132
; Occupancy: 3
; WaveLimiterHint : 1
; COMPUTE_PGM_RSRC2:SCRATCH_EN: 0
; COMPUTE_PGM_RSRC2:USER_SGPR: 2
; COMPUTE_PGM_RSRC2:TRAP_HANDLER: 0
; COMPUTE_PGM_RSRC2:TGID_X_EN: 1
; COMPUTE_PGM_RSRC2:TGID_Y_EN: 0
; COMPUTE_PGM_RSRC2:TGID_Z_EN: 1
; COMPUTE_PGM_RSRC2:TIDIG_COMP_CNT: 1
; COMPUTE_PGM_RSRC3_GFX90A:ACCUM_OFFSET: 32
; COMPUTE_PGM_RSRC3_GFX90A:TG_SPLIT: 0
	.section	.text._ZN12_GLOBAL__N_120geam_min_plus_kernelIf15HIP_vector_typeIfLj2EEfLi8ELi32ELi64ELi256ELi4ELi64ELi4ELi64ELi4ELc78ELc84ELb0ELb0ELb1EPKfKS4_KPfEEviiiT16_PT17_ilSA_ilS8_SA_ilPT18_ili26rocblas_geam_ex_operation_,"axG",@progbits,_ZN12_GLOBAL__N_120geam_min_plus_kernelIf15HIP_vector_typeIfLj2EEfLi8ELi32ELi64ELi256ELi4ELi64ELi4ELi64ELi4ELc78ELc84ELb0ELb0ELb1EPKfKS4_KPfEEviiiT16_PT17_ilSA_ilS8_SA_ilPT18_ili26rocblas_geam_ex_operation_,comdat
	.globl	_ZN12_GLOBAL__N_120geam_min_plus_kernelIf15HIP_vector_typeIfLj2EEfLi8ELi32ELi64ELi256ELi4ELi64ELi4ELi64ELi4ELc78ELc84ELb0ELb0ELb1EPKfKS4_KPfEEviiiT16_PT17_ilSA_ilS8_SA_ilPT18_ili26rocblas_geam_ex_operation_ ; -- Begin function _ZN12_GLOBAL__N_120geam_min_plus_kernelIf15HIP_vector_typeIfLj2EEfLi8ELi32ELi64ELi256ELi4ELi64ELi4ELi64ELi4ELc78ELc84ELb0ELb0ELb1EPKfKS4_KPfEEviiiT16_PT17_ilSA_ilS8_SA_ilPT18_ili26rocblas_geam_ex_operation_
	.p2align	8
	.type	_ZN12_GLOBAL__N_120geam_min_plus_kernelIf15HIP_vector_typeIfLj2EEfLi8ELi32ELi64ELi256ELi4ELi64ELi4ELi64ELi4ELc78ELc84ELb0ELb0ELb1EPKfKS4_KPfEEviiiT16_PT17_ilSA_ilS8_SA_ilPT18_ili26rocblas_geam_ex_operation_,@function
_ZN12_GLOBAL__N_120geam_min_plus_kernelIf15HIP_vector_typeIfLj2EEfLi8ELi32ELi64ELi256ELi4ELi64ELi4ELi64ELi4ELc78ELc84ELb0ELb0ELb1EPKfKS4_KPfEEviiiT16_PT17_ilSA_ilS8_SA_ilPT18_ili26rocblas_geam_ex_operation_: ; @_ZN12_GLOBAL__N_120geam_min_plus_kernelIf15HIP_vector_typeIfLj2EEfLi8ELi32ELi64ELi256ELi4ELi64ELi4ELi64ELi4ELc78ELc84ELb0ELb0ELb1EPKfKS4_KPfEEviiiT16_PT17_ilSA_ilS8_SA_ilPT18_ili26rocblas_geam_ex_operation_
; %bb.0:
	s_load_dwordx4 s[4:7], s[0:1], 0x10
	s_load_dwordx4 s[12:15], s[0:1], 0x28
	;; [unrolled: 1-line block ×3, first 2 shown]
	s_mov_b32 s22, s3
	s_mov_b32 s23, 0
	s_lshl_b64 s[16:17], s[22:23], 2
	s_waitcnt lgkmcnt(0)
	s_add_u32 s4, s4, s16
	s_addc_u32 s5, s5, s17
	s_load_dword s27, s[4:5], 0x0
	s_load_dwordx2 s[20:21], s[0:1], 0x50
	s_add_u32 s10, s10, s16
	s_addc_u32 s11, s11, s17
	s_mov_b64 s[16:17], 0
	s_waitcnt lgkmcnt(0)
	v_cmp_eq_f32_e64 s[4:5], s27, 0
	s_and_b64 s[4:5], exec, s[4:5]
	v_cmp_neq_f32_e64 s[24:25], s27, 0
	s_mov_b64 s[18:19], 0
	s_mov_b64 vcc, s[4:5]
	s_cbranch_vccnz .LBB15_2
; %bb.1:
	s_lshl_b64 s[18:19], s[22:23], 3
	s_add_u32 s6, s6, s18
	s_addc_u32 s7, s7, s19
	s_load_dwordx2 s[6:7], s[6:7], 0x0
	s_lshl_b64 s[12:13], s[12:13], 2
	s_waitcnt lgkmcnt(0)
	s_add_u32 s18, s6, s12
	s_addc_u32 s19, s7, s13
.LBB15_2:
	s_load_dword s26, s[10:11], 0x0
	v_cndmask_b32_e64 v1, 0, 1, s[24:25]
	v_cmp_ne_u32_e64 s[6:7], 1, v1
	s_andn2_b64 vcc, exec, s[24:25]
	s_cbranch_vccnz .LBB15_4
; %bb.3:
	s_lshl_b64 s[10:11], s[22:23], 3
	s_add_u32 s10, s14, s10
	s_addc_u32 s11, s15, s11
	s_load_dwordx2 s[10:11], s[10:11], 0x0
	s_lshl_b64 s[8:9], s[8:9], 2
	s_waitcnt lgkmcnt(0)
	s_add_u32 s16, s10, s8
	s_addc_u32 s17, s11, s9
.LBB15_4:
	s_load_dwordx4 s[12:15], s[0:1], 0x60
	s_waitcnt lgkmcnt(0)
	v_cmp_eq_f32_e64 s[8:9], s26, 0
	s_and_b64 s[8:9], exec, s[8:9]
	s_mov_b64 vcc, s[8:9]
	s_cbranch_vccnz .LBB15_6
; %bb.5:
	s_lshl_b64 s[10:11], s[22:23], 3
	s_add_u32 s10, s20, s10
	s_addc_u32 s11, s21, s11
	s_load_dwordx2 s[10:11], s[10:11], 0x0
	s_lshl_b64 s[12:13], s[12:13], 2
	s_waitcnt lgkmcnt(0)
	s_add_u32 s10, s10, s12
	s_addc_u32 s11, s11, s13
	s_branch .LBB15_7
.LBB15_6:
	s_mov_b64 s[10:11], 0
.LBB15_7:
	s_load_dword s20, s[0:1], 0x20
	s_load_dword s3, s[0:1], 0x0
	s_lshl_b64 s[12:13], s[22:23], 3
	v_and_b32_e32 v82, 0x3ff, v0
	v_bfe_u32 v83, v0, 10, 10
	s_waitcnt lgkmcnt(0)
	s_ashr_i32 s21, s20, 31
	s_add_u32 s12, s14, s12
	s_addc_u32 s13, s15, s13
	s_add_i32 s3, s3, -1
	s_ashr_i32 s14, s3, 31
	s_lshr_b32 s14, s14, 26
	s_add_i32 s3, s3, s14
	s_ashr_i32 s3, s3, 6
	s_add_i32 s14, s3, 1
	v_cvt_f32_u32_e32 v1, s14
	s_not_b32 s3, s3
	v_lshl_add_u32 v0, v83, 3, v82
	v_and_b32_e32 v45, 63, v0
	v_rcp_iflag_f32_e32 v1, v1
	v_mov_b32_e32 v3, 0
	v_lshrrev_b32_e32 v44, 6, v0
	v_mov_b32_e32 v5, 0
	v_mul_f32_e32 v1, 0x4f7ffffe, v1
	v_cvt_u32_f32_e32 v1, v1
	s_nop 0
	v_readfirstlane_b32 s15, v1
	s_mul_i32 s3, s3, s15
	s_mul_hi_u32 s3, s15, s3
	s_add_i32 s15, s15, s3
	s_mul_hi_u32 s3, s2, s15
	s_mul_i32 s15, s3, s14
	s_sub_i32 s15, s2, s15
	s_add_i32 s22, s3, 1
	s_sub_i32 s23, s15, s14
	s_cmp_ge_u32 s15, s14
	s_cselect_b32 s3, s22, s3
	s_cselect_b32 s15, s23, s15
	s_add_i32 s22, s3, 1
	s_cmp_ge_u32 s15, s14
	s_cselect_b32 s15, s22, s3
	s_mul_i32 s3, s15, s14
	s_sub_i32 s14, s2, s3
	s_lshl_b32 s24, s14, 6
	v_or_b32_e32 v10, s24, v45
	s_and_b64 vcc, exec, s[6:7]
	v_ashrrev_i32_e32 v11, 31, v10
	s_cbranch_vccnz .LBB15_9
; %bb.8:
	v_mad_i64_i32 v[0:1], s[22:23], s20, v44, 0
	v_lshl_add_u64 v[0:1], v[0:1], 2, s[18:19]
	v_lshl_add_u64 v[0:1], v[10:11], 2, v[0:1]
	flat_load_dword v0, v[0:1]
	s_waitcnt vmcnt(0) lgkmcnt(0)
	v_mul_f32_e32 v5, s27, v0
.LBB15_9:
	s_load_dword s14, s[0:1], 0x38
	s_lshl_b32 s25, s15, 8
	v_or_b32_e32 v8, s25, v45
	s_and_b64 vcc, exec, s[6:7]
	v_ashrrev_i32_e32 v9, 31, v8
	s_waitcnt lgkmcnt(0)
	v_mad_i64_i32 v[0:1], s[22:23], v44, s14, 0
	v_lshl_add_u64 v[0:1], v[0:1], 2, s[16:17]
	v_mov_b32_e32 v4, 0
	s_cbranch_vccnz .LBB15_11
; %bb.10:
	v_lshl_add_u64 v[2:3], v[8:9], 2, v[0:1]
	flat_load_dword v4, v[2:3]
	flat_load_dword v6, v[2:3] offset:256
	s_waitcnt vmcnt(0) lgkmcnt(0)
	v_mul_f32_e32 v4, s27, v4
	v_mul_f32_e32 v3, s27, v6
.LBB15_11:
	s_ashr_i32 s15, s14, 31
	v_mov_b32_e32 v7, 0
	s_mov_b64 vcc, s[4:5]
	s_cbranch_vccz .LBB15_13
; %bb.12:
	s_mov_b32 s22, 0
	v_mov_b32_e32 v6, s22
	s_cbranch_execz .LBB15_14
	s_branch .LBB15_15
.LBB15_13:
                                        ; implicit-def: $vgpr6
.LBB15_14:
	v_lshl_add_u64 v[0:1], v[8:9], 2, v[0:1]
	flat_load_dword v2, v[0:1] offset:512
	flat_load_dword v7, v[0:1] offset:768
	s_waitcnt vmcnt(0) lgkmcnt(0)
	v_mul_f32_e32 v6, s27, v2
	v_mul_f32_e32 v7, s27, v7
.LBB15_15:
	v_add_u32_e32 v0, 4, v44
	v_mov_b32_e32 v1, 0
	s_and_b64 vcc, exec, s[6:7]
	v_mov_b32_e32 v47, 0
	s_cbranch_vccnz .LBB15_17
; %bb.16:
	v_mad_i64_i32 v[12:13], s[22:23], s20, v0, 0
	v_lshl_add_u64 v[12:13], v[12:13], 2, s[18:19]
	v_lshl_add_u64 v[10:11], v[10:11], 2, v[12:13]
	flat_load_dword v2, v[10:11]
	s_waitcnt vmcnt(0) lgkmcnt(0)
	v_mul_f32_e32 v47, s27, v2
.LBB15_17:
	v_mad_i64_i32 v[10:11], s[22:23], v0, s14, 0
	v_lshl_add_u64 v[10:11], v[10:11], 2, s[16:17]
	s_and_b64 vcc, exec, s[6:7]
	v_mov_b32_e32 v0, 0
	s_cbranch_vccnz .LBB15_19
; %bb.18:
	v_lshl_add_u64 v[0:1], v[8:9], 2, v[10:11]
	flat_load_dword v2, v[0:1]
	flat_load_dword v12, v[0:1] offset:256
	s_waitcnt vmcnt(0) lgkmcnt(0)
	v_mul_f32_e32 v0, s27, v2
	v_mul_f32_e32 v1, s27, v12
.LBB15_19:
	v_mov_b32_e32 v46, 0
	s_mov_b64 vcc, s[4:5]
	s_cbranch_vccz .LBB15_21
; %bb.20:
	s_mov_b32 s22, 0
	v_mov_b32_e32 v2, s22
	s_cbranch_execz .LBB15_22
	s_branch .LBB15_23
.LBB15_21:
                                        ; implicit-def: $vgpr2
.LBB15_22:
	v_lshl_add_u64 v[8:9], v[8:9], 2, v[10:11]
	flat_load_dword v2, v[8:9] offset:512
	flat_load_dword v10, v[8:9] offset:768
	s_waitcnt vmcnt(0) lgkmcnt(0)
	v_mul_f32_e32 v2, s27, v2
	v_mul_f32_e32 v46, s27, v10
.LBB15_23:
	v_lshlrev_b32_e32 v8, 4, v45
	v_lshl_add_u32 v86, v44, 2, v8
	v_lshlrev_b32_e32 v85, 4, v82
	s_load_dwordx2 s[12:13], s[12:13], 0x0
	ds_write_b32 v86, v5 offset:8192
	ds_write2st64_b32 v86, v4, v3 offset1:4
	ds_write2st64_b32 v86, v6, v7 offset0:8 offset1:12
	s_waitcnt lgkmcnt(0)
	s_barrier
	v_lshlrev_b32_e32 v84, 4, v83
	ds_read_b128 v[32:35], v85 offset:8192
	ds_read_b128 v[28:31], v85 offset:8320
	;; [unrolled: 1-line block ×8, first 2 shown]
	ds_read_b128 v[48:51], v84
	ds_read_b128 v[52:55], v84 offset:512
	ds_read_b128 v[56:59], v84 offset:1024
	;; [unrolled: 1-line block ×4, first 2 shown]
	s_waitcnt lgkmcnt(4)
	v_pk_add_f32 v[60:61], v[32:33], v[48:49]
	s_mov_b32 s22, 0x7f7fffff
	v_min3_f32 v3, v60, v61, s22
	v_pk_add_f32 v[60:61], v[28:29], v[48:49]
	s_nop 0
	v_min3_f32 v64, v60, v61, s22
	v_pk_add_f32 v[60:61], v[24:25], v[48:49]
	s_nop 0
	;; [unrolled: 3-line block ×5, first 2 shown]
	v_min3_f32 v68, v60, v61, s22
	v_pk_add_f32 v[60:61], v[8:9], v[48:49]
	v_pk_add_f32 v[48:49], v[4:5], v[48:49]
	v_min3_f32 v69, v60, v61, s22
	v_min3_f32 v70, v48, v49, s22
	s_waitcnt lgkmcnt(3)
	v_pk_add_f32 v[48:49], v[32:33], v[52:53]
	ds_read_b128 v[60:63], v84 offset:2560
	v_min3_f32 v71, v48, v49, s22
	v_pk_add_f32 v[48:49], v[28:29], v[52:53]
	s_nop 0
	v_min3_f32 v72, v48, v49, s22
	v_pk_add_f32 v[48:49], v[24:25], v[52:53]
	s_nop 0
	;; [unrolled: 3-line block ×7, first 2 shown]
	v_min3_f32 v52, v48, v49, s22
	s_waitcnt lgkmcnt(3)
	v_pk_add_f32 v[48:49], v[32:33], v[56:57]
	s_nop 0
	v_min3_f32 v53, v48, v49, s22
	v_pk_add_f32 v[48:49], v[28:29], v[56:57]
	s_nop 0
	v_min3_f32 v78, v48, v49, s22
	;; [unrolled: 3-line block ×8, first 2 shown]
	s_waitcnt lgkmcnt(2)
	v_pk_add_f32 v[48:49], v[32:33], v[40:41]
	s_nop 0
	v_min3_f32 v57, v48, v49, s22
	v_pk_add_f32 v[48:49], v[28:29], v[40:41]
	s_nop 0
	v_min3_f32 v91, v48, v49, s22
	;; [unrolled: 3-line block ×6, first 2 shown]
	v_pk_add_f32 v[48:49], v[8:9], v[40:41]
	v_pk_add_f32 v[40:41], v[4:5], v[40:41]
	v_min3_f32 v96, v48, v49, s22
	v_min3_f32 v97, v40, v41, s22
	s_waitcnt lgkmcnt(1)
	v_pk_add_f32 v[40:41], v[32:33], v[36:37]
	s_nop 0
	v_min3_f32 v98, v40, v41, s22
	v_pk_add_f32 v[40:41], v[28:29], v[36:37]
	s_nop 0
	v_min3_f32 v99, v40, v41, s22
	;; [unrolled: 3-line block ×6, first 2 shown]
	v_pk_add_f32 v[40:41], v[8:9], v[36:37]
	v_pk_add_f32 v[36:37], v[4:5], v[36:37]
	v_min3_f32 v104, v40, v41, s22
	v_min3_f32 v105, v36, v37, s22
	v_pk_add_f32 v[36:37], v[34:35], v[50:51]
	s_nop 0
	v_min3_f32 v88, v36, v37, v3
	v_pk_add_f32 v[36:37], v[30:31], v[50:51]
	s_nop 0
	;; [unrolled: 3-line block ×7, first 2 shown]
	v_min3_f32 v87, v36, v37, v69
	v_pk_add_f32 v[36:37], v[6:7], v[50:51]
	ds_read_b128 v[48:51], v84 offset:3072
	v_min3_f32 v148, v36, v37, v70
	v_pk_add_f32 v[36:37], v[34:35], v[54:55]
	s_waitcnt lgkmcnt(1)
	v_pk_add_f32 v[40:41], v[32:33], v[60:61]
	v_min3_f32 v147, v36, v37, v71
	v_pk_add_f32 v[36:37], v[30:31], v[54:55]
	v_min3_f32 v3, v40, v41, s22
	v_min3_f32 v146, v36, v37, v72
	v_pk_add_f32 v[36:37], v[26:27], v[54:55]
	v_pk_add_f32 v[40:41], v[28:29], v[60:61]
	v_min3_f32 v145, v36, v37, v73
	v_pk_add_f32 v[36:37], v[22:23], v[54:55]
	v_min3_f32 v64, v40, v41, s22
	v_min3_f32 v144, v36, v37, v74
	v_pk_add_f32 v[36:37], v[18:19], v[54:55]
	v_pk_add_f32 v[40:41], v[16:17], v[60:61]
	v_min3_f32 v143, v36, v37, v75
	v_pk_add_f32 v[36:37], v[14:15], v[54:55]
	s_nop 0
	v_min3_f32 v142, v36, v37, v76
	v_pk_add_f32 v[36:37], v[10:11], v[54:55]
	s_nop 0
	;; [unrolled: 3-line block ×4, first 2 shown]
	v_min3_f32 v66, v36, v37, s22
	v_pk_add_f32 v[36:37], v[6:7], v[54:55]
	v_min3_f32 v54, v40, v41, s22
	v_min3_f32 v140, v36, v37, v52
	v_pk_add_f32 v[36:37], v[34:35], v[58:59]
	v_pk_add_f32 v[40:41], v[12:13], v[60:61]
	v_min3_f32 v139, v36, v37, v53
	v_pk_add_f32 v[36:37], v[30:31], v[58:59]
	s_waitcnt lgkmcnt(0)
	v_pk_add_f32 v[52:53], v[32:33], v[48:49]
	v_min3_f32 v138, v36, v37, v78
	v_pk_add_f32 v[36:37], v[26:27], v[58:59]
	v_min3_f32 v55, v40, v41, s22
	v_min3_f32 v137, v36, v37, v79
	v_pk_add_f32 v[36:37], v[22:23], v[58:59]
	s_nop 0
	v_min3_f32 v136, v36, v37, v80
	v_pk_add_f32 v[36:37], v[18:19], v[58:59]
	s_nop 0
	;; [unrolled: 3-line block ×7, first 2 shown]
	v_min3_f32 v132, v36, v37, v56
	v_pk_add_f32 v[36:37], v[34:35], v[42:43]
	v_min3_f32 v56, v52, v53, s22
	v_min3_f32 v131, v36, v37, v57
	v_pk_add_f32 v[36:37], v[30:31], v[42:43]
	v_pk_add_f32 v[52:53], v[28:29], v[48:49]
	v_min3_f32 v130, v36, v37, v91
	v_pk_add_f32 v[36:37], v[26:27], v[42:43]
	v_min3_f32 v52, v52, v53, s22
	v_min3_f32 v129, v36, v37, v92
	v_pk_add_f32 v[36:37], v[22:23], v[42:43]
	s_nop 0
	v_min3_f32 v128, v36, v37, v93
	v_pk_add_f32 v[36:37], v[18:19], v[42:43]
	s_nop 0
	;; [unrolled: 3-line block ×4, first 2 shown]
	v_min3_f32 v124, v36, v37, v96
	v_pk_add_f32 v[36:37], v[6:7], v[42:43]
	ds_read_b128 v[40:43], v84 offset:3584
	v_min3_f32 v126, v36, v37, v97
	v_pk_add_f32 v[36:37], v[34:35], v[38:39]
	ds_write_b32 v86, v47 offset:9216
	ds_write2st64_b32 v86, v0, v1 offset0:16 offset1:20
	ds_write2st64_b32 v86, v2, v46 offset0:24 offset1:28
	v_min3_f32 v125, v36, v37, v98
	v_pk_add_f32 v[36:37], v[30:31], v[38:39]
	s_waitcnt lgkmcnt(3)
	v_pk_add_f32 v[32:33], v[32:33], v[40:41]
	v_min3_f32 v122, v36, v37, v99
	v_pk_add_f32 v[36:37], v[26:27], v[38:39]
	v_pk_add_f32 v[28:29], v[28:29], v[40:41]
	v_min3_f32 v121, v36, v37, v100
	v_pk_add_f32 v[36:37], v[22:23], v[38:39]
	v_min3_f32 v28, v28, v29, s22
	v_min3_f32 v120, v36, v37, v101
	v_pk_add_f32 v[36:37], v[18:19], v[38:39]
	s_waitcnt lgkmcnt(0)
	v_min3_f32 v119, v36, v37, v102
	v_pk_add_f32 v[36:37], v[14:15], v[38:39]
	s_barrier
	v_min3_f32 v118, v36, v37, v103
	v_pk_add_f32 v[36:37], v[10:11], v[38:39]
	s_nop 0
	v_min3_f32 v117, v36, v37, v104
	v_pk_add_f32 v[36:37], v[24:25], v[48:49]
	v_pk_add_f32 v[24:25], v[24:25], v[40:41]
	v_min3_f32 v53, v36, v37, s22
	v_pk_add_f32 v[36:37], v[20:21], v[48:49]
	v_pk_add_f32 v[20:21], v[20:21], v[40:41]
	v_min3_f32 v57, v36, v37, s22
	v_pk_add_f32 v[36:37], v[6:7], v[38:39]
	v_pk_add_f32 v[38:39], v[16:17], v[48:49]
	v_min3_f32 v116, v36, v37, v105
	v_pk_add_f32 v[36:37], v[34:35], v[62:63]
	v_min3_f32 v58, v38, v39, s22
	v_min3_f32 v115, v36, v37, v3
	v_pk_add_f32 v[36:37], v[30:31], v[62:63]
	v_pk_add_f32 v[38:39], v[12:13], v[48:49]
	v_min3_f32 v114, v36, v37, v64
	v_pk_add_f32 v[36:37], v[26:27], v[62:63]
	v_min3_f32 v38, v38, v39, s22
	v_min3_f32 v113, v36, v37, v65
	v_pk_add_f32 v[36:37], v[22:23], v[62:63]
	v_min3_f32 v24, v24, v25, s22
	;; [unrolled: 3-line block ×3, first 2 shown]
	v_min3_f32 v111, v36, v37, v54
	v_pk_add_f32 v[36:37], v[14:15], v[62:63]
	v_pk_add_f32 v[20:21], v[34:35], v[42:43]
	v_min3_f32 v110, v36, v37, v55
	v_pk_add_f32 v[36:37], v[10:11], v[62:63]
	v_pk_add_f32 v[16:17], v[16:17], v[40:41]
	;; [unrolled: 3-line block ×5, first 2 shown]
	v_min3_f32 v108, v36, v37, v60
	v_pk_add_f32 v[36:37], v[34:35], v[50:51]
	v_min3_f32 v16, v16, v17, s22
	v_min3_f32 v107, v36, v37, v56
	v_pk_add_f32 v[36:37], v[30:31], v[50:51]
	v_min3_f32 v12, v12, v13, s22
	v_min3_f32 v106, v36, v37, v52
	v_pk_add_f32 v[36:37], v[26:27], v[50:51]
	s_nop 0
	v_min3_f32 v105, v36, v37, v53
	v_pk_add_f32 v[36:37], v[22:23], v[50:51]
	s_nop 0
	;; [unrolled: 3-line block ×5, first 2 shown]
	v_min3_f32 v101, v36, v37, v3
	v_min3_f32 v3, v32, v33, s22
	;; [unrolled: 1-line block ×5, first 2 shown]
	v_pk_add_f32 v[4:5], v[30:31], v[42:43]
	s_load_dword s22, s[0:1], 0x8
	v_min3_f32 v98, v4, v5, v28
	v_pk_add_f32 v[4:5], v[26:27], v[42:43]
	v_pk_add_f32 v[36:37], v[6:7], v[50:51]
	v_min3_f32 v97, v4, v5, v24
	v_pk_add_f32 v[4:5], v[22:23], v[42:43]
	v_min3_f32 v99, v36, v37, v39
	v_min3_f32 v96, v4, v5, v25
	v_pk_add_f32 v[4:5], v[18:19], v[42:43]
	s_waitcnt lgkmcnt(0)
	s_cmp_lt_i32 s22, 9
	v_min3_f32 v95, v4, v5, v16
	v_pk_add_f32 v[4:5], v[14:15], v[42:43]
	s_nop 0
	v_min3_f32 v94, v4, v5, v12
	v_pk_add_f32 v[4:5], v[10:11], v[42:43]
	s_nop 0
	;; [unrolled: 3-line block ×3, first 2 shown]
	v_min3_f32 v92, v4, v5, v8
	s_cbranch_scc1 .LBB15_46
; %bb.24:
	v_mov_b32_e32 v0, 0x2400
	v_lshl_add_u32 v155, v82, 4, v0
	v_mov_b32_e32 v0, 0x1000
	v_add_u32_e32 v2, 12, v44
	v_lshl_add_u32 v156, v83, 4, v0
	v_mad_i64_i32 v[0:1], s[28:29], v2, s20, 0
	v_lshlrev_b64 v[68:69], 2, v[0:1]
	v_lshl_or_b32 v0, s2, 6, v45
	s_lshl_b32 s2, s3, 6
	v_subrev_u32_e32 v0, s2, v0
	v_ashrrev_i32_e32 v1, 31, v0
	v_lshl_add_u64 v[70:71], v[0:1], 2, s[18:19]
	v_mad_i64_i32 v[0:1], s[18:19], v2, s14, 0
	v_lshlrev_b64 v[72:73], 2, v[0:1]
	v_add_u32_e32 v0, s25, v45
	v_ashrrev_i32_e32 v1, 31, v0
	v_add_u32_e32 v2, 8, v44
	v_lshl_add_u64 v[74:75], v[0:1], 2, s[16:17]
	v_mad_i64_i32 v[0:1], s[18:19], v2, s20, 0
	s_lshl_b64 s[16:17], s[14:15], 5
	v_lshlrev_b64 v[76:77], 2, v[0:1]
	v_mad_i64_i32 v[0:1], s[14:15], v2, s14, 0
	v_or_b32_e32 v89, 0x2000, v86
	v_add_u32_e32 v90, 0x2000, v85
	v_add_u32_e32 v91, 0x2400, v86
	v_or_b32_e32 v154, 0x1000, v86
	s_add_i32 s22, s22, -8
	s_lshl_b64 s[2:3], s[20:21], 5
	v_lshlrev_b64 v[78:79], 2, v[0:1]
	s_mov_b32 s18, 0
	s_mov_b32 s19, 0
	s_branch .LBB15_26
.LBB15_25:                              ;   in Loop: Header=BB15_26 Depth=1
	v_pk_add_f32 v[80:81], v[32:33], v[64:65]
	s_add_i32 s19, s19, 8
	v_min3_f32 v88, v80, v81, v88
	v_pk_add_f32 v[80:81], v[28:29], v[64:65]
	v_lshl_add_u64 v[70:71], v[70:71], 0, s[2:3]
	v_min3_f32 v153, v80, v81, v153
	v_pk_add_f32 v[80:81], v[24:25], v[64:65]
	s_cmp_ge_i32 s19, s22
	v_min3_f32 v152, v80, v81, v152
	v_pk_add_f32 v[80:81], v[20:21], v[64:65]
	v_lshl_add_u64 v[74:75], v[74:75], 0, s[16:17]
	v_min3_f32 v151, v80, v81, v151
	v_pk_add_f32 v[80:81], v[16:17], v[64:65]
	s_nop 0
	v_min3_f32 v150, v80, v81, v150
	v_pk_add_f32 v[80:81], v[12:13], v[64:65]
	s_nop 0
	v_min3_f32 v149, v80, v81, v149
	v_pk_add_f32 v[80:81], v[8:9], v[64:65]
	v_pk_add_f32 v[64:65], v[4:5], v[64:65]
	v_min3_f32 v80, v80, v81, v87
	v_min3_f32 v81, v64, v65, v148
	v_pk_add_f32 v[64:65], v[32:33], v[60:61]
	s_nop 0
	v_min3_f32 v87, v64, v65, v147
	v_pk_add_f32 v[64:65], v[28:29], v[60:61]
	s_nop 0
	v_min3_f32 v146, v64, v65, v146
	v_pk_add_f32 v[64:65], v[24:25], v[60:61]
	s_nop 0
	v_min3_f32 v145, v64, v65, v145
	v_pk_add_f32 v[64:65], v[20:21], v[60:61]
	s_nop 0
	v_min3_f32 v144, v64, v65, v144
	v_pk_add_f32 v[64:65], v[16:17], v[60:61]
	s_nop 0
	v_min3_f32 v143, v64, v65, v143
	v_pk_add_f32 v[64:65], v[12:13], v[60:61]
	s_nop 0
	v_min3_f32 v142, v64, v65, v142
	v_pk_add_f32 v[64:65], v[8:9], v[60:61]
	v_pk_add_f32 v[60:61], v[4:5], v[60:61]
	v_min3_f32 v64, v64, v65, v141
	v_min3_f32 v65, v60, v61, v140
	v_pk_add_f32 v[60:61], v[32:33], v[56:57]
	s_nop 0
	v_min3_f32 v139, v60, v61, v139
	v_pk_add_f32 v[60:61], v[28:29], v[56:57]
	s_nop 0
	v_min3_f32 v138, v60, v61, v138
	v_pk_add_f32 v[60:61], v[24:25], v[56:57]
	s_nop 0
	v_min3_f32 v137, v60, v61, v137
	v_pk_add_f32 v[60:61], v[20:21], v[56:57]
	s_nop 0
	v_min3_f32 v136, v60, v61, v136
	v_pk_add_f32 v[60:61], v[16:17], v[56:57]
	s_nop 0
	v_min3_f32 v135, v60, v61, v135
	v_pk_add_f32 v[60:61], v[12:13], v[56:57]
	s_nop 0
	v_min3_f32 v134, v60, v61, v134
	v_pk_add_f32 v[60:61], v[8:9], v[56:57]
	v_pk_add_f32 v[56:57], v[4:5], v[56:57]
	v_min3_f32 v60, v60, v61, v133
	v_min3_f32 v61, v56, v57, v132
	v_pk_add_f32 v[56:57], v[32:33], v[52:53]
	s_nop 0
	v_min3_f32 v131, v56, v57, v131
	v_pk_add_f32 v[56:57], v[28:29], v[52:53]
	s_nop 0
	v_min3_f32 v130, v56, v57, v130
	v_pk_add_f32 v[56:57], v[24:25], v[52:53]
	s_nop 0
	v_min3_f32 v129, v56, v57, v129
	v_pk_add_f32 v[56:57], v[20:21], v[52:53]
	s_nop 0
	v_min3_f32 v128, v56, v57, v128
	v_pk_add_f32 v[56:57], v[16:17], v[52:53]
	s_nop 0
	v_min3_f32 v127, v56, v57, v127
	v_pk_add_f32 v[56:57], v[12:13], v[52:53]
	s_nop 0
	v_min3_f32 v123, v56, v57, v123
	v_pk_add_f32 v[56:57], v[8:9], v[52:53]
	v_pk_add_f32 v[52:53], v[4:5], v[52:53]
	v_min3_f32 v56, v56, v57, v124
	v_min3_f32 v57, v52, v53, v126
	v_pk_add_f32 v[52:53], v[32:33], v[48:49]
	s_nop 0
	v_min3_f32 v124, v52, v53, v125
	v_pk_add_f32 v[52:53], v[28:29], v[48:49]
	s_nop 0
	v_min3_f32 v122, v52, v53, v122
	v_pk_add_f32 v[52:53], v[24:25], v[48:49]
	s_nop 0
	v_min3_f32 v121, v52, v53, v121
	v_pk_add_f32 v[52:53], v[20:21], v[48:49]
	s_nop 0
	v_min3_f32 v120, v52, v53, v120
	v_pk_add_f32 v[52:53], v[16:17], v[48:49]
	s_nop 0
	v_min3_f32 v119, v52, v53, v119
	v_pk_add_f32 v[52:53], v[12:13], v[48:49]
	s_nop 0
	v_min3_f32 v118, v52, v53, v118
	v_pk_add_f32 v[52:53], v[8:9], v[48:49]
	v_pk_add_f32 v[48:49], v[4:5], v[48:49]
	v_min3_f32 v52, v52, v53, v117
	v_min3_f32 v53, v48, v49, v116
	v_pk_add_f32 v[48:49], v[32:33], v[44:45]
	s_nop 0
	v_min3_f32 v115, v48, v49, v115
	v_pk_add_f32 v[48:49], v[28:29], v[44:45]
	s_nop 0
	v_min3_f32 v114, v48, v49, v114
	v_pk_add_f32 v[48:49], v[24:25], v[44:45]
	s_nop 0
	v_min3_f32 v113, v48, v49, v113
	v_pk_add_f32 v[48:49], v[20:21], v[44:45]
	s_nop 0
	v_min3_f32 v112, v48, v49, v112
	v_pk_add_f32 v[48:49], v[16:17], v[44:45]
	s_nop 0
	v_min3_f32 v111, v48, v49, v111
	v_pk_add_f32 v[48:49], v[12:13], v[44:45]
	s_nop 0
	v_min3_f32 v110, v48, v49, v110
	v_pk_add_f32 v[48:49], v[8:9], v[44:45]
	v_pk_add_f32 v[44:45], v[4:5], v[44:45]
	v_min3_f32 v48, v48, v49, v109
	v_min3_f32 v49, v44, v45, v108
	v_pk_add_f32 v[44:45], v[32:33], v[40:41]
	v_pk_add_f32 v[32:33], v[32:33], v[36:37]
	v_min3_f32 v107, v44, v45, v107
	v_pk_add_f32 v[44:45], v[28:29], v[40:41]
	v_pk_add_f32 v[28:29], v[28:29], v[36:37]
	;; [unrolled: 3-line block ×7, first 2 shown]
	v_pk_add_f32 v[8:9], v[8:9], v[36:37]
	v_pk_add_f32 v[4:5], v[4:5], v[36:37]
	v_min3_f32 v8, v8, v9, v93
	v_min3_f32 v9, v4, v5, v92
	v_pk_add_f32 v[4:5], v[34:35], v[66:67]
	v_min3_f32 v12, v12, v13, v94
	v_min3_f32 v88, v4, v5, v88
	;; [unrolled: 3-line block ×9, first 2 shown]
	v_pk_add_f32 v[4:5], v[34:35], v[62:63]
	s_nop 0
	v_min3_f32 v87, v4, v5, v87
	v_pk_add_f32 v[4:5], v[30:31], v[62:63]
	s_nop 0
	v_min3_f32 v99, v4, v5, v146
	;; [unrolled: 3-line block ×56, first 2 shown]
	ds_read_b128 v[4:7], v90
	ds_read_b128 v[8:11], v90 offset:128
	ds_read_b128 v[12:15], v90 offset:256
	;; [unrolled: 1-line block ×7, first 2 shown]
	ds_read_b128 v[40:43], v84
	ds_read_b128 v[44:47], v84 offset:512
	ds_read_b128 v[48:51], v84 offset:1024
	;; [unrolled: 1-line block ×7, first 2 shown]
	s_waitcnt lgkmcnt(7)
	v_pk_add_f32 v[80:81], v[4:5], v[40:41]
	ds_write_b32 v91, v157
	ds_write2st64_b32 v154, v0, v1 offset1:4
	ds_write2st64_b32 v154, v2, v3 offset0:8 offset1:12
	v_min3_f32 v88, v80, v81, v88
	v_pk_add_f32 v[80:81], v[8:9], v[40:41]
	s_waitcnt lgkmcnt(0)
	v_min3_f32 v92, v80, v81, v92
	v_pk_add_f32 v[80:81], v[12:13], v[40:41]
	s_barrier
	v_min3_f32 v93, v80, v81, v93
	v_pk_add_f32 v[80:81], v[16:17], v[40:41]
	s_nop 0
	v_min3_f32 v94, v80, v81, v94
	v_pk_add_f32 v[80:81], v[20:21], v[40:41]
	s_nop 0
	;; [unrolled: 3-line block ×3, first 2 shown]
	v_min3_f32 v96, v80, v81, v96
	v_pk_add_f32 v[80:81], v[28:29], v[40:41]
	v_pk_add_f32 v[40:41], v[32:33], v[40:41]
	v_min3_f32 v80, v80, v81, v97
	v_min3_f32 v81, v40, v41, v98
	v_pk_add_f32 v[40:41], v[4:5], v[44:45]
	s_nop 0
	v_min3_f32 v97, v40, v41, v87
	v_pk_add_f32 v[40:41], v[8:9], v[44:45]
	s_nop 0
	v_min3_f32 v98, v40, v41, v99
	v_pk_add_f32 v[40:41], v[12:13], v[44:45]
	s_nop 0
	v_min3_f32 v99, v40, v41, v100
	v_pk_add_f32 v[40:41], v[16:17], v[44:45]
	s_nop 0
	v_min3_f32 v100, v40, v41, v101
	v_pk_add_f32 v[40:41], v[20:21], v[44:45]
	s_nop 0
	v_min3_f32 v101, v40, v41, v108
	v_pk_add_f32 v[40:41], v[24:25], v[44:45]
	s_nop 0
	v_min3_f32 v108, v40, v41, v109
	v_pk_add_f32 v[40:41], v[28:29], v[44:45]
	s_nop 0
	v_min3_f32 v109, v40, v41, v116
	v_pk_add_f32 v[40:41], v[32:33], v[44:45]
	s_nop 0
	v_min3_f32 v44, v40, v41, v117
	v_pk_add_f32 v[40:41], v[4:5], v[48:49]
	s_nop 0
	v_min3_f32 v45, v40, v41, v125
	v_pk_add_f32 v[40:41], v[8:9], v[48:49]
	s_nop 0
	v_min3_f32 v116, v40, v41, v126
	v_pk_add_f32 v[40:41], v[12:13], v[48:49]
	s_nop 0
	v_min3_f32 v117, v40, v41, v132
	v_pk_add_f32 v[40:41], v[16:17], v[48:49]
	s_nop 0
	v_min3_f32 v125, v40, v41, v133
	v_pk_add_f32 v[40:41], v[20:21], v[48:49]
	s_nop 0
	v_min3_f32 v126, v40, v41, v135
	v_pk_add_f32 v[40:41], v[24:25], v[48:49]
	s_nop 0
	v_min3_f32 v132, v40, v41, v134
	v_pk_add_f32 v[40:41], v[28:29], v[48:49]
	s_nop 0
	v_min3_f32 v133, v40, v41, v136
	v_pk_add_f32 v[40:41], v[32:33], v[48:49]
	s_nop 0
	v_min3_f32 v48, v40, v41, v137
	v_pk_add_f32 v[40:41], v[4:5], v[52:53]
	s_nop 0
	v_min3_f32 v49, v40, v41, v131
	v_pk_add_f32 v[40:41], v[8:9], v[52:53]
	s_nop 0
	v_min3_f32 v130, v40, v41, v130
	v_pk_add_f32 v[40:41], v[12:13], v[52:53]
	s_nop 0
	v_min3_f32 v129, v40, v41, v129
	v_pk_add_f32 v[40:41], v[16:17], v[52:53]
	s_nop 0
	v_min3_f32 v128, v40, v41, v128
	v_pk_add_f32 v[40:41], v[20:21], v[52:53]
	s_nop 0
	v_min3_f32 v127, v40, v41, v127
	v_pk_add_f32 v[40:41], v[24:25], v[52:53]
	s_nop 0
	v_min3_f32 v123, v40, v41, v123
	v_pk_add_f32 v[40:41], v[28:29], v[52:53]
	s_nop 0
	v_min3_f32 v158, v40, v41, v138
	v_pk_add_f32 v[40:41], v[32:33], v[52:53]
	s_nop 0
	v_min3_f32 v52, v40, v41, v139
	v_pk_add_f32 v[40:41], v[4:5], v[56:57]
	s_nop 0
	v_min3_f32 v53, v40, v41, v124
	v_pk_add_f32 v[40:41], v[8:9], v[56:57]
	s_nop 0
	v_min3_f32 v122, v40, v41, v122
	v_pk_add_f32 v[40:41], v[12:13], v[56:57]
	s_nop 0
	v_min3_f32 v121, v40, v41, v121
	v_pk_add_f32 v[40:41], v[16:17], v[56:57]
	s_nop 0
	v_min3_f32 v120, v40, v41, v120
	v_pk_add_f32 v[40:41], v[20:21], v[56:57]
	s_nop 0
	v_min3_f32 v119, v40, v41, v119
	v_pk_add_f32 v[40:41], v[24:25], v[56:57]
	s_nop 0
	v_min3_f32 v118, v40, v41, v118
	v_pk_add_f32 v[40:41], v[28:29], v[56:57]
	s_nop 0
	v_min3_f32 v159, v40, v41, v140
	v_pk_add_f32 v[40:41], v[32:33], v[56:57]
	s_nop 0
	v_min3_f32 v56, v40, v41, v141
	v_pk_add_f32 v[40:41], v[4:5], v[60:61]
	s_nop 0
	v_min3_f32 v57, v40, v41, v115
	v_pk_add_f32 v[40:41], v[8:9], v[60:61]
	s_nop 0
	v_min3_f32 v114, v40, v41, v114
	v_pk_add_f32 v[40:41], v[12:13], v[60:61]
	s_nop 0
	v_min3_f32 v113, v40, v41, v113
	v_pk_add_f32 v[40:41], v[16:17], v[60:61]
	s_nop 0
	v_min3_f32 v112, v40, v41, v112
	v_pk_add_f32 v[40:41], v[20:21], v[60:61]
	s_nop 0
	v_min3_f32 v111, v40, v41, v111
	v_pk_add_f32 v[40:41], v[24:25], v[60:61]
	s_nop 0
	v_min3_f32 v110, v40, v41, v110
	v_pk_add_f32 v[40:41], v[28:29], v[60:61]
	s_nop 0
	v_min3_f32 v160, v40, v41, v142
	v_pk_add_f32 v[40:41], v[32:33], v[60:61]
	s_nop 0
	v_min3_f32 v60, v40, v41, v143
	v_pk_add_f32 v[40:41], v[4:5], v[64:65]
	v_pk_add_f32 v[4:5], v[4:5], v[36:37]
	v_min3_f32 v61, v40, v41, v107
	v_pk_add_f32 v[40:41], v[8:9], v[64:65]
	s_nop 0
	v_min3_f32 v106, v40, v41, v106
	v_pk_add_f32 v[40:41], v[12:13], v[64:65]
	s_nop 0
	;; [unrolled: 3-line block ×7, first 2 shown]
	v_min3_f32 v40, v40, v41, v145
	v_min3_f32 v41, v4, v5, v146
	v_pk_add_f32 v[4:5], v[8:9], v[36:37]
	s_nop 0
	v_min3_f32 v8, v4, v5, v147
	v_pk_add_f32 v[4:5], v[12:13], v[36:37]
	s_nop 0
	;; [unrolled: 3-line block ×71, first 2 shown]
	v_min3_f32 v92, v4, v5, v20
	s_cbranch_scc1 .LBB15_46
.LBB15_26:                              ; =>This Inner Loop Header: Depth=1
	s_and_b64 vcc, exec, s[6:7]
	s_cbranch_vccnz .LBB15_45
; %bb.27:                               ;   in Loop: Header=BB15_26 Depth=1
	v_lshl_add_u64 v[0:1], v[70:71], 0, v[76:77]
	flat_load_dword v0, v[0:1]
	s_waitcnt vmcnt(0) lgkmcnt(0)
	v_mul_f32_e32 v80, s27, v0
	s_mov_b64 s[14:15], -1
	s_mov_b64 vcc, s[4:5]
                                        ; implicit-def: $vgpr0_vgpr1_vgpr2_vgpr3
	s_cbranch_vccz .LBB15_29
.LBB15_28:                              ;   in Loop: Header=BB15_26 Depth=1
	v_mov_b32_e32 v0, s18
	s_mov_b64 s[14:15], 0
.LBB15_29:                              ;   in Loop: Header=BB15_26 Depth=1
	v_mov_b32_e32 v1, 0
	s_andn2_b64 vcc, exec, s[14:15]
	v_lshl_add_u64 v[4:5], v[74:75], 0, v[78:79]
	s_cbranch_vccz .LBB15_39
; %bb.30:                               ;   in Loop: Header=BB15_26 Depth=1
	s_mov_b64 s[14:15], -1
	s_mov_b64 vcc, s[4:5]
                                        ; implicit-def: $vgpr2
	s_cbranch_vccnz .LBB15_40
.LBB15_31:                              ;   in Loop: Header=BB15_26 Depth=1
	v_mov_b32_e32 v157, 0
	s_andn2_b64 vcc, exec, s[14:15]
	v_mov_b32_e32 v3, 0
	s_cbranch_vccnz .LBB15_33
.LBB15_32:                              ;   in Loop: Header=BB15_26 Depth=1
	flat_load_dword v2, v[4:5] offset:512
	flat_load_dword v3, v[4:5] offset:768
	s_waitcnt vmcnt(0) lgkmcnt(0)
	v_mul_f32_e32 v2, s27, v2
	v_mul_f32_e32 v3, s27, v3
.LBB15_33:                              ;   in Loop: Header=BB15_26 Depth=1
	ds_read_b128 v[32:35], v155
	ds_read_b128 v[28:31], v155 offset:128
	ds_read_b128 v[24:27], v155 offset:256
	;; [unrolled: 1-line block ×7, first 2 shown]
	ds_read_b128 v[64:67], v156
	ds_read_b128 v[60:63], v156 offset:512
	ds_read_b128 v[56:59], v156 offset:1024
	ds_read_b128 v[52:55], v156 offset:1536
	ds_read_b128 v[48:51], v156 offset:2048
	ds_read_b128 v[44:47], v156 offset:2560
	ds_read_b128 v[40:43], v156 offset:3072
	ds_read_b128 v[36:39], v156 offset:3584
	s_and_b64 vcc, exec, s[6:7]
	ds_write_b32 v89, v80
	ds_write2st64_b32 v86, v0, v1 offset1:4
	ds_write2st64_b32 v86, v2, v3 offset0:8 offset1:12
	s_waitcnt lgkmcnt(0)
	s_barrier
	s_cbranch_vccnz .LBB15_35
; %bb.34:                               ;   in Loop: Header=BB15_26 Depth=1
	v_lshl_add_u64 v[0:1], v[70:71], 0, v[68:69]
	flat_load_dword v0, v[0:1]
	s_waitcnt vmcnt(0) lgkmcnt(0)
	v_mul_f32_e32 v157, s27, v0
.LBB15_35:                              ;   in Loop: Header=BB15_26 Depth=1
	s_mov_b64 s[14:15], -1
	s_mov_b64 vcc, s[4:5]
                                        ; implicit-def: $vgpr0_vgpr1_vgpr2_vgpr3
	s_cbranch_vccnz .LBB15_41
; %bb.36:                               ;   in Loop: Header=BB15_26 Depth=1
	v_mov_b32_e32 v1, 0
	s_andn2_b64 vcc, exec, s[14:15]
	v_lshl_add_u64 v[80:81], v[74:75], 0, v[72:73]
	s_cbranch_vccz .LBB15_42
.LBB15_37:                              ;   in Loop: Header=BB15_26 Depth=1
	s_mov_b64 s[14:15], -1
	s_mov_b64 vcc, s[4:5]
                                        ; implicit-def: $vgpr2
	s_cbranch_vccnz .LBB15_43
.LBB15_38:                              ;   in Loop: Header=BB15_26 Depth=1
	s_andn2_b64 vcc, exec, s[14:15]
	v_mov_b32_e32 v3, 0
	s_cbranch_vccnz .LBB15_25
	s_branch .LBB15_44
.LBB15_39:                              ;   in Loop: Header=BB15_26 Depth=1
	flat_load_dword v0, v[4:5]
	flat_load_dword v1, v[4:5] offset:256
	s_waitcnt vmcnt(0) lgkmcnt(0)
	v_mul_f32_e32 v0, s27, v0
	v_mul_f32_e32 v1, s27, v1
	s_mov_b64 s[14:15], -1
	s_mov_b64 vcc, s[4:5]
                                        ; implicit-def: $vgpr2
	s_cbranch_vccz .LBB15_31
.LBB15_40:                              ;   in Loop: Header=BB15_26 Depth=1
	v_mov_b32_e32 v2, s18
	v_mov_b32_e32 v157, 0
	;; [unrolled: 1-line block ×3, first 2 shown]
	s_cbranch_execz .LBB15_32
	s_branch .LBB15_33
.LBB15_41:                              ;   in Loop: Header=BB15_26 Depth=1
	v_mov_b32_e32 v0, s18
	v_mov_b32_e32 v1, 0
	v_lshl_add_u64 v[80:81], v[74:75], 0, v[72:73]
	s_cbranch_execnz .LBB15_37
.LBB15_42:                              ;   in Loop: Header=BB15_26 Depth=1
	flat_load_dword v0, v[80:81]
	flat_load_dword v1, v[80:81] offset:256
	s_waitcnt vmcnt(0) lgkmcnt(0)
	v_mul_f32_e32 v0, s27, v0
	v_mul_f32_e32 v1, s27, v1
	s_mov_b64 s[14:15], -1
	s_mov_b64 vcc, s[4:5]
                                        ; implicit-def: $vgpr2
	s_cbranch_vccz .LBB15_38
.LBB15_43:                              ;   in Loop: Header=BB15_26 Depth=1
	v_mov_b32_e32 v2, s18
	v_mov_b32_e32 v3, 0
	s_cbranch_execnz .LBB15_25
.LBB15_44:                              ;   in Loop: Header=BB15_26 Depth=1
	flat_load_dword v2, v[80:81] offset:512
	flat_load_dword v3, v[80:81] offset:768
	s_waitcnt vmcnt(0) lgkmcnt(0)
	v_mul_f32_e32 v2, s27, v2
	v_mul_f32_e32 v3, s27, v3
	s_branch .LBB15_25
.LBB15_45:                              ;   in Loop: Header=BB15_26 Depth=1
	v_mov_b32_e32 v80, 0
	s_mov_b64 s[14:15], -1
	s_mov_b64 vcc, s[4:5]
                                        ; implicit-def: $vgpr0_vgpr1_vgpr2_vgpr3
	s_cbranch_vccnz .LBB15_28
	s_branch .LBB15_29
.LBB15_46:
	s_load_dwordx2 s[2:3], s[0:1], 0x78
	s_load_dword s4, s[0:1], 0x58
	s_load_dword s5, s[0:1], 0x70
	ds_read_b128 v[32:35], v85 offset:9216
	ds_read_b128 v[24:27], v85 offset:9344
	;; [unrolled: 1-line block ×16, first 2 shown]
	s_waitcnt lgkmcnt(0)
	s_lshl_b64 s[0:1], s[2:3], 2
	s_add_u32 s0, s12, s0
	v_pk_add_f32 v[64:65], v[32:33], v[60:61]
	v_add_u32_e32 v154, s25, v83
	v_min3_f32 v66, v64, v65, v88
	v_pk_add_f32 v[64:65], v[34:35], v[62:63]
	s_addc_u32 s1, s13, s1
	v_min3_f32 v68, v64, v65, v66
	v_add_u32_e32 v70, s24, v82
	v_mad_i64_i32 v[66:67], s[2:3], v154, s5, 0
	v_add_u32_e32 v64, 8, v70
	v_lshl_add_u64 v[88:89], v[66:67], 2, s[0:1]
	v_mad_i64_i32 v[66:67], s[2:3], v154, s4, 0
	v_ashrrev_i32_e32 v71, 31, v70
	v_ashrrev_i32_e32 v65, 31, v64
	s_mov_b64 s[2:3], -1
	v_max_f32_e32 v68, v68, v68
	s_mov_b64 vcc, s[8:9]
	s_cbranch_vccz .LBB15_48
; %bb.47:
	v_min_f32_e32 v69, 0, v68
	v_lshl_add_u64 v[72:73], v[70:71], 2, v[88:89]
	flat_store_dword v[72:73], v69
	s_mov_b64 s[2:3], 0
.LBB15_48:
	v_lshl_add_u64 v[90:91], v[66:67], 2, s[10:11]
	v_mov_b32_e32 v69, 0
	s_andn2_b64 vcc, exec, s[2:3]
	v_lshlrev_b64 v[76:77], 2, v[70:71]
	s_cbranch_vccnz .LBB15_50
; %bb.49:
	v_lshl_add_u64 v[66:67], v[90:91], 0, v[76:77]
	flat_load_dword v69, v[66:67]
	v_lshl_add_u64 v[66:67], v[88:89], 0, v[76:77]
	s_waitcnt vmcnt(0) lgkmcnt(0)
	v_mul_f32_e32 v69, s26, v69
	v_min_f32_e32 v68, v69, v68
	flat_store_dword v[66:67], v68
	v_lshl_add_u64 v[66:67], v[64:65], 2, v[90:91]
	flat_load_dword v66, v[66:67]
	s_waitcnt vmcnt(0) lgkmcnt(0)
	v_mul_f32_e32 v69, s26, v66
.LBB15_50:
	v_pk_add_f32 v[66:67], v[24:25], v[60:61]
	v_add_u32_e32 v74, 16, v70
	v_min3_f32 v68, v66, v67, v153
	v_pk_add_f32 v[66:67], v[28:29], v[60:61]
	v_ashrrev_i32_e32 v75, 31, v74
	v_min3_f32 v72, v66, v67, v152
	v_pk_add_f32 v[66:67], v[26:27], v[62:63]
	s_mov_b64 s[2:3], -1
	v_min_f32_e32 v73, v66, v67
	v_pk_add_f32 v[66:67], v[30:31], v[62:63]
	v_min3_f32 v73, v69, v73, v68
	v_min3_f32 v72, v66, v67, v72
	v_add_u32_e32 v66, 24, v70
	v_lshl_add_u64 v[68:69], v[64:65], 2, v[88:89]
	v_ashrrev_i32_e32 v67, 31, v66
	flat_store_dword v[68:69], v73
	v_max_f32_e32 v68, v72, v72
	s_mov_b64 vcc, s[8:9]
	s_cbranch_vccz .LBB15_52
; %bb.51:
	v_min_f32_e32 v69, 0, v68
	v_lshl_add_u64 v[72:73], v[74:75], 2, v[88:89]
	flat_store_dword v[72:73], v69
	s_mov_b64 s[2:3], 0
.LBB15_52:
	v_mov_b32_e32 v72, 0
	s_andn2_b64 vcc, exec, s[2:3]
	v_lshlrev_b64 v[80:81], 2, v[74:75]
	s_cbranch_vccnz .LBB15_54
; %bb.53:
	v_lshl_add_u64 v[72:73], v[90:91], 0, v[80:81]
	flat_load_dword v69, v[72:73]
	v_lshl_add_u64 v[72:73], v[88:89], 0, v[80:81]
	s_waitcnt vmcnt(0) lgkmcnt(0)
	v_mul_f32_e32 v69, s26, v69
	v_min_f32_e32 v68, v69, v68
	flat_store_dword v[72:73], v68
	v_lshl_add_u64 v[68:69], v[66:67], 2, v[90:91]
	flat_load_dword v68, v[68:69]
	s_waitcnt vmcnt(0) lgkmcnt(0)
	v_mul_f32_e32 v72, s26, v68
.LBB15_54:
	v_pk_add_f32 v[68:69], v[20:21], v[60:61]
	s_mov_b64 s[2:3], -1
	v_min3_f32 v73, v68, v69, v151
	v_pk_add_f32 v[68:69], v[16:17], v[60:61]
	s_mov_b64 vcc, s[8:9]
	v_min3_f32 v78, v68, v69, v150
	v_pk_add_f32 v[68:69], v[22:23], v[62:63]
	s_nop 0
	v_min_f32_e32 v82, v68, v69
	v_pk_add_f32 v[68:69], v[18:19], v[62:63]
	v_min3_f32 v82, v72, v82, v73
	v_min3_f32 v83, v68, v69, v78
	v_add_u32_e32 v78, 32, v70
	v_add_u32_e32 v68, 40, v70
	v_lshl_add_u64 v[72:73], v[66:67], 2, v[88:89]
	v_ashrrev_i32_e32 v79, 31, v78
	v_ashrrev_i32_e32 v69, 31, v68
	flat_store_dword v[72:73], v82
	v_max_f32_e32 v72, v83, v83
	s_cbranch_vccz .LBB15_56
; %bb.55:
	v_min_f32_e32 v73, 0, v72
	v_lshl_add_u64 v[82:83], v[78:79], 2, v[88:89]
	flat_store_dword v[82:83], v73
	s_mov_b64 s[2:3], 0
.LBB15_56:
	v_mov_b32_e32 v86, 0
	s_andn2_b64 vcc, exec, s[2:3]
	v_lshlrev_b64 v[82:83], 2, v[78:79]
	s_cbranch_vccnz .LBB15_58
; %bb.57:
	v_lshl_add_u64 v[84:85], v[90:91], 0, v[82:83]
	flat_load_dword v73, v[84:85]
	v_lshl_add_u64 v[84:85], v[88:89], 0, v[82:83]
	s_waitcnt vmcnt(0) lgkmcnt(0)
	v_mul_f32_e32 v73, s26, v73
	v_min_f32_e32 v72, v73, v72
	flat_store_dword v[84:85], v72
	v_lshl_add_u64 v[72:73], v[68:69], 2, v[90:91]
	flat_load_dword v72, v[72:73]
	s_waitcnt vmcnt(0) lgkmcnt(0)
	v_mul_f32_e32 v86, s26, v72
.LBB15_58:
	v_pk_add_f32 v[72:73], v[12:13], v[60:61]
	s_mov_b64 s[2:3], -1
	v_min3_f32 v149, v72, v73, v149
	v_pk_add_f32 v[72:73], v[8:9], v[60:61]
	s_mov_b64 vcc, s[8:9]
	v_min3_f32 v84, v72, v73, v87
	v_pk_add_f32 v[72:73], v[14:15], v[62:63]
	s_nop 0
	v_min_f32_e32 v87, v72, v73
	v_pk_add_f32 v[72:73], v[10:11], v[62:63]
	v_min3_f32 v149, v86, v87, v149
	v_min3_f32 v150, v72, v73, v84
	v_add_u32_e32 v84, 48, v70
	v_add_u32_e32 v72, 56, v70
	v_lshl_add_u64 v[86:87], v[68:69], 2, v[88:89]
	v_ashrrev_i32_e32 v85, 31, v84
	v_ashrrev_i32_e32 v73, 31, v72
	flat_store_dword v[86:87], v149
	v_max_f32_e32 v149, v150, v150
	s_cbranch_vccz .LBB15_60
; %bb.59:
	v_min_f32_e32 v150, 0, v149
	v_lshl_add_u64 v[86:87], v[84:85], 2, v[88:89]
	flat_store_dword v[86:87], v150
	s_mov_b64 s[2:3], 0
.LBB15_60:
	v_mov_b32_e32 v150, 0
	s_andn2_b64 vcc, exec, s[2:3]
	v_lshlrev_b64 v[86:87], 2, v[84:85]
	s_cbranch_vccnz .LBB15_62
; %bb.61:
	v_lshl_add_u64 v[150:151], v[90:91], 0, v[86:87]
	flat_load_dword v152, v[150:151]
	v_lshl_add_u64 v[150:151], v[88:89], 0, v[86:87]
	v_lshl_add_u64 v[90:91], v[72:73], 2, v[90:91]
	s_waitcnt vmcnt(0) lgkmcnt(0)
	v_mul_f32_e32 v152, s26, v152
	v_min_f32_e32 v149, v152, v149
	flat_store_dword v[150:151], v149
	flat_load_dword v90, v[90:91]
	s_waitcnt vmcnt(0) lgkmcnt(0)
	v_mul_f32_e32 v150, s26, v90
.LBB15_62:
	v_pk_add_f32 v[60:61], v[0:1], v[60:61]
	s_mov_b64 vcc, s[8:9]
	v_min3_f32 v90, v60, v61, v148
	v_pk_add_f32 v[60:61], v[32:33], v[56:57]
	s_nop 0
	v_min3_f32 v91, v60, v61, v147
	v_pk_add_f32 v[60:61], v[2:3], v[62:63]
	s_nop 0
	v_min_f32_e32 v62, v60, v61
	v_pk_add_f32 v[60:61], v[34:35], v[58:59]
	v_min3_f32 v62, v150, v62, v90
	v_min3_f32 v91, v60, v61, v91
	v_lshl_add_u64 v[60:61], v[72:73], 2, v[88:89]
	flat_store_dword v[60:61], v62
	v_add_u32_e32 v62, 32, v154
	v_mad_i64_i32 v[60:61], s[2:3], v62, s5, 0
	v_mad_i64_i32 v[62:63], s[2:3], v62, s4, 0
	v_lshl_add_u64 v[60:61], v[60:61], 2, s[0:1]
	s_mov_b64 s[2:3], -1
	v_max_f32_e32 v88, v91, v91
	s_cbranch_vccz .LBB15_64
; %bb.63:
	v_min_f32_e32 v89, 0, v88
	v_lshl_add_u64 v[90:91], v[70:71], 2, v[60:61]
	flat_store_dword v[90:91], v89
	s_mov_b64 s[2:3], 0
.LBB15_64:
	v_lshl_add_u64 v[62:63], v[62:63], 2, s[10:11]
	s_andn2_b64 vcc, exec, s[2:3]
	v_mov_b32_e32 v89, 0
	s_cbranch_vccnz .LBB15_66
; %bb.65:
	v_lshl_add_u64 v[90:91], v[62:63], 0, v[76:77]
	flat_load_dword v89, v[90:91]
	v_lshl_add_u64 v[90:91], v[60:61], 0, v[76:77]
	s_waitcnt vmcnt(0) lgkmcnt(0)
	v_mul_f32_e32 v89, s26, v89
	v_min_f32_e32 v88, v89, v88
	flat_store_dword v[90:91], v88
	v_lshl_add_u64 v[88:89], v[64:65], 2, v[62:63]
	flat_load_dword v88, v[88:89]
	s_waitcnt vmcnt(0) lgkmcnt(0)
	v_mul_f32_e32 v89, s26, v88
.LBB15_66:
	v_pk_add_f32 v[90:91], v[24:25], v[56:57]
	s_mov_b64 s[2:3], -1
	v_min3_f32 v88, v90, v91, v146
	v_pk_add_f32 v[90:91], v[28:29], v[56:57]
	s_mov_b64 vcc, s[8:9]
	v_min3_f32 v145, v90, v91, v145
	v_pk_add_f32 v[90:91], v[26:27], v[58:59]
	s_nop 0
	v_min_f32_e32 v146, v90, v91
	v_pk_add_f32 v[90:91], v[30:31], v[58:59]
	s_nop 0
	v_min3_f32 v90, v90, v91, v145
	v_min3_f32 v91, v89, v146, v88
	v_lshl_add_u64 v[88:89], v[64:65], 2, v[60:61]
	flat_store_dword v[88:89], v91
	v_max_f32_e32 v88, v90, v90
	s_cbranch_vccz .LBB15_68
; %bb.67:
	v_min_f32_e32 v89, 0, v88
	v_lshl_add_u64 v[90:91], v[74:75], 2, v[60:61]
	flat_store_dword v[90:91], v89
	s_mov_b64 s[2:3], 0
.LBB15_68:
	s_andn2_b64 vcc, exec, s[2:3]
	v_mov_b32_e32 v89, 0
	s_cbranch_vccnz .LBB15_70
; %bb.69:
	v_lshl_add_u64 v[90:91], v[62:63], 0, v[80:81]
	flat_load_dword v89, v[90:91]
	v_lshl_add_u64 v[90:91], v[60:61], 0, v[80:81]
	s_waitcnt vmcnt(0) lgkmcnt(0)
	v_mul_f32_e32 v89, s26, v89
	v_min_f32_e32 v88, v89, v88
	flat_store_dword v[90:91], v88
	v_lshl_add_u64 v[88:89], v[66:67], 2, v[62:63]
	flat_load_dword v88, v[88:89]
	s_waitcnt vmcnt(0) lgkmcnt(0)
	v_mul_f32_e32 v89, s26, v88
.LBB15_70:
	v_pk_add_f32 v[90:91], v[20:21], v[56:57]
	s_mov_b64 s[2:3], -1
	v_min3_f32 v88, v90, v91, v144
	v_pk_add_f32 v[90:91], v[16:17], v[56:57]
	s_mov_b64 vcc, s[8:9]
	v_min3_f32 v143, v90, v91, v143
	v_pk_add_f32 v[90:91], v[22:23], v[58:59]
	s_nop 0
	v_min_f32_e32 v144, v90, v91
	v_pk_add_f32 v[90:91], v[18:19], v[58:59]
	s_nop 0
	v_min3_f32 v90, v90, v91, v143
	v_min3_f32 v91, v89, v144, v88
	v_lshl_add_u64 v[88:89], v[66:67], 2, v[60:61]
	flat_store_dword v[88:89], v91
	v_max_f32_e32 v88, v90, v90
	s_cbranch_vccz .LBB15_72
; %bb.71:
	v_min_f32_e32 v89, 0, v88
	v_lshl_add_u64 v[90:91], v[78:79], 2, v[60:61]
	flat_store_dword v[90:91], v89
	s_mov_b64 s[2:3], 0
.LBB15_72:
	;; [unrolled: 39-line block ×3, first 2 shown]
	s_andn2_b64 vcc, exec, s[2:3]
	v_mov_b32_e32 v89, 0
	s_cbranch_vccnz .LBB15_78
; %bb.77:
	v_lshl_add_u64 v[90:91], v[62:63], 0, v[86:87]
	flat_load_dword v89, v[90:91]
	v_lshl_add_u64 v[90:91], v[60:61], 0, v[86:87]
	v_lshl_add_u64 v[62:63], v[72:73], 2, v[62:63]
	s_waitcnt vmcnt(0) lgkmcnt(0)
	v_mul_f32_e32 v89, s26, v89
	v_min_f32_e32 v88, v89, v88
	flat_store_dword v[90:91], v88
	flat_load_dword v62, v[62:63]
	s_waitcnt vmcnt(0) lgkmcnt(0)
	v_mul_f32_e32 v89, s26, v62
.LBB15_78:
	v_pk_add_f32 v[56:57], v[0:1], v[56:57]
	s_mov_b64 vcc, s[8:9]
	v_min3_f32 v62, v56, v57, v140
	v_pk_add_f32 v[56:57], v[32:33], v[52:53]
	s_nop 0
	v_min3_f32 v63, v56, v57, v139
	v_pk_add_f32 v[56:57], v[2:3], v[58:59]
	s_nop 0
	v_min_f32_e32 v58, v56, v57
	v_pk_add_f32 v[56:57], v[34:35], v[54:55]
	v_min3_f32 v58, v89, v58, v62
	v_min3_f32 v63, v56, v57, v63
	v_lshl_add_u64 v[56:57], v[72:73], 2, v[60:61]
	flat_store_dword v[56:57], v58
	v_add_u32_e32 v58, 64, v154
	v_mad_i64_i32 v[56:57], s[2:3], v58, s5, 0
	v_mad_i64_i32 v[58:59], s[2:3], v58, s4, 0
	v_lshl_add_u64 v[56:57], v[56:57], 2, s[0:1]
	s_mov_b64 s[2:3], -1
	v_max_f32_e32 v60, v63, v63
	s_cbranch_vccz .LBB15_80
; %bb.79:
	v_min_f32_e32 v61, 0, v60
	v_lshl_add_u64 v[62:63], v[70:71], 2, v[56:57]
	flat_store_dword v[62:63], v61
	s_mov_b64 s[2:3], 0
.LBB15_80:
	v_lshl_add_u64 v[58:59], v[58:59], 2, s[10:11]
	s_andn2_b64 vcc, exec, s[2:3]
	v_mov_b32_e32 v61, 0
	s_cbranch_vccnz .LBB15_82
; %bb.81:
	v_lshl_add_u64 v[62:63], v[58:59], 0, v[76:77]
	flat_load_dword v61, v[62:63]
	v_lshl_add_u64 v[62:63], v[56:57], 0, v[76:77]
	s_waitcnt vmcnt(0) lgkmcnt(0)
	v_mul_f32_e32 v61, s26, v61
	v_min_f32_e32 v60, v61, v60
	flat_store_dword v[62:63], v60
	v_lshl_add_u64 v[60:61], v[64:65], 2, v[58:59]
	flat_load_dword v60, v[60:61]
	s_waitcnt vmcnt(0) lgkmcnt(0)
	v_mul_f32_e32 v61, s26, v60
.LBB15_82:
	v_pk_add_f32 v[62:63], v[24:25], v[52:53]
	s_mov_b64 s[2:3], -1
	v_min3_f32 v60, v62, v63, v138
	v_pk_add_f32 v[62:63], v[28:29], v[52:53]
	s_mov_b64 vcc, s[8:9]
	v_min3_f32 v88, v62, v63, v137
	v_pk_add_f32 v[62:63], v[26:27], v[54:55]
	s_nop 0
	v_min_f32_e32 v89, v62, v63
	v_pk_add_f32 v[62:63], v[30:31], v[54:55]
	s_nop 0
	v_min3_f32 v62, v62, v63, v88
	v_min3_f32 v63, v61, v89, v60
	v_lshl_add_u64 v[60:61], v[64:65], 2, v[56:57]
	flat_store_dword v[60:61], v63
	v_max_f32_e32 v60, v62, v62
	s_cbranch_vccz .LBB15_84
; %bb.83:
	v_min_f32_e32 v61, 0, v60
	v_lshl_add_u64 v[62:63], v[74:75], 2, v[56:57]
	flat_store_dword v[62:63], v61
	s_mov_b64 s[2:3], 0
.LBB15_84:
	s_andn2_b64 vcc, exec, s[2:3]
	v_mov_b32_e32 v61, 0
	s_cbranch_vccnz .LBB15_86
; %bb.85:
	v_lshl_add_u64 v[62:63], v[58:59], 0, v[80:81]
	flat_load_dword v61, v[62:63]
	v_lshl_add_u64 v[62:63], v[56:57], 0, v[80:81]
	s_waitcnt vmcnt(0) lgkmcnt(0)
	v_mul_f32_e32 v61, s26, v61
	v_min_f32_e32 v60, v61, v60
	flat_store_dword v[62:63], v60
	v_lshl_add_u64 v[60:61], v[66:67], 2, v[58:59]
	flat_load_dword v60, v[60:61]
	s_waitcnt vmcnt(0) lgkmcnt(0)
	v_mul_f32_e32 v61, s26, v60
.LBB15_86:
	v_pk_add_f32 v[62:63], v[20:21], v[52:53]
	s_mov_b64 s[2:3], -1
	v_min3_f32 v60, v62, v63, v136
	v_pk_add_f32 v[62:63], v[16:17], v[52:53]
	s_mov_b64 vcc, s[8:9]
	v_min3_f32 v88, v62, v63, v135
	v_pk_add_f32 v[62:63], v[22:23], v[54:55]
	s_nop 0
	v_min_f32_e32 v89, v62, v63
	v_pk_add_f32 v[62:63], v[18:19], v[54:55]
	s_nop 0
	v_min3_f32 v62, v62, v63, v88
	v_min3_f32 v63, v61, v89, v60
	v_lshl_add_u64 v[60:61], v[66:67], 2, v[56:57]
	flat_store_dword v[60:61], v63
	v_max_f32_e32 v60, v62, v62
	s_cbranch_vccz .LBB15_88
; %bb.87:
	v_min_f32_e32 v61, 0, v60
	v_lshl_add_u64 v[62:63], v[78:79], 2, v[56:57]
	flat_store_dword v[62:63], v61
	s_mov_b64 s[2:3], 0
.LBB15_88:
	;; [unrolled: 39-line block ×3, first 2 shown]
	s_andn2_b64 vcc, exec, s[2:3]
	v_mov_b32_e32 v61, 0
	s_cbranch_vccnz .LBB15_94
; %bb.93:
	v_lshl_add_u64 v[62:63], v[58:59], 0, v[86:87]
	flat_load_dword v61, v[62:63]
	v_lshl_add_u64 v[62:63], v[56:57], 0, v[86:87]
	v_lshl_add_u64 v[58:59], v[72:73], 2, v[58:59]
	s_waitcnt vmcnt(0) lgkmcnt(0)
	v_mul_f32_e32 v61, s26, v61
	v_min_f32_e32 v60, v61, v60
	flat_store_dword v[62:63], v60
	flat_load_dword v58, v[58:59]
	s_waitcnt vmcnt(0) lgkmcnt(0)
	v_mul_f32_e32 v61, s26, v58
.LBB15_94:
	v_pk_add_f32 v[52:53], v[0:1], v[52:53]
	s_mov_b64 vcc, s[8:9]
	v_min3_f32 v58, v52, v53, v132
	v_pk_add_f32 v[52:53], v[32:33], v[48:49]
	s_nop 0
	v_min3_f32 v59, v52, v53, v131
	v_pk_add_f32 v[52:53], v[2:3], v[54:55]
	s_nop 0
	v_min_f32_e32 v54, v52, v53
	v_pk_add_f32 v[52:53], v[34:35], v[50:51]
	v_min3_f32 v54, v61, v54, v58
	v_min3_f32 v59, v52, v53, v59
	v_lshl_add_u64 v[52:53], v[72:73], 2, v[56:57]
	flat_store_dword v[52:53], v54
	v_add_u32_e32 v54, 0x60, v154
	v_mad_i64_i32 v[52:53], s[2:3], v54, s5, 0
	v_mad_i64_i32 v[54:55], s[2:3], v54, s4, 0
	v_lshl_add_u64 v[52:53], v[52:53], 2, s[0:1]
	s_mov_b64 s[2:3], -1
	v_max_f32_e32 v56, v59, v59
	s_cbranch_vccz .LBB15_96
; %bb.95:
	v_min_f32_e32 v57, 0, v56
	v_lshl_add_u64 v[58:59], v[70:71], 2, v[52:53]
	flat_store_dword v[58:59], v57
	s_mov_b64 s[2:3], 0
.LBB15_96:
	v_lshl_add_u64 v[54:55], v[54:55], 2, s[10:11]
	s_andn2_b64 vcc, exec, s[2:3]
	v_mov_b32_e32 v57, 0
	s_cbranch_vccnz .LBB15_98
; %bb.97:
	v_lshl_add_u64 v[58:59], v[54:55], 0, v[76:77]
	flat_load_dword v57, v[58:59]
	v_lshl_add_u64 v[58:59], v[52:53], 0, v[76:77]
	s_waitcnt vmcnt(0) lgkmcnt(0)
	v_mul_f32_e32 v57, s26, v57
	v_min_f32_e32 v56, v57, v56
	flat_store_dword v[58:59], v56
	v_lshl_add_u64 v[56:57], v[64:65], 2, v[54:55]
	flat_load_dword v56, v[56:57]
	s_waitcnt vmcnt(0) lgkmcnt(0)
	v_mul_f32_e32 v57, s26, v56
.LBB15_98:
	v_pk_add_f32 v[58:59], v[24:25], v[48:49]
	s_mov_b64 s[2:3], -1
	v_min3_f32 v56, v58, v59, v130
	v_pk_add_f32 v[58:59], v[28:29], v[48:49]
	s_mov_b64 vcc, s[8:9]
	v_min3_f32 v60, v58, v59, v129
	v_pk_add_f32 v[58:59], v[26:27], v[50:51]
	s_nop 0
	v_min_f32_e32 v61, v58, v59
	v_pk_add_f32 v[58:59], v[30:31], v[50:51]
	s_nop 0
	v_min3_f32 v58, v58, v59, v60
	v_min3_f32 v59, v57, v61, v56
	v_lshl_add_u64 v[56:57], v[64:65], 2, v[52:53]
	flat_store_dword v[56:57], v59
	v_max_f32_e32 v56, v58, v58
	s_cbranch_vccz .LBB15_100
; %bb.99:
	v_min_f32_e32 v57, 0, v56
	v_lshl_add_u64 v[58:59], v[74:75], 2, v[52:53]
	flat_store_dword v[58:59], v57
	s_mov_b64 s[2:3], 0
.LBB15_100:
	s_andn2_b64 vcc, exec, s[2:3]
	v_mov_b32_e32 v57, 0
	s_cbranch_vccnz .LBB15_102
; %bb.101:
	v_lshl_add_u64 v[58:59], v[54:55], 0, v[80:81]
	flat_load_dword v57, v[58:59]
	v_lshl_add_u64 v[58:59], v[52:53], 0, v[80:81]
	s_waitcnt vmcnt(0) lgkmcnt(0)
	v_mul_f32_e32 v57, s26, v57
	v_min_f32_e32 v56, v57, v56
	flat_store_dword v[58:59], v56
	v_lshl_add_u64 v[56:57], v[66:67], 2, v[54:55]
	flat_load_dword v56, v[56:57]
	s_waitcnt vmcnt(0) lgkmcnt(0)
	v_mul_f32_e32 v57, s26, v56
.LBB15_102:
	v_pk_add_f32 v[58:59], v[20:21], v[48:49]
	s_mov_b64 s[2:3], -1
	v_min3_f32 v56, v58, v59, v128
	v_pk_add_f32 v[58:59], v[16:17], v[48:49]
	s_mov_b64 vcc, s[8:9]
	v_min3_f32 v60, v58, v59, v127
	v_pk_add_f32 v[58:59], v[22:23], v[50:51]
	s_nop 0
	v_min_f32_e32 v61, v58, v59
	v_pk_add_f32 v[58:59], v[18:19], v[50:51]
	s_nop 0
	v_min3_f32 v58, v58, v59, v60
	v_min3_f32 v59, v57, v61, v56
	v_lshl_add_u64 v[56:57], v[66:67], 2, v[52:53]
	flat_store_dword v[56:57], v59
	v_max_f32_e32 v56, v58, v58
	s_cbranch_vccz .LBB15_104
; %bb.103:
	v_min_f32_e32 v57, 0, v56
	v_lshl_add_u64 v[58:59], v[78:79], 2, v[52:53]
	flat_store_dword v[58:59], v57
	s_mov_b64 s[2:3], 0
.LBB15_104:
	s_andn2_b64 vcc, exec, s[2:3]
	v_mov_b32_e32 v57, 0
	s_cbranch_vccnz .LBB15_106
; %bb.105:
	v_lshl_add_u64 v[58:59], v[54:55], 0, v[82:83]
	flat_load_dword v57, v[58:59]
	v_lshl_add_u64 v[58:59], v[52:53], 0, v[82:83]
	s_waitcnt vmcnt(0) lgkmcnt(0)
	v_mul_f32_e32 v57, s26, v57
	v_min_f32_e32 v56, v57, v56
	flat_store_dword v[58:59], v56
	v_lshl_add_u64 v[56:57], v[68:69], 2, v[54:55]
	flat_load_dword v56, v[56:57]
	s_waitcnt vmcnt(0) lgkmcnt(0)
	v_mul_f32_e32 v57, s26, v56
.LBB15_106:
	v_pk_add_f32 v[58:59], v[12:13], v[48:49]
	s_mov_b64 s[2:3], -1
	v_min3_f32 v56, v58, v59, v123
	v_pk_add_f32 v[58:59], v[8:9], v[48:49]
	s_mov_b64 vcc, s[8:9]
	v_min3_f32 v60, v58, v59, v124
	v_pk_add_f32 v[58:59], v[14:15], v[50:51]
	s_nop 0
	v_min_f32_e32 v61, v58, v59
	v_pk_add_f32 v[58:59], v[10:11], v[50:51]
	s_nop 0
	v_min3_f32 v58, v58, v59, v60
	v_min3_f32 v59, v57, v61, v56
	v_lshl_add_u64 v[56:57], v[68:69], 2, v[52:53]
	flat_store_dword v[56:57], v59
	v_max_f32_e32 v56, v58, v58
	s_cbranch_vccz .LBB15_108
; %bb.107:
	v_min_f32_e32 v57, 0, v56
	v_lshl_add_u64 v[58:59], v[84:85], 2, v[52:53]
	flat_store_dword v[58:59], v57
	s_mov_b64 s[2:3], 0
.LBB15_108:
	s_andn2_b64 vcc, exec, s[2:3]
	v_mov_b32_e32 v57, 0
	s_cbranch_vccnz .LBB15_110
; %bb.109:
	v_lshl_add_u64 v[58:59], v[54:55], 0, v[86:87]
	flat_load_dword v57, v[58:59]
	v_lshl_add_u64 v[58:59], v[52:53], 0, v[86:87]
	v_lshl_add_u64 v[54:55], v[72:73], 2, v[54:55]
	s_waitcnt vmcnt(0) lgkmcnt(0)
	v_mul_f32_e32 v57, s26, v57
	v_min_f32_e32 v56, v57, v56
	flat_store_dword v[58:59], v56
	flat_load_dword v54, v[54:55]
	s_waitcnt vmcnt(0) lgkmcnt(0)
	v_mul_f32_e32 v57, s26, v54
.LBB15_110:
	v_pk_add_f32 v[48:49], v[0:1], v[48:49]
	s_mov_b64 vcc, s[8:9]
	v_min3_f32 v54, v48, v49, v126
	v_pk_add_f32 v[48:49], v[32:33], v[44:45]
	s_nop 0
	v_min3_f32 v55, v48, v49, v125
	v_pk_add_f32 v[48:49], v[2:3], v[50:51]
	s_nop 0
	v_min_f32_e32 v50, v48, v49
	v_pk_add_f32 v[48:49], v[34:35], v[46:47]
	v_min3_f32 v50, v57, v50, v54
	v_min3_f32 v55, v48, v49, v55
	v_lshl_add_u64 v[48:49], v[72:73], 2, v[52:53]
	flat_store_dword v[48:49], v50
	v_add_u32_e32 v50, 0x80, v154
	v_mad_i64_i32 v[48:49], s[2:3], v50, s5, 0
	v_mad_i64_i32 v[50:51], s[2:3], v50, s4, 0
	v_lshl_add_u64 v[48:49], v[48:49], 2, s[0:1]
	s_mov_b64 s[2:3], -1
	v_max_f32_e32 v52, v55, v55
	s_cbranch_vccz .LBB15_112
; %bb.111:
	v_min_f32_e32 v53, 0, v52
	v_lshl_add_u64 v[54:55], v[70:71], 2, v[48:49]
	flat_store_dword v[54:55], v53
	s_mov_b64 s[2:3], 0
.LBB15_112:
	v_lshl_add_u64 v[50:51], v[50:51], 2, s[10:11]
	s_andn2_b64 vcc, exec, s[2:3]
	v_mov_b32_e32 v53, 0
	s_cbranch_vccnz .LBB15_114
; %bb.113:
	v_lshl_add_u64 v[54:55], v[50:51], 0, v[76:77]
	flat_load_dword v53, v[54:55]
	v_lshl_add_u64 v[54:55], v[48:49], 0, v[76:77]
	s_waitcnt vmcnt(0) lgkmcnt(0)
	v_mul_f32_e32 v53, s26, v53
	v_min_f32_e32 v52, v53, v52
	flat_store_dword v[54:55], v52
	v_lshl_add_u64 v[52:53], v[64:65], 2, v[50:51]
	flat_load_dword v52, v[52:53]
	s_waitcnt vmcnt(0) lgkmcnt(0)
	v_mul_f32_e32 v53, s26, v52
.LBB15_114:
	v_pk_add_f32 v[54:55], v[24:25], v[44:45]
	s_mov_b64 s[2:3], -1
	v_min3_f32 v52, v54, v55, v122
	v_pk_add_f32 v[54:55], v[28:29], v[44:45]
	s_mov_b64 vcc, s[8:9]
	v_min3_f32 v56, v54, v55, v121
	v_pk_add_f32 v[54:55], v[26:27], v[46:47]
	s_nop 0
	v_min_f32_e32 v57, v54, v55
	v_pk_add_f32 v[54:55], v[30:31], v[46:47]
	s_nop 0
	v_min3_f32 v54, v54, v55, v56
	v_min3_f32 v55, v53, v57, v52
	v_lshl_add_u64 v[52:53], v[64:65], 2, v[48:49]
	flat_store_dword v[52:53], v55
	v_max_f32_e32 v52, v54, v54
	s_cbranch_vccz .LBB15_116
; %bb.115:
	v_min_f32_e32 v53, 0, v52
	v_lshl_add_u64 v[54:55], v[74:75], 2, v[48:49]
	flat_store_dword v[54:55], v53
	s_mov_b64 s[2:3], 0
.LBB15_116:
	s_andn2_b64 vcc, exec, s[2:3]
	v_mov_b32_e32 v53, 0
	s_cbranch_vccnz .LBB15_118
; %bb.117:
	v_lshl_add_u64 v[54:55], v[50:51], 0, v[80:81]
	flat_load_dword v53, v[54:55]
	v_lshl_add_u64 v[54:55], v[48:49], 0, v[80:81]
	s_waitcnt vmcnt(0) lgkmcnt(0)
	v_mul_f32_e32 v53, s26, v53
	v_min_f32_e32 v52, v53, v52
	flat_store_dword v[54:55], v52
	v_lshl_add_u64 v[52:53], v[66:67], 2, v[50:51]
	flat_load_dword v52, v[52:53]
	s_waitcnt vmcnt(0) lgkmcnt(0)
	v_mul_f32_e32 v53, s26, v52
.LBB15_118:
	v_pk_add_f32 v[54:55], v[20:21], v[44:45]
	s_mov_b64 s[2:3], -1
	v_min3_f32 v52, v54, v55, v120
	v_pk_add_f32 v[54:55], v[16:17], v[44:45]
	s_mov_b64 vcc, s[8:9]
	v_min3_f32 v56, v54, v55, v119
	v_pk_add_f32 v[54:55], v[22:23], v[46:47]
	s_nop 0
	v_min_f32_e32 v57, v54, v55
	v_pk_add_f32 v[54:55], v[18:19], v[46:47]
	s_nop 0
	v_min3_f32 v54, v54, v55, v56
	v_min3_f32 v55, v53, v57, v52
	v_lshl_add_u64 v[52:53], v[66:67], 2, v[48:49]
	flat_store_dword v[52:53], v55
	v_max_f32_e32 v52, v54, v54
	s_cbranch_vccz .LBB15_120
; %bb.119:
	v_min_f32_e32 v53, 0, v52
	v_lshl_add_u64 v[54:55], v[78:79], 2, v[48:49]
	flat_store_dword v[54:55], v53
	s_mov_b64 s[2:3], 0
.LBB15_120:
	;; [unrolled: 39-line block ×3, first 2 shown]
	s_andn2_b64 vcc, exec, s[2:3]
	v_mov_b32_e32 v53, 0
	s_cbranch_vccnz .LBB15_126
; %bb.125:
	v_lshl_add_u64 v[54:55], v[50:51], 0, v[86:87]
	flat_load_dword v53, v[54:55]
	v_lshl_add_u64 v[54:55], v[48:49], 0, v[86:87]
	v_lshl_add_u64 v[50:51], v[72:73], 2, v[50:51]
	s_waitcnt vmcnt(0) lgkmcnt(0)
	v_mul_f32_e32 v53, s26, v53
	v_min_f32_e32 v52, v53, v52
	flat_store_dword v[54:55], v52
	flat_load_dword v50, v[50:51]
	s_waitcnt vmcnt(0) lgkmcnt(0)
	v_mul_f32_e32 v53, s26, v50
.LBB15_126:
	v_pk_add_f32 v[44:45], v[0:1], v[44:45]
	s_mov_b64 vcc, s[8:9]
	v_min3_f32 v50, v44, v45, v116
	v_pk_add_f32 v[44:45], v[32:33], v[40:41]
	s_nop 0
	v_min3_f32 v51, v44, v45, v115
	v_pk_add_f32 v[44:45], v[2:3], v[46:47]
	s_nop 0
	v_min_f32_e32 v46, v44, v45
	v_pk_add_f32 v[44:45], v[34:35], v[42:43]
	v_min3_f32 v46, v53, v46, v50
	v_min3_f32 v51, v44, v45, v51
	v_lshl_add_u64 v[44:45], v[72:73], 2, v[48:49]
	flat_store_dword v[44:45], v46
	v_add_u32_e32 v46, 0xa0, v154
	v_mad_i64_i32 v[44:45], s[2:3], v46, s5, 0
	v_mad_i64_i32 v[46:47], s[2:3], v46, s4, 0
	v_lshl_add_u64 v[44:45], v[44:45], 2, s[0:1]
	s_mov_b64 s[2:3], -1
	v_max_f32_e32 v48, v51, v51
	s_cbranch_vccz .LBB15_128
; %bb.127:
	v_min_f32_e32 v49, 0, v48
	v_lshl_add_u64 v[50:51], v[70:71], 2, v[44:45]
	flat_store_dword v[50:51], v49
	s_mov_b64 s[2:3], 0
.LBB15_128:
	v_lshl_add_u64 v[46:47], v[46:47], 2, s[10:11]
	s_andn2_b64 vcc, exec, s[2:3]
	v_mov_b32_e32 v49, 0
	s_cbranch_vccnz .LBB15_130
; %bb.129:
	v_lshl_add_u64 v[50:51], v[46:47], 0, v[76:77]
	flat_load_dword v49, v[50:51]
	v_lshl_add_u64 v[50:51], v[44:45], 0, v[76:77]
	s_waitcnt vmcnt(0) lgkmcnt(0)
	v_mul_f32_e32 v49, s26, v49
	v_min_f32_e32 v48, v49, v48
	flat_store_dword v[50:51], v48
	v_lshl_add_u64 v[48:49], v[64:65], 2, v[46:47]
	flat_load_dword v48, v[48:49]
	s_waitcnt vmcnt(0) lgkmcnt(0)
	v_mul_f32_e32 v49, s26, v48
.LBB15_130:
	v_pk_add_f32 v[50:51], v[24:25], v[40:41]
	s_mov_b64 s[2:3], -1
	v_min3_f32 v48, v50, v51, v114
	v_pk_add_f32 v[50:51], v[28:29], v[40:41]
	s_mov_b64 vcc, s[8:9]
	v_min3_f32 v52, v50, v51, v113
	v_pk_add_f32 v[50:51], v[26:27], v[42:43]
	s_nop 0
	v_min_f32_e32 v53, v50, v51
	v_pk_add_f32 v[50:51], v[30:31], v[42:43]
	s_nop 0
	v_min3_f32 v50, v50, v51, v52
	v_min3_f32 v51, v49, v53, v48
	v_lshl_add_u64 v[48:49], v[64:65], 2, v[44:45]
	flat_store_dword v[48:49], v51
	v_max_f32_e32 v48, v50, v50
	s_cbranch_vccz .LBB15_132
; %bb.131:
	v_min_f32_e32 v49, 0, v48
	v_lshl_add_u64 v[50:51], v[74:75], 2, v[44:45]
	flat_store_dword v[50:51], v49
	s_mov_b64 s[2:3], 0
.LBB15_132:
	s_andn2_b64 vcc, exec, s[2:3]
	v_mov_b32_e32 v49, 0
	s_cbranch_vccnz .LBB15_134
; %bb.133:
	v_lshl_add_u64 v[50:51], v[46:47], 0, v[80:81]
	flat_load_dword v49, v[50:51]
	v_lshl_add_u64 v[50:51], v[44:45], 0, v[80:81]
	s_waitcnt vmcnt(0) lgkmcnt(0)
	v_mul_f32_e32 v49, s26, v49
	v_min_f32_e32 v48, v49, v48
	flat_store_dword v[50:51], v48
	v_lshl_add_u64 v[48:49], v[66:67], 2, v[46:47]
	flat_load_dword v48, v[48:49]
	s_waitcnt vmcnt(0) lgkmcnt(0)
	v_mul_f32_e32 v49, s26, v48
.LBB15_134:
	v_pk_add_f32 v[50:51], v[20:21], v[40:41]
	s_mov_b64 s[2:3], -1
	v_min3_f32 v48, v50, v51, v112
	v_pk_add_f32 v[50:51], v[16:17], v[40:41]
	s_mov_b64 vcc, s[8:9]
	v_min3_f32 v52, v50, v51, v111
	v_pk_add_f32 v[50:51], v[22:23], v[42:43]
	s_nop 0
	v_min_f32_e32 v53, v50, v51
	v_pk_add_f32 v[50:51], v[18:19], v[42:43]
	s_nop 0
	v_min3_f32 v50, v50, v51, v52
	v_min3_f32 v51, v49, v53, v48
	v_lshl_add_u64 v[48:49], v[66:67], 2, v[44:45]
	flat_store_dword v[48:49], v51
	v_max_f32_e32 v48, v50, v50
	s_cbranch_vccz .LBB15_136
; %bb.135:
	v_min_f32_e32 v49, 0, v48
	v_lshl_add_u64 v[50:51], v[78:79], 2, v[44:45]
	flat_store_dword v[50:51], v49
	s_mov_b64 s[2:3], 0
.LBB15_136:
	;; [unrolled: 39-line block ×3, first 2 shown]
	s_andn2_b64 vcc, exec, s[2:3]
	v_mov_b32_e32 v49, 0
	s_cbranch_vccnz .LBB15_142
; %bb.141:
	v_lshl_add_u64 v[50:51], v[46:47], 0, v[86:87]
	flat_load_dword v49, v[50:51]
	v_lshl_add_u64 v[50:51], v[44:45], 0, v[86:87]
	v_lshl_add_u64 v[46:47], v[72:73], 2, v[46:47]
	s_waitcnt vmcnt(0) lgkmcnt(0)
	v_mul_f32_e32 v49, s26, v49
	v_min_f32_e32 v48, v49, v48
	flat_store_dword v[50:51], v48
	flat_load_dword v46, v[46:47]
	s_waitcnt vmcnt(0) lgkmcnt(0)
	v_mul_f32_e32 v49, s26, v46
.LBB15_142:
	v_pk_add_f32 v[40:41], v[0:1], v[40:41]
	s_mov_b64 vcc, s[8:9]
	v_min3_f32 v46, v40, v41, v108
	v_pk_add_f32 v[40:41], v[32:33], v[36:37]
	s_nop 0
	v_min3_f32 v47, v40, v41, v107
	v_pk_add_f32 v[40:41], v[2:3], v[42:43]
	s_nop 0
	v_min_f32_e32 v42, v40, v41
	v_pk_add_f32 v[40:41], v[34:35], v[38:39]
	v_min3_f32 v42, v49, v42, v46
	v_min3_f32 v47, v40, v41, v47
	v_lshl_add_u64 v[40:41], v[72:73], 2, v[44:45]
	flat_store_dword v[40:41], v42
	v_add_u32_e32 v42, 0xc0, v154
	v_mad_i64_i32 v[40:41], s[2:3], v42, s5, 0
	v_mad_i64_i32 v[42:43], s[2:3], v42, s4, 0
	v_lshl_add_u64 v[40:41], v[40:41], 2, s[0:1]
	s_mov_b64 s[2:3], -1
	v_max_f32_e32 v44, v47, v47
	s_cbranch_vccz .LBB15_144
; %bb.143:
	v_min_f32_e32 v45, 0, v44
	v_lshl_add_u64 v[46:47], v[70:71], 2, v[40:41]
	flat_store_dword v[46:47], v45
	s_mov_b64 s[2:3], 0
.LBB15_144:
	v_lshl_add_u64 v[42:43], v[42:43], 2, s[10:11]
	s_andn2_b64 vcc, exec, s[2:3]
	v_mov_b32_e32 v45, 0
	s_cbranch_vccnz .LBB15_146
; %bb.145:
	v_lshl_add_u64 v[46:47], v[42:43], 0, v[76:77]
	flat_load_dword v45, v[46:47]
	v_lshl_add_u64 v[46:47], v[40:41], 0, v[76:77]
	s_waitcnt vmcnt(0) lgkmcnt(0)
	v_mul_f32_e32 v45, s26, v45
	v_min_f32_e32 v44, v45, v44
	flat_store_dword v[46:47], v44
	v_lshl_add_u64 v[44:45], v[64:65], 2, v[42:43]
	flat_load_dword v44, v[44:45]
	s_waitcnt vmcnt(0) lgkmcnt(0)
	v_mul_f32_e32 v45, s26, v44
.LBB15_146:
	v_pk_add_f32 v[46:47], v[24:25], v[36:37]
	s_mov_b64 s[2:3], -1
	v_min3_f32 v44, v46, v47, v106
	v_pk_add_f32 v[46:47], v[28:29], v[36:37]
	s_mov_b64 vcc, s[8:9]
	v_min3_f32 v48, v46, v47, v105
	v_pk_add_f32 v[46:47], v[26:27], v[38:39]
	s_nop 0
	v_min_f32_e32 v49, v46, v47
	v_pk_add_f32 v[46:47], v[30:31], v[38:39]
	s_nop 0
	v_min3_f32 v46, v46, v47, v48
	v_min3_f32 v47, v45, v49, v44
	v_lshl_add_u64 v[44:45], v[64:65], 2, v[40:41]
	flat_store_dword v[44:45], v47
	v_max_f32_e32 v44, v46, v46
	s_cbranch_vccz .LBB15_148
; %bb.147:
	v_min_f32_e32 v45, 0, v44
	v_lshl_add_u64 v[46:47], v[74:75], 2, v[40:41]
	flat_store_dword v[46:47], v45
	s_mov_b64 s[2:3], 0
.LBB15_148:
	s_andn2_b64 vcc, exec, s[2:3]
	v_mov_b32_e32 v45, 0
	s_cbranch_vccnz .LBB15_150
; %bb.149:
	v_lshl_add_u64 v[46:47], v[42:43], 0, v[80:81]
	flat_load_dword v45, v[46:47]
	v_lshl_add_u64 v[46:47], v[40:41], 0, v[80:81]
	s_waitcnt vmcnt(0) lgkmcnt(0)
	v_mul_f32_e32 v45, s26, v45
	v_min_f32_e32 v44, v45, v44
	flat_store_dword v[46:47], v44
	v_lshl_add_u64 v[44:45], v[66:67], 2, v[42:43]
	flat_load_dword v44, v[44:45]
	s_waitcnt vmcnt(0) lgkmcnt(0)
	v_mul_f32_e32 v45, s26, v44
.LBB15_150:
	v_pk_add_f32 v[46:47], v[20:21], v[36:37]
	s_mov_b64 s[2:3], -1
	v_min3_f32 v44, v46, v47, v104
	v_pk_add_f32 v[46:47], v[16:17], v[36:37]
	s_mov_b64 vcc, s[8:9]
	v_min3_f32 v48, v46, v47, v103
	v_pk_add_f32 v[46:47], v[22:23], v[38:39]
	s_nop 0
	v_min_f32_e32 v49, v46, v47
	v_pk_add_f32 v[46:47], v[18:19], v[38:39]
	s_nop 0
	v_min3_f32 v46, v46, v47, v48
	v_min3_f32 v47, v45, v49, v44
	v_lshl_add_u64 v[44:45], v[66:67], 2, v[40:41]
	flat_store_dword v[44:45], v47
	v_max_f32_e32 v44, v46, v46
	s_cbranch_vccz .LBB15_152
; %bb.151:
	v_min_f32_e32 v45, 0, v44
	v_lshl_add_u64 v[46:47], v[78:79], 2, v[40:41]
	flat_store_dword v[46:47], v45
	s_mov_b64 s[2:3], 0
.LBB15_152:
	;; [unrolled: 39-line block ×3, first 2 shown]
	s_andn2_b64 vcc, exec, s[2:3]
	v_mov_b32_e32 v45, 0
	s_cbranch_vccnz .LBB15_158
; %bb.157:
	v_lshl_add_u64 v[46:47], v[42:43], 0, v[86:87]
	flat_load_dword v45, v[46:47]
	v_lshl_add_u64 v[46:47], v[40:41], 0, v[86:87]
	v_lshl_add_u64 v[42:43], v[72:73], 2, v[42:43]
	s_waitcnt vmcnt(0) lgkmcnt(0)
	v_mul_f32_e32 v45, s26, v45
	v_min_f32_e32 v44, v45, v44
	flat_store_dword v[46:47], v44
	flat_load_dword v42, v[42:43]
	s_waitcnt vmcnt(0) lgkmcnt(0)
	v_mul_f32_e32 v45, s26, v42
.LBB15_158:
	v_pk_add_f32 v[36:37], v[0:1], v[36:37]
	v_pk_add_f32 v[32:33], v[32:33], v[4:5]
	v_min3_f32 v36, v36, v37, v99
	v_min3_f32 v37, v32, v33, v100
	v_pk_add_f32 v[32:33], v[2:3], v[38:39]
	s_mov_b64 vcc, s[8:9]
	v_min_f32_e32 v38, v32, v33
	v_pk_add_f32 v[32:33], v[34:35], v[6:7]
	v_min3_f32 v34, v45, v38, v36
	v_min3_f32 v37, v32, v33, v37
	v_lshl_add_u64 v[32:33], v[72:73], 2, v[40:41]
	flat_store_dword v[32:33], v34
	v_add_u32_e32 v34, 0xe0, v154
	v_mad_i64_i32 v[32:33], s[2:3], v34, s5, 0
	v_lshl_add_u64 v[32:33], v[32:33], 2, s[0:1]
	v_mad_i64_i32 v[34:35], s[0:1], v34, s4, 0
	s_mov_b64 s[0:1], -1
	v_max_f32_e32 v36, v37, v37
	s_cbranch_vccz .LBB15_160
; %bb.159:
	v_min_f32_e32 v37, 0, v36
	v_lshl_add_u64 v[38:39], v[70:71], 2, v[32:33]
	flat_store_dword v[38:39], v37
	s_mov_b64 s[0:1], 0
.LBB15_160:
	v_lshl_add_u64 v[34:35], v[34:35], 2, s[10:11]
	s_andn2_b64 vcc, exec, s[0:1]
	v_mov_b32_e32 v37, 0
	s_cbranch_vccnz .LBB15_162
; %bb.161:
	v_lshl_add_u64 v[38:39], v[34:35], 0, v[76:77]
	flat_load_dword v37, v[38:39]
	v_lshl_add_u64 v[38:39], v[32:33], 0, v[76:77]
	s_waitcnt vmcnt(0) lgkmcnt(0)
	v_mul_f32_e32 v37, s26, v37
	v_min_f32_e32 v36, v37, v36
	flat_store_dword v[38:39], v36
	v_lshl_add_u64 v[36:37], v[64:65], 2, v[34:35]
	flat_load_dword v36, v[36:37]
	s_waitcnt vmcnt(0) lgkmcnt(0)
	v_mul_f32_e32 v37, s26, v36
.LBB15_162:
	v_pk_add_f32 v[24:25], v[24:25], v[4:5]
	s_mov_b64 s[0:1], -1
	v_min3_f32 v36, v24, v25, v98
	v_pk_add_f32 v[24:25], v[28:29], v[4:5]
	s_mov_b64 vcc, s[8:9]
	v_min3_f32 v28, v24, v25, v97
	v_pk_add_f32 v[24:25], v[26:27], v[6:7]
	s_nop 0
	v_min_f32_e32 v26, v24, v25
	v_pk_add_f32 v[24:25], v[30:31], v[6:7]
	v_min3_f32 v26, v37, v26, v36
	v_min3_f32 v27, v24, v25, v28
	v_lshl_add_u64 v[24:25], v[64:65], 2, v[32:33]
	flat_store_dword v[24:25], v26
	v_max_f32_e32 v24, v27, v27
	s_cbranch_vccz .LBB15_164
; %bb.163:
	v_min_f32_e32 v25, 0, v24
	v_lshl_add_u64 v[26:27], v[74:75], 2, v[32:33]
	flat_store_dword v[26:27], v25
	s_mov_b64 s[0:1], 0
.LBB15_164:
	s_andn2_b64 vcc, exec, s[0:1]
	v_mov_b32_e32 v25, 0
	s_cbranch_vccnz .LBB15_166
; %bb.165:
	v_lshl_add_u64 v[26:27], v[34:35], 0, v[80:81]
	flat_load_dword v25, v[26:27]
	v_lshl_add_u64 v[26:27], v[32:33], 0, v[80:81]
	s_waitcnt vmcnt(0) lgkmcnt(0)
	v_mul_f32_e32 v25, s26, v25
	v_min_f32_e32 v24, v25, v24
	flat_store_dword v[26:27], v24
	v_lshl_add_u64 v[24:25], v[66:67], 2, v[34:35]
	flat_load_dword v24, v[24:25]
	s_waitcnt vmcnt(0) lgkmcnt(0)
	v_mul_f32_e32 v25, s26, v24
.LBB15_166:
	v_pk_add_f32 v[20:21], v[20:21], v[4:5]
	v_pk_add_f32 v[16:17], v[16:17], v[4:5]
	v_min3_f32 v20, v20, v21, v96
	v_min3_f32 v21, v16, v17, v95
	v_pk_add_f32 v[16:17], v[22:23], v[6:7]
	s_mov_b64 s[0:1], -1
	v_min_f32_e32 v22, v16, v17
	v_pk_add_f32 v[16:17], v[18:19], v[6:7]
	v_min3_f32 v19, v25, v22, v20
	v_min3_f32 v18, v16, v17, v21
	v_lshl_add_u64 v[16:17], v[66:67], 2, v[32:33]
	flat_store_dword v[16:17], v19
	v_max_f32_e32 v16, v18, v18
	s_mov_b64 vcc, s[8:9]
	s_cbranch_vccz .LBB15_168
; %bb.167:
	v_min_f32_e32 v17, 0, v16
	v_lshl_add_u64 v[18:19], v[78:79], 2, v[32:33]
	flat_store_dword v[18:19], v17
	s_mov_b64 s[0:1], 0
.LBB15_168:
	s_andn2_b64 vcc, exec, s[0:1]
	v_mov_b32_e32 v17, 0
	s_cbranch_vccnz .LBB15_170
; %bb.169:
	v_lshl_add_u64 v[18:19], v[34:35], 0, v[82:83]
	flat_load_dword v17, v[18:19]
	v_lshl_add_u64 v[18:19], v[32:33], 0, v[82:83]
	s_waitcnt vmcnt(0) lgkmcnt(0)
	v_mul_f32_e32 v17, s26, v17
	v_min_f32_e32 v16, v17, v16
	flat_store_dword v[18:19], v16
	v_lshl_add_u64 v[16:17], v[68:69], 2, v[34:35]
	flat_load_dword v16, v[16:17]
	s_waitcnt vmcnt(0) lgkmcnt(0)
	v_mul_f32_e32 v17, s26, v16
.LBB15_170:
	v_pk_add_f32 v[12:13], v[12:13], v[4:5]
	v_pk_add_f32 v[8:9], v[8:9], v[4:5]
	v_min3_f32 v12, v12, v13, v94
	v_min3_f32 v13, v8, v9, v93
	v_pk_add_f32 v[8:9], v[14:15], v[6:7]
	s_mov_b64 s[0:1], -1
	v_min_f32_e32 v14, v8, v9
	v_pk_add_f32 v[8:9], v[10:11], v[6:7]
	v_min3_f32 v11, v17, v14, v12
	v_min3_f32 v10, v8, v9, v13
	v_lshl_add_u64 v[8:9], v[68:69], 2, v[32:33]
	flat_store_dword v[8:9], v11
	v_max_f32_e32 v8, v10, v10
	s_mov_b64 vcc, s[8:9]
	s_cbranch_vccz .LBB15_172
; %bb.171:
	v_min_f32_e32 v9, 0, v8
	v_lshl_add_u64 v[10:11], v[84:85], 2, v[32:33]
	flat_store_dword v[10:11], v9
	s_mov_b64 s[0:1], 0
.LBB15_172:
	s_andn2_b64 vcc, exec, s[0:1]
	v_mov_b32_e32 v9, 0
	s_cbranch_vccnz .LBB15_174
; %bb.173:
	v_lshl_add_u64 v[10:11], v[34:35], 0, v[86:87]
	flat_load_dword v9, v[10:11]
	v_lshl_add_u64 v[10:11], v[32:33], 0, v[86:87]
	s_waitcnt vmcnt(0) lgkmcnt(0)
	v_mul_f32_e32 v9, s26, v9
	v_min_f32_e32 v8, v9, v8
	flat_store_dword v[10:11], v8
	v_lshl_add_u64 v[8:9], v[72:73], 2, v[34:35]
	flat_load_dword v8, v[8:9]
	s_waitcnt vmcnt(0) lgkmcnt(0)
	v_mul_f32_e32 v9, s26, v8
.LBB15_174:
	v_pk_add_f32 v[2:3], v[2:3], v[6:7]
	v_pk_add_f32 v[0:1], v[0:1], v[4:5]
	v_min_f32_e32 v2, v2, v3
	v_min3_f32 v0, v0, v1, v92
	v_min3_f32 v2, v9, v2, v0
	v_lshl_add_u64 v[0:1], v[72:73], 2, v[32:33]
	flat_store_dword v[0:1], v2
	s_endpgm
	.section	.rodata,"a",@progbits
	.p2align	6, 0x0
	.amdhsa_kernel _ZN12_GLOBAL__N_120geam_min_plus_kernelIf15HIP_vector_typeIfLj2EEfLi8ELi32ELi64ELi256ELi4ELi64ELi4ELi64ELi4ELc78ELc84ELb0ELb0ELb1EPKfKS4_KPfEEviiiT16_PT17_ilSA_ilS8_SA_ilPT18_ili26rocblas_geam_ex_operation_
		.amdhsa_group_segment_fixed_size 10240
		.amdhsa_private_segment_fixed_size 0
		.amdhsa_kernarg_size 136
		.amdhsa_user_sgpr_count 2
		.amdhsa_user_sgpr_dispatch_ptr 0
		.amdhsa_user_sgpr_queue_ptr 0
		.amdhsa_user_sgpr_kernarg_segment_ptr 1
		.amdhsa_user_sgpr_dispatch_id 0
		.amdhsa_user_sgpr_kernarg_preload_length 0
		.amdhsa_user_sgpr_kernarg_preload_offset 0
		.amdhsa_user_sgpr_private_segment_size 0
		.amdhsa_uses_dynamic_stack 0
		.amdhsa_enable_private_segment 0
		.amdhsa_system_sgpr_workgroup_id_x 1
		.amdhsa_system_sgpr_workgroup_id_y 0
		.amdhsa_system_sgpr_workgroup_id_z 1
		.amdhsa_system_sgpr_workgroup_info 0
		.amdhsa_system_vgpr_workitem_id 1
		.amdhsa_next_free_vgpr 162
		.amdhsa_next_free_sgpr 30
		.amdhsa_accum_offset 164
		.amdhsa_reserve_vcc 1
		.amdhsa_float_round_mode_32 0
		.amdhsa_float_round_mode_16_64 0
		.amdhsa_float_denorm_mode_32 3
		.amdhsa_float_denorm_mode_16_64 3
		.amdhsa_dx10_clamp 1
		.amdhsa_ieee_mode 1
		.amdhsa_fp16_overflow 0
		.amdhsa_tg_split 0
		.amdhsa_exception_fp_ieee_invalid_op 0
		.amdhsa_exception_fp_denorm_src 0
		.amdhsa_exception_fp_ieee_div_zero 0
		.amdhsa_exception_fp_ieee_overflow 0
		.amdhsa_exception_fp_ieee_underflow 0
		.amdhsa_exception_fp_ieee_inexact 0
		.amdhsa_exception_int_div_zero 0
	.end_amdhsa_kernel
	.section	.text._ZN12_GLOBAL__N_120geam_min_plus_kernelIf15HIP_vector_typeIfLj2EEfLi8ELi32ELi64ELi256ELi4ELi64ELi4ELi64ELi4ELc78ELc84ELb0ELb0ELb1EPKfKS4_KPfEEviiiT16_PT17_ilSA_ilS8_SA_ilPT18_ili26rocblas_geam_ex_operation_,"axG",@progbits,_ZN12_GLOBAL__N_120geam_min_plus_kernelIf15HIP_vector_typeIfLj2EEfLi8ELi32ELi64ELi256ELi4ELi64ELi4ELi64ELi4ELc78ELc84ELb0ELb0ELb1EPKfKS4_KPfEEviiiT16_PT17_ilSA_ilS8_SA_ilPT18_ili26rocblas_geam_ex_operation_,comdat
.Lfunc_end15:
	.size	_ZN12_GLOBAL__N_120geam_min_plus_kernelIf15HIP_vector_typeIfLj2EEfLi8ELi32ELi64ELi256ELi4ELi64ELi4ELi64ELi4ELc78ELc84ELb0ELb0ELb1EPKfKS4_KPfEEviiiT16_PT17_ilSA_ilS8_SA_ilPT18_ili26rocblas_geam_ex_operation_, .Lfunc_end15-_ZN12_GLOBAL__N_120geam_min_plus_kernelIf15HIP_vector_typeIfLj2EEfLi8ELi32ELi64ELi256ELi4ELi64ELi4ELi64ELi4ELc78ELc84ELb0ELb0ELb1EPKfKS4_KPfEEviiiT16_PT17_ilSA_ilS8_SA_ilPT18_ili26rocblas_geam_ex_operation_
                                        ; -- End function
	.set _ZN12_GLOBAL__N_120geam_min_plus_kernelIf15HIP_vector_typeIfLj2EEfLi8ELi32ELi64ELi256ELi4ELi64ELi4ELi64ELi4ELc78ELc84ELb0ELb0ELb1EPKfKS4_KPfEEviiiT16_PT17_ilSA_ilS8_SA_ilPT18_ili26rocblas_geam_ex_operation_.num_vgpr, 162
	.set _ZN12_GLOBAL__N_120geam_min_plus_kernelIf15HIP_vector_typeIfLj2EEfLi8ELi32ELi64ELi256ELi4ELi64ELi4ELi64ELi4ELc78ELc84ELb0ELb0ELb1EPKfKS4_KPfEEviiiT16_PT17_ilSA_ilS8_SA_ilPT18_ili26rocblas_geam_ex_operation_.num_agpr, 0
	.set _ZN12_GLOBAL__N_120geam_min_plus_kernelIf15HIP_vector_typeIfLj2EEfLi8ELi32ELi64ELi256ELi4ELi64ELi4ELi64ELi4ELc78ELc84ELb0ELb0ELb1EPKfKS4_KPfEEviiiT16_PT17_ilSA_ilS8_SA_ilPT18_ili26rocblas_geam_ex_operation_.numbered_sgpr, 30
	.set _ZN12_GLOBAL__N_120geam_min_plus_kernelIf15HIP_vector_typeIfLj2EEfLi8ELi32ELi64ELi256ELi4ELi64ELi4ELi64ELi4ELc78ELc84ELb0ELb0ELb1EPKfKS4_KPfEEviiiT16_PT17_ilSA_ilS8_SA_ilPT18_ili26rocblas_geam_ex_operation_.num_named_barrier, 0
	.set _ZN12_GLOBAL__N_120geam_min_plus_kernelIf15HIP_vector_typeIfLj2EEfLi8ELi32ELi64ELi256ELi4ELi64ELi4ELi64ELi4ELc78ELc84ELb0ELb0ELb1EPKfKS4_KPfEEviiiT16_PT17_ilSA_ilS8_SA_ilPT18_ili26rocblas_geam_ex_operation_.private_seg_size, 0
	.set _ZN12_GLOBAL__N_120geam_min_plus_kernelIf15HIP_vector_typeIfLj2EEfLi8ELi32ELi64ELi256ELi4ELi64ELi4ELi64ELi4ELc78ELc84ELb0ELb0ELb1EPKfKS4_KPfEEviiiT16_PT17_ilSA_ilS8_SA_ilPT18_ili26rocblas_geam_ex_operation_.uses_vcc, 1
	.set _ZN12_GLOBAL__N_120geam_min_plus_kernelIf15HIP_vector_typeIfLj2EEfLi8ELi32ELi64ELi256ELi4ELi64ELi4ELi64ELi4ELc78ELc84ELb0ELb0ELb1EPKfKS4_KPfEEviiiT16_PT17_ilSA_ilS8_SA_ilPT18_ili26rocblas_geam_ex_operation_.uses_flat_scratch, 0
	.set _ZN12_GLOBAL__N_120geam_min_plus_kernelIf15HIP_vector_typeIfLj2EEfLi8ELi32ELi64ELi256ELi4ELi64ELi4ELi64ELi4ELc78ELc84ELb0ELb0ELb1EPKfKS4_KPfEEviiiT16_PT17_ilSA_ilS8_SA_ilPT18_ili26rocblas_geam_ex_operation_.has_dyn_sized_stack, 0
	.set _ZN12_GLOBAL__N_120geam_min_plus_kernelIf15HIP_vector_typeIfLj2EEfLi8ELi32ELi64ELi256ELi4ELi64ELi4ELi64ELi4ELc78ELc84ELb0ELb0ELb1EPKfKS4_KPfEEviiiT16_PT17_ilSA_ilS8_SA_ilPT18_ili26rocblas_geam_ex_operation_.has_recursion, 0
	.set _ZN12_GLOBAL__N_120geam_min_plus_kernelIf15HIP_vector_typeIfLj2EEfLi8ELi32ELi64ELi256ELi4ELi64ELi4ELi64ELi4ELc78ELc84ELb0ELb0ELb1EPKfKS4_KPfEEviiiT16_PT17_ilSA_ilS8_SA_ilPT18_ili26rocblas_geam_ex_operation_.has_indirect_call, 0
	.section	.AMDGPU.csdata,"",@progbits
; Kernel info:
; codeLenInByte = 16672
; TotalNumSgprs: 36
; NumVgprs: 162
; NumAgprs: 0
; TotalNumVgprs: 162
; ScratchSize: 0
; MemoryBound: 0
; FloatMode: 240
; IeeeMode: 1
; LDSByteSize: 10240 bytes/workgroup (compile time only)
; SGPRBlocks: 4
; VGPRBlocks: 20
; NumSGPRsForWavesPerEU: 36
; NumVGPRsForWavesPerEU: 162
; AccumOffset: 164
; Occupancy: 3
; WaveLimiterHint : 1
; COMPUTE_PGM_RSRC2:SCRATCH_EN: 0
; COMPUTE_PGM_RSRC2:USER_SGPR: 2
; COMPUTE_PGM_RSRC2:TRAP_HANDLER: 0
; COMPUTE_PGM_RSRC2:TGID_X_EN: 1
; COMPUTE_PGM_RSRC2:TGID_Y_EN: 0
; COMPUTE_PGM_RSRC2:TGID_Z_EN: 1
; COMPUTE_PGM_RSRC2:TIDIG_COMP_CNT: 1
; COMPUTE_PGM_RSRC3_GFX90A:ACCUM_OFFSET: 40
; COMPUTE_PGM_RSRC3_GFX90A:TG_SPLIT: 0
	.section	.text._ZN12_GLOBAL__N_120geam_min_plus_kernelIf15HIP_vector_typeIfLj2EEfLi8ELi32ELi64ELi256ELi4ELi64ELi4ELi64ELi4ELc78ELc84ELb1ELb0ELb1EfKPKfKPfEEviiiT16_PT17_ilSA_ilS8_SA_ilPT18_ili26rocblas_geam_ex_operation_,"axG",@progbits,_ZN12_GLOBAL__N_120geam_min_plus_kernelIf15HIP_vector_typeIfLj2EEfLi8ELi32ELi64ELi256ELi4ELi64ELi4ELi64ELi4ELc78ELc84ELb1ELb0ELb1EfKPKfKPfEEviiiT16_PT17_ilSA_ilS8_SA_ilPT18_ili26rocblas_geam_ex_operation_,comdat
	.globl	_ZN12_GLOBAL__N_120geam_min_plus_kernelIf15HIP_vector_typeIfLj2EEfLi8ELi32ELi64ELi256ELi4ELi64ELi4ELi64ELi4ELc78ELc84ELb1ELb0ELb1EfKPKfKPfEEviiiT16_PT17_ilSA_ilS8_SA_ilPT18_ili26rocblas_geam_ex_operation_ ; -- Begin function _ZN12_GLOBAL__N_120geam_min_plus_kernelIf15HIP_vector_typeIfLj2EEfLi8ELi32ELi64ELi256ELi4ELi64ELi4ELi64ELi4ELc78ELc84ELb1ELb0ELb1EfKPKfKPfEEviiiT16_PT17_ilSA_ilS8_SA_ilPT18_ili26rocblas_geam_ex_operation_
	.p2align	8
	.type	_ZN12_GLOBAL__N_120geam_min_plus_kernelIf15HIP_vector_typeIfLj2EEfLi8ELi32ELi64ELi256ELi4ELi64ELi4ELi64ELi4ELc78ELc84ELb1ELb0ELb1EfKPKfKPfEEviiiT16_PT17_ilSA_ilS8_SA_ilPT18_ili26rocblas_geam_ex_operation_,@function
_ZN12_GLOBAL__N_120geam_min_plus_kernelIf15HIP_vector_typeIfLj2EEfLi8ELi32ELi64ELi256ELi4ELi64ELi4ELi64ELi4ELc78ELc84ELb1ELb0ELb1EfKPKfKPfEEviiiT16_PT17_ilSA_ilS8_SA_ilPT18_ili26rocblas_geam_ex_operation_: ; @_ZN12_GLOBAL__N_120geam_min_plus_kernelIf15HIP_vector_typeIfLj2EEfLi8ELi32ELi64ELi256ELi4ELi64ELi4ELi64ELi4ELc78ELc84ELb1ELb0ELb1EfKPKfKPfEEviiiT16_PT17_ilSA_ilS8_SA_ilPT18_ili26rocblas_geam_ex_operation_
; %bb.0:
	s_load_dwordx2 s[14:15], s[0:1], 0x8
	s_load_dwordx4 s[4:7], s[0:1], 0x20
	s_mov_b32 s8, s3
	s_mov_b32 s9, 0
	s_waitcnt lgkmcnt(0)
	v_cmp_eq_f32_e64 s[10:11], s15, 0
	s_and_b64 vcc, exec, s[10:11]
	s_cbranch_vccnz .LBB16_3
; %bb.1:
	s_load_dwordx2 s[12:13], s[0:1], 0x10
	s_lshl_b64 s[16:17], s[8:9], 3
	s_waitcnt lgkmcnt(0)
	s_add_u32 s12, s12, s16
	s_addc_u32 s13, s13, s17
	s_load_dwordx2 s[12:13], s[12:13], 0x0
	s_lshl_b64 s[4:5], s[4:5], 2
	s_waitcnt lgkmcnt(0)
	s_add_u32 s16, s12, s4
	s_addc_u32 s17, s13, s5
	s_andn2_b64 vcc, exec, s[10:11]
	s_cbranch_vccnz .LBB16_4
.LBB16_2:
	s_mov_b32 s21, 0
	s_mov_b32 s20, s8
	s_mov_b64 s[12:13], 0
	s_mov_b64 s[18:19], 0
	s_cbranch_execz .LBB16_5
	s_branch .LBB16_6
.LBB16_3:
	s_mov_b64 s[16:17], 0
	s_andn2_b64 vcc, exec, s[10:11]
	s_cbranch_vccz .LBB16_2
.LBB16_4:
	s_mov_b64 s[20:21], s[8:9]
	s_mov_b64 s[12:13], 0
	;; [unrolled: 1-line block ×3, first 2 shown]
.LBB16_5:
	s_lshl_b64 s[8:9], s[8:9], 3
	s_add_u32 s6, s6, s8
	s_load_dwordx2 s[4:5], s[0:1], 0x38
	s_addc_u32 s7, s7, s9
	s_load_dwordx2 s[6:7], s[6:7], 0x0
	s_waitcnt lgkmcnt(0)
	s_lshl_b64 s[4:5], s[4:5], 2
	s_add_u32 s18, s6, s4
	s_addc_u32 s19, s7, s5
.LBB16_6:
	s_load_dword s15, s[0:1], 0x40
	s_load_dwordx4 s[8:11], s[0:1], 0x58
	s_waitcnt lgkmcnt(0)
	v_cmp_eq_f32_e64 s[4:5], s15, 0
	s_and_b64 s[4:5], exec, s[4:5]
	s_mov_b64 vcc, s[4:5]
	s_cbranch_vccnz .LBB16_8
; %bb.7:
	s_load_dwordx2 s[6:7], s[0:1], 0x48
	s_lshl_b64 s[12:13], s[20:21], 3
	s_waitcnt lgkmcnt(0)
	s_add_u32 s6, s6, s12
	s_addc_u32 s7, s7, s13
	s_load_dwordx2 s[6:7], s[6:7], 0x0
	s_lshl_b64 s[8:9], s[8:9], 2
	s_waitcnt lgkmcnt(0)
	s_add_u32 s12, s6, s8
	s_addc_u32 s13, s7, s9
.LBB16_8:
	s_load_dword s3, s[0:1], 0x0
	s_lshl_b64 s[6:7], s[20:21], 3
	s_add_u32 s6, s10, s6
	s_addc_u32 s7, s11, s7
	s_load_dword s10, s[0:1], 0x18
	s_load_dword s20, s[0:1], 0x30
	s_waitcnt lgkmcnt(0)
	s_add_i32 s3, s3, -1
	s_ashr_i32 s8, s3, 31
	s_lshr_b32 s8, s8, 26
	s_add_i32 s3, s3, s8
	s_ashr_i32 s3, s3, 6
	s_add_i32 s8, s3, 1
	v_cvt_f32_u32_e32 v1, s8
	s_not_b32 s3, s3
	v_and_b32_e32 v76, 0x3ff, v0
	v_bfe_u32 v77, v0, 10, 10
	v_rcp_iflag_f32_e32 v1, v1
	v_lshl_add_u32 v0, v77, 3, v76
	v_and_b32_e32 v8, 63, v0
	v_lshrrev_b32_e32 v60, 6, v0
	v_mul_f32_e32 v1, 0x4f7ffffe, v1
	v_cvt_u32_f32_e32 v1, v1
	v_lshlrev_b32_e32 v79, 4, v76
	v_lshlrev_b32_e32 v78, 4, v77
	v_readfirstlane_b32 s9, v1
	s_mul_i32 s3, s3, s9
	s_mul_hi_u32 s3, s9, s3
	s_add_i32 s9, s9, s3
	s_mul_hi_u32 s3, s2, s9
	s_mul_i32 s9, s3, s8
	s_sub_i32 s9, s2, s9
	s_add_i32 s11, s3, 1
	s_sub_i32 s21, s9, s8
	s_cmp_ge_u32 s9, s8
	s_cselect_b32 s3, s11, s3
	s_cselect_b32 s9, s21, s9
	s_add_i32 s11, s3, 1
	s_cmp_ge_u32 s9, s8
	s_cselect_b32 s3, s11, s3
	s_mul_i32 s8, s3, s8
	s_sub_i32 s2, s2, s8
	s_lshl_b32 s23, s3, 8
	s_lshl_b32 s22, s2, 6
	v_or_b32_e32 v58, s23, v8
	v_or_b32_e32 v56, s22, v8
	v_mad_i64_i32 v[4:5], s[2:3], s20, v60, 0
	v_ashrrev_i32_e32 v59, 31, v58
	v_mad_i64_i32 v[0:1], s[2:3], s10, v60, 0
	v_ashrrev_i32_e32 v57, 31, v56
	v_lshl_add_u64 v[4:5], v[4:5], 2, s[18:19]
	v_lshlrev_b64 v[6:7], 2, v[58:59]
	v_lshl_add_u64 v[0:1], v[0:1], 2, s[16:17]
	v_lshlrev_b64 v[2:3], 2, v[56:57]
	v_lshl_add_u64 v[4:5], v[4:5], 0, v[6:7]
	v_lshl_add_u64 v[0:1], v[0:1], 0, v[2:3]
	flat_load_dword v9, v[4:5]
	flat_load_dword v10, v[4:5] offset:256
	flat_load_dword v11, v[4:5] offset:512
	;; [unrolled: 1-line block ×3, first 2 shown]
	flat_load_dword v13, v[0:1]
	v_add_u32_e32 v4, 4, v60
	v_lshlrev_b32_e32 v0, 4, v8
	s_load_dwordx2 s[2:3], s[6:7], 0x0
	v_lshl_add_u32 v80, v60, 2, v0
	v_mad_i64_i32 v[0:1], s[6:7], s10, v4, 0
	v_mad_i64_i32 v[4:5], s[6:7], s20, v4, 0
	v_lshl_add_u64 v[0:1], v[0:1], 2, s[16:17]
	v_lshl_add_u64 v[4:5], v[4:5], 2, s[18:19]
	;; [unrolled: 1-line block ×4, first 2 shown]
	flat_load_dword v61, v[4:5]
	flat_load_dword v62, v[4:5] offset:256
	flat_load_dword v63, v[4:5] offset:512
	;; [unrolled: 1-line block ×3, first 2 shown]
	flat_load_dword v65, v[0:1]
	s_mov_b32 s8, 0x7f7fffff
	s_cmp_lt_i32 s14, 9
	s_waitcnt vmcnt(0) lgkmcnt(0)
	ds_write2st64_b32 v80, v9, v10 offset1:4
	ds_write2st64_b32 v80, v11, v12 offset0:8 offset1:12
	ds_write_b32 v80, v13 offset:8192
	s_waitcnt lgkmcnt(0)
	s_barrier
	ds_read_b128 v[28:31], v79 offset:8192
	ds_read_b128 v[24:27], v79 offset:8320
	;; [unrolled: 1-line block ×8, first 2 shown]
	ds_read_b128 v[52:55], v78
	ds_read_b128 v[48:51], v78 offset:512
	ds_read_b128 v[44:47], v78 offset:1024
	;; [unrolled: 1-line block ×5, first 2 shown]
	s_waitcnt lgkmcnt(5)
	v_pk_add_f32 v[66:67], v[28:29], v[52:53]
	v_pk_add_f32 v[68:69], v[24:25], v[52:53]
	;; [unrolled: 1-line block ×4, first 2 shown]
	s_waitcnt lgkmcnt(4)
	v_pk_add_f32 v[86:87], v[28:29], v[48:49]
	v_pk_add_f32 v[88:89], v[24:25], v[48:49]
	;; [unrolled: 1-line block ×8, first 2 shown]
	v_min3_f32 v66, v66, v67, s8
	v_min3_f32 v67, v68, v69, s8
	;; [unrolled: 1-line block ×5, first 2 shown]
	s_waitcnt lgkmcnt(3)
	v_pk_add_f32 v[48:49], v[28:29], v[44:45]
	v_pk_add_f32 v[70:71], v[20:21], v[52:53]
	;; [unrolled: 1-line block ×5, first 2 shown]
	v_min3_f32 v85, v48, v49, s8
	v_pk_add_f32 v[48:49], v[24:25], v[44:45]
	v_min3_f32 v52, v52, v53, s8
	v_min3_f32 v53, v86, v87, s8
	;; [unrolled: 1-line block ×3, first 2 shown]
	v_pk_add_f32 v[48:49], v[20:21], v[44:45]
	v_min3_f32 v73, v88, v89, s8
	v_min3_f32 v89, v48, v49, s8
	v_pk_add_f32 v[48:49], v[16:17], v[44:45]
	v_min3_f32 v68, v70, v71, s8
	v_min3_f32 v70, v74, v75, s8
	;; [unrolled: 1-line block ×4, first 2 shown]
	v_pk_add_f32 v[48:49], v[12:13], v[44:45]
	v_min3_f32 v75, v92, v93, s8
	v_min3_f32 v91, v48, v49, s8
	v_pk_add_f32 v[48:49], v[8:9], v[44:45]
	v_min3_f32 v81, v94, v95, s8
	v_min3_f32 v92, v48, v49, s8
	v_pk_add_f32 v[48:49], v[4:5], v[44:45]
	v_pk_add_f32 v[44:45], v[0:1], v[44:45]
	v_min3_f32 v71, v82, v83, s8
	v_min3_f32 v94, v44, v45, s8
	s_waitcnt lgkmcnt(2)
	v_pk_add_f32 v[44:45], v[28:29], v[40:41]
	v_min3_f32 v82, v96, v97, s8
	v_min3_f32 v95, v44, v45, s8
	v_pk_add_f32 v[44:45], v[24:25], v[40:41]
	v_min3_f32 v83, v98, v99, s8
	v_min3_f32 v96, v44, v45, s8
	;; [unrolled: 3-line block ×3, first 2 shown]
	v_pk_add_f32 v[44:45], v[16:17], v[40:41]
	s_nop 0
	v_min3_f32 v98, v44, v45, s8
	v_pk_add_f32 v[44:45], v[12:13], v[40:41]
	s_nop 0
	v_min3_f32 v99, v44, v45, s8
	;; [unrolled: 3-line block ×3, first 2 shown]
	v_pk_add_f32 v[44:45], v[4:5], v[40:41]
	v_pk_add_f32 v[40:41], v[0:1], v[40:41]
	v_min3_f32 v44, v44, v45, s8
	v_min3_f32 v45, v40, v41, s8
	s_waitcnt lgkmcnt(1)
	v_pk_add_f32 v[40:41], v[28:29], v[36:37]
	s_nop 0
	v_min3_f32 v101, v40, v41, s8
	v_pk_add_f32 v[40:41], v[24:25], v[36:37]
	s_nop 0
	v_min3_f32 v102, v40, v41, s8
	;; [unrolled: 3-line block ×6, first 2 shown]
	v_pk_add_f32 v[40:41], v[4:5], v[36:37]
	v_pk_add_f32 v[36:37], v[0:1], v[36:37]
	v_min3_f32 v107, v40, v41, s8
	v_min3_f32 v108, v36, v37, s8
	s_waitcnt lgkmcnt(0)
	v_pk_add_f32 v[36:37], v[28:29], v[32:33]
	v_pk_add_f32 v[40:41], v[4:5], v[32:33]
	v_min3_f32 v109, v36, v37, s8
	v_pk_add_f32 v[36:37], v[24:25], v[32:33]
	v_min3_f32 v40, v40, v41, s8
	v_min3_f32 v110, v36, v37, s8
	v_pk_add_f32 v[36:37], v[20:21], v[32:33]
	s_nop 0
	v_min3_f32 v111, v36, v37, s8
	v_pk_add_f32 v[36:37], v[16:17], v[32:33]
	s_nop 0
	;; [unrolled: 3-line block ×10, first 2 shown]
	v_min3_f32 v66, v36, v37, s8
	v_pk_add_f32 v[36:37], v[8:9], v[32:33]
	v_pk_add_f32 v[32:33], v[0:1], v[32:33]
	v_min3_f32 v67, v36, v37, s8
	v_min3_f32 v41, v32, v33, s8
	v_pk_add_f32 v[32:33], v[30:31], v[50:51]
	v_pk_add_f32 v[36:37], v[2:3], v[54:55]
	v_min3_f32 v148, v32, v33, v53
	v_pk_add_f32 v[32:33], v[26:27], v[50:51]
	v_min3_f32 v147, v36, v37, v52
	v_min3_f32 v145, v32, v33, v73
	v_pk_add_f32 v[32:33], v[22:23], v[50:51]
	ds_read_b128 v[52:55], v78 offset:3584
	v_min3_f32 v146, v32, v33, v74
	v_pk_add_f32 v[32:33], v[18:19], v[50:51]
	s_nop 0
	v_min3_f32 v143, v32, v33, v75
	v_pk_add_f32 v[32:33], v[14:15], v[50:51]
	s_nop 0
	;; [unrolled: 3-line block ×4, first 2 shown]
	v_min3_f32 v142, v32, v33, v83
	v_pk_add_f32 v[32:33], v[2:3], v[50:51]
	ds_read_b128 v[48:51], v78 offset:3072
	v_min3_f32 v139, v32, v33, v84
	v_pk_add_f32 v[32:33], v[30:31], v[46:47]
	ds_write_b32 v80, v65 offset:9216
	ds_write2st64_b32 v80, v61, v62 offset0:16 offset1:20
	ds_write2st64_b32 v80, v63, v64 offset0:24 offset1:28
	v_min3_f32 v141, v32, v33, v85
	v_pk_add_f32 v[32:33], v[26:27], v[46:47]
	s_waitcnt lgkmcnt(3)
	v_pk_add_f32 v[36:37], v[20:21], v[48:49]
	v_min3_f32 v136, v32, v33, v86
	v_pk_add_f32 v[32:33], v[22:23], v[46:47]
	v_pk_add_f32 v[20:21], v[20:21], v[52:53]
	v_min3_f32 v138, v32, v33, v89
	v_pk_add_f32 v[32:33], v[18:19], v[46:47]
	v_min3_f32 v20, v20, v21, s8
	v_min3_f32 v133, v32, v33, v90
	v_pk_add_f32 v[32:33], v[14:15], v[46:47]
	s_waitcnt lgkmcnt(0)
	v_min3_f32 v134, v32, v33, v91
	v_pk_add_f32 v[32:33], v[10:11], v[46:47]
	s_barrier
	v_min3_f32 v129, v32, v33, v92
	v_pk_add_f32 v[32:33], v[6:7], v[46:47]
	s_nop 0
	v_min3_f32 v130, v32, v33, v93
	v_pk_add_f32 v[32:33], v[28:29], v[48:49]
	v_pk_add_f32 v[28:29], v[28:29], v[52:53]
	v_min3_f32 v68, v32, v33, s8
	v_pk_add_f32 v[32:33], v[24:25], v[48:49]
	v_min3_f32 v28, v28, v29, s8
	v_min3_f32 v69, v32, v33, s8
	v_pk_add_f32 v[32:33], v[2:3], v[46:47]
	v_min3_f32 v46, v36, v37, s8
	v_min3_f32 v135, v32, v33, v94
	v_pk_add_f32 v[32:33], v[30:31], v[42:43]
	v_pk_add_f32 v[36:37], v[16:17], v[48:49]
	v_min3_f32 v137, v32, v33, v95
	v_pk_add_f32 v[32:33], v[26:27], v[42:43]
	v_min3_f32 v47, v36, v37, s8
	v_min3_f32 v131, v32, v33, v96
	v_pk_add_f32 v[32:33], v[22:23], v[42:43]
	v_pk_add_f32 v[36:37], v[4:5], v[48:49]
	v_min3_f32 v132, v32, v33, v97
	v_pk_add_f32 v[32:33], v[18:19], v[42:43]
	v_pk_add_f32 v[4:5], v[4:5], v[52:53]
	;; [unrolled: 3-line block ×4, first 2 shown]
	v_min3_f32 v125, v32, v33, v100
	v_pk_add_f32 v[32:33], v[6:7], v[42:43]
	v_min3_f32 v4, v4, v5, s8
	v_min3_f32 v126, v32, v33, v44
	v_pk_add_f32 v[32:33], v[12:13], v[48:49]
	v_min3_f32 v29, v24, v25, s8
	;; [unrolled: 3-line block ×4, first 2 shown]
	v_min3_f32 v123, v32, v33, v45
	v_pk_add_f32 v[32:33], v[30:31], v[38:39]
	v_pk_add_f32 v[36:37], v[0:1], v[48:49]
	v_min3_f32 v124, v32, v33, v101
	v_pk_add_f32 v[32:33], v[26:27], v[38:39]
	v_pk_add_f32 v[0:1], v[0:1], v[52:53]
	v_min3_f32 v121, v32, v33, v102
	v_pk_add_f32 v[32:33], v[22:23], v[38:39]
	v_min3_f32 v5, v0, v1, s8
	v_min3_f32 v122, v32, v33, v103
	v_pk_add_f32 v[32:33], v[18:19], v[38:39]
	v_pk_add_f32 v[0:1], v[30:31], v[54:55]
	v_min3_f32 v119, v32, v33, v104
	v_pk_add_f32 v[32:33], v[14:15], v[38:39]
	v_pk_add_f32 v[16:17], v[30:31], v[50:51]
	v_min3_f32 v120, v32, v33, v105
	v_pk_add_f32 v[32:33], v[10:11], v[38:39]
	v_min3_f32 v100, v0, v1, v28
	v_min3_f32 v117, v32, v33, v106
	v_pk_add_f32 v[32:33], v[6:7], v[38:39]
	v_pk_add_f32 v[0:1], v[26:27], v[54:55]
	v_min3_f32 v118, v32, v33, v107
	v_pk_add_f32 v[32:33], v[2:3], v[38:39]
	v_min3_f32 v96, v0, v1, v29
	v_min3_f32 v115, v32, v33, v108
	v_pk_add_f32 v[32:33], v[30:31], v[34:35]
	v_pk_add_f32 v[0:1], v[22:23], v[54:55]
	v_min3_f32 v116, v32, v33, v109
	v_pk_add_f32 v[32:33], v[26:27], v[34:35]
	v_pk_add_f32 v[12:13], v[12:13], v[52:53]
	v_min3_f32 v113, v32, v33, v110
	v_min3_f32 v110, v16, v17, v68
	v_pk_add_f32 v[16:17], v[26:27], v[50:51]
	v_pk_add_f32 v[32:33], v[22:23], v[34:35]
	v_min3_f32 v105, v16, v17, v69
	v_pk_add_f32 v[16:17], v[22:23], v[50:51]
	v_min3_f32 v97, v0, v1, v20
	;; [unrolled: 2-line block ×9, first 2 shown]
	v_min3_f32 v95, v0, v1, v12
	v_pk_add_f32 v[0:1], v[10:11], v[54:55]
	v_min3_f32 v112, v32, v33, v66
	v_pk_add_f32 v[32:33], v[10:11], v[34:35]
	;; [unrolled: 2-line block ×4, first 2 shown]
	v_min3_f32 v36, v36, v37, s8
	v_min3_f32 v108, v32, v33, v67
	v_pk_add_f32 v[32:33], v[6:7], v[34:35]
	v_pk_add_f32 v[24:25], v[2:3], v[34:35]
	v_min3_f32 v101, v16, v17, v70
	v_pk_add_f32 v[16:17], v[6:7], v[50:51]
	v_pk_add_f32 v[8:9], v[2:3], v[50:51]
	v_min3_f32 v93, v0, v1, v4
	v_pk_add_f32 v[0:1], v[2:3], v[54:55]
	v_min3_f32 v109, v32, v33, v40
	v_min3_f32 v107, v24, v25, v41
	;; [unrolled: 1-line block ×5, first 2 shown]
	s_cbranch_scc1 .LBB16_11
; %bb.9:
	v_mov_b32_e32 v0, 0x2400
	v_lshl_add_u32 v85, v76, 4, v0
	v_mov_b32_e32 v0, 0x1000
	v_add_u32_e32 v2, 8, v60
	v_lshl_add_u32 v86, v77, 4, v0
	v_mad_i64_i32 v[0:1], s[6:7], v2, s20, 0
	v_add_u32_e32 v3, 12, v60
	v_lshlrev_b64 v[68:69], 2, v[0:1]
	v_mad_i64_i32 v[0:1], s[8:9], v3, s10, 0
	s_ashr_i32 s11, s10, 31
	v_lshl_add_u64 v[64:65], v[56:57], 2, s[16:17]
	v_lshlrev_b64 v[70:71], 2, v[0:1]
	v_mad_i64_i32 v[0:1], s[16:17], v3, s20, 0
	s_ashr_i32 s21, s20, 31
	s_lshl_b64 s[8:9], s[10:11], 5
	v_lshlrev_b64 v[72:73], 2, v[0:1]
	v_mad_i64_i32 v[0:1], s[10:11], v2, s10, 0
	v_or_b32_e32 v81, 0x2000, v80
	v_add_u32_e32 v82, 0x2000, v79
	v_add_u32_e32 v83, 0x2400, v80
	v_or_b32_e32 v84, 0x1000, v80
	s_add_i32 s14, s14, -8
	v_lshl_add_u64 v[66:67], v[58:59], 2, s[18:19]
	s_lshl_b64 s[6:7], s[20:21], 5
	v_lshlrev_b64 v[74:75], 2, v[0:1]
	s_mov_b32 s10, 0
.LBB16_10:                              ; =>This Inner Loop Header: Depth=1
	v_lshl_add_u64 v[0:1], v[64:65], 0, v[74:75]
	flat_load_dword v155, v[0:1]
	v_lshl_add_u64 v[0:1], v[66:67], 0, v[68:69]
	flat_load_dword v89, v[0:1]
	flat_load_dword v90, v[0:1] offset:256
	flat_load_dword v91, v[0:1] offset:512
	;; [unrolled: 1-line block ×3, first 2 shown]
	ds_read_b128 v[32:35], v85
	ds_read_b128 v[24:27], v85 offset:128
	ds_read_b128 v[20:23], v85 offset:256
	;; [unrolled: 1-line block ×7, first 2 shown]
	ds_read_b128 v[60:63], v86
	ds_read_b128 v[56:59], v86 offset:512
	ds_read_b128 v[52:55], v86 offset:1024
	;; [unrolled: 1-line block ×7, first 2 shown]
	s_waitcnt lgkmcnt(0)
	v_pk_add_f32 v[156:157], v[32:33], v[60:61]
	s_add_i32 s10, s10, 8
	v_min3_f32 v158, v156, v157, v88
	v_pk_add_f32 v[156:157], v[24:25], v[60:61]
	s_cmp_ge_i32 s10, s14
	v_min3_f32 v159, v156, v157, v152
	v_pk_add_f32 v[156:157], v[20:21], v[60:61]
	s_waitcnt vmcnt(0)
	ds_write_b32 v81, v155
	ds_write2st64_b32 v80, v89, v90 offset1:4
	ds_write2st64_b32 v80, v91, v154 offset0:8 offset1:12
	v_min3_f32 v156, v156, v157, v153
	v_pk_add_f32 v[152:153], v[16:17], v[60:61]
	s_waitcnt lgkmcnt(0)
	v_min3_f32 v157, v152, v153, v150
	v_pk_add_f32 v[152:153], v[12:13], v[60:61]
	s_barrier
	v_min3_f32 v152, v152, v153, v151
	v_pk_add_f32 v[150:151], v[8:9], v[60:61]
	s_nop 0
	v_min3_f32 v153, v150, v151, v87
	v_pk_add_f32 v[150:151], v[4:5], v[60:61]
	v_pk_add_f32 v[60:61], v[0:1], v[60:61]
	v_min3_f32 v149, v150, v151, v149
	v_min3_f32 v147, v60, v61, v147
	v_pk_add_f32 v[60:61], v[32:33], v[56:57]
	s_nop 0
	v_min3_f32 v148, v60, v61, v148
	v_pk_add_f32 v[60:61], v[24:25], v[56:57]
	s_nop 0
	v_min3_f32 v145, v60, v61, v145
	v_pk_add_f32 v[60:61], v[20:21], v[56:57]
	s_nop 0
	v_min3_f32 v146, v60, v61, v146
	v_pk_add_f32 v[60:61], v[16:17], v[56:57]
	s_nop 0
	v_min3_f32 v150, v60, v61, v143
	v_pk_add_f32 v[60:61], v[12:13], v[56:57]
	s_nop 0
	v_min3_f32 v144, v60, v61, v144
	v_pk_add_f32 v[60:61], v[8:9], v[56:57]
	s_nop 0
	v_min3_f32 v151, v60, v61, v140
	v_pk_add_f32 v[60:61], v[4:5], v[56:57]
	v_pk_add_f32 v[56:57], v[0:1], v[56:57]
	v_min3_f32 v160, v60, v61, v142
	v_min3_f32 v161, v56, v57, v139
	v_pk_add_f32 v[56:57], v[32:33], v[52:53]
	s_nop 0
	v_min3_f32 v143, v56, v57, v141
	v_pk_add_f32 v[56:57], v[24:25], v[52:53]
	s_nop 0
	v_min3_f32 v142, v56, v57, v136
	v_pk_add_f32 v[56:57], v[20:21], v[52:53]
	s_nop 0
	v_min3_f32 v141, v56, v57, v138
	v_pk_add_f32 v[56:57], v[16:17], v[52:53]
	s_nop 0
	v_min3_f32 v140, v56, v57, v133
	v_pk_add_f32 v[56:57], v[12:13], v[52:53]
	s_nop 0
	;; [unrolled: 22-line block ×5, first 2 shown]
	v_min3_f32 v60, v44, v45, v112
	v_pk_add_f32 v[44:45], v[8:9], v[40:41]
	s_nop 0
	v_min3_f32 v57, v44, v45, v108
	v_pk_add_f32 v[44:45], v[4:5], v[40:41]
	v_pk_add_f32 v[40:41], v[0:1], v[40:41]
	v_min3_f32 v56, v44, v45, v109
	v_min3_f32 v53, v40, v41, v107
	v_pk_add_f32 v[40:41], v[32:33], v[36:37]
	v_pk_add_f32 v[32:33], v[32:33], v[28:29]
	v_min3_f32 v52, v40, v41, v110
	v_pk_add_f32 v[40:41], v[24:25], v[36:37]
	v_pk_add_f32 v[24:25], v[24:25], v[28:29]
	;; [unrolled: 3-line block ×6, first 2 shown]
	v_pk_add_f32 v[36:37], v[0:1], v[36:37]
	v_pk_add_f32 v[8:9], v[8:9], v[28:29]
	;; [unrolled: 1-line block ×5, first 2 shown]
	v_min3_f32 v32, v32, v33, v100
	v_min3_f32 v100, v28, v29, v158
	v_pk_add_f32 v[28:29], v[26:27], v[62:63]
	v_min3_f32 v36, v36, v37, v99
	v_min3_f32 v99, v28, v29, v159
	v_pk_add_f32 v[28:29], v[22:23], v[62:63]
	;; [unrolled: 3-line block ×11, first 2 shown]
	s_nop 0
	v_min3_f32 v103, v28, v29, v150
	v_pk_add_f32 v[28:29], v[14:15], v[58:59]
	s_nop 0
	v_min3_f32 v104, v28, v29, v144
	v_pk_add_f32 v[28:29], v[10:11], v[58:59]
	;; [unrolled: 3-line block ×38, first 2 shown]
	v_pk_add_f32 v[26:27], v[26:27], v[30:31]
	v_min3_f32 v152, v28, v29, v49
	v_pk_add_f32 v[28:29], v[22:23], v[38:39]
	v_pk_add_f32 v[22:23], v[22:23], v[30:31]
	v_min3_f32 v153, v28, v29, v48
	v_pk_add_f32 v[28:29], v[18:19], v[38:39]
	;; [unrolled: 3-line block ×6, first 2 shown]
	v_pk_add_f32 v[2:3], v[2:3], v[30:31]
	v_min3_f32 v160, v28, v29, v36
	v_min3_f32 v168, v2, v3, v0
	v_lshl_add_u64 v[0:1], v[64:65], 0, v[70:71]
	v_pk_add_f32 v[28:29], v[34:35], v[30:31]
	flat_load_dword v89, v[0:1]
	v_lshl_add_u64 v[0:1], v[66:67], 0, v[72:73]
	v_min3_f32 v161, v28, v29, v32
	v_min3_f32 v162, v26, v27, v24
	;; [unrolled: 1-line block ×7, first 2 shown]
	flat_load_dword v90, v[0:1]
	flat_load_dword v91, v[0:1] offset:256
	flat_load_dword v154, v[0:1] offset:512
	;; [unrolled: 1-line block ×3, first 2 shown]
	ds_read_b128 v[28:31], v82
	ds_read_b128 v[24:27], v82 offset:128
	ds_read_b128 v[20:23], v82 offset:256
	;; [unrolled: 1-line block ×7, first 2 shown]
	ds_read_b128 v[60:63], v78
	ds_read_b128 v[56:59], v78 offset:512
	ds_read_b128 v[52:55], v78 offset:1024
	;; [unrolled: 1-line block ×7, first 2 shown]
	s_waitcnt lgkmcnt(0)
	v_pk_add_f32 v[118:119], v[28:29], v[60:61]
	v_lshl_add_u64 v[66:67], v[66:67], 0, s[6:7]
	v_min3_f32 v169, v118, v119, v100
	v_pk_add_f32 v[118:119], v[24:25], v[60:61]
	v_lshl_add_u64 v[64:65], v[64:65], 0, s[8:9]
	v_min3_f32 v170, v118, v119, v99
	v_pk_add_f32 v[118:119], v[20:21], v[60:61]
	s_waitcnt vmcnt(0)
	ds_write_b32 v83, v89
	ds_write2st64_b32 v84, v90, v91 offset1:4
	ds_write2st64_b32 v84, v154, v155 offset0:8 offset1:12
	v_min3_f32 v171, v118, v119, v97
	v_pk_add_f32 v[118:119], v[16:17], v[60:61]
	s_waitcnt lgkmcnt(0)
	v_min3_f32 v172, v118, v119, v96
	v_pk_add_f32 v[96:97], v[12:13], v[60:61]
	s_barrier
	v_min3_f32 v173, v96, v97, v95
	v_pk_add_f32 v[96:97], v[8:9], v[60:61]
	s_nop 0
	v_min3_f32 v174, v96, v97, v94
	v_pk_add_f32 v[94:95], v[4:5], v[60:61]
	v_pk_add_f32 v[60:61], v[0:1], v[60:61]
	v_min3_f32 v175, v94, v95, v93
	v_min3_f32 v176, v60, v61, v92
	v_pk_add_f32 v[60:61], v[28:29], v[56:57]
	s_nop 0
	v_min3_f32 v136, v60, v61, v98
	v_pk_add_f32 v[60:61], v[24:25], v[56:57]
	s_nop 0
	v_min3_f32 v135, v60, v61, v101
	v_pk_add_f32 v[60:61], v[20:21], v[56:57]
	s_nop 0
	v_min3_f32 v134, v60, v61, v102
	v_pk_add_f32 v[60:61], v[16:17], v[56:57]
	s_nop 0
	v_min3_f32 v133, v60, v61, v103
	v_pk_add_f32 v[60:61], v[12:13], v[56:57]
	s_nop 0
	v_min3_f32 v124, v60, v61, v104
	v_pk_add_f32 v[60:61], v[8:9], v[56:57]
	s_nop 0
	v_min3_f32 v123, v60, v61, v105
	v_pk_add_f32 v[60:61], v[4:5], v[56:57]
	v_pk_add_f32 v[56:57], v[0:1], v[56:57]
	v_min3_f32 v122, v60, v61, v106
	v_min3_f32 v121, v56, v57, v107
	v_pk_add_f32 v[56:57], v[28:29], v[52:53]
	s_nop 0
	v_min3_f32 v120, v56, v57, v108
	v_pk_add_f32 v[56:57], v[24:25], v[52:53]
	s_nop 0
	v_min3_f32 v119, v56, v57, v109
	v_pk_add_f32 v[56:57], v[20:21], v[52:53]
	s_nop 0
	v_min3_f32 v118, v56, v57, v110
	v_pk_add_f32 v[56:57], v[16:17], v[52:53]
	s_nop 0
	v_min3_f32 v117, v56, v57, v111
	v_pk_add_f32 v[56:57], v[12:13], v[52:53]
	s_nop 0
	;; [unrolled: 22-line block ×3, first 2 shown]
	v_min3_f32 v106, v52, v53, v128
	v_pk_add_f32 v[52:53], v[8:9], v[48:49]
	s_nop 0
	v_min3_f32 v105, v52, v53, v127
	v_pk_add_f32 v[52:53], v[4:5], v[48:49]
	v_pk_add_f32 v[48:49], v[0:1], v[48:49]
	v_min3_f32 v104, v52, v53, v126
	v_min3_f32 v103, v48, v49, v125
	v_pk_add_f32 v[48:49], v[28:29], v[44:45]
	v_pk_add_f32 v[126:127], v[4:5], v[36:37]
	v_min3_f32 v102, v48, v49, v137
	v_pk_add_f32 v[48:49], v[24:25], v[44:45]
	s_nop 0
	v_min3_f32 v101, v48, v49, v138
	v_pk_add_f32 v[48:49], v[20:21], v[44:45]
	s_nop 0
	;; [unrolled: 3-line block ×5, first 2 shown]
	v_min3_f32 v97, v48, v49, v142
	v_pk_add_f32 v[48:49], v[4:5], v[44:45]
	v_pk_add_f32 v[44:45], v[0:1], v[44:45]
	v_min3_f32 v96, v48, v49, v143
	v_min3_f32 v95, v44, v45, v144
	v_pk_add_f32 v[44:45], v[28:29], v[40:41]
	s_nop 0
	v_min3_f32 v94, v44, v45, v145
	v_pk_add_f32 v[44:45], v[24:25], v[40:41]
	s_nop 0
	;; [unrolled: 3-line block ×6, first 2 shown]
	v_min3_f32 v57, v44, v45, v148
	v_pk_add_f32 v[44:45], v[4:5], v[40:41]
	v_pk_add_f32 v[40:41], v[0:1], v[40:41]
	v_min3_f32 v56, v44, v45, v149
	v_min3_f32 v53, v40, v41, v150
	v_pk_add_f32 v[40:41], v[28:29], v[36:37]
	v_pk_add_f32 v[28:29], v[28:29], v[32:33]
	v_min3_f32 v52, v40, v41, v151
	v_pk_add_f32 v[40:41], v[24:25], v[36:37]
	v_pk_add_f32 v[24:25], v[24:25], v[32:33]
	;; [unrolled: 3-line block ×6, first 2 shown]
	v_pk_add_f32 v[8:9], v[8:9], v[32:33]
	v_pk_add_f32 v[4:5], v[4:5], v[32:33]
	;; [unrolled: 1-line block ×4, first 2 shown]
	v_min3_f32 v41, v40, v41, v158
	v_min3_f32 v88, v32, v33, v169
	v_pk_add_f32 v[32:33], v[26:27], v[62:63]
	v_min3_f32 v40, v126, v127, v159
	v_min3_f32 v152, v32, v33, v170
	v_pk_add_f32 v[32:33], v[22:23], v[62:63]
	v_min3_f32 v36, v36, v37, v160
	v_min3_f32 v153, v32, v33, v171
	v_pk_add_f32 v[32:33], v[18:19], v[62:63]
	v_min3_f32 v28, v28, v29, v161
	v_min3_f32 v150, v32, v33, v172
	v_pk_add_f32 v[32:33], v[14:15], v[62:63]
	v_min3_f32 v24, v24, v25, v162
	v_min3_f32 v151, v32, v33, v173
	v_pk_add_f32 v[32:33], v[10:11], v[62:63]
	v_min3_f32 v20, v20, v21, v163
	v_min3_f32 v87, v32, v33, v174
	v_pk_add_f32 v[32:33], v[6:7], v[62:63]
	v_min3_f32 v16, v16, v17, v164
	v_min3_f32 v149, v32, v33, v175
	v_pk_add_f32 v[32:33], v[2:3], v[62:63]
	v_min3_f32 v12, v12, v13, v165
	v_min3_f32 v147, v32, v33, v176
	v_pk_add_f32 v[32:33], v[30:31], v[58:59]
	v_min3_f32 v8, v8, v9, v166
	v_min3_f32 v148, v32, v33, v136
	v_pk_add_f32 v[32:33], v[26:27], v[58:59]
	v_min3_f32 v4, v4, v5, v167
	v_min3_f32 v145, v32, v33, v135
	v_pk_add_f32 v[32:33], v[22:23], v[58:59]
	v_min3_f32 v0, v0, v1, v168
	v_min3_f32 v146, v32, v33, v134
	v_pk_add_f32 v[32:33], v[18:19], v[58:59]
	s_nop 0
	v_min3_f32 v143, v32, v33, v133
	v_pk_add_f32 v[32:33], v[14:15], v[58:59]
	s_nop 0
	v_min3_f32 v144, v32, v33, v124
	v_pk_add_f32 v[32:33], v[10:11], v[58:59]
	;; [unrolled: 3-line block ×37, first 2 shown]
	v_pk_add_f32 v[30:31], v[30:31], v[34:35]
	v_min3_f32 v110, v32, v33, v52
	v_pk_add_f32 v[32:33], v[26:27], v[38:39]
	v_pk_add_f32 v[26:27], v[26:27], v[34:35]
	v_min3_f32 v105, v32, v33, v49
	v_pk_add_f32 v[32:33], v[22:23], v[38:39]
	;; [unrolled: 3-line block ×7, first 2 shown]
	v_pk_add_f32 v[2:3], v[2:3], v[34:35]
	v_min3_f32 v99, v32, v33, v36
	v_min3_f32 v100, v30, v31, v28
	;; [unrolled: 1-line block ×9, first 2 shown]
	s_cbranch_scc0 .LBB16_10
.LBB16_11:
	s_load_dwordx2 s[8:9], s[0:1], 0x70
	s_load_dword s6, s[0:1], 0x50
	s_load_dword s7, s[0:1], 0x68
	ds_read_b128 v[32:35], v79 offset:9216
	ds_read_b128 v[24:27], v79 offset:9344
	;; [unrolled: 1-line block ×16, first 2 shown]
	s_waitcnt lgkmcnt(0)
	s_lshl_b64 s[0:1], s[8:9], 2
	s_add_u32 s0, s2, s0
	v_pk_add_f32 v[64:65], v[32:33], v[60:61]
	v_add_u32_e32 v154, s23, v77
	v_min3_f32 v66, v64, v65, v88
	v_pk_add_f32 v[64:65], v[34:35], v[62:63]
	s_addc_u32 s1, s3, s1
	v_min3_f32 v68, v64, v65, v66
	v_add_u32_e32 v70, s22, v76
	v_mad_i64_i32 v[66:67], s[2:3], v154, s7, 0
	v_add_u32_e32 v64, 8, v70
	v_lshl_add_u64 v[88:89], v[66:67], 2, s[0:1]
	v_mad_i64_i32 v[66:67], s[2:3], v154, s6, 0
	v_ashrrev_i32_e32 v71, 31, v70
	v_ashrrev_i32_e32 v65, 31, v64
	s_mov_b64 s[2:3], -1
	v_max_f32_e32 v68, v68, v68
	s_mov_b64 vcc, s[4:5]
	s_cbranch_vccz .LBB16_13
; %bb.12:
	v_min_f32_e32 v69, 0, v68
	v_lshl_add_u64 v[72:73], v[70:71], 2, v[88:89]
	flat_store_dword v[72:73], v69
	s_mov_b64 s[2:3], 0
.LBB16_13:
	v_lshl_add_u64 v[90:91], v[66:67], 2, s[12:13]
	v_mov_b32_e32 v69, 0
	s_andn2_b64 vcc, exec, s[2:3]
	v_lshlrev_b64 v[76:77], 2, v[70:71]
	s_cbranch_vccnz .LBB16_15
; %bb.14:
	v_lshl_add_u64 v[66:67], v[90:91], 0, v[76:77]
	flat_load_dword v69, v[66:67]
	v_lshl_add_u64 v[66:67], v[88:89], 0, v[76:77]
	s_waitcnt vmcnt(0) lgkmcnt(0)
	v_mul_f32_e32 v69, s15, v69
	v_min_f32_e32 v68, v69, v68
	flat_store_dword v[66:67], v68
	v_lshl_add_u64 v[66:67], v[64:65], 2, v[90:91]
	flat_load_dword v66, v[66:67]
	s_waitcnt vmcnt(0) lgkmcnt(0)
	v_mul_f32_e32 v69, s15, v66
.LBB16_15:
	v_pk_add_f32 v[66:67], v[24:25], v[60:61]
	v_add_u32_e32 v74, 16, v70
	v_min3_f32 v68, v66, v67, v152
	v_pk_add_f32 v[66:67], v[28:29], v[60:61]
	v_ashrrev_i32_e32 v75, 31, v74
	v_min3_f32 v72, v66, v67, v153
	v_pk_add_f32 v[66:67], v[26:27], v[62:63]
	s_mov_b64 s[2:3], -1
	v_min_f32_e32 v73, v66, v67
	v_pk_add_f32 v[66:67], v[30:31], v[62:63]
	v_min3_f32 v73, v69, v73, v68
	v_min3_f32 v72, v66, v67, v72
	v_add_u32_e32 v66, 24, v70
	v_lshl_add_u64 v[68:69], v[64:65], 2, v[88:89]
	v_ashrrev_i32_e32 v67, 31, v66
	flat_store_dword v[68:69], v73
	v_max_f32_e32 v68, v72, v72
	s_mov_b64 vcc, s[4:5]
	s_cbranch_vccz .LBB16_17
; %bb.16:
	v_min_f32_e32 v69, 0, v68
	v_lshl_add_u64 v[72:73], v[74:75], 2, v[88:89]
	flat_store_dword v[72:73], v69
	s_mov_b64 s[2:3], 0
.LBB16_17:
	v_mov_b32_e32 v72, 0
	s_andn2_b64 vcc, exec, s[2:3]
	v_lshlrev_b64 v[80:81], 2, v[74:75]
	s_cbranch_vccnz .LBB16_19
; %bb.18:
	v_lshl_add_u64 v[72:73], v[90:91], 0, v[80:81]
	flat_load_dword v69, v[72:73]
	v_lshl_add_u64 v[72:73], v[88:89], 0, v[80:81]
	s_waitcnt vmcnt(0) lgkmcnt(0)
	v_mul_f32_e32 v69, s15, v69
	v_min_f32_e32 v68, v69, v68
	flat_store_dword v[72:73], v68
	v_lshl_add_u64 v[68:69], v[66:67], 2, v[90:91]
	flat_load_dword v68, v[68:69]
	s_waitcnt vmcnt(0) lgkmcnt(0)
	v_mul_f32_e32 v72, s15, v68
.LBB16_19:
	v_pk_add_f32 v[68:69], v[20:21], v[60:61]
	s_mov_b64 s[2:3], -1
	v_min3_f32 v73, v68, v69, v150
	v_pk_add_f32 v[68:69], v[16:17], v[60:61]
	s_mov_b64 vcc, s[4:5]
	v_min3_f32 v78, v68, v69, v151
	v_pk_add_f32 v[68:69], v[22:23], v[62:63]
	s_nop 0
	v_min_f32_e32 v82, v68, v69
	v_pk_add_f32 v[68:69], v[18:19], v[62:63]
	v_min3_f32 v82, v72, v82, v73
	v_min3_f32 v83, v68, v69, v78
	v_add_u32_e32 v78, 32, v70
	v_add_u32_e32 v68, 40, v70
	v_lshl_add_u64 v[72:73], v[66:67], 2, v[88:89]
	v_ashrrev_i32_e32 v79, 31, v78
	v_ashrrev_i32_e32 v69, 31, v68
	flat_store_dword v[72:73], v82
	v_max_f32_e32 v72, v83, v83
	s_cbranch_vccz .LBB16_21
; %bb.20:
	v_min_f32_e32 v73, 0, v72
	v_lshl_add_u64 v[82:83], v[78:79], 2, v[88:89]
	flat_store_dword v[82:83], v73
	s_mov_b64 s[2:3], 0
.LBB16_21:
	v_mov_b32_e32 v86, 0
	s_andn2_b64 vcc, exec, s[2:3]
	v_lshlrev_b64 v[82:83], 2, v[78:79]
	s_cbranch_vccnz .LBB16_23
; %bb.22:
	v_lshl_add_u64 v[84:85], v[90:91], 0, v[82:83]
	flat_load_dword v73, v[84:85]
	v_lshl_add_u64 v[84:85], v[88:89], 0, v[82:83]
	s_waitcnt vmcnt(0) lgkmcnt(0)
	v_mul_f32_e32 v73, s15, v73
	v_min_f32_e32 v72, v73, v72
	flat_store_dword v[84:85], v72
	v_lshl_add_u64 v[72:73], v[68:69], 2, v[90:91]
	flat_load_dword v72, v[72:73]
	s_waitcnt vmcnt(0) lgkmcnt(0)
	v_mul_f32_e32 v86, s15, v72
.LBB16_23:
	v_pk_add_f32 v[72:73], v[12:13], v[60:61]
	s_mov_b64 s[2:3], -1
	v_min3_f32 v87, v72, v73, v87
	v_pk_add_f32 v[72:73], v[8:9], v[60:61]
	s_mov_b64 vcc, s[4:5]
	v_min3_f32 v84, v72, v73, v149
	v_pk_add_f32 v[72:73], v[14:15], v[62:63]
	s_nop 0
	v_min_f32_e32 v149, v72, v73
	v_pk_add_f32 v[72:73], v[10:11], v[62:63]
	v_min3_f32 v149, v86, v149, v87
	v_min3_f32 v150, v72, v73, v84
	v_add_u32_e32 v84, 48, v70
	v_add_u32_e32 v72, 56, v70
	v_lshl_add_u64 v[86:87], v[68:69], 2, v[88:89]
	v_ashrrev_i32_e32 v85, 31, v84
	v_ashrrev_i32_e32 v73, 31, v72
	flat_store_dword v[86:87], v149
	v_max_f32_e32 v149, v150, v150
	s_cbranch_vccz .LBB16_25
; %bb.24:
	v_min_f32_e32 v150, 0, v149
	v_lshl_add_u64 v[86:87], v[84:85], 2, v[88:89]
	flat_store_dword v[86:87], v150
	s_mov_b64 s[2:3], 0
.LBB16_25:
	v_mov_b32_e32 v150, 0
	s_andn2_b64 vcc, exec, s[2:3]
	v_lshlrev_b64 v[86:87], 2, v[84:85]
	s_cbranch_vccnz .LBB16_27
; %bb.26:
	v_lshl_add_u64 v[150:151], v[90:91], 0, v[86:87]
	flat_load_dword v152, v[150:151]
	v_lshl_add_u64 v[150:151], v[88:89], 0, v[86:87]
	v_lshl_add_u64 v[90:91], v[72:73], 2, v[90:91]
	s_waitcnt vmcnt(0) lgkmcnt(0)
	v_mul_f32_e32 v152, s15, v152
	v_min_f32_e32 v149, v152, v149
	flat_store_dword v[150:151], v149
	flat_load_dword v90, v[90:91]
	s_waitcnt vmcnt(0) lgkmcnt(0)
	v_mul_f32_e32 v150, s15, v90
.LBB16_27:
	v_pk_add_f32 v[60:61], v[0:1], v[60:61]
	s_mov_b64 vcc, s[4:5]
	v_min3_f32 v90, v60, v61, v147
	v_pk_add_f32 v[60:61], v[32:33], v[56:57]
	s_nop 0
	v_min3_f32 v91, v60, v61, v148
	v_pk_add_f32 v[60:61], v[2:3], v[62:63]
	s_nop 0
	v_min_f32_e32 v62, v60, v61
	v_pk_add_f32 v[60:61], v[34:35], v[58:59]
	v_min3_f32 v62, v150, v62, v90
	v_min3_f32 v91, v60, v61, v91
	v_lshl_add_u64 v[60:61], v[72:73], 2, v[88:89]
	flat_store_dword v[60:61], v62
	v_add_u32_e32 v62, 32, v154
	v_mad_i64_i32 v[60:61], s[2:3], v62, s7, 0
	v_mad_i64_i32 v[62:63], s[2:3], v62, s6, 0
	v_lshl_add_u64 v[60:61], v[60:61], 2, s[0:1]
	s_mov_b64 s[2:3], -1
	v_max_f32_e32 v88, v91, v91
	s_cbranch_vccz .LBB16_29
; %bb.28:
	v_min_f32_e32 v89, 0, v88
	v_lshl_add_u64 v[90:91], v[70:71], 2, v[60:61]
	flat_store_dword v[90:91], v89
	s_mov_b64 s[2:3], 0
.LBB16_29:
	v_lshl_add_u64 v[62:63], v[62:63], 2, s[12:13]
	s_andn2_b64 vcc, exec, s[2:3]
	v_mov_b32_e32 v89, 0
	s_cbranch_vccnz .LBB16_31
; %bb.30:
	v_lshl_add_u64 v[90:91], v[62:63], 0, v[76:77]
	flat_load_dword v89, v[90:91]
	v_lshl_add_u64 v[90:91], v[60:61], 0, v[76:77]
	s_waitcnt vmcnt(0) lgkmcnt(0)
	v_mul_f32_e32 v89, s15, v89
	v_min_f32_e32 v88, v89, v88
	flat_store_dword v[90:91], v88
	v_lshl_add_u64 v[88:89], v[64:65], 2, v[62:63]
	flat_load_dword v88, v[88:89]
	s_waitcnt vmcnt(0) lgkmcnt(0)
	v_mul_f32_e32 v89, s15, v88
.LBB16_31:
	v_pk_add_f32 v[90:91], v[24:25], v[56:57]
	s_mov_b64 s[2:3], -1
	v_min3_f32 v88, v90, v91, v145
	v_pk_add_f32 v[90:91], v[28:29], v[56:57]
	s_mov_b64 vcc, s[4:5]
	v_min3_f32 v145, v90, v91, v146
	v_pk_add_f32 v[90:91], v[26:27], v[58:59]
	s_nop 0
	v_min_f32_e32 v146, v90, v91
	v_pk_add_f32 v[90:91], v[30:31], v[58:59]
	s_nop 0
	v_min3_f32 v90, v90, v91, v145
	v_min3_f32 v91, v89, v146, v88
	v_lshl_add_u64 v[88:89], v[64:65], 2, v[60:61]
	flat_store_dword v[88:89], v91
	v_max_f32_e32 v88, v90, v90
	s_cbranch_vccz .LBB16_33
; %bb.32:
	v_min_f32_e32 v89, 0, v88
	v_lshl_add_u64 v[90:91], v[74:75], 2, v[60:61]
	flat_store_dword v[90:91], v89
	s_mov_b64 s[2:3], 0
.LBB16_33:
	s_andn2_b64 vcc, exec, s[2:3]
	v_mov_b32_e32 v89, 0
	s_cbranch_vccnz .LBB16_35
; %bb.34:
	v_lshl_add_u64 v[90:91], v[62:63], 0, v[80:81]
	flat_load_dword v89, v[90:91]
	v_lshl_add_u64 v[90:91], v[60:61], 0, v[80:81]
	s_waitcnt vmcnt(0) lgkmcnt(0)
	v_mul_f32_e32 v89, s15, v89
	v_min_f32_e32 v88, v89, v88
	flat_store_dword v[90:91], v88
	v_lshl_add_u64 v[88:89], v[66:67], 2, v[62:63]
	flat_load_dword v88, v[88:89]
	s_waitcnt vmcnt(0) lgkmcnt(0)
	v_mul_f32_e32 v89, s15, v88
.LBB16_35:
	v_pk_add_f32 v[90:91], v[20:21], v[56:57]
	s_mov_b64 s[2:3], -1
	v_min3_f32 v88, v90, v91, v143
	v_pk_add_f32 v[90:91], v[16:17], v[56:57]
	s_mov_b64 vcc, s[4:5]
	v_min3_f32 v143, v90, v91, v144
	v_pk_add_f32 v[90:91], v[22:23], v[58:59]
	s_nop 0
	v_min_f32_e32 v144, v90, v91
	v_pk_add_f32 v[90:91], v[18:19], v[58:59]
	s_nop 0
	v_min3_f32 v90, v90, v91, v143
	v_min3_f32 v91, v89, v144, v88
	v_lshl_add_u64 v[88:89], v[66:67], 2, v[60:61]
	flat_store_dword v[88:89], v91
	v_max_f32_e32 v88, v90, v90
	s_cbranch_vccz .LBB16_37
; %bb.36:
	v_min_f32_e32 v89, 0, v88
	v_lshl_add_u64 v[90:91], v[78:79], 2, v[60:61]
	flat_store_dword v[90:91], v89
	s_mov_b64 s[2:3], 0
.LBB16_37:
	;; [unrolled: 39-line block ×3, first 2 shown]
	s_andn2_b64 vcc, exec, s[2:3]
	v_mov_b32_e32 v89, 0
	s_cbranch_vccnz .LBB16_43
; %bb.42:
	v_lshl_add_u64 v[90:91], v[62:63], 0, v[86:87]
	flat_load_dword v89, v[90:91]
	v_lshl_add_u64 v[90:91], v[60:61], 0, v[86:87]
	v_lshl_add_u64 v[62:63], v[72:73], 2, v[62:63]
	s_waitcnt vmcnt(0) lgkmcnt(0)
	v_mul_f32_e32 v89, s15, v89
	v_min_f32_e32 v88, v89, v88
	flat_store_dword v[90:91], v88
	flat_load_dword v62, v[62:63]
	s_waitcnt vmcnt(0) lgkmcnt(0)
	v_mul_f32_e32 v89, s15, v62
.LBB16_43:
	v_pk_add_f32 v[56:57], v[0:1], v[56:57]
	s_mov_b64 vcc, s[4:5]
	v_min3_f32 v62, v56, v57, v139
	v_pk_add_f32 v[56:57], v[32:33], v[52:53]
	s_nop 0
	v_min3_f32 v63, v56, v57, v141
	v_pk_add_f32 v[56:57], v[2:3], v[58:59]
	s_nop 0
	v_min_f32_e32 v58, v56, v57
	v_pk_add_f32 v[56:57], v[34:35], v[54:55]
	v_min3_f32 v58, v89, v58, v62
	v_min3_f32 v63, v56, v57, v63
	v_lshl_add_u64 v[56:57], v[72:73], 2, v[60:61]
	flat_store_dword v[56:57], v58
	v_add_u32_e32 v58, 64, v154
	v_mad_i64_i32 v[56:57], s[2:3], v58, s7, 0
	v_mad_i64_i32 v[58:59], s[2:3], v58, s6, 0
	v_lshl_add_u64 v[56:57], v[56:57], 2, s[0:1]
	s_mov_b64 s[2:3], -1
	v_max_f32_e32 v60, v63, v63
	s_cbranch_vccz .LBB16_45
; %bb.44:
	v_min_f32_e32 v61, 0, v60
	v_lshl_add_u64 v[62:63], v[70:71], 2, v[56:57]
	flat_store_dword v[62:63], v61
	s_mov_b64 s[2:3], 0
.LBB16_45:
	v_lshl_add_u64 v[58:59], v[58:59], 2, s[12:13]
	s_andn2_b64 vcc, exec, s[2:3]
	v_mov_b32_e32 v61, 0
	s_cbranch_vccnz .LBB16_47
; %bb.46:
	v_lshl_add_u64 v[62:63], v[58:59], 0, v[76:77]
	flat_load_dword v61, v[62:63]
	v_lshl_add_u64 v[62:63], v[56:57], 0, v[76:77]
	s_waitcnt vmcnt(0) lgkmcnt(0)
	v_mul_f32_e32 v61, s15, v61
	v_min_f32_e32 v60, v61, v60
	flat_store_dword v[62:63], v60
	v_lshl_add_u64 v[60:61], v[64:65], 2, v[58:59]
	flat_load_dword v60, v[60:61]
	s_waitcnt vmcnt(0) lgkmcnt(0)
	v_mul_f32_e32 v61, s15, v60
.LBB16_47:
	v_pk_add_f32 v[62:63], v[24:25], v[52:53]
	s_mov_b64 s[2:3], -1
	v_min3_f32 v60, v62, v63, v136
	v_pk_add_f32 v[62:63], v[28:29], v[52:53]
	s_mov_b64 vcc, s[4:5]
	v_min3_f32 v88, v62, v63, v138
	v_pk_add_f32 v[62:63], v[26:27], v[54:55]
	s_nop 0
	v_min_f32_e32 v89, v62, v63
	v_pk_add_f32 v[62:63], v[30:31], v[54:55]
	s_nop 0
	v_min3_f32 v62, v62, v63, v88
	v_min3_f32 v63, v61, v89, v60
	v_lshl_add_u64 v[60:61], v[64:65], 2, v[56:57]
	flat_store_dword v[60:61], v63
	v_max_f32_e32 v60, v62, v62
	s_cbranch_vccz .LBB16_49
; %bb.48:
	v_min_f32_e32 v61, 0, v60
	v_lshl_add_u64 v[62:63], v[74:75], 2, v[56:57]
	flat_store_dword v[62:63], v61
	s_mov_b64 s[2:3], 0
.LBB16_49:
	s_andn2_b64 vcc, exec, s[2:3]
	v_mov_b32_e32 v61, 0
	s_cbranch_vccnz .LBB16_51
; %bb.50:
	v_lshl_add_u64 v[62:63], v[58:59], 0, v[80:81]
	flat_load_dword v61, v[62:63]
	v_lshl_add_u64 v[62:63], v[56:57], 0, v[80:81]
	s_waitcnt vmcnt(0) lgkmcnt(0)
	v_mul_f32_e32 v61, s15, v61
	v_min_f32_e32 v60, v61, v60
	flat_store_dword v[62:63], v60
	v_lshl_add_u64 v[60:61], v[66:67], 2, v[58:59]
	flat_load_dword v60, v[60:61]
	s_waitcnt vmcnt(0) lgkmcnt(0)
	v_mul_f32_e32 v61, s15, v60
.LBB16_51:
	v_pk_add_f32 v[62:63], v[20:21], v[52:53]
	s_mov_b64 s[2:3], -1
	v_min3_f32 v60, v62, v63, v133
	v_pk_add_f32 v[62:63], v[16:17], v[52:53]
	s_mov_b64 vcc, s[4:5]
	v_min3_f32 v88, v62, v63, v134
	v_pk_add_f32 v[62:63], v[22:23], v[54:55]
	s_nop 0
	v_min_f32_e32 v89, v62, v63
	v_pk_add_f32 v[62:63], v[18:19], v[54:55]
	s_nop 0
	v_min3_f32 v62, v62, v63, v88
	v_min3_f32 v63, v61, v89, v60
	v_lshl_add_u64 v[60:61], v[66:67], 2, v[56:57]
	flat_store_dword v[60:61], v63
	v_max_f32_e32 v60, v62, v62
	s_cbranch_vccz .LBB16_53
; %bb.52:
	v_min_f32_e32 v61, 0, v60
	v_lshl_add_u64 v[62:63], v[78:79], 2, v[56:57]
	flat_store_dword v[62:63], v61
	s_mov_b64 s[2:3], 0
.LBB16_53:
	s_andn2_b64 vcc, exec, s[2:3]
	v_mov_b32_e32 v61, 0
	s_cbranch_vccnz .LBB16_55
; %bb.54:
	v_lshl_add_u64 v[62:63], v[58:59], 0, v[82:83]
	flat_load_dword v61, v[62:63]
	v_lshl_add_u64 v[62:63], v[56:57], 0, v[82:83]
	s_waitcnt vmcnt(0) lgkmcnt(0)
	v_mul_f32_e32 v61, s15, v61
	v_min_f32_e32 v60, v61, v60
	flat_store_dword v[62:63], v60
	v_lshl_add_u64 v[60:61], v[68:69], 2, v[58:59]
	flat_load_dword v60, v[60:61]
	s_waitcnt vmcnt(0) lgkmcnt(0)
	v_mul_f32_e32 v61, s15, v60
.LBB16_55:
	v_pk_add_f32 v[62:63], v[12:13], v[52:53]
	s_mov_b64 s[2:3], -1
	v_min3_f32 v60, v62, v63, v129
	v_pk_add_f32 v[62:63], v[8:9], v[52:53]
	s_mov_b64 vcc, s[4:5]
	v_min3_f32 v88, v62, v63, v130
	v_pk_add_f32 v[62:63], v[14:15], v[54:55]
	s_nop 0
	v_min_f32_e32 v89, v62, v63
	v_pk_add_f32 v[62:63], v[10:11], v[54:55]
	s_nop 0
	v_min3_f32 v62, v62, v63, v88
	v_min3_f32 v63, v61, v89, v60
	v_lshl_add_u64 v[60:61], v[68:69], 2, v[56:57]
	flat_store_dword v[60:61], v63
	v_max_f32_e32 v60, v62, v62
	s_cbranch_vccz .LBB16_57
; %bb.56:
	v_min_f32_e32 v61, 0, v60
	v_lshl_add_u64 v[62:63], v[84:85], 2, v[56:57]
	flat_store_dword v[62:63], v61
	s_mov_b64 s[2:3], 0
.LBB16_57:
	s_andn2_b64 vcc, exec, s[2:3]
	v_mov_b32_e32 v61, 0
	s_cbranch_vccnz .LBB16_59
; %bb.58:
	v_lshl_add_u64 v[62:63], v[58:59], 0, v[86:87]
	flat_load_dword v61, v[62:63]
	v_lshl_add_u64 v[62:63], v[56:57], 0, v[86:87]
	v_lshl_add_u64 v[58:59], v[72:73], 2, v[58:59]
	s_waitcnt vmcnt(0) lgkmcnt(0)
	v_mul_f32_e32 v61, s15, v61
	v_min_f32_e32 v60, v61, v60
	flat_store_dword v[62:63], v60
	flat_load_dword v58, v[58:59]
	s_waitcnt vmcnt(0) lgkmcnt(0)
	v_mul_f32_e32 v61, s15, v58
.LBB16_59:
	v_pk_add_f32 v[52:53], v[0:1], v[52:53]
	s_mov_b64 vcc, s[4:5]
	v_min3_f32 v58, v52, v53, v135
	v_pk_add_f32 v[52:53], v[32:33], v[48:49]
	s_nop 0
	v_min3_f32 v59, v52, v53, v137
	v_pk_add_f32 v[52:53], v[2:3], v[54:55]
	s_nop 0
	v_min_f32_e32 v54, v52, v53
	v_pk_add_f32 v[52:53], v[34:35], v[50:51]
	v_min3_f32 v54, v61, v54, v58
	v_min3_f32 v59, v52, v53, v59
	v_lshl_add_u64 v[52:53], v[72:73], 2, v[56:57]
	flat_store_dword v[52:53], v54
	v_add_u32_e32 v54, 0x60, v154
	v_mad_i64_i32 v[52:53], s[2:3], v54, s7, 0
	v_mad_i64_i32 v[54:55], s[2:3], v54, s6, 0
	v_lshl_add_u64 v[52:53], v[52:53], 2, s[0:1]
	s_mov_b64 s[2:3], -1
	v_max_f32_e32 v56, v59, v59
	s_cbranch_vccz .LBB16_61
; %bb.60:
	v_min_f32_e32 v57, 0, v56
	v_lshl_add_u64 v[58:59], v[70:71], 2, v[52:53]
	flat_store_dword v[58:59], v57
	s_mov_b64 s[2:3], 0
.LBB16_61:
	v_lshl_add_u64 v[54:55], v[54:55], 2, s[12:13]
	s_andn2_b64 vcc, exec, s[2:3]
	v_mov_b32_e32 v57, 0
	s_cbranch_vccnz .LBB16_63
; %bb.62:
	v_lshl_add_u64 v[58:59], v[54:55], 0, v[76:77]
	flat_load_dword v57, v[58:59]
	v_lshl_add_u64 v[58:59], v[52:53], 0, v[76:77]
	s_waitcnt vmcnt(0) lgkmcnt(0)
	v_mul_f32_e32 v57, s15, v57
	v_min_f32_e32 v56, v57, v56
	flat_store_dword v[58:59], v56
	v_lshl_add_u64 v[56:57], v[64:65], 2, v[54:55]
	flat_load_dword v56, v[56:57]
	s_waitcnt vmcnt(0) lgkmcnt(0)
	v_mul_f32_e32 v57, s15, v56
.LBB16_63:
	v_pk_add_f32 v[58:59], v[24:25], v[48:49]
	s_mov_b64 s[2:3], -1
	v_min3_f32 v56, v58, v59, v131
	v_pk_add_f32 v[58:59], v[28:29], v[48:49]
	s_mov_b64 vcc, s[4:5]
	v_min3_f32 v60, v58, v59, v132
	v_pk_add_f32 v[58:59], v[26:27], v[50:51]
	s_nop 0
	v_min_f32_e32 v61, v58, v59
	v_pk_add_f32 v[58:59], v[30:31], v[50:51]
	s_nop 0
	v_min3_f32 v58, v58, v59, v60
	v_min3_f32 v59, v57, v61, v56
	v_lshl_add_u64 v[56:57], v[64:65], 2, v[52:53]
	flat_store_dword v[56:57], v59
	v_max_f32_e32 v56, v58, v58
	s_cbranch_vccz .LBB16_65
; %bb.64:
	v_min_f32_e32 v57, 0, v56
	v_lshl_add_u64 v[58:59], v[74:75], 2, v[52:53]
	flat_store_dword v[58:59], v57
	s_mov_b64 s[2:3], 0
.LBB16_65:
	s_andn2_b64 vcc, exec, s[2:3]
	v_mov_b32_e32 v57, 0
	s_cbranch_vccnz .LBB16_67
; %bb.66:
	v_lshl_add_u64 v[58:59], v[54:55], 0, v[80:81]
	flat_load_dword v57, v[58:59]
	v_lshl_add_u64 v[58:59], v[52:53], 0, v[80:81]
	s_waitcnt vmcnt(0) lgkmcnt(0)
	v_mul_f32_e32 v57, s15, v57
	v_min_f32_e32 v56, v57, v56
	flat_store_dword v[58:59], v56
	v_lshl_add_u64 v[56:57], v[66:67], 2, v[54:55]
	flat_load_dword v56, v[56:57]
	s_waitcnt vmcnt(0) lgkmcnt(0)
	v_mul_f32_e32 v57, s15, v56
.LBB16_67:
	v_pk_add_f32 v[58:59], v[20:21], v[48:49]
	s_mov_b64 s[2:3], -1
	v_min3_f32 v56, v58, v59, v127
	v_pk_add_f32 v[58:59], v[16:17], v[48:49]
	s_mov_b64 vcc, s[4:5]
	v_min3_f32 v60, v58, v59, v128
	v_pk_add_f32 v[58:59], v[22:23], v[50:51]
	s_nop 0
	v_min_f32_e32 v61, v58, v59
	v_pk_add_f32 v[58:59], v[18:19], v[50:51]
	s_nop 0
	v_min3_f32 v58, v58, v59, v60
	v_min3_f32 v59, v57, v61, v56
	v_lshl_add_u64 v[56:57], v[66:67], 2, v[52:53]
	flat_store_dword v[56:57], v59
	v_max_f32_e32 v56, v58, v58
	s_cbranch_vccz .LBB16_69
; %bb.68:
	v_min_f32_e32 v57, 0, v56
	v_lshl_add_u64 v[58:59], v[78:79], 2, v[52:53]
	flat_store_dword v[58:59], v57
	s_mov_b64 s[2:3], 0
.LBB16_69:
	;; [unrolled: 39-line block ×3, first 2 shown]
	s_andn2_b64 vcc, exec, s[2:3]
	v_mov_b32_e32 v57, 0
	s_cbranch_vccnz .LBB16_75
; %bb.74:
	v_lshl_add_u64 v[58:59], v[54:55], 0, v[86:87]
	flat_load_dword v57, v[58:59]
	v_lshl_add_u64 v[58:59], v[52:53], 0, v[86:87]
	v_lshl_add_u64 v[54:55], v[72:73], 2, v[54:55]
	s_waitcnt vmcnt(0) lgkmcnt(0)
	v_mul_f32_e32 v57, s15, v57
	v_min_f32_e32 v56, v57, v56
	flat_store_dword v[58:59], v56
	flat_load_dword v54, v[54:55]
	s_waitcnt vmcnt(0) lgkmcnt(0)
	v_mul_f32_e32 v57, s15, v54
.LBB16_75:
	v_pk_add_f32 v[48:49], v[0:1], v[48:49]
	s_mov_b64 vcc, s[4:5]
	v_min3_f32 v54, v48, v49, v123
	v_pk_add_f32 v[48:49], v[32:33], v[44:45]
	s_nop 0
	v_min3_f32 v55, v48, v49, v124
	v_pk_add_f32 v[48:49], v[2:3], v[50:51]
	s_nop 0
	v_min_f32_e32 v50, v48, v49
	v_pk_add_f32 v[48:49], v[34:35], v[46:47]
	v_min3_f32 v50, v57, v50, v54
	v_min3_f32 v55, v48, v49, v55
	v_lshl_add_u64 v[48:49], v[72:73], 2, v[52:53]
	flat_store_dword v[48:49], v50
	v_add_u32_e32 v50, 0x80, v154
	v_mad_i64_i32 v[48:49], s[2:3], v50, s7, 0
	v_mad_i64_i32 v[50:51], s[2:3], v50, s6, 0
	v_lshl_add_u64 v[48:49], v[48:49], 2, s[0:1]
	s_mov_b64 s[2:3], -1
	v_max_f32_e32 v52, v55, v55
	s_cbranch_vccz .LBB16_77
; %bb.76:
	v_min_f32_e32 v53, 0, v52
	v_lshl_add_u64 v[54:55], v[70:71], 2, v[48:49]
	flat_store_dword v[54:55], v53
	s_mov_b64 s[2:3], 0
.LBB16_77:
	v_lshl_add_u64 v[50:51], v[50:51], 2, s[12:13]
	s_andn2_b64 vcc, exec, s[2:3]
	v_mov_b32_e32 v53, 0
	s_cbranch_vccnz .LBB16_79
; %bb.78:
	v_lshl_add_u64 v[54:55], v[50:51], 0, v[76:77]
	flat_load_dword v53, v[54:55]
	v_lshl_add_u64 v[54:55], v[48:49], 0, v[76:77]
	s_waitcnt vmcnt(0) lgkmcnt(0)
	v_mul_f32_e32 v53, s15, v53
	v_min_f32_e32 v52, v53, v52
	flat_store_dword v[54:55], v52
	v_lshl_add_u64 v[52:53], v[64:65], 2, v[50:51]
	flat_load_dword v52, v[52:53]
	s_waitcnt vmcnt(0) lgkmcnt(0)
	v_mul_f32_e32 v53, s15, v52
.LBB16_79:
	v_pk_add_f32 v[54:55], v[24:25], v[44:45]
	s_mov_b64 s[2:3], -1
	v_min3_f32 v52, v54, v55, v121
	v_pk_add_f32 v[54:55], v[28:29], v[44:45]
	s_mov_b64 vcc, s[4:5]
	v_min3_f32 v56, v54, v55, v122
	v_pk_add_f32 v[54:55], v[26:27], v[46:47]
	s_nop 0
	v_min_f32_e32 v57, v54, v55
	v_pk_add_f32 v[54:55], v[30:31], v[46:47]
	s_nop 0
	v_min3_f32 v54, v54, v55, v56
	v_min3_f32 v55, v53, v57, v52
	v_lshl_add_u64 v[52:53], v[64:65], 2, v[48:49]
	flat_store_dword v[52:53], v55
	v_max_f32_e32 v52, v54, v54
	s_cbranch_vccz .LBB16_81
; %bb.80:
	v_min_f32_e32 v53, 0, v52
	v_lshl_add_u64 v[54:55], v[74:75], 2, v[48:49]
	flat_store_dword v[54:55], v53
	s_mov_b64 s[2:3], 0
.LBB16_81:
	s_andn2_b64 vcc, exec, s[2:3]
	v_mov_b32_e32 v53, 0
	s_cbranch_vccnz .LBB16_83
; %bb.82:
	v_lshl_add_u64 v[54:55], v[50:51], 0, v[80:81]
	flat_load_dword v53, v[54:55]
	v_lshl_add_u64 v[54:55], v[48:49], 0, v[80:81]
	s_waitcnt vmcnt(0) lgkmcnt(0)
	v_mul_f32_e32 v53, s15, v53
	v_min_f32_e32 v52, v53, v52
	flat_store_dword v[54:55], v52
	v_lshl_add_u64 v[52:53], v[66:67], 2, v[50:51]
	flat_load_dword v52, v[52:53]
	s_waitcnt vmcnt(0) lgkmcnt(0)
	v_mul_f32_e32 v53, s15, v52
.LBB16_83:
	v_pk_add_f32 v[54:55], v[20:21], v[44:45]
	s_mov_b64 s[2:3], -1
	v_min3_f32 v52, v54, v55, v119
	v_pk_add_f32 v[54:55], v[16:17], v[44:45]
	s_mov_b64 vcc, s[4:5]
	v_min3_f32 v56, v54, v55, v120
	v_pk_add_f32 v[54:55], v[22:23], v[46:47]
	s_nop 0
	v_min_f32_e32 v57, v54, v55
	v_pk_add_f32 v[54:55], v[18:19], v[46:47]
	s_nop 0
	v_min3_f32 v54, v54, v55, v56
	v_min3_f32 v55, v53, v57, v52
	v_lshl_add_u64 v[52:53], v[66:67], 2, v[48:49]
	flat_store_dword v[52:53], v55
	v_max_f32_e32 v52, v54, v54
	s_cbranch_vccz .LBB16_85
; %bb.84:
	v_min_f32_e32 v53, 0, v52
	v_lshl_add_u64 v[54:55], v[78:79], 2, v[48:49]
	flat_store_dword v[54:55], v53
	s_mov_b64 s[2:3], 0
.LBB16_85:
	;; [unrolled: 39-line block ×3, first 2 shown]
	s_andn2_b64 vcc, exec, s[2:3]
	v_mov_b32_e32 v53, 0
	s_cbranch_vccnz .LBB16_91
; %bb.90:
	v_lshl_add_u64 v[54:55], v[50:51], 0, v[86:87]
	flat_load_dword v53, v[54:55]
	v_lshl_add_u64 v[54:55], v[48:49], 0, v[86:87]
	v_lshl_add_u64 v[50:51], v[72:73], 2, v[50:51]
	s_waitcnt vmcnt(0) lgkmcnt(0)
	v_mul_f32_e32 v53, s15, v53
	v_min_f32_e32 v52, v53, v52
	flat_store_dword v[54:55], v52
	flat_load_dword v50, v[50:51]
	s_waitcnt vmcnt(0) lgkmcnt(0)
	v_mul_f32_e32 v53, s15, v50
.LBB16_91:
	v_pk_add_f32 v[44:45], v[0:1], v[44:45]
	s_mov_b64 vcc, s[4:5]
	v_min3_f32 v50, v44, v45, v115
	v_pk_add_f32 v[44:45], v[32:33], v[40:41]
	s_nop 0
	v_min3_f32 v51, v44, v45, v116
	v_pk_add_f32 v[44:45], v[2:3], v[46:47]
	s_nop 0
	v_min_f32_e32 v46, v44, v45
	v_pk_add_f32 v[44:45], v[34:35], v[42:43]
	v_min3_f32 v46, v53, v46, v50
	v_min3_f32 v51, v44, v45, v51
	v_lshl_add_u64 v[44:45], v[72:73], 2, v[48:49]
	flat_store_dword v[44:45], v46
	v_add_u32_e32 v46, 0xa0, v154
	v_mad_i64_i32 v[44:45], s[2:3], v46, s7, 0
	v_mad_i64_i32 v[46:47], s[2:3], v46, s6, 0
	v_lshl_add_u64 v[44:45], v[44:45], 2, s[0:1]
	s_mov_b64 s[2:3], -1
	v_max_f32_e32 v48, v51, v51
	s_cbranch_vccz .LBB16_93
; %bb.92:
	v_min_f32_e32 v49, 0, v48
	v_lshl_add_u64 v[50:51], v[70:71], 2, v[44:45]
	flat_store_dword v[50:51], v49
	s_mov_b64 s[2:3], 0
.LBB16_93:
	v_lshl_add_u64 v[46:47], v[46:47], 2, s[12:13]
	s_andn2_b64 vcc, exec, s[2:3]
	v_mov_b32_e32 v49, 0
	s_cbranch_vccnz .LBB16_95
; %bb.94:
	v_lshl_add_u64 v[50:51], v[46:47], 0, v[76:77]
	flat_load_dword v49, v[50:51]
	v_lshl_add_u64 v[50:51], v[44:45], 0, v[76:77]
	s_waitcnt vmcnt(0) lgkmcnt(0)
	v_mul_f32_e32 v49, s15, v49
	v_min_f32_e32 v48, v49, v48
	flat_store_dword v[50:51], v48
	v_lshl_add_u64 v[48:49], v[64:65], 2, v[46:47]
	flat_load_dword v48, v[48:49]
	s_waitcnt vmcnt(0) lgkmcnt(0)
	v_mul_f32_e32 v49, s15, v48
.LBB16_95:
	v_pk_add_f32 v[50:51], v[24:25], v[40:41]
	s_mov_b64 s[2:3], -1
	v_min3_f32 v48, v50, v51, v113
	v_pk_add_f32 v[50:51], v[28:29], v[40:41]
	s_mov_b64 vcc, s[4:5]
	v_min3_f32 v52, v50, v51, v114
	v_pk_add_f32 v[50:51], v[26:27], v[42:43]
	s_nop 0
	v_min_f32_e32 v53, v50, v51
	v_pk_add_f32 v[50:51], v[30:31], v[42:43]
	s_nop 0
	v_min3_f32 v50, v50, v51, v52
	v_min3_f32 v51, v49, v53, v48
	v_lshl_add_u64 v[48:49], v[64:65], 2, v[44:45]
	flat_store_dword v[48:49], v51
	v_max_f32_e32 v48, v50, v50
	s_cbranch_vccz .LBB16_97
; %bb.96:
	v_min_f32_e32 v49, 0, v48
	v_lshl_add_u64 v[50:51], v[74:75], 2, v[44:45]
	flat_store_dword v[50:51], v49
	s_mov_b64 s[2:3], 0
.LBB16_97:
	s_andn2_b64 vcc, exec, s[2:3]
	v_mov_b32_e32 v49, 0
	s_cbranch_vccnz .LBB16_99
; %bb.98:
	v_lshl_add_u64 v[50:51], v[46:47], 0, v[80:81]
	flat_load_dword v49, v[50:51]
	v_lshl_add_u64 v[50:51], v[44:45], 0, v[80:81]
	s_waitcnt vmcnt(0) lgkmcnt(0)
	v_mul_f32_e32 v49, s15, v49
	v_min_f32_e32 v48, v49, v48
	flat_store_dword v[50:51], v48
	v_lshl_add_u64 v[48:49], v[66:67], 2, v[46:47]
	flat_load_dword v48, v[48:49]
	s_waitcnt vmcnt(0) lgkmcnt(0)
	v_mul_f32_e32 v49, s15, v48
.LBB16_99:
	v_pk_add_f32 v[50:51], v[20:21], v[40:41]
	s_mov_b64 s[2:3], -1
	v_min3_f32 v48, v50, v51, v111
	v_pk_add_f32 v[50:51], v[16:17], v[40:41]
	s_mov_b64 vcc, s[4:5]
	v_min3_f32 v52, v50, v51, v112
	v_pk_add_f32 v[50:51], v[22:23], v[42:43]
	s_nop 0
	v_min_f32_e32 v53, v50, v51
	v_pk_add_f32 v[50:51], v[18:19], v[42:43]
	s_nop 0
	v_min3_f32 v50, v50, v51, v52
	v_min3_f32 v51, v49, v53, v48
	v_lshl_add_u64 v[48:49], v[66:67], 2, v[44:45]
	flat_store_dword v[48:49], v51
	v_max_f32_e32 v48, v50, v50
	s_cbranch_vccz .LBB16_101
; %bb.100:
	v_min_f32_e32 v49, 0, v48
	v_lshl_add_u64 v[50:51], v[78:79], 2, v[44:45]
	flat_store_dword v[50:51], v49
	s_mov_b64 s[2:3], 0
.LBB16_101:
	;; [unrolled: 39-line block ×3, first 2 shown]
	s_andn2_b64 vcc, exec, s[2:3]
	v_mov_b32_e32 v49, 0
	s_cbranch_vccnz .LBB16_107
; %bb.106:
	v_lshl_add_u64 v[50:51], v[46:47], 0, v[86:87]
	flat_load_dword v49, v[50:51]
	v_lshl_add_u64 v[50:51], v[44:45], 0, v[86:87]
	v_lshl_add_u64 v[46:47], v[72:73], 2, v[46:47]
	s_waitcnt vmcnt(0) lgkmcnt(0)
	v_mul_f32_e32 v49, s15, v49
	v_min_f32_e32 v48, v49, v48
	flat_store_dword v[50:51], v48
	flat_load_dword v46, v[46:47]
	s_waitcnt vmcnt(0) lgkmcnt(0)
	v_mul_f32_e32 v49, s15, v46
.LBB16_107:
	v_pk_add_f32 v[40:41], v[0:1], v[40:41]
	s_mov_b64 vcc, s[4:5]
	v_min3_f32 v46, v40, v41, v107
	v_pk_add_f32 v[40:41], v[32:33], v[36:37]
	s_nop 0
	v_min3_f32 v47, v40, v41, v110
	v_pk_add_f32 v[40:41], v[2:3], v[42:43]
	s_nop 0
	v_min_f32_e32 v42, v40, v41
	v_pk_add_f32 v[40:41], v[34:35], v[38:39]
	v_min3_f32 v42, v49, v42, v46
	v_min3_f32 v47, v40, v41, v47
	v_lshl_add_u64 v[40:41], v[72:73], 2, v[44:45]
	flat_store_dword v[40:41], v42
	v_add_u32_e32 v42, 0xc0, v154
	v_mad_i64_i32 v[40:41], s[2:3], v42, s7, 0
	v_mad_i64_i32 v[42:43], s[2:3], v42, s6, 0
	v_lshl_add_u64 v[40:41], v[40:41], 2, s[0:1]
	s_mov_b64 s[2:3], -1
	v_max_f32_e32 v44, v47, v47
	s_cbranch_vccz .LBB16_109
; %bb.108:
	v_min_f32_e32 v45, 0, v44
	v_lshl_add_u64 v[46:47], v[70:71], 2, v[40:41]
	flat_store_dword v[46:47], v45
	s_mov_b64 s[2:3], 0
.LBB16_109:
	v_lshl_add_u64 v[42:43], v[42:43], 2, s[12:13]
	s_andn2_b64 vcc, exec, s[2:3]
	v_mov_b32_e32 v45, 0
	s_cbranch_vccnz .LBB16_111
; %bb.110:
	v_lshl_add_u64 v[46:47], v[42:43], 0, v[76:77]
	flat_load_dword v45, v[46:47]
	v_lshl_add_u64 v[46:47], v[40:41], 0, v[76:77]
	s_waitcnt vmcnt(0) lgkmcnt(0)
	v_mul_f32_e32 v45, s15, v45
	v_min_f32_e32 v44, v45, v44
	flat_store_dword v[46:47], v44
	v_lshl_add_u64 v[44:45], v[64:65], 2, v[42:43]
	flat_load_dword v44, v[44:45]
	s_waitcnt vmcnt(0) lgkmcnt(0)
	v_mul_f32_e32 v45, s15, v44
.LBB16_111:
	v_pk_add_f32 v[46:47], v[24:25], v[36:37]
	s_mov_b64 s[2:3], -1
	v_min3_f32 v44, v46, v47, v105
	v_pk_add_f32 v[46:47], v[28:29], v[36:37]
	s_mov_b64 vcc, s[4:5]
	v_min3_f32 v48, v46, v47, v106
	v_pk_add_f32 v[46:47], v[26:27], v[38:39]
	s_nop 0
	v_min_f32_e32 v49, v46, v47
	v_pk_add_f32 v[46:47], v[30:31], v[38:39]
	s_nop 0
	v_min3_f32 v46, v46, v47, v48
	v_min3_f32 v47, v45, v49, v44
	v_lshl_add_u64 v[44:45], v[64:65], 2, v[40:41]
	flat_store_dword v[44:45], v47
	v_max_f32_e32 v44, v46, v46
	s_cbranch_vccz .LBB16_113
; %bb.112:
	v_min_f32_e32 v45, 0, v44
	v_lshl_add_u64 v[46:47], v[74:75], 2, v[40:41]
	flat_store_dword v[46:47], v45
	s_mov_b64 s[2:3], 0
.LBB16_113:
	s_andn2_b64 vcc, exec, s[2:3]
	v_mov_b32_e32 v45, 0
	s_cbranch_vccnz .LBB16_115
; %bb.114:
	v_lshl_add_u64 v[46:47], v[42:43], 0, v[80:81]
	flat_load_dword v45, v[46:47]
	v_lshl_add_u64 v[46:47], v[40:41], 0, v[80:81]
	s_waitcnt vmcnt(0) lgkmcnt(0)
	v_mul_f32_e32 v45, s15, v45
	v_min_f32_e32 v44, v45, v44
	flat_store_dword v[46:47], v44
	v_lshl_add_u64 v[44:45], v[66:67], 2, v[42:43]
	flat_load_dword v44, v[44:45]
	s_waitcnt vmcnt(0) lgkmcnt(0)
	v_mul_f32_e32 v45, s15, v44
.LBB16_115:
	v_pk_add_f32 v[46:47], v[20:21], v[36:37]
	s_mov_b64 s[2:3], -1
	v_min3_f32 v44, v46, v47, v103
	v_pk_add_f32 v[46:47], v[16:17], v[36:37]
	s_mov_b64 vcc, s[4:5]
	v_min3_f32 v48, v46, v47, v104
	v_pk_add_f32 v[46:47], v[22:23], v[38:39]
	s_nop 0
	v_min_f32_e32 v49, v46, v47
	v_pk_add_f32 v[46:47], v[18:19], v[38:39]
	s_nop 0
	v_min3_f32 v46, v46, v47, v48
	v_min3_f32 v47, v45, v49, v44
	v_lshl_add_u64 v[44:45], v[66:67], 2, v[40:41]
	flat_store_dword v[44:45], v47
	v_max_f32_e32 v44, v46, v46
	s_cbranch_vccz .LBB16_117
; %bb.116:
	v_min_f32_e32 v45, 0, v44
	v_lshl_add_u64 v[46:47], v[78:79], 2, v[40:41]
	flat_store_dword v[46:47], v45
	s_mov_b64 s[2:3], 0
.LBB16_117:
	;; [unrolled: 39-line block ×3, first 2 shown]
	s_andn2_b64 vcc, exec, s[2:3]
	v_mov_b32_e32 v45, 0
	s_cbranch_vccnz .LBB16_123
; %bb.122:
	v_lshl_add_u64 v[46:47], v[42:43], 0, v[86:87]
	flat_load_dword v45, v[46:47]
	v_lshl_add_u64 v[46:47], v[40:41], 0, v[86:87]
	v_lshl_add_u64 v[42:43], v[72:73], 2, v[42:43]
	s_waitcnt vmcnt(0) lgkmcnt(0)
	v_mul_f32_e32 v45, s15, v45
	v_min_f32_e32 v44, v45, v44
	flat_store_dword v[46:47], v44
	flat_load_dword v42, v[42:43]
	s_waitcnt vmcnt(0) lgkmcnt(0)
	v_mul_f32_e32 v45, s15, v42
.LBB16_123:
	v_pk_add_f32 v[36:37], v[0:1], v[36:37]
	v_pk_add_f32 v[32:33], v[32:33], v[4:5]
	v_min3_f32 v36, v36, v37, v99
	v_min3_f32 v37, v32, v33, v100
	v_pk_add_f32 v[32:33], v[2:3], v[38:39]
	s_mov_b64 vcc, s[4:5]
	v_min_f32_e32 v38, v32, v33
	v_pk_add_f32 v[32:33], v[34:35], v[6:7]
	v_min3_f32 v34, v45, v38, v36
	v_min3_f32 v37, v32, v33, v37
	v_lshl_add_u64 v[32:33], v[72:73], 2, v[40:41]
	flat_store_dword v[32:33], v34
	v_add_u32_e32 v34, 0xe0, v154
	v_mad_i64_i32 v[32:33], s[2:3], v34, s7, 0
	v_lshl_add_u64 v[32:33], v[32:33], 2, s[0:1]
	v_mad_i64_i32 v[34:35], s[0:1], v34, s6, 0
	s_mov_b64 s[0:1], -1
	v_max_f32_e32 v36, v37, v37
	s_cbranch_vccz .LBB16_125
; %bb.124:
	v_min_f32_e32 v37, 0, v36
	v_lshl_add_u64 v[38:39], v[70:71], 2, v[32:33]
	flat_store_dword v[38:39], v37
	s_mov_b64 s[0:1], 0
.LBB16_125:
	v_lshl_add_u64 v[34:35], v[34:35], 2, s[12:13]
	s_andn2_b64 vcc, exec, s[0:1]
	v_mov_b32_e32 v37, 0
	s_cbranch_vccnz .LBB16_127
; %bb.126:
	v_lshl_add_u64 v[38:39], v[34:35], 0, v[76:77]
	flat_load_dword v37, v[38:39]
	v_lshl_add_u64 v[38:39], v[32:33], 0, v[76:77]
	s_waitcnt vmcnt(0) lgkmcnt(0)
	v_mul_f32_e32 v37, s15, v37
	v_min_f32_e32 v36, v37, v36
	flat_store_dword v[38:39], v36
	v_lshl_add_u64 v[36:37], v[64:65], 2, v[34:35]
	flat_load_dword v36, v[36:37]
	s_waitcnt vmcnt(0) lgkmcnt(0)
	v_mul_f32_e32 v37, s15, v36
.LBB16_127:
	v_pk_add_f32 v[24:25], v[24:25], v[4:5]
	s_mov_b64 s[0:1], -1
	v_min3_f32 v36, v24, v25, v96
	v_pk_add_f32 v[24:25], v[28:29], v[4:5]
	s_mov_b64 vcc, s[4:5]
	v_min3_f32 v28, v24, v25, v97
	v_pk_add_f32 v[24:25], v[26:27], v[6:7]
	s_nop 0
	v_min_f32_e32 v26, v24, v25
	v_pk_add_f32 v[24:25], v[30:31], v[6:7]
	v_min3_f32 v26, v37, v26, v36
	v_min3_f32 v27, v24, v25, v28
	v_lshl_add_u64 v[24:25], v[64:65], 2, v[32:33]
	flat_store_dword v[24:25], v26
	v_max_f32_e32 v24, v27, v27
	s_cbranch_vccz .LBB16_129
; %bb.128:
	v_min_f32_e32 v25, 0, v24
	v_lshl_add_u64 v[26:27], v[74:75], 2, v[32:33]
	flat_store_dword v[26:27], v25
	s_mov_b64 s[0:1], 0
.LBB16_129:
	s_andn2_b64 vcc, exec, s[0:1]
	v_mov_b32_e32 v25, 0
	s_cbranch_vccnz .LBB16_131
; %bb.130:
	v_lshl_add_u64 v[26:27], v[34:35], 0, v[80:81]
	flat_load_dword v25, v[26:27]
	v_lshl_add_u64 v[26:27], v[32:33], 0, v[80:81]
	s_waitcnt vmcnt(0) lgkmcnt(0)
	v_mul_f32_e32 v25, s15, v25
	v_min_f32_e32 v24, v25, v24
	flat_store_dword v[26:27], v24
	v_lshl_add_u64 v[24:25], v[66:67], 2, v[34:35]
	flat_load_dword v24, v[24:25]
	s_waitcnt vmcnt(0) lgkmcnt(0)
	v_mul_f32_e32 v25, s15, v24
.LBB16_131:
	v_pk_add_f32 v[20:21], v[20:21], v[4:5]
	v_pk_add_f32 v[16:17], v[16:17], v[4:5]
	v_min3_f32 v20, v20, v21, v94
	v_min3_f32 v21, v16, v17, v95
	v_pk_add_f32 v[16:17], v[22:23], v[6:7]
	s_mov_b64 s[0:1], -1
	v_min_f32_e32 v22, v16, v17
	v_pk_add_f32 v[16:17], v[18:19], v[6:7]
	v_min3_f32 v19, v25, v22, v20
	v_min3_f32 v18, v16, v17, v21
	v_lshl_add_u64 v[16:17], v[66:67], 2, v[32:33]
	flat_store_dword v[16:17], v19
	v_max_f32_e32 v16, v18, v18
	s_mov_b64 vcc, s[4:5]
	s_cbranch_vccz .LBB16_133
; %bb.132:
	v_min_f32_e32 v17, 0, v16
	v_lshl_add_u64 v[18:19], v[78:79], 2, v[32:33]
	flat_store_dword v[18:19], v17
	s_mov_b64 s[0:1], 0
.LBB16_133:
	s_andn2_b64 vcc, exec, s[0:1]
	v_mov_b32_e32 v17, 0
	s_cbranch_vccnz .LBB16_135
; %bb.134:
	v_lshl_add_u64 v[18:19], v[34:35], 0, v[82:83]
	flat_load_dword v17, v[18:19]
	v_lshl_add_u64 v[18:19], v[32:33], 0, v[82:83]
	s_waitcnt vmcnt(0) lgkmcnt(0)
	v_mul_f32_e32 v17, s15, v17
	v_min_f32_e32 v16, v17, v16
	flat_store_dword v[18:19], v16
	v_lshl_add_u64 v[16:17], v[68:69], 2, v[34:35]
	flat_load_dword v16, v[16:17]
	s_waitcnt vmcnt(0) lgkmcnt(0)
	v_mul_f32_e32 v17, s15, v16
.LBB16_135:
	v_pk_add_f32 v[12:13], v[12:13], v[4:5]
	v_pk_add_f32 v[8:9], v[8:9], v[4:5]
	v_min3_f32 v12, v12, v13, v92
	v_min3_f32 v13, v8, v9, v93
	v_pk_add_f32 v[8:9], v[14:15], v[6:7]
	s_mov_b64 s[0:1], -1
	v_min_f32_e32 v14, v8, v9
	v_pk_add_f32 v[8:9], v[10:11], v[6:7]
	v_min3_f32 v11, v17, v14, v12
	v_min3_f32 v10, v8, v9, v13
	v_lshl_add_u64 v[8:9], v[68:69], 2, v[32:33]
	flat_store_dword v[8:9], v11
	v_max_f32_e32 v8, v10, v10
	s_mov_b64 vcc, s[4:5]
	s_cbranch_vccz .LBB16_137
; %bb.136:
	v_min_f32_e32 v9, 0, v8
	v_lshl_add_u64 v[10:11], v[84:85], 2, v[32:33]
	flat_store_dword v[10:11], v9
	s_mov_b64 s[0:1], 0
.LBB16_137:
	s_andn2_b64 vcc, exec, s[0:1]
	v_mov_b32_e32 v9, 0
	s_cbranch_vccnz .LBB16_139
; %bb.138:
	v_lshl_add_u64 v[10:11], v[34:35], 0, v[86:87]
	flat_load_dword v9, v[10:11]
	v_lshl_add_u64 v[10:11], v[32:33], 0, v[86:87]
	s_waitcnt vmcnt(0) lgkmcnt(0)
	v_mul_f32_e32 v9, s15, v9
	v_min_f32_e32 v8, v9, v8
	flat_store_dword v[10:11], v8
	v_lshl_add_u64 v[8:9], v[72:73], 2, v[34:35]
	flat_load_dword v8, v[8:9]
	s_waitcnt vmcnt(0) lgkmcnt(0)
	v_mul_f32_e32 v9, s15, v8
.LBB16_139:
	v_pk_add_f32 v[2:3], v[2:3], v[6:7]
	v_pk_add_f32 v[0:1], v[0:1], v[4:5]
	v_min_f32_e32 v2, v2, v3
	v_min3_f32 v0, v0, v1, v98
	v_min3_f32 v2, v9, v2, v0
	v_lshl_add_u64 v[0:1], v[72:73], 2, v[32:33]
	flat_store_dword v[0:1], v2
	s_endpgm
	.section	.rodata,"a",@progbits
	.p2align	6, 0x0
	.amdhsa_kernel _ZN12_GLOBAL__N_120geam_min_plus_kernelIf15HIP_vector_typeIfLj2EEfLi8ELi32ELi64ELi256ELi4ELi64ELi4ELi64ELi4ELc78ELc84ELb1ELb0ELb1EfKPKfKPfEEviiiT16_PT17_ilSA_ilS8_SA_ilPT18_ili26rocblas_geam_ex_operation_
		.amdhsa_group_segment_fixed_size 10240
		.amdhsa_private_segment_fixed_size 0
		.amdhsa_kernarg_size 128
		.amdhsa_user_sgpr_count 2
		.amdhsa_user_sgpr_dispatch_ptr 0
		.amdhsa_user_sgpr_queue_ptr 0
		.amdhsa_user_sgpr_kernarg_segment_ptr 1
		.amdhsa_user_sgpr_dispatch_id 0
		.amdhsa_user_sgpr_kernarg_preload_length 0
		.amdhsa_user_sgpr_kernarg_preload_offset 0
		.amdhsa_user_sgpr_private_segment_size 0
		.amdhsa_uses_dynamic_stack 0
		.amdhsa_enable_private_segment 0
		.amdhsa_system_sgpr_workgroup_id_x 1
		.amdhsa_system_sgpr_workgroup_id_y 0
		.amdhsa_system_sgpr_workgroup_id_z 1
		.amdhsa_system_sgpr_workgroup_info 0
		.amdhsa_system_vgpr_workitem_id 1
		.amdhsa_next_free_vgpr 177
		.amdhsa_next_free_sgpr 24
		.amdhsa_accum_offset 180
		.amdhsa_reserve_vcc 1
		.amdhsa_float_round_mode_32 0
		.amdhsa_float_round_mode_16_64 0
		.amdhsa_float_denorm_mode_32 3
		.amdhsa_float_denorm_mode_16_64 3
		.amdhsa_dx10_clamp 1
		.amdhsa_ieee_mode 1
		.amdhsa_fp16_overflow 0
		.amdhsa_tg_split 0
		.amdhsa_exception_fp_ieee_invalid_op 0
		.amdhsa_exception_fp_denorm_src 0
		.amdhsa_exception_fp_ieee_div_zero 0
		.amdhsa_exception_fp_ieee_overflow 0
		.amdhsa_exception_fp_ieee_underflow 0
		.amdhsa_exception_fp_ieee_inexact 0
		.amdhsa_exception_int_div_zero 0
	.end_amdhsa_kernel
	.section	.text._ZN12_GLOBAL__N_120geam_min_plus_kernelIf15HIP_vector_typeIfLj2EEfLi8ELi32ELi64ELi256ELi4ELi64ELi4ELi64ELi4ELc78ELc84ELb1ELb0ELb1EfKPKfKPfEEviiiT16_PT17_ilSA_ilS8_SA_ilPT18_ili26rocblas_geam_ex_operation_,"axG",@progbits,_ZN12_GLOBAL__N_120geam_min_plus_kernelIf15HIP_vector_typeIfLj2EEfLi8ELi32ELi64ELi256ELi4ELi64ELi4ELi64ELi4ELc78ELc84ELb1ELb0ELb1EfKPKfKPfEEviiiT16_PT17_ilSA_ilS8_SA_ilPT18_ili26rocblas_geam_ex_operation_,comdat
.Lfunc_end16:
	.size	_ZN12_GLOBAL__N_120geam_min_plus_kernelIf15HIP_vector_typeIfLj2EEfLi8ELi32ELi64ELi256ELi4ELi64ELi4ELi64ELi4ELc78ELc84ELb1ELb0ELb1EfKPKfKPfEEviiiT16_PT17_ilSA_ilS8_SA_ilPT18_ili26rocblas_geam_ex_operation_, .Lfunc_end16-_ZN12_GLOBAL__N_120geam_min_plus_kernelIf15HIP_vector_typeIfLj2EEfLi8ELi32ELi64ELi256ELi4ELi64ELi4ELi64ELi4ELc78ELc84ELb1ELb0ELb1EfKPKfKPfEEviiiT16_PT17_ilSA_ilS8_SA_ilPT18_ili26rocblas_geam_ex_operation_
                                        ; -- End function
	.set _ZN12_GLOBAL__N_120geam_min_plus_kernelIf15HIP_vector_typeIfLj2EEfLi8ELi32ELi64ELi256ELi4ELi64ELi4ELi64ELi4ELc78ELc84ELb1ELb0ELb1EfKPKfKPfEEviiiT16_PT17_ilSA_ilS8_SA_ilPT18_ili26rocblas_geam_ex_operation_.num_vgpr, 177
	.set _ZN12_GLOBAL__N_120geam_min_plus_kernelIf15HIP_vector_typeIfLj2EEfLi8ELi32ELi64ELi256ELi4ELi64ELi4ELi64ELi4ELc78ELc84ELb1ELb0ELb1EfKPKfKPfEEviiiT16_PT17_ilSA_ilS8_SA_ilPT18_ili26rocblas_geam_ex_operation_.num_agpr, 0
	.set _ZN12_GLOBAL__N_120geam_min_plus_kernelIf15HIP_vector_typeIfLj2EEfLi8ELi32ELi64ELi256ELi4ELi64ELi4ELi64ELi4ELc78ELc84ELb1ELb0ELb1EfKPKfKPfEEviiiT16_PT17_ilSA_ilS8_SA_ilPT18_ili26rocblas_geam_ex_operation_.numbered_sgpr, 24
	.set _ZN12_GLOBAL__N_120geam_min_plus_kernelIf15HIP_vector_typeIfLj2EEfLi8ELi32ELi64ELi256ELi4ELi64ELi4ELi64ELi4ELc78ELc84ELb1ELb0ELb1EfKPKfKPfEEviiiT16_PT17_ilSA_ilS8_SA_ilPT18_ili26rocblas_geam_ex_operation_.num_named_barrier, 0
	.set _ZN12_GLOBAL__N_120geam_min_plus_kernelIf15HIP_vector_typeIfLj2EEfLi8ELi32ELi64ELi256ELi4ELi64ELi4ELi64ELi4ELc78ELc84ELb1ELb0ELb1EfKPKfKPfEEviiiT16_PT17_ilSA_ilS8_SA_ilPT18_ili26rocblas_geam_ex_operation_.private_seg_size, 0
	.set _ZN12_GLOBAL__N_120geam_min_plus_kernelIf15HIP_vector_typeIfLj2EEfLi8ELi32ELi64ELi256ELi4ELi64ELi4ELi64ELi4ELc78ELc84ELb1ELb0ELb1EfKPKfKPfEEviiiT16_PT17_ilSA_ilS8_SA_ilPT18_ili26rocblas_geam_ex_operation_.uses_vcc, 1
	.set _ZN12_GLOBAL__N_120geam_min_plus_kernelIf15HIP_vector_typeIfLj2EEfLi8ELi32ELi64ELi256ELi4ELi64ELi4ELi64ELi4ELc78ELc84ELb1ELb0ELb1EfKPKfKPfEEviiiT16_PT17_ilSA_ilS8_SA_ilPT18_ili26rocblas_geam_ex_operation_.uses_flat_scratch, 0
	.set _ZN12_GLOBAL__N_120geam_min_plus_kernelIf15HIP_vector_typeIfLj2EEfLi8ELi32ELi64ELi256ELi4ELi64ELi4ELi64ELi4ELc78ELc84ELb1ELb0ELb1EfKPKfKPfEEviiiT16_PT17_ilSA_ilS8_SA_ilPT18_ili26rocblas_geam_ex_operation_.has_dyn_sized_stack, 0
	.set _ZN12_GLOBAL__N_120geam_min_plus_kernelIf15HIP_vector_typeIfLj2EEfLi8ELi32ELi64ELi256ELi4ELi64ELi4ELi64ELi4ELc78ELc84ELb1ELb0ELb1EfKPKfKPfEEviiiT16_PT17_ilSA_ilS8_SA_ilPT18_ili26rocblas_geam_ex_operation_.has_recursion, 0
	.set _ZN12_GLOBAL__N_120geam_min_plus_kernelIf15HIP_vector_typeIfLj2EEfLi8ELi32ELi64ELi256ELi4ELi64ELi4ELi64ELi4ELc78ELc84ELb1ELb0ELb1EfKPKfKPfEEviiiT16_PT17_ilSA_ilS8_SA_ilPT18_ili26rocblas_geam_ex_operation_.has_indirect_call, 0
	.section	.AMDGPU.csdata,"",@progbits
; Kernel info:
; codeLenInByte = 15700
; TotalNumSgprs: 30
; NumVgprs: 177
; NumAgprs: 0
; TotalNumVgprs: 177
; ScratchSize: 0
; MemoryBound: 0
; FloatMode: 240
; IeeeMode: 1
; LDSByteSize: 10240 bytes/workgroup (compile time only)
; SGPRBlocks: 3
; VGPRBlocks: 22
; NumSGPRsForWavesPerEU: 30
; NumVGPRsForWavesPerEU: 177
; AccumOffset: 180
; Occupancy: 2
; WaveLimiterHint : 1
; COMPUTE_PGM_RSRC2:SCRATCH_EN: 0
; COMPUTE_PGM_RSRC2:USER_SGPR: 2
; COMPUTE_PGM_RSRC2:TRAP_HANDLER: 0
; COMPUTE_PGM_RSRC2:TGID_X_EN: 1
; COMPUTE_PGM_RSRC2:TGID_Y_EN: 0
; COMPUTE_PGM_RSRC2:TGID_Z_EN: 1
; COMPUTE_PGM_RSRC2:TIDIG_COMP_CNT: 1
; COMPUTE_PGM_RSRC3_GFX90A:ACCUM_OFFSET: 44
; COMPUTE_PGM_RSRC3_GFX90A:TG_SPLIT: 0
	.section	.text._ZN12_GLOBAL__N_120geam_min_plus_kernelIf15HIP_vector_typeIfLj2EEfLi8ELi32ELi64ELi256ELi4ELi64ELi4ELi64ELi4ELc78ELc84ELb0ELb0ELb1EfKPKfKPfEEviiiT16_PT17_ilSA_ilS8_SA_ilPT18_ili26rocblas_geam_ex_operation_,"axG",@progbits,_ZN12_GLOBAL__N_120geam_min_plus_kernelIf15HIP_vector_typeIfLj2EEfLi8ELi32ELi64ELi256ELi4ELi64ELi4ELi64ELi4ELc78ELc84ELb0ELb0ELb1EfKPKfKPfEEviiiT16_PT17_ilSA_ilS8_SA_ilPT18_ili26rocblas_geam_ex_operation_,comdat
	.globl	_ZN12_GLOBAL__N_120geam_min_plus_kernelIf15HIP_vector_typeIfLj2EEfLi8ELi32ELi64ELi256ELi4ELi64ELi4ELi64ELi4ELc78ELc84ELb0ELb0ELb1EfKPKfKPfEEviiiT16_PT17_ilSA_ilS8_SA_ilPT18_ili26rocblas_geam_ex_operation_ ; -- Begin function _ZN12_GLOBAL__N_120geam_min_plus_kernelIf15HIP_vector_typeIfLj2EEfLi8ELi32ELi64ELi256ELi4ELi64ELi4ELi64ELi4ELc78ELc84ELb0ELb0ELb1EfKPKfKPfEEviiiT16_PT17_ilSA_ilS8_SA_ilPT18_ili26rocblas_geam_ex_operation_
	.p2align	8
	.type	_ZN12_GLOBAL__N_120geam_min_plus_kernelIf15HIP_vector_typeIfLj2EEfLi8ELi32ELi64ELi256ELi4ELi64ELi4ELi64ELi4ELc78ELc84ELb0ELb0ELb1EfKPKfKPfEEviiiT16_PT17_ilSA_ilS8_SA_ilPT18_ili26rocblas_geam_ex_operation_,@function
_ZN12_GLOBAL__N_120geam_min_plus_kernelIf15HIP_vector_typeIfLj2EEfLi8ELi32ELi64ELi256ELi4ELi64ELi4ELi64ELi4ELc78ELc84ELb0ELb0ELb1EfKPKfKPfEEviiiT16_PT17_ilSA_ilS8_SA_ilPT18_ili26rocblas_geam_ex_operation_: ; @_ZN12_GLOBAL__N_120geam_min_plus_kernelIf15HIP_vector_typeIfLj2EEfLi8ELi32ELi64ELi256ELi4ELi64ELi4ELi64ELi4ELc78ELc84ELb0ELb0ELb1EfKPKfKPfEEviiiT16_PT17_ilSA_ilS8_SA_ilPT18_ili26rocblas_geam_ex_operation_
; %bb.0:
	s_load_dwordx2 s[18:19], s[0:1], 0x8
	s_load_dwordx4 s[8:11], s[0:1], 0x20
	s_mov_b32 s12, s3
	s_mov_b32 s13, 0
	s_waitcnt lgkmcnt(0)
	v_cmp_eq_f32_e64 s[6:7], s19, 0
	s_and_b64 s[4:5], exec, s[6:7]
	s_mov_b64 vcc, s[4:5]
	s_cbranch_vccnz .LBB17_3
; %bb.1:
	s_load_dwordx2 s[14:15], s[0:1], 0x10
	s_lshl_b64 s[16:17], s[12:13], 3
	s_waitcnt lgkmcnt(0)
	s_add_u32 s14, s14, s16
	s_addc_u32 s15, s15, s17
	s_load_dwordx2 s[14:15], s[14:15], 0x0
	s_lshl_b64 s[8:9], s[8:9], 2
	s_waitcnt lgkmcnt(0)
	s_add_u32 s20, s14, s8
	s_addc_u32 s21, s15, s9
	s_andn2_b64 vcc, exec, s[6:7]
	s_cbranch_vccnz .LBB17_4
.LBB17_2:
	s_mov_b32 s7, 0
	s_mov_b32 s6, s12
	s_mov_b64 s[16:17], 0
	s_mov_b64 s[22:23], 0
	s_cbranch_execz .LBB17_5
	s_branch .LBB17_6
.LBB17_3:
	s_mov_b64 s[20:21], 0
	s_andn2_b64 vcc, exec, s[6:7]
	s_cbranch_vccz .LBB17_2
.LBB17_4:
	s_mov_b64 s[6:7], s[12:13]
	s_mov_b64 s[16:17], 0
	;; [unrolled: 1-line block ×3, first 2 shown]
.LBB17_5:
	s_lshl_b64 s[12:13], s[12:13], 3
	s_add_u32 s10, s10, s12
	s_load_dwordx2 s[8:9], s[0:1], 0x38
	s_addc_u32 s11, s11, s13
	s_load_dwordx2 s[10:11], s[10:11], 0x0
	s_waitcnt lgkmcnt(0)
	s_lshl_b64 s[8:9], s[8:9], 2
	s_add_u32 s22, s10, s8
	s_addc_u32 s23, s11, s9
.LBB17_6:
	s_load_dword s26, s[0:1], 0x40
	s_load_dwordx4 s[12:15], s[0:1], 0x58
	v_cmp_neq_f32_e64 s[24:25], s19, 0
	s_waitcnt lgkmcnt(0)
	v_cmp_eq_f32_e64 s[8:9], s26, 0
	s_and_b64 s[8:9], exec, s[8:9]
	s_mov_b64 vcc, s[8:9]
	s_cbranch_vccnz .LBB17_8
; %bb.7:
	s_load_dwordx2 s[10:11], s[0:1], 0x48
	s_lshl_b64 s[16:17], s[6:7], 3
	s_waitcnt lgkmcnt(0)
	s_add_u32 s10, s10, s16
	s_addc_u32 s11, s11, s17
	s_load_dwordx2 s[10:11], s[10:11], 0x0
	s_lshl_b64 s[12:13], s[12:13], 2
	s_waitcnt lgkmcnt(0)
	s_add_u32 s16, s10, s12
	s_addc_u32 s17, s11, s13
.LBB17_8:
	s_load_dword s12, s[0:1], 0x18
	s_load_dword s3, s[0:1], 0x0
	s_lshl_b64 s[6:7], s[6:7], 3
	v_and_b32_e32 v82, 0x3ff, v0
	v_bfe_u32 v83, v0, 10, 10
	s_waitcnt lgkmcnt(0)
	s_ashr_i32 s13, s12, 31
	s_add_u32 s10, s14, s6
	s_addc_u32 s11, s15, s7
	s_add_i32 s3, s3, -1
	s_ashr_i32 s6, s3, 31
	s_lshr_b32 s6, s6, 26
	s_add_i32 s3, s3, s6
	s_ashr_i32 s3, s3, 6
	s_add_i32 s6, s3, 1
	v_cvt_f32_u32_e32 v1, s6
	s_not_b32 s3, s3
	v_lshl_add_u32 v2, v83, 3, v82
	v_and_b32_e32 v45, 63, v2
	v_rcp_iflag_f32_e32 v0, v1
	v_cndmask_b32_e64 v1, 0, 1, s[24:25]
	v_mov_b32_e32 v3, 0
	v_lshrrev_b32_e32 v44, 6, v2
	v_mul_f32_e32 v0, 0x4f7ffffe, v0
	v_cvt_u32_f32_e32 v0, v0
	v_mov_b32_e32 v5, 0
	v_readfirstlane_b32 s7, v0
	s_mul_i32 s3, s3, s7
	s_mul_hi_u32 s3, s7, s3
	s_add_i32 s7, s7, s3
	s_mul_hi_u32 s3, s2, s7
	s_mul_i32 s7, s3, s6
	s_sub_i32 s7, s2, s7
	s_add_i32 s14, s3, 1
	s_sub_i32 s15, s7, s6
	s_cmp_ge_u32 s7, s6
	s_cselect_b32 s3, s14, s3
	s_cselect_b32 s7, s15, s7
	s_add_i32 s14, s3, 1
	s_cmp_ge_u32 s7, s6
	s_cselect_b32 s15, s14, s3
	s_mul_i32 s3, s15, s6
	s_sub_i32 s6, s2, s3
	s_lshl_b32 s27, s6, 6
	v_or_b32_e32 v10, s27, v45
	v_cmp_ne_u32_e64 s[6:7], 1, v1
	s_andn2_b64 vcc, exec, s[24:25]
	v_ashrrev_i32_e32 v11, 31, v10
	s_cbranch_vccnz .LBB17_10
; %bb.9:
	v_mad_i64_i32 v[0:1], s[24:25], s12, v44, 0
	v_lshl_add_u64 v[0:1], v[0:1], 2, s[20:21]
	v_lshl_add_u64 v[0:1], v[10:11], 2, v[0:1]
	flat_load_dword v0, v[0:1]
	s_waitcnt vmcnt(0) lgkmcnt(0)
	v_mul_f32_e32 v5, s19, v0
.LBB17_10:
	s_load_dword s14, s[0:1], 0x30
	s_lshl_b32 s28, s15, 8
	v_or_b32_e32 v8, s28, v45
	s_and_b64 vcc, exec, s[6:7]
	v_ashrrev_i32_e32 v9, 31, v8
	s_waitcnt lgkmcnt(0)
	v_mad_i64_i32 v[0:1], s[24:25], v44, s14, 0
	v_lshl_add_u64 v[0:1], v[0:1], 2, s[22:23]
	v_mov_b32_e32 v4, 0
	s_cbranch_vccnz .LBB17_12
; %bb.11:
	v_lshl_add_u64 v[2:3], v[8:9], 2, v[0:1]
	flat_load_dword v4, v[2:3]
	flat_load_dword v6, v[2:3] offset:256
	s_waitcnt vmcnt(0) lgkmcnt(0)
	v_mul_f32_e32 v4, s19, v4
	v_mul_f32_e32 v3, s19, v6
.LBB17_12:
	s_ashr_i32 s15, s14, 31
	v_mov_b32_e32 v7, 0
	s_mov_b64 vcc, s[4:5]
	s_cbranch_vccz .LBB17_14
; %bb.13:
	s_mov_b32 s24, 0
	v_mov_b32_e32 v6, s24
	s_cbranch_execz .LBB17_15
	s_branch .LBB17_16
.LBB17_14:
                                        ; implicit-def: $vgpr6
.LBB17_15:
	v_lshl_add_u64 v[0:1], v[8:9], 2, v[0:1]
	flat_load_dword v2, v[0:1] offset:512
	flat_load_dword v7, v[0:1] offset:768
	s_waitcnt vmcnt(0) lgkmcnt(0)
	v_mul_f32_e32 v6, s19, v2
	v_mul_f32_e32 v7, s19, v7
.LBB17_16:
	v_add_u32_e32 v0, 4, v44
	v_mov_b32_e32 v1, 0
	s_and_b64 vcc, exec, s[6:7]
	v_mov_b32_e32 v47, 0
	s_cbranch_vccnz .LBB17_18
; %bb.17:
	v_mad_i64_i32 v[12:13], s[24:25], s12, v0, 0
	v_lshl_add_u64 v[12:13], v[12:13], 2, s[20:21]
	v_lshl_add_u64 v[10:11], v[10:11], 2, v[12:13]
	flat_load_dword v2, v[10:11]
	s_waitcnt vmcnt(0) lgkmcnt(0)
	v_mul_f32_e32 v47, s19, v2
.LBB17_18:
	v_mad_i64_i32 v[10:11], s[24:25], v0, s14, 0
	v_lshl_add_u64 v[10:11], v[10:11], 2, s[22:23]
	s_and_b64 vcc, exec, s[6:7]
	v_mov_b32_e32 v0, 0
	s_cbranch_vccnz .LBB17_20
; %bb.19:
	v_lshl_add_u64 v[0:1], v[8:9], 2, v[10:11]
	flat_load_dword v2, v[0:1]
	flat_load_dword v12, v[0:1] offset:256
	s_waitcnt vmcnt(0) lgkmcnt(0)
	v_mul_f32_e32 v0, s19, v2
	v_mul_f32_e32 v1, s19, v12
.LBB17_20:
	v_mov_b32_e32 v46, 0
	s_mov_b64 vcc, s[4:5]
	s_cbranch_vccz .LBB17_22
; %bb.21:
	s_mov_b32 s24, 0
	v_mov_b32_e32 v2, s24
	s_cbranch_execz .LBB17_23
	s_branch .LBB17_24
.LBB17_22:
                                        ; implicit-def: $vgpr2
.LBB17_23:
	v_lshl_add_u64 v[8:9], v[8:9], 2, v[10:11]
	flat_load_dword v2, v[8:9] offset:512
	flat_load_dword v10, v[8:9] offset:768
	s_waitcnt vmcnt(0) lgkmcnt(0)
	v_mul_f32_e32 v2, s19, v2
	v_mul_f32_e32 v46, s19, v10
.LBB17_24:
	v_lshlrev_b32_e32 v8, 4, v45
	v_lshl_add_u32 v86, v44, 2, v8
	v_lshlrev_b32_e32 v85, 4, v82
	s_load_dwordx2 s[10:11], s[10:11], 0x0
	ds_write_b32 v86, v5 offset:8192
	ds_write2st64_b32 v86, v4, v3 offset1:4
	ds_write2st64_b32 v86, v6, v7 offset0:8 offset1:12
	s_waitcnt lgkmcnt(0)
	s_barrier
	v_lshlrev_b32_e32 v84, 4, v83
	ds_read_b128 v[32:35], v85 offset:8192
	ds_read_b128 v[28:31], v85 offset:8320
	;; [unrolled: 1-line block ×8, first 2 shown]
	ds_read_b128 v[48:51], v84
	ds_read_b128 v[52:55], v84 offset:512
	ds_read_b128 v[56:59], v84 offset:1024
	ds_read_b128 v[40:43], v84 offset:1536
	ds_read_b128 v[36:39], v84 offset:2048
	s_waitcnt lgkmcnt(4)
	v_pk_add_f32 v[60:61], v[32:33], v[48:49]
	s_mov_b32 s24, 0x7f7fffff
	v_min3_f32 v3, v60, v61, s24
	v_pk_add_f32 v[60:61], v[28:29], v[48:49]
	s_cmp_lt_i32 s18, 9
	v_min3_f32 v64, v60, v61, s24
	v_pk_add_f32 v[60:61], v[24:25], v[48:49]
	s_nop 0
	v_min3_f32 v65, v60, v61, s24
	v_pk_add_f32 v[60:61], v[20:21], v[48:49]
	s_nop 0
	;; [unrolled: 3-line block ×4, first 2 shown]
	v_min3_f32 v68, v60, v61, s24
	v_pk_add_f32 v[60:61], v[8:9], v[48:49]
	v_pk_add_f32 v[48:49], v[4:5], v[48:49]
	v_min3_f32 v69, v60, v61, s24
	v_min3_f32 v70, v48, v49, s24
	s_waitcnt lgkmcnt(3)
	v_pk_add_f32 v[48:49], v[32:33], v[52:53]
	ds_read_b128 v[60:63], v84 offset:2560
	v_min3_f32 v71, v48, v49, s24
	v_pk_add_f32 v[48:49], v[28:29], v[52:53]
	s_nop 0
	v_min3_f32 v72, v48, v49, s24
	v_pk_add_f32 v[48:49], v[24:25], v[52:53]
	s_nop 0
	;; [unrolled: 3-line block ×7, first 2 shown]
	v_min3_f32 v52, v48, v49, s24
	s_waitcnt lgkmcnt(3)
	v_pk_add_f32 v[48:49], v[32:33], v[56:57]
	s_nop 0
	v_min3_f32 v53, v48, v49, s24
	v_pk_add_f32 v[48:49], v[28:29], v[56:57]
	s_nop 0
	v_min3_f32 v78, v48, v49, s24
	v_pk_add_f32 v[48:49], v[24:25], v[56:57]
	s_nop 0
	v_min3_f32 v79, v48, v49, s24
	v_pk_add_f32 v[48:49], v[20:21], v[56:57]
	s_nop 0
	v_min3_f32 v80, v48, v49, s24
	v_pk_add_f32 v[48:49], v[16:17], v[56:57]
	s_nop 0
	v_min3_f32 v81, v48, v49, s24
	v_pk_add_f32 v[48:49], v[12:13], v[56:57]
	s_nop 0
	v_min3_f32 v89, v48, v49, s24
	v_pk_add_f32 v[48:49], v[8:9], v[56:57]
	s_nop 0
	v_min3_f32 v90, v48, v49, s24
	v_pk_add_f32 v[48:49], v[4:5], v[56:57]
	s_nop 0
	v_min3_f32 v56, v48, v49, s24
	s_waitcnt lgkmcnt(2)
	v_pk_add_f32 v[48:49], v[32:33], v[40:41]
	s_nop 0
	v_min3_f32 v57, v48, v49, s24
	v_pk_add_f32 v[48:49], v[28:29], v[40:41]
	s_nop 0
	v_min3_f32 v91, v48, v49, s24
	;; [unrolled: 3-line block ×6, first 2 shown]
	v_pk_add_f32 v[48:49], v[8:9], v[40:41]
	v_pk_add_f32 v[40:41], v[4:5], v[40:41]
	v_min3_f32 v96, v48, v49, s24
	v_min3_f32 v97, v40, v41, s24
	s_waitcnt lgkmcnt(1)
	v_pk_add_f32 v[40:41], v[32:33], v[36:37]
	s_nop 0
	v_min3_f32 v98, v40, v41, s24
	v_pk_add_f32 v[40:41], v[28:29], v[36:37]
	s_nop 0
	v_min3_f32 v99, v40, v41, s24
	v_pk_add_f32 v[40:41], v[24:25], v[36:37]
	s_nop 0
	v_min3_f32 v100, v40, v41, s24
	v_pk_add_f32 v[40:41], v[20:21], v[36:37]
	s_nop 0
	v_min3_f32 v101, v40, v41, s24
	v_pk_add_f32 v[40:41], v[16:17], v[36:37]
	s_nop 0
	v_min3_f32 v102, v40, v41, s24
	v_pk_add_f32 v[40:41], v[12:13], v[36:37]
	s_nop 0
	v_min3_f32 v103, v40, v41, s24
	v_pk_add_f32 v[40:41], v[8:9], v[36:37]
	v_pk_add_f32 v[36:37], v[4:5], v[36:37]
	v_min3_f32 v104, v40, v41, s24
	v_min3_f32 v105, v36, v37, s24
	v_pk_add_f32 v[36:37], v[34:35], v[50:51]
	s_nop 0
	v_min3_f32 v88, v36, v37, v3
	v_pk_add_f32 v[36:37], v[30:31], v[50:51]
	s_nop 0
	;; [unrolled: 3-line block ×7, first 2 shown]
	v_min3_f32 v87, v36, v37, v69
	v_pk_add_f32 v[36:37], v[6:7], v[50:51]
	ds_read_b128 v[48:51], v84 offset:3072
	v_min3_f32 v148, v36, v37, v70
	v_pk_add_f32 v[36:37], v[34:35], v[54:55]
	s_waitcnt lgkmcnt(1)
	v_pk_add_f32 v[40:41], v[32:33], v[60:61]
	v_min3_f32 v147, v36, v37, v71
	v_pk_add_f32 v[36:37], v[30:31], v[54:55]
	v_min3_f32 v3, v40, v41, s24
	v_min3_f32 v146, v36, v37, v72
	v_pk_add_f32 v[36:37], v[26:27], v[54:55]
	v_pk_add_f32 v[40:41], v[28:29], v[60:61]
	v_min3_f32 v145, v36, v37, v73
	v_pk_add_f32 v[36:37], v[22:23], v[54:55]
	v_min3_f32 v64, v40, v41, s24
	v_min3_f32 v144, v36, v37, v74
	v_pk_add_f32 v[36:37], v[18:19], v[54:55]
	v_pk_add_f32 v[40:41], v[16:17], v[60:61]
	v_min3_f32 v143, v36, v37, v75
	v_pk_add_f32 v[36:37], v[14:15], v[54:55]
	s_nop 0
	v_min3_f32 v142, v36, v37, v76
	v_pk_add_f32 v[36:37], v[10:11], v[54:55]
	s_nop 0
	;; [unrolled: 3-line block ×4, first 2 shown]
	v_min3_f32 v66, v36, v37, s24
	v_pk_add_f32 v[36:37], v[6:7], v[54:55]
	v_min3_f32 v54, v40, v41, s24
	v_min3_f32 v140, v36, v37, v52
	v_pk_add_f32 v[36:37], v[34:35], v[58:59]
	v_pk_add_f32 v[40:41], v[12:13], v[60:61]
	v_min3_f32 v139, v36, v37, v53
	v_pk_add_f32 v[36:37], v[30:31], v[58:59]
	s_waitcnt lgkmcnt(0)
	v_pk_add_f32 v[52:53], v[32:33], v[48:49]
	v_min3_f32 v138, v36, v37, v78
	v_pk_add_f32 v[36:37], v[26:27], v[58:59]
	v_min3_f32 v55, v40, v41, s24
	v_min3_f32 v137, v36, v37, v79
	v_pk_add_f32 v[36:37], v[22:23], v[58:59]
	s_nop 0
	v_min3_f32 v136, v36, v37, v80
	v_pk_add_f32 v[36:37], v[18:19], v[58:59]
	s_nop 0
	;; [unrolled: 3-line block ×7, first 2 shown]
	v_min3_f32 v132, v36, v37, v56
	v_pk_add_f32 v[36:37], v[34:35], v[42:43]
	v_min3_f32 v56, v52, v53, s24
	v_min3_f32 v131, v36, v37, v57
	v_pk_add_f32 v[36:37], v[30:31], v[42:43]
	v_pk_add_f32 v[52:53], v[28:29], v[48:49]
	v_min3_f32 v130, v36, v37, v91
	v_pk_add_f32 v[36:37], v[26:27], v[42:43]
	v_min3_f32 v52, v52, v53, s24
	v_min3_f32 v129, v36, v37, v92
	v_pk_add_f32 v[36:37], v[22:23], v[42:43]
	s_nop 0
	v_min3_f32 v128, v36, v37, v93
	v_pk_add_f32 v[36:37], v[18:19], v[42:43]
	s_nop 0
	;; [unrolled: 3-line block ×4, first 2 shown]
	v_min3_f32 v124, v36, v37, v96
	v_pk_add_f32 v[36:37], v[6:7], v[42:43]
	ds_read_b128 v[40:43], v84 offset:3584
	v_min3_f32 v126, v36, v37, v97
	v_pk_add_f32 v[36:37], v[34:35], v[38:39]
	ds_write_b32 v86, v47 offset:9216
	ds_write2st64_b32 v86, v0, v1 offset0:16 offset1:20
	ds_write2st64_b32 v86, v2, v46 offset0:24 offset1:28
	v_min3_f32 v125, v36, v37, v98
	v_pk_add_f32 v[36:37], v[30:31], v[38:39]
	s_waitcnt lgkmcnt(3)
	v_pk_add_f32 v[32:33], v[32:33], v[40:41]
	v_min3_f32 v122, v36, v37, v99
	v_pk_add_f32 v[36:37], v[26:27], v[38:39]
	v_pk_add_f32 v[28:29], v[28:29], v[40:41]
	v_min3_f32 v121, v36, v37, v100
	v_pk_add_f32 v[36:37], v[22:23], v[38:39]
	v_min3_f32 v28, v28, v29, s24
	v_min3_f32 v120, v36, v37, v101
	v_pk_add_f32 v[36:37], v[18:19], v[38:39]
	s_waitcnt lgkmcnt(0)
	v_min3_f32 v119, v36, v37, v102
	v_pk_add_f32 v[36:37], v[14:15], v[38:39]
	s_barrier
	v_min3_f32 v118, v36, v37, v103
	v_pk_add_f32 v[36:37], v[10:11], v[38:39]
	s_nop 0
	v_min3_f32 v117, v36, v37, v104
	v_pk_add_f32 v[36:37], v[24:25], v[48:49]
	v_pk_add_f32 v[24:25], v[24:25], v[40:41]
	v_min3_f32 v53, v36, v37, s24
	v_pk_add_f32 v[36:37], v[20:21], v[48:49]
	v_pk_add_f32 v[20:21], v[20:21], v[40:41]
	;; [unrolled: 3-line block ×3, first 2 shown]
	v_min3_f32 v116, v36, v37, v105
	v_pk_add_f32 v[36:37], v[34:35], v[62:63]
	v_min3_f32 v58, v38, v39, s24
	v_min3_f32 v115, v36, v37, v3
	v_pk_add_f32 v[36:37], v[30:31], v[62:63]
	v_pk_add_f32 v[38:39], v[12:13], v[48:49]
	v_min3_f32 v114, v36, v37, v64
	v_pk_add_f32 v[36:37], v[26:27], v[62:63]
	v_min3_f32 v38, v38, v39, s24
	v_min3_f32 v113, v36, v37, v65
	v_pk_add_f32 v[36:37], v[22:23], v[62:63]
	v_min3_f32 v24, v24, v25, s24
	;; [unrolled: 3-line block ×3, first 2 shown]
	v_min3_f32 v111, v36, v37, v54
	v_pk_add_f32 v[36:37], v[14:15], v[62:63]
	v_pk_add_f32 v[20:21], v[34:35], v[42:43]
	v_min3_f32 v110, v36, v37, v55
	v_pk_add_f32 v[36:37], v[10:11], v[62:63]
	v_pk_add_f32 v[16:17], v[16:17], v[40:41]
	;; [unrolled: 3-line block ×4, first 2 shown]
	v_min3_f32 v39, v36, v37, s24
	v_pk_add_f32 v[36:37], v[6:7], v[62:63]
	v_min3_f32 v16, v16, v17, s24
	v_min3_f32 v108, v36, v37, v60
	v_pk_add_f32 v[36:37], v[34:35], v[50:51]
	v_pk_add_f32 v[12:13], v[12:13], v[40:41]
	v_min3_f32 v107, v36, v37, v56
	v_pk_add_f32 v[36:37], v[30:31], v[50:51]
	v_min3_f32 v12, v12, v13, s24
	v_min3_f32 v106, v36, v37, v52
	v_pk_add_f32 v[36:37], v[26:27], v[50:51]
	s_nop 0
	v_min3_f32 v105, v36, v37, v53
	v_pk_add_f32 v[36:37], v[22:23], v[50:51]
	s_nop 0
	;; [unrolled: 3-line block ×5, first 2 shown]
	v_min3_f32 v101, v36, v37, v3
	v_min3_f32 v3, v32, v33, s24
	;; [unrolled: 1-line block ×5, first 2 shown]
	v_pk_add_f32 v[4:5], v[30:31], v[42:43]
	v_pk_add_f32 v[36:37], v[6:7], v[50:51]
	v_min3_f32 v98, v4, v5, v28
	v_pk_add_f32 v[4:5], v[26:27], v[42:43]
	v_min3_f32 v99, v36, v37, v39
	v_min3_f32 v97, v4, v5, v24
	v_pk_add_f32 v[4:5], v[22:23], v[42:43]
	s_nop 0
	v_min3_f32 v96, v4, v5, v25
	v_pk_add_f32 v[4:5], v[18:19], v[42:43]
	s_nop 0
	;; [unrolled: 3-line block ×5, first 2 shown]
	v_min3_f32 v92, v4, v5, v8
	s_cbranch_scc1 .LBB17_47
; %bb.25:
	v_mov_b32_e32 v0, 0x2400
	v_lshl_add_u32 v155, v82, 4, v0
	v_mov_b32_e32 v0, 0x1000
	v_add_u32_e32 v2, 12, v44
	v_lshl_add_u32 v156, v83, 4, v0
	v_mad_i64_i32 v[0:1], s[24:25], v2, s12, 0
	v_lshlrev_b64 v[68:69], 2, v[0:1]
	v_lshl_or_b32 v0, s2, 6, v45
	s_lshl_b32 s2, s3, 6
	v_subrev_u32_e32 v0, s2, v0
	v_ashrrev_i32_e32 v1, 31, v0
	v_lshl_add_u64 v[70:71], v[0:1], 2, s[20:21]
	v_mad_i64_i32 v[0:1], s[20:21], v2, s14, 0
	v_lshlrev_b64 v[72:73], 2, v[0:1]
	v_add_u32_e32 v0, s28, v45
	v_ashrrev_i32_e32 v1, 31, v0
	v_add_u32_e32 v2, 8, v44
	s_lshl_b64 s[2:3], s[12:13], 5
	v_lshl_add_u64 v[74:75], v[0:1], 2, s[22:23]
	v_mad_i64_i32 v[0:1], s[12:13], v2, s12, 0
	v_lshlrev_b64 v[76:77], 2, v[0:1]
	v_mad_i64_i32 v[0:1], s[12:13], v2, s14, 0
	v_or_b32_e32 v89, 0x2000, v86
	v_add_u32_e32 v90, 0x2000, v85
	v_add_u32_e32 v91, 0x2400, v86
	v_or_b32_e32 v154, 0x1000, v86
	s_add_i32 s18, s18, -8
	s_lshl_b64 s[20:21], s[14:15], 5
	v_lshlrev_b64 v[78:79], 2, v[0:1]
	s_mov_b32 s14, 0
	s_mov_b32 s15, 0
	s_branch .LBB17_27
.LBB17_26:                              ;   in Loop: Header=BB17_27 Depth=1
	v_pk_add_f32 v[80:81], v[32:33], v[64:65]
	s_add_i32 s15, s15, 8
	v_min3_f32 v88, v80, v81, v88
	v_pk_add_f32 v[80:81], v[28:29], v[64:65]
	v_lshl_add_u64 v[70:71], v[70:71], 0, s[2:3]
	v_min3_f32 v153, v80, v81, v153
	v_pk_add_f32 v[80:81], v[24:25], v[64:65]
	s_cmp_ge_i32 s15, s18
	v_min3_f32 v152, v80, v81, v152
	v_pk_add_f32 v[80:81], v[20:21], v[64:65]
	v_lshl_add_u64 v[74:75], v[74:75], 0, s[20:21]
	v_min3_f32 v151, v80, v81, v151
	v_pk_add_f32 v[80:81], v[16:17], v[64:65]
	s_nop 0
	v_min3_f32 v150, v80, v81, v150
	v_pk_add_f32 v[80:81], v[12:13], v[64:65]
	s_nop 0
	v_min3_f32 v149, v80, v81, v149
	v_pk_add_f32 v[80:81], v[8:9], v[64:65]
	v_pk_add_f32 v[64:65], v[4:5], v[64:65]
	v_min3_f32 v80, v80, v81, v87
	v_min3_f32 v81, v64, v65, v148
	v_pk_add_f32 v[64:65], v[32:33], v[60:61]
	s_nop 0
	v_min3_f32 v87, v64, v65, v147
	v_pk_add_f32 v[64:65], v[28:29], v[60:61]
	s_nop 0
	v_min3_f32 v146, v64, v65, v146
	v_pk_add_f32 v[64:65], v[24:25], v[60:61]
	s_nop 0
	v_min3_f32 v145, v64, v65, v145
	v_pk_add_f32 v[64:65], v[20:21], v[60:61]
	s_nop 0
	v_min3_f32 v144, v64, v65, v144
	v_pk_add_f32 v[64:65], v[16:17], v[60:61]
	s_nop 0
	v_min3_f32 v143, v64, v65, v143
	v_pk_add_f32 v[64:65], v[12:13], v[60:61]
	s_nop 0
	v_min3_f32 v142, v64, v65, v142
	v_pk_add_f32 v[64:65], v[8:9], v[60:61]
	v_pk_add_f32 v[60:61], v[4:5], v[60:61]
	v_min3_f32 v64, v64, v65, v141
	v_min3_f32 v65, v60, v61, v140
	v_pk_add_f32 v[60:61], v[32:33], v[56:57]
	s_nop 0
	v_min3_f32 v139, v60, v61, v139
	v_pk_add_f32 v[60:61], v[28:29], v[56:57]
	s_nop 0
	v_min3_f32 v138, v60, v61, v138
	v_pk_add_f32 v[60:61], v[24:25], v[56:57]
	s_nop 0
	v_min3_f32 v137, v60, v61, v137
	v_pk_add_f32 v[60:61], v[20:21], v[56:57]
	s_nop 0
	;; [unrolled: 22-line block ×5, first 2 shown]
	v_min3_f32 v112, v48, v49, v112
	v_pk_add_f32 v[48:49], v[16:17], v[44:45]
	s_nop 0
	v_min3_f32 v111, v48, v49, v111
	v_pk_add_f32 v[48:49], v[12:13], v[44:45]
	s_nop 0
	v_min3_f32 v110, v48, v49, v110
	v_pk_add_f32 v[48:49], v[8:9], v[44:45]
	v_pk_add_f32 v[44:45], v[4:5], v[44:45]
	v_min3_f32 v48, v48, v49, v109
	v_min3_f32 v49, v44, v45, v108
	v_pk_add_f32 v[44:45], v[32:33], v[40:41]
	v_pk_add_f32 v[32:33], v[32:33], v[36:37]
	v_min3_f32 v107, v44, v45, v107
	v_pk_add_f32 v[44:45], v[28:29], v[40:41]
	v_pk_add_f32 v[28:29], v[28:29], v[36:37]
	;; [unrolled: 3-line block ×7, first 2 shown]
	v_pk_add_f32 v[8:9], v[8:9], v[36:37]
	v_pk_add_f32 v[4:5], v[4:5], v[36:37]
	v_min3_f32 v8, v8, v9, v93
	v_min3_f32 v9, v4, v5, v92
	v_pk_add_f32 v[4:5], v[34:35], v[66:67]
	v_min3_f32 v12, v12, v13, v94
	v_min3_f32 v88, v4, v5, v88
	;; [unrolled: 3-line block ×9, first 2 shown]
	v_pk_add_f32 v[4:5], v[34:35], v[62:63]
	s_nop 0
	v_min3_f32 v87, v4, v5, v87
	v_pk_add_f32 v[4:5], v[30:31], v[62:63]
	s_nop 0
	v_min3_f32 v99, v4, v5, v146
	;; [unrolled: 3-line block ×56, first 2 shown]
	ds_read_b128 v[4:7], v90
	ds_read_b128 v[8:11], v90 offset:128
	ds_read_b128 v[12:15], v90 offset:256
	;; [unrolled: 1-line block ×7, first 2 shown]
	ds_read_b128 v[40:43], v84
	ds_read_b128 v[44:47], v84 offset:512
	ds_read_b128 v[48:51], v84 offset:1024
	;; [unrolled: 1-line block ×7, first 2 shown]
	s_waitcnt lgkmcnt(7)
	v_pk_add_f32 v[80:81], v[4:5], v[40:41]
	ds_write_b32 v91, v157
	ds_write2st64_b32 v154, v0, v1 offset1:4
	ds_write2st64_b32 v154, v2, v3 offset0:8 offset1:12
	v_min3_f32 v88, v80, v81, v88
	v_pk_add_f32 v[80:81], v[8:9], v[40:41]
	s_waitcnt lgkmcnt(0)
	v_min3_f32 v92, v80, v81, v92
	v_pk_add_f32 v[80:81], v[12:13], v[40:41]
	s_barrier
	v_min3_f32 v93, v80, v81, v93
	v_pk_add_f32 v[80:81], v[16:17], v[40:41]
	s_nop 0
	v_min3_f32 v94, v80, v81, v94
	v_pk_add_f32 v[80:81], v[20:21], v[40:41]
	s_nop 0
	;; [unrolled: 3-line block ×3, first 2 shown]
	v_min3_f32 v96, v80, v81, v96
	v_pk_add_f32 v[80:81], v[28:29], v[40:41]
	v_pk_add_f32 v[40:41], v[32:33], v[40:41]
	v_min3_f32 v80, v80, v81, v97
	v_min3_f32 v81, v40, v41, v98
	v_pk_add_f32 v[40:41], v[4:5], v[44:45]
	s_nop 0
	v_min3_f32 v97, v40, v41, v87
	v_pk_add_f32 v[40:41], v[8:9], v[44:45]
	s_nop 0
	;; [unrolled: 3-line block ×40, first 2 shown]
	v_min3_f32 v60, v40, v41, v143
	v_pk_add_f32 v[40:41], v[4:5], v[64:65]
	v_pk_add_f32 v[4:5], v[4:5], v[36:37]
	v_min3_f32 v61, v40, v41, v107
	v_pk_add_f32 v[40:41], v[8:9], v[64:65]
	s_nop 0
	v_min3_f32 v106, v40, v41, v106
	v_pk_add_f32 v[40:41], v[12:13], v[64:65]
	s_nop 0
	;; [unrolled: 3-line block ×7, first 2 shown]
	v_min3_f32 v40, v40, v41, v145
	v_min3_f32 v41, v4, v5, v146
	v_pk_add_f32 v[4:5], v[8:9], v[36:37]
	s_nop 0
	v_min3_f32 v8, v4, v5, v147
	v_pk_add_f32 v[4:5], v[12:13], v[36:37]
	s_nop 0
	;; [unrolled: 3-line block ×71, first 2 shown]
	v_min3_f32 v92, v4, v5, v20
	s_cbranch_scc1 .LBB17_47
.LBB17_27:                              ; =>This Inner Loop Header: Depth=1
	s_and_b64 vcc, exec, s[6:7]
	s_cbranch_vccnz .LBB17_46
; %bb.28:                               ;   in Loop: Header=BB17_27 Depth=1
	v_lshl_add_u64 v[0:1], v[70:71], 0, v[76:77]
	flat_load_dword v0, v[0:1]
	s_waitcnt vmcnt(0) lgkmcnt(0)
	v_mul_f32_e32 v80, s19, v0
	s_mov_b64 s[12:13], -1
	s_mov_b64 vcc, s[4:5]
                                        ; implicit-def: $vgpr0_vgpr1_vgpr2_vgpr3
	s_cbranch_vccz .LBB17_30
.LBB17_29:                              ;   in Loop: Header=BB17_27 Depth=1
	v_mov_b32_e32 v0, s14
	s_mov_b64 s[12:13], 0
.LBB17_30:                              ;   in Loop: Header=BB17_27 Depth=1
	v_mov_b32_e32 v1, 0
	s_andn2_b64 vcc, exec, s[12:13]
	v_lshl_add_u64 v[4:5], v[74:75], 0, v[78:79]
	s_cbranch_vccz .LBB17_40
; %bb.31:                               ;   in Loop: Header=BB17_27 Depth=1
	s_mov_b64 s[12:13], -1
	s_mov_b64 vcc, s[4:5]
                                        ; implicit-def: $vgpr2
	s_cbranch_vccnz .LBB17_41
.LBB17_32:                              ;   in Loop: Header=BB17_27 Depth=1
	v_mov_b32_e32 v157, 0
	s_andn2_b64 vcc, exec, s[12:13]
	v_mov_b32_e32 v3, 0
	s_cbranch_vccnz .LBB17_34
.LBB17_33:                              ;   in Loop: Header=BB17_27 Depth=1
	flat_load_dword v2, v[4:5] offset:512
	flat_load_dword v3, v[4:5] offset:768
	s_waitcnt vmcnt(0) lgkmcnt(0)
	v_mul_f32_e32 v2, s19, v2
	v_mul_f32_e32 v3, s19, v3
.LBB17_34:                              ;   in Loop: Header=BB17_27 Depth=1
	ds_read_b128 v[32:35], v155
	ds_read_b128 v[28:31], v155 offset:128
	ds_read_b128 v[24:27], v155 offset:256
	;; [unrolled: 1-line block ×7, first 2 shown]
	ds_read_b128 v[64:67], v156
	ds_read_b128 v[60:63], v156 offset:512
	ds_read_b128 v[56:59], v156 offset:1024
	;; [unrolled: 1-line block ×7, first 2 shown]
	s_and_b64 vcc, exec, s[6:7]
	ds_write_b32 v89, v80
	ds_write2st64_b32 v86, v0, v1 offset1:4
	ds_write2st64_b32 v86, v2, v3 offset0:8 offset1:12
	s_waitcnt lgkmcnt(0)
	s_barrier
	s_cbranch_vccnz .LBB17_36
; %bb.35:                               ;   in Loop: Header=BB17_27 Depth=1
	v_lshl_add_u64 v[0:1], v[70:71], 0, v[68:69]
	flat_load_dword v0, v[0:1]
	s_waitcnt vmcnt(0) lgkmcnt(0)
	v_mul_f32_e32 v157, s19, v0
.LBB17_36:                              ;   in Loop: Header=BB17_27 Depth=1
	s_mov_b64 s[12:13], -1
	s_mov_b64 vcc, s[4:5]
                                        ; implicit-def: $vgpr0_vgpr1_vgpr2_vgpr3
	s_cbranch_vccnz .LBB17_42
; %bb.37:                               ;   in Loop: Header=BB17_27 Depth=1
	v_mov_b32_e32 v1, 0
	s_andn2_b64 vcc, exec, s[12:13]
	v_lshl_add_u64 v[80:81], v[74:75], 0, v[72:73]
	s_cbranch_vccz .LBB17_43
.LBB17_38:                              ;   in Loop: Header=BB17_27 Depth=1
	s_mov_b64 s[12:13], -1
	s_mov_b64 vcc, s[4:5]
                                        ; implicit-def: $vgpr2
	s_cbranch_vccnz .LBB17_44
.LBB17_39:                              ;   in Loop: Header=BB17_27 Depth=1
	s_andn2_b64 vcc, exec, s[12:13]
	v_mov_b32_e32 v3, 0
	s_cbranch_vccnz .LBB17_26
	s_branch .LBB17_45
.LBB17_40:                              ;   in Loop: Header=BB17_27 Depth=1
	flat_load_dword v0, v[4:5]
	flat_load_dword v1, v[4:5] offset:256
	s_waitcnt vmcnt(0) lgkmcnt(0)
	v_mul_f32_e32 v0, s19, v0
	v_mul_f32_e32 v1, s19, v1
	s_mov_b64 s[12:13], -1
	s_mov_b64 vcc, s[4:5]
                                        ; implicit-def: $vgpr2
	s_cbranch_vccz .LBB17_32
.LBB17_41:                              ;   in Loop: Header=BB17_27 Depth=1
	v_mov_b32_e32 v2, s14
	v_mov_b32_e32 v157, 0
	;; [unrolled: 1-line block ×3, first 2 shown]
	s_cbranch_execz .LBB17_33
	s_branch .LBB17_34
.LBB17_42:                              ;   in Loop: Header=BB17_27 Depth=1
	v_mov_b32_e32 v0, s14
	v_mov_b32_e32 v1, 0
	v_lshl_add_u64 v[80:81], v[74:75], 0, v[72:73]
	s_cbranch_execnz .LBB17_38
.LBB17_43:                              ;   in Loop: Header=BB17_27 Depth=1
	flat_load_dword v0, v[80:81]
	flat_load_dword v1, v[80:81] offset:256
	s_waitcnt vmcnt(0) lgkmcnt(0)
	v_mul_f32_e32 v0, s19, v0
	v_mul_f32_e32 v1, s19, v1
	s_mov_b64 s[12:13], -1
	s_mov_b64 vcc, s[4:5]
                                        ; implicit-def: $vgpr2
	s_cbranch_vccz .LBB17_39
.LBB17_44:                              ;   in Loop: Header=BB17_27 Depth=1
	v_mov_b32_e32 v2, s14
	v_mov_b32_e32 v3, 0
	s_cbranch_execnz .LBB17_26
.LBB17_45:                              ;   in Loop: Header=BB17_27 Depth=1
	flat_load_dword v2, v[80:81] offset:512
	flat_load_dword v3, v[80:81] offset:768
	s_waitcnt vmcnt(0) lgkmcnt(0)
	v_mul_f32_e32 v2, s19, v2
	v_mul_f32_e32 v3, s19, v3
	s_branch .LBB17_26
.LBB17_46:                              ;   in Loop: Header=BB17_27 Depth=1
	v_mov_b32_e32 v80, 0
	s_mov_b64 s[12:13], -1
	s_mov_b64 vcc, s[4:5]
                                        ; implicit-def: $vgpr0_vgpr1_vgpr2_vgpr3
	s_cbranch_vccnz .LBB17_29
	s_branch .LBB17_30
.LBB17_47:
	s_load_dwordx2 s[2:3], s[0:1], 0x70
	s_load_dword s4, s[0:1], 0x50
	s_load_dword s5, s[0:1], 0x68
	ds_read_b128 v[32:35], v85 offset:9216
	ds_read_b128 v[24:27], v85 offset:9344
	;; [unrolled: 1-line block ×16, first 2 shown]
	s_waitcnt lgkmcnt(0)
	s_lshl_b64 s[0:1], s[2:3], 2
	s_add_u32 s0, s10, s0
	v_pk_add_f32 v[64:65], v[32:33], v[60:61]
	v_add_u32_e32 v154, s28, v83
	v_min3_f32 v66, v64, v65, v88
	v_pk_add_f32 v[64:65], v[34:35], v[62:63]
	s_addc_u32 s1, s11, s1
	v_min3_f32 v68, v64, v65, v66
	v_add_u32_e32 v70, s27, v82
	v_mad_i64_i32 v[66:67], s[2:3], v154, s5, 0
	v_add_u32_e32 v64, 8, v70
	v_lshl_add_u64 v[88:89], v[66:67], 2, s[0:1]
	v_mad_i64_i32 v[66:67], s[2:3], v154, s4, 0
	v_ashrrev_i32_e32 v71, 31, v70
	v_ashrrev_i32_e32 v65, 31, v64
	s_mov_b64 s[2:3], -1
	v_max_f32_e32 v68, v68, v68
	s_mov_b64 vcc, s[8:9]
	s_cbranch_vccz .LBB17_49
; %bb.48:
	v_min_f32_e32 v69, 0, v68
	v_lshl_add_u64 v[72:73], v[70:71], 2, v[88:89]
	flat_store_dword v[72:73], v69
	s_mov_b64 s[2:3], 0
.LBB17_49:
	v_lshl_add_u64 v[90:91], v[66:67], 2, s[16:17]
	v_mov_b32_e32 v69, 0
	s_andn2_b64 vcc, exec, s[2:3]
	v_lshlrev_b64 v[76:77], 2, v[70:71]
	s_cbranch_vccnz .LBB17_51
; %bb.50:
	v_lshl_add_u64 v[66:67], v[90:91], 0, v[76:77]
	flat_load_dword v69, v[66:67]
	v_lshl_add_u64 v[66:67], v[88:89], 0, v[76:77]
	s_waitcnt vmcnt(0) lgkmcnt(0)
	v_mul_f32_e32 v69, s26, v69
	v_min_f32_e32 v68, v69, v68
	flat_store_dword v[66:67], v68
	v_lshl_add_u64 v[66:67], v[64:65], 2, v[90:91]
	flat_load_dword v66, v[66:67]
	s_waitcnt vmcnt(0) lgkmcnt(0)
	v_mul_f32_e32 v69, s26, v66
.LBB17_51:
	v_pk_add_f32 v[66:67], v[24:25], v[60:61]
	v_add_u32_e32 v74, 16, v70
	v_min3_f32 v68, v66, v67, v153
	v_pk_add_f32 v[66:67], v[28:29], v[60:61]
	v_ashrrev_i32_e32 v75, 31, v74
	v_min3_f32 v72, v66, v67, v152
	v_pk_add_f32 v[66:67], v[26:27], v[62:63]
	s_mov_b64 s[2:3], -1
	v_min_f32_e32 v73, v66, v67
	v_pk_add_f32 v[66:67], v[30:31], v[62:63]
	v_min3_f32 v73, v69, v73, v68
	v_min3_f32 v72, v66, v67, v72
	v_add_u32_e32 v66, 24, v70
	v_lshl_add_u64 v[68:69], v[64:65], 2, v[88:89]
	v_ashrrev_i32_e32 v67, 31, v66
	flat_store_dword v[68:69], v73
	v_max_f32_e32 v68, v72, v72
	s_mov_b64 vcc, s[8:9]
	s_cbranch_vccz .LBB17_53
; %bb.52:
	v_min_f32_e32 v69, 0, v68
	v_lshl_add_u64 v[72:73], v[74:75], 2, v[88:89]
	flat_store_dword v[72:73], v69
	s_mov_b64 s[2:3], 0
.LBB17_53:
	v_mov_b32_e32 v72, 0
	s_andn2_b64 vcc, exec, s[2:3]
	v_lshlrev_b64 v[80:81], 2, v[74:75]
	s_cbranch_vccnz .LBB17_55
; %bb.54:
	v_lshl_add_u64 v[72:73], v[90:91], 0, v[80:81]
	flat_load_dword v69, v[72:73]
	v_lshl_add_u64 v[72:73], v[88:89], 0, v[80:81]
	s_waitcnt vmcnt(0) lgkmcnt(0)
	v_mul_f32_e32 v69, s26, v69
	v_min_f32_e32 v68, v69, v68
	flat_store_dword v[72:73], v68
	v_lshl_add_u64 v[68:69], v[66:67], 2, v[90:91]
	flat_load_dword v68, v[68:69]
	s_waitcnt vmcnt(0) lgkmcnt(0)
	v_mul_f32_e32 v72, s26, v68
.LBB17_55:
	v_pk_add_f32 v[68:69], v[20:21], v[60:61]
	s_mov_b64 s[2:3], -1
	v_min3_f32 v73, v68, v69, v151
	v_pk_add_f32 v[68:69], v[16:17], v[60:61]
	s_mov_b64 vcc, s[8:9]
	v_min3_f32 v78, v68, v69, v150
	v_pk_add_f32 v[68:69], v[22:23], v[62:63]
	s_nop 0
	v_min_f32_e32 v82, v68, v69
	v_pk_add_f32 v[68:69], v[18:19], v[62:63]
	v_min3_f32 v82, v72, v82, v73
	v_min3_f32 v83, v68, v69, v78
	v_add_u32_e32 v78, 32, v70
	v_add_u32_e32 v68, 40, v70
	v_lshl_add_u64 v[72:73], v[66:67], 2, v[88:89]
	v_ashrrev_i32_e32 v79, 31, v78
	v_ashrrev_i32_e32 v69, 31, v68
	flat_store_dword v[72:73], v82
	v_max_f32_e32 v72, v83, v83
	s_cbranch_vccz .LBB17_57
; %bb.56:
	v_min_f32_e32 v73, 0, v72
	v_lshl_add_u64 v[82:83], v[78:79], 2, v[88:89]
	flat_store_dword v[82:83], v73
	s_mov_b64 s[2:3], 0
.LBB17_57:
	v_mov_b32_e32 v86, 0
	s_andn2_b64 vcc, exec, s[2:3]
	v_lshlrev_b64 v[82:83], 2, v[78:79]
	s_cbranch_vccnz .LBB17_59
; %bb.58:
	v_lshl_add_u64 v[84:85], v[90:91], 0, v[82:83]
	flat_load_dword v73, v[84:85]
	v_lshl_add_u64 v[84:85], v[88:89], 0, v[82:83]
	s_waitcnt vmcnt(0) lgkmcnt(0)
	v_mul_f32_e32 v73, s26, v73
	v_min_f32_e32 v72, v73, v72
	flat_store_dword v[84:85], v72
	v_lshl_add_u64 v[72:73], v[68:69], 2, v[90:91]
	flat_load_dword v72, v[72:73]
	s_waitcnt vmcnt(0) lgkmcnt(0)
	v_mul_f32_e32 v86, s26, v72
.LBB17_59:
	v_pk_add_f32 v[72:73], v[12:13], v[60:61]
	s_mov_b64 s[2:3], -1
	v_min3_f32 v149, v72, v73, v149
	v_pk_add_f32 v[72:73], v[8:9], v[60:61]
	s_mov_b64 vcc, s[8:9]
	v_min3_f32 v84, v72, v73, v87
	v_pk_add_f32 v[72:73], v[14:15], v[62:63]
	s_nop 0
	v_min_f32_e32 v87, v72, v73
	v_pk_add_f32 v[72:73], v[10:11], v[62:63]
	v_min3_f32 v149, v86, v87, v149
	v_min3_f32 v150, v72, v73, v84
	v_add_u32_e32 v84, 48, v70
	v_add_u32_e32 v72, 56, v70
	v_lshl_add_u64 v[86:87], v[68:69], 2, v[88:89]
	v_ashrrev_i32_e32 v85, 31, v84
	v_ashrrev_i32_e32 v73, 31, v72
	flat_store_dword v[86:87], v149
	v_max_f32_e32 v149, v150, v150
	s_cbranch_vccz .LBB17_61
; %bb.60:
	v_min_f32_e32 v150, 0, v149
	v_lshl_add_u64 v[86:87], v[84:85], 2, v[88:89]
	flat_store_dword v[86:87], v150
	s_mov_b64 s[2:3], 0
.LBB17_61:
	v_mov_b32_e32 v150, 0
	s_andn2_b64 vcc, exec, s[2:3]
	v_lshlrev_b64 v[86:87], 2, v[84:85]
	s_cbranch_vccnz .LBB17_63
; %bb.62:
	v_lshl_add_u64 v[150:151], v[90:91], 0, v[86:87]
	flat_load_dword v152, v[150:151]
	v_lshl_add_u64 v[150:151], v[88:89], 0, v[86:87]
	v_lshl_add_u64 v[90:91], v[72:73], 2, v[90:91]
	s_waitcnt vmcnt(0) lgkmcnt(0)
	v_mul_f32_e32 v152, s26, v152
	v_min_f32_e32 v149, v152, v149
	flat_store_dword v[150:151], v149
	flat_load_dword v90, v[90:91]
	s_waitcnt vmcnt(0) lgkmcnt(0)
	v_mul_f32_e32 v150, s26, v90
.LBB17_63:
	v_pk_add_f32 v[60:61], v[0:1], v[60:61]
	s_mov_b64 vcc, s[8:9]
	v_min3_f32 v90, v60, v61, v148
	v_pk_add_f32 v[60:61], v[32:33], v[56:57]
	s_nop 0
	v_min3_f32 v91, v60, v61, v147
	v_pk_add_f32 v[60:61], v[2:3], v[62:63]
	s_nop 0
	v_min_f32_e32 v62, v60, v61
	v_pk_add_f32 v[60:61], v[34:35], v[58:59]
	v_min3_f32 v62, v150, v62, v90
	v_min3_f32 v91, v60, v61, v91
	v_lshl_add_u64 v[60:61], v[72:73], 2, v[88:89]
	flat_store_dword v[60:61], v62
	v_add_u32_e32 v62, 32, v154
	v_mad_i64_i32 v[60:61], s[2:3], v62, s5, 0
	v_mad_i64_i32 v[62:63], s[2:3], v62, s4, 0
	v_lshl_add_u64 v[60:61], v[60:61], 2, s[0:1]
	s_mov_b64 s[2:3], -1
	v_max_f32_e32 v88, v91, v91
	s_cbranch_vccz .LBB17_65
; %bb.64:
	v_min_f32_e32 v89, 0, v88
	v_lshl_add_u64 v[90:91], v[70:71], 2, v[60:61]
	flat_store_dword v[90:91], v89
	s_mov_b64 s[2:3], 0
.LBB17_65:
	v_lshl_add_u64 v[62:63], v[62:63], 2, s[16:17]
	s_andn2_b64 vcc, exec, s[2:3]
	v_mov_b32_e32 v89, 0
	s_cbranch_vccnz .LBB17_67
; %bb.66:
	v_lshl_add_u64 v[90:91], v[62:63], 0, v[76:77]
	flat_load_dword v89, v[90:91]
	v_lshl_add_u64 v[90:91], v[60:61], 0, v[76:77]
	s_waitcnt vmcnt(0) lgkmcnt(0)
	v_mul_f32_e32 v89, s26, v89
	v_min_f32_e32 v88, v89, v88
	flat_store_dword v[90:91], v88
	v_lshl_add_u64 v[88:89], v[64:65], 2, v[62:63]
	flat_load_dword v88, v[88:89]
	s_waitcnt vmcnt(0) lgkmcnt(0)
	v_mul_f32_e32 v89, s26, v88
.LBB17_67:
	v_pk_add_f32 v[90:91], v[24:25], v[56:57]
	s_mov_b64 s[2:3], -1
	v_min3_f32 v88, v90, v91, v146
	v_pk_add_f32 v[90:91], v[28:29], v[56:57]
	s_mov_b64 vcc, s[8:9]
	v_min3_f32 v145, v90, v91, v145
	v_pk_add_f32 v[90:91], v[26:27], v[58:59]
	s_nop 0
	v_min_f32_e32 v146, v90, v91
	v_pk_add_f32 v[90:91], v[30:31], v[58:59]
	s_nop 0
	v_min3_f32 v90, v90, v91, v145
	v_min3_f32 v91, v89, v146, v88
	v_lshl_add_u64 v[88:89], v[64:65], 2, v[60:61]
	flat_store_dword v[88:89], v91
	v_max_f32_e32 v88, v90, v90
	s_cbranch_vccz .LBB17_69
; %bb.68:
	v_min_f32_e32 v89, 0, v88
	v_lshl_add_u64 v[90:91], v[74:75], 2, v[60:61]
	flat_store_dword v[90:91], v89
	s_mov_b64 s[2:3], 0
.LBB17_69:
	s_andn2_b64 vcc, exec, s[2:3]
	v_mov_b32_e32 v89, 0
	s_cbranch_vccnz .LBB17_71
; %bb.70:
	v_lshl_add_u64 v[90:91], v[62:63], 0, v[80:81]
	flat_load_dword v89, v[90:91]
	v_lshl_add_u64 v[90:91], v[60:61], 0, v[80:81]
	s_waitcnt vmcnt(0) lgkmcnt(0)
	v_mul_f32_e32 v89, s26, v89
	v_min_f32_e32 v88, v89, v88
	flat_store_dword v[90:91], v88
	v_lshl_add_u64 v[88:89], v[66:67], 2, v[62:63]
	flat_load_dword v88, v[88:89]
	s_waitcnt vmcnt(0) lgkmcnt(0)
	v_mul_f32_e32 v89, s26, v88
.LBB17_71:
	v_pk_add_f32 v[90:91], v[20:21], v[56:57]
	s_mov_b64 s[2:3], -1
	v_min3_f32 v88, v90, v91, v144
	v_pk_add_f32 v[90:91], v[16:17], v[56:57]
	s_mov_b64 vcc, s[8:9]
	v_min3_f32 v143, v90, v91, v143
	v_pk_add_f32 v[90:91], v[22:23], v[58:59]
	s_nop 0
	v_min_f32_e32 v144, v90, v91
	v_pk_add_f32 v[90:91], v[18:19], v[58:59]
	s_nop 0
	v_min3_f32 v90, v90, v91, v143
	v_min3_f32 v91, v89, v144, v88
	v_lshl_add_u64 v[88:89], v[66:67], 2, v[60:61]
	flat_store_dword v[88:89], v91
	v_max_f32_e32 v88, v90, v90
	s_cbranch_vccz .LBB17_73
; %bb.72:
	v_min_f32_e32 v89, 0, v88
	v_lshl_add_u64 v[90:91], v[78:79], 2, v[60:61]
	flat_store_dword v[90:91], v89
	s_mov_b64 s[2:3], 0
.LBB17_73:
	;; [unrolled: 39-line block ×3, first 2 shown]
	s_andn2_b64 vcc, exec, s[2:3]
	v_mov_b32_e32 v89, 0
	s_cbranch_vccnz .LBB17_79
; %bb.78:
	v_lshl_add_u64 v[90:91], v[62:63], 0, v[86:87]
	flat_load_dword v89, v[90:91]
	v_lshl_add_u64 v[90:91], v[60:61], 0, v[86:87]
	v_lshl_add_u64 v[62:63], v[72:73], 2, v[62:63]
	s_waitcnt vmcnt(0) lgkmcnt(0)
	v_mul_f32_e32 v89, s26, v89
	v_min_f32_e32 v88, v89, v88
	flat_store_dword v[90:91], v88
	flat_load_dword v62, v[62:63]
	s_waitcnt vmcnt(0) lgkmcnt(0)
	v_mul_f32_e32 v89, s26, v62
.LBB17_79:
	v_pk_add_f32 v[56:57], v[0:1], v[56:57]
	s_mov_b64 vcc, s[8:9]
	v_min3_f32 v62, v56, v57, v140
	v_pk_add_f32 v[56:57], v[32:33], v[52:53]
	s_nop 0
	v_min3_f32 v63, v56, v57, v139
	v_pk_add_f32 v[56:57], v[2:3], v[58:59]
	s_nop 0
	v_min_f32_e32 v58, v56, v57
	v_pk_add_f32 v[56:57], v[34:35], v[54:55]
	v_min3_f32 v58, v89, v58, v62
	v_min3_f32 v63, v56, v57, v63
	v_lshl_add_u64 v[56:57], v[72:73], 2, v[60:61]
	flat_store_dword v[56:57], v58
	v_add_u32_e32 v58, 64, v154
	v_mad_i64_i32 v[56:57], s[2:3], v58, s5, 0
	v_mad_i64_i32 v[58:59], s[2:3], v58, s4, 0
	v_lshl_add_u64 v[56:57], v[56:57], 2, s[0:1]
	s_mov_b64 s[2:3], -1
	v_max_f32_e32 v60, v63, v63
	s_cbranch_vccz .LBB17_81
; %bb.80:
	v_min_f32_e32 v61, 0, v60
	v_lshl_add_u64 v[62:63], v[70:71], 2, v[56:57]
	flat_store_dword v[62:63], v61
	s_mov_b64 s[2:3], 0
.LBB17_81:
	v_lshl_add_u64 v[58:59], v[58:59], 2, s[16:17]
	s_andn2_b64 vcc, exec, s[2:3]
	v_mov_b32_e32 v61, 0
	s_cbranch_vccnz .LBB17_83
; %bb.82:
	v_lshl_add_u64 v[62:63], v[58:59], 0, v[76:77]
	flat_load_dword v61, v[62:63]
	v_lshl_add_u64 v[62:63], v[56:57], 0, v[76:77]
	s_waitcnt vmcnt(0) lgkmcnt(0)
	v_mul_f32_e32 v61, s26, v61
	v_min_f32_e32 v60, v61, v60
	flat_store_dword v[62:63], v60
	v_lshl_add_u64 v[60:61], v[64:65], 2, v[58:59]
	flat_load_dword v60, v[60:61]
	s_waitcnt vmcnt(0) lgkmcnt(0)
	v_mul_f32_e32 v61, s26, v60
.LBB17_83:
	v_pk_add_f32 v[62:63], v[24:25], v[52:53]
	s_mov_b64 s[2:3], -1
	v_min3_f32 v60, v62, v63, v138
	v_pk_add_f32 v[62:63], v[28:29], v[52:53]
	s_mov_b64 vcc, s[8:9]
	v_min3_f32 v88, v62, v63, v137
	v_pk_add_f32 v[62:63], v[26:27], v[54:55]
	s_nop 0
	v_min_f32_e32 v89, v62, v63
	v_pk_add_f32 v[62:63], v[30:31], v[54:55]
	s_nop 0
	v_min3_f32 v62, v62, v63, v88
	v_min3_f32 v63, v61, v89, v60
	v_lshl_add_u64 v[60:61], v[64:65], 2, v[56:57]
	flat_store_dword v[60:61], v63
	v_max_f32_e32 v60, v62, v62
	s_cbranch_vccz .LBB17_85
; %bb.84:
	v_min_f32_e32 v61, 0, v60
	v_lshl_add_u64 v[62:63], v[74:75], 2, v[56:57]
	flat_store_dword v[62:63], v61
	s_mov_b64 s[2:3], 0
.LBB17_85:
	s_andn2_b64 vcc, exec, s[2:3]
	v_mov_b32_e32 v61, 0
	s_cbranch_vccnz .LBB17_87
; %bb.86:
	v_lshl_add_u64 v[62:63], v[58:59], 0, v[80:81]
	flat_load_dword v61, v[62:63]
	v_lshl_add_u64 v[62:63], v[56:57], 0, v[80:81]
	s_waitcnt vmcnt(0) lgkmcnt(0)
	v_mul_f32_e32 v61, s26, v61
	v_min_f32_e32 v60, v61, v60
	flat_store_dword v[62:63], v60
	v_lshl_add_u64 v[60:61], v[66:67], 2, v[58:59]
	flat_load_dword v60, v[60:61]
	s_waitcnt vmcnt(0) lgkmcnt(0)
	v_mul_f32_e32 v61, s26, v60
.LBB17_87:
	v_pk_add_f32 v[62:63], v[20:21], v[52:53]
	s_mov_b64 s[2:3], -1
	v_min3_f32 v60, v62, v63, v136
	v_pk_add_f32 v[62:63], v[16:17], v[52:53]
	s_mov_b64 vcc, s[8:9]
	v_min3_f32 v88, v62, v63, v135
	v_pk_add_f32 v[62:63], v[22:23], v[54:55]
	s_nop 0
	v_min_f32_e32 v89, v62, v63
	v_pk_add_f32 v[62:63], v[18:19], v[54:55]
	s_nop 0
	v_min3_f32 v62, v62, v63, v88
	v_min3_f32 v63, v61, v89, v60
	v_lshl_add_u64 v[60:61], v[66:67], 2, v[56:57]
	flat_store_dword v[60:61], v63
	v_max_f32_e32 v60, v62, v62
	s_cbranch_vccz .LBB17_89
; %bb.88:
	v_min_f32_e32 v61, 0, v60
	v_lshl_add_u64 v[62:63], v[78:79], 2, v[56:57]
	flat_store_dword v[62:63], v61
	s_mov_b64 s[2:3], 0
.LBB17_89:
	;; [unrolled: 39-line block ×3, first 2 shown]
	s_andn2_b64 vcc, exec, s[2:3]
	v_mov_b32_e32 v61, 0
	s_cbranch_vccnz .LBB17_95
; %bb.94:
	v_lshl_add_u64 v[62:63], v[58:59], 0, v[86:87]
	flat_load_dword v61, v[62:63]
	v_lshl_add_u64 v[62:63], v[56:57], 0, v[86:87]
	v_lshl_add_u64 v[58:59], v[72:73], 2, v[58:59]
	s_waitcnt vmcnt(0) lgkmcnt(0)
	v_mul_f32_e32 v61, s26, v61
	v_min_f32_e32 v60, v61, v60
	flat_store_dword v[62:63], v60
	flat_load_dword v58, v[58:59]
	s_waitcnt vmcnt(0) lgkmcnt(0)
	v_mul_f32_e32 v61, s26, v58
.LBB17_95:
	v_pk_add_f32 v[52:53], v[0:1], v[52:53]
	s_mov_b64 vcc, s[8:9]
	v_min3_f32 v58, v52, v53, v132
	v_pk_add_f32 v[52:53], v[32:33], v[48:49]
	s_nop 0
	v_min3_f32 v59, v52, v53, v131
	v_pk_add_f32 v[52:53], v[2:3], v[54:55]
	s_nop 0
	v_min_f32_e32 v54, v52, v53
	v_pk_add_f32 v[52:53], v[34:35], v[50:51]
	v_min3_f32 v54, v61, v54, v58
	v_min3_f32 v59, v52, v53, v59
	v_lshl_add_u64 v[52:53], v[72:73], 2, v[56:57]
	flat_store_dword v[52:53], v54
	v_add_u32_e32 v54, 0x60, v154
	v_mad_i64_i32 v[52:53], s[2:3], v54, s5, 0
	v_mad_i64_i32 v[54:55], s[2:3], v54, s4, 0
	v_lshl_add_u64 v[52:53], v[52:53], 2, s[0:1]
	s_mov_b64 s[2:3], -1
	v_max_f32_e32 v56, v59, v59
	s_cbranch_vccz .LBB17_97
; %bb.96:
	v_min_f32_e32 v57, 0, v56
	v_lshl_add_u64 v[58:59], v[70:71], 2, v[52:53]
	flat_store_dword v[58:59], v57
	s_mov_b64 s[2:3], 0
.LBB17_97:
	v_lshl_add_u64 v[54:55], v[54:55], 2, s[16:17]
	s_andn2_b64 vcc, exec, s[2:3]
	v_mov_b32_e32 v57, 0
	s_cbranch_vccnz .LBB17_99
; %bb.98:
	v_lshl_add_u64 v[58:59], v[54:55], 0, v[76:77]
	flat_load_dword v57, v[58:59]
	v_lshl_add_u64 v[58:59], v[52:53], 0, v[76:77]
	s_waitcnt vmcnt(0) lgkmcnt(0)
	v_mul_f32_e32 v57, s26, v57
	v_min_f32_e32 v56, v57, v56
	flat_store_dword v[58:59], v56
	v_lshl_add_u64 v[56:57], v[64:65], 2, v[54:55]
	flat_load_dword v56, v[56:57]
	s_waitcnt vmcnt(0) lgkmcnt(0)
	v_mul_f32_e32 v57, s26, v56
.LBB17_99:
	v_pk_add_f32 v[58:59], v[24:25], v[48:49]
	s_mov_b64 s[2:3], -1
	v_min3_f32 v56, v58, v59, v130
	v_pk_add_f32 v[58:59], v[28:29], v[48:49]
	s_mov_b64 vcc, s[8:9]
	v_min3_f32 v60, v58, v59, v129
	v_pk_add_f32 v[58:59], v[26:27], v[50:51]
	s_nop 0
	v_min_f32_e32 v61, v58, v59
	v_pk_add_f32 v[58:59], v[30:31], v[50:51]
	s_nop 0
	v_min3_f32 v58, v58, v59, v60
	v_min3_f32 v59, v57, v61, v56
	v_lshl_add_u64 v[56:57], v[64:65], 2, v[52:53]
	flat_store_dword v[56:57], v59
	v_max_f32_e32 v56, v58, v58
	s_cbranch_vccz .LBB17_101
; %bb.100:
	v_min_f32_e32 v57, 0, v56
	v_lshl_add_u64 v[58:59], v[74:75], 2, v[52:53]
	flat_store_dword v[58:59], v57
	s_mov_b64 s[2:3], 0
.LBB17_101:
	s_andn2_b64 vcc, exec, s[2:3]
	v_mov_b32_e32 v57, 0
	s_cbranch_vccnz .LBB17_103
; %bb.102:
	v_lshl_add_u64 v[58:59], v[54:55], 0, v[80:81]
	flat_load_dword v57, v[58:59]
	v_lshl_add_u64 v[58:59], v[52:53], 0, v[80:81]
	s_waitcnt vmcnt(0) lgkmcnt(0)
	v_mul_f32_e32 v57, s26, v57
	v_min_f32_e32 v56, v57, v56
	flat_store_dword v[58:59], v56
	v_lshl_add_u64 v[56:57], v[66:67], 2, v[54:55]
	flat_load_dword v56, v[56:57]
	s_waitcnt vmcnt(0) lgkmcnt(0)
	v_mul_f32_e32 v57, s26, v56
.LBB17_103:
	v_pk_add_f32 v[58:59], v[20:21], v[48:49]
	s_mov_b64 s[2:3], -1
	v_min3_f32 v56, v58, v59, v128
	v_pk_add_f32 v[58:59], v[16:17], v[48:49]
	s_mov_b64 vcc, s[8:9]
	v_min3_f32 v60, v58, v59, v127
	v_pk_add_f32 v[58:59], v[22:23], v[50:51]
	s_nop 0
	v_min_f32_e32 v61, v58, v59
	v_pk_add_f32 v[58:59], v[18:19], v[50:51]
	s_nop 0
	v_min3_f32 v58, v58, v59, v60
	v_min3_f32 v59, v57, v61, v56
	v_lshl_add_u64 v[56:57], v[66:67], 2, v[52:53]
	flat_store_dword v[56:57], v59
	v_max_f32_e32 v56, v58, v58
	s_cbranch_vccz .LBB17_105
; %bb.104:
	v_min_f32_e32 v57, 0, v56
	v_lshl_add_u64 v[58:59], v[78:79], 2, v[52:53]
	flat_store_dword v[58:59], v57
	s_mov_b64 s[2:3], 0
.LBB17_105:
	;; [unrolled: 39-line block ×3, first 2 shown]
	s_andn2_b64 vcc, exec, s[2:3]
	v_mov_b32_e32 v57, 0
	s_cbranch_vccnz .LBB17_111
; %bb.110:
	v_lshl_add_u64 v[58:59], v[54:55], 0, v[86:87]
	flat_load_dword v57, v[58:59]
	v_lshl_add_u64 v[58:59], v[52:53], 0, v[86:87]
	v_lshl_add_u64 v[54:55], v[72:73], 2, v[54:55]
	s_waitcnt vmcnt(0) lgkmcnt(0)
	v_mul_f32_e32 v57, s26, v57
	v_min_f32_e32 v56, v57, v56
	flat_store_dword v[58:59], v56
	flat_load_dword v54, v[54:55]
	s_waitcnt vmcnt(0) lgkmcnt(0)
	v_mul_f32_e32 v57, s26, v54
.LBB17_111:
	v_pk_add_f32 v[48:49], v[0:1], v[48:49]
	s_mov_b64 vcc, s[8:9]
	v_min3_f32 v54, v48, v49, v126
	v_pk_add_f32 v[48:49], v[32:33], v[44:45]
	s_nop 0
	v_min3_f32 v55, v48, v49, v125
	v_pk_add_f32 v[48:49], v[2:3], v[50:51]
	s_nop 0
	v_min_f32_e32 v50, v48, v49
	v_pk_add_f32 v[48:49], v[34:35], v[46:47]
	v_min3_f32 v50, v57, v50, v54
	v_min3_f32 v55, v48, v49, v55
	v_lshl_add_u64 v[48:49], v[72:73], 2, v[52:53]
	flat_store_dword v[48:49], v50
	v_add_u32_e32 v50, 0x80, v154
	v_mad_i64_i32 v[48:49], s[2:3], v50, s5, 0
	v_mad_i64_i32 v[50:51], s[2:3], v50, s4, 0
	v_lshl_add_u64 v[48:49], v[48:49], 2, s[0:1]
	s_mov_b64 s[2:3], -1
	v_max_f32_e32 v52, v55, v55
	s_cbranch_vccz .LBB17_113
; %bb.112:
	v_min_f32_e32 v53, 0, v52
	v_lshl_add_u64 v[54:55], v[70:71], 2, v[48:49]
	flat_store_dword v[54:55], v53
	s_mov_b64 s[2:3], 0
.LBB17_113:
	v_lshl_add_u64 v[50:51], v[50:51], 2, s[16:17]
	s_andn2_b64 vcc, exec, s[2:3]
	v_mov_b32_e32 v53, 0
	s_cbranch_vccnz .LBB17_115
; %bb.114:
	v_lshl_add_u64 v[54:55], v[50:51], 0, v[76:77]
	flat_load_dword v53, v[54:55]
	v_lshl_add_u64 v[54:55], v[48:49], 0, v[76:77]
	s_waitcnt vmcnt(0) lgkmcnt(0)
	v_mul_f32_e32 v53, s26, v53
	v_min_f32_e32 v52, v53, v52
	flat_store_dword v[54:55], v52
	v_lshl_add_u64 v[52:53], v[64:65], 2, v[50:51]
	flat_load_dword v52, v[52:53]
	s_waitcnt vmcnt(0) lgkmcnt(0)
	v_mul_f32_e32 v53, s26, v52
.LBB17_115:
	v_pk_add_f32 v[54:55], v[24:25], v[44:45]
	s_mov_b64 s[2:3], -1
	v_min3_f32 v52, v54, v55, v122
	v_pk_add_f32 v[54:55], v[28:29], v[44:45]
	s_mov_b64 vcc, s[8:9]
	v_min3_f32 v56, v54, v55, v121
	v_pk_add_f32 v[54:55], v[26:27], v[46:47]
	s_nop 0
	v_min_f32_e32 v57, v54, v55
	v_pk_add_f32 v[54:55], v[30:31], v[46:47]
	s_nop 0
	v_min3_f32 v54, v54, v55, v56
	v_min3_f32 v55, v53, v57, v52
	v_lshl_add_u64 v[52:53], v[64:65], 2, v[48:49]
	flat_store_dword v[52:53], v55
	v_max_f32_e32 v52, v54, v54
	s_cbranch_vccz .LBB17_117
; %bb.116:
	v_min_f32_e32 v53, 0, v52
	v_lshl_add_u64 v[54:55], v[74:75], 2, v[48:49]
	flat_store_dword v[54:55], v53
	s_mov_b64 s[2:3], 0
.LBB17_117:
	s_andn2_b64 vcc, exec, s[2:3]
	v_mov_b32_e32 v53, 0
	s_cbranch_vccnz .LBB17_119
; %bb.118:
	v_lshl_add_u64 v[54:55], v[50:51], 0, v[80:81]
	flat_load_dword v53, v[54:55]
	v_lshl_add_u64 v[54:55], v[48:49], 0, v[80:81]
	s_waitcnt vmcnt(0) lgkmcnt(0)
	v_mul_f32_e32 v53, s26, v53
	v_min_f32_e32 v52, v53, v52
	flat_store_dword v[54:55], v52
	v_lshl_add_u64 v[52:53], v[66:67], 2, v[50:51]
	flat_load_dword v52, v[52:53]
	s_waitcnt vmcnt(0) lgkmcnt(0)
	v_mul_f32_e32 v53, s26, v52
.LBB17_119:
	v_pk_add_f32 v[54:55], v[20:21], v[44:45]
	s_mov_b64 s[2:3], -1
	v_min3_f32 v52, v54, v55, v120
	v_pk_add_f32 v[54:55], v[16:17], v[44:45]
	s_mov_b64 vcc, s[8:9]
	v_min3_f32 v56, v54, v55, v119
	v_pk_add_f32 v[54:55], v[22:23], v[46:47]
	s_nop 0
	v_min_f32_e32 v57, v54, v55
	v_pk_add_f32 v[54:55], v[18:19], v[46:47]
	s_nop 0
	v_min3_f32 v54, v54, v55, v56
	v_min3_f32 v55, v53, v57, v52
	v_lshl_add_u64 v[52:53], v[66:67], 2, v[48:49]
	flat_store_dword v[52:53], v55
	v_max_f32_e32 v52, v54, v54
	s_cbranch_vccz .LBB17_121
; %bb.120:
	v_min_f32_e32 v53, 0, v52
	v_lshl_add_u64 v[54:55], v[78:79], 2, v[48:49]
	flat_store_dword v[54:55], v53
	s_mov_b64 s[2:3], 0
.LBB17_121:
	;; [unrolled: 39-line block ×3, first 2 shown]
	s_andn2_b64 vcc, exec, s[2:3]
	v_mov_b32_e32 v53, 0
	s_cbranch_vccnz .LBB17_127
; %bb.126:
	v_lshl_add_u64 v[54:55], v[50:51], 0, v[86:87]
	flat_load_dword v53, v[54:55]
	v_lshl_add_u64 v[54:55], v[48:49], 0, v[86:87]
	v_lshl_add_u64 v[50:51], v[72:73], 2, v[50:51]
	s_waitcnt vmcnt(0) lgkmcnt(0)
	v_mul_f32_e32 v53, s26, v53
	v_min_f32_e32 v52, v53, v52
	flat_store_dword v[54:55], v52
	flat_load_dword v50, v[50:51]
	s_waitcnt vmcnt(0) lgkmcnt(0)
	v_mul_f32_e32 v53, s26, v50
.LBB17_127:
	v_pk_add_f32 v[44:45], v[0:1], v[44:45]
	s_mov_b64 vcc, s[8:9]
	v_min3_f32 v50, v44, v45, v116
	v_pk_add_f32 v[44:45], v[32:33], v[40:41]
	s_nop 0
	v_min3_f32 v51, v44, v45, v115
	v_pk_add_f32 v[44:45], v[2:3], v[46:47]
	s_nop 0
	v_min_f32_e32 v46, v44, v45
	v_pk_add_f32 v[44:45], v[34:35], v[42:43]
	v_min3_f32 v46, v53, v46, v50
	v_min3_f32 v51, v44, v45, v51
	v_lshl_add_u64 v[44:45], v[72:73], 2, v[48:49]
	flat_store_dword v[44:45], v46
	v_add_u32_e32 v46, 0xa0, v154
	v_mad_i64_i32 v[44:45], s[2:3], v46, s5, 0
	v_mad_i64_i32 v[46:47], s[2:3], v46, s4, 0
	v_lshl_add_u64 v[44:45], v[44:45], 2, s[0:1]
	s_mov_b64 s[2:3], -1
	v_max_f32_e32 v48, v51, v51
	s_cbranch_vccz .LBB17_129
; %bb.128:
	v_min_f32_e32 v49, 0, v48
	v_lshl_add_u64 v[50:51], v[70:71], 2, v[44:45]
	flat_store_dword v[50:51], v49
	s_mov_b64 s[2:3], 0
.LBB17_129:
	v_lshl_add_u64 v[46:47], v[46:47], 2, s[16:17]
	s_andn2_b64 vcc, exec, s[2:3]
	v_mov_b32_e32 v49, 0
	s_cbranch_vccnz .LBB17_131
; %bb.130:
	v_lshl_add_u64 v[50:51], v[46:47], 0, v[76:77]
	flat_load_dword v49, v[50:51]
	v_lshl_add_u64 v[50:51], v[44:45], 0, v[76:77]
	s_waitcnt vmcnt(0) lgkmcnt(0)
	v_mul_f32_e32 v49, s26, v49
	v_min_f32_e32 v48, v49, v48
	flat_store_dword v[50:51], v48
	v_lshl_add_u64 v[48:49], v[64:65], 2, v[46:47]
	flat_load_dword v48, v[48:49]
	s_waitcnt vmcnt(0) lgkmcnt(0)
	v_mul_f32_e32 v49, s26, v48
.LBB17_131:
	v_pk_add_f32 v[50:51], v[24:25], v[40:41]
	s_mov_b64 s[2:3], -1
	v_min3_f32 v48, v50, v51, v114
	v_pk_add_f32 v[50:51], v[28:29], v[40:41]
	s_mov_b64 vcc, s[8:9]
	v_min3_f32 v52, v50, v51, v113
	v_pk_add_f32 v[50:51], v[26:27], v[42:43]
	s_nop 0
	v_min_f32_e32 v53, v50, v51
	v_pk_add_f32 v[50:51], v[30:31], v[42:43]
	s_nop 0
	v_min3_f32 v50, v50, v51, v52
	v_min3_f32 v51, v49, v53, v48
	v_lshl_add_u64 v[48:49], v[64:65], 2, v[44:45]
	flat_store_dword v[48:49], v51
	v_max_f32_e32 v48, v50, v50
	s_cbranch_vccz .LBB17_133
; %bb.132:
	v_min_f32_e32 v49, 0, v48
	v_lshl_add_u64 v[50:51], v[74:75], 2, v[44:45]
	flat_store_dword v[50:51], v49
	s_mov_b64 s[2:3], 0
.LBB17_133:
	s_andn2_b64 vcc, exec, s[2:3]
	v_mov_b32_e32 v49, 0
	s_cbranch_vccnz .LBB17_135
; %bb.134:
	v_lshl_add_u64 v[50:51], v[46:47], 0, v[80:81]
	flat_load_dword v49, v[50:51]
	v_lshl_add_u64 v[50:51], v[44:45], 0, v[80:81]
	s_waitcnt vmcnt(0) lgkmcnt(0)
	v_mul_f32_e32 v49, s26, v49
	v_min_f32_e32 v48, v49, v48
	flat_store_dword v[50:51], v48
	v_lshl_add_u64 v[48:49], v[66:67], 2, v[46:47]
	flat_load_dword v48, v[48:49]
	s_waitcnt vmcnt(0) lgkmcnt(0)
	v_mul_f32_e32 v49, s26, v48
.LBB17_135:
	v_pk_add_f32 v[50:51], v[20:21], v[40:41]
	s_mov_b64 s[2:3], -1
	v_min3_f32 v48, v50, v51, v112
	v_pk_add_f32 v[50:51], v[16:17], v[40:41]
	s_mov_b64 vcc, s[8:9]
	v_min3_f32 v52, v50, v51, v111
	v_pk_add_f32 v[50:51], v[22:23], v[42:43]
	s_nop 0
	v_min_f32_e32 v53, v50, v51
	v_pk_add_f32 v[50:51], v[18:19], v[42:43]
	s_nop 0
	v_min3_f32 v50, v50, v51, v52
	v_min3_f32 v51, v49, v53, v48
	v_lshl_add_u64 v[48:49], v[66:67], 2, v[44:45]
	flat_store_dword v[48:49], v51
	v_max_f32_e32 v48, v50, v50
	s_cbranch_vccz .LBB17_137
; %bb.136:
	v_min_f32_e32 v49, 0, v48
	v_lshl_add_u64 v[50:51], v[78:79], 2, v[44:45]
	flat_store_dword v[50:51], v49
	s_mov_b64 s[2:3], 0
.LBB17_137:
	;; [unrolled: 39-line block ×3, first 2 shown]
	s_andn2_b64 vcc, exec, s[2:3]
	v_mov_b32_e32 v49, 0
	s_cbranch_vccnz .LBB17_143
; %bb.142:
	v_lshl_add_u64 v[50:51], v[46:47], 0, v[86:87]
	flat_load_dword v49, v[50:51]
	v_lshl_add_u64 v[50:51], v[44:45], 0, v[86:87]
	v_lshl_add_u64 v[46:47], v[72:73], 2, v[46:47]
	s_waitcnt vmcnt(0) lgkmcnt(0)
	v_mul_f32_e32 v49, s26, v49
	v_min_f32_e32 v48, v49, v48
	flat_store_dword v[50:51], v48
	flat_load_dword v46, v[46:47]
	s_waitcnt vmcnt(0) lgkmcnt(0)
	v_mul_f32_e32 v49, s26, v46
.LBB17_143:
	v_pk_add_f32 v[40:41], v[0:1], v[40:41]
	s_mov_b64 vcc, s[8:9]
	v_min3_f32 v46, v40, v41, v108
	v_pk_add_f32 v[40:41], v[32:33], v[36:37]
	s_nop 0
	v_min3_f32 v47, v40, v41, v107
	v_pk_add_f32 v[40:41], v[2:3], v[42:43]
	s_nop 0
	v_min_f32_e32 v42, v40, v41
	v_pk_add_f32 v[40:41], v[34:35], v[38:39]
	v_min3_f32 v42, v49, v42, v46
	v_min3_f32 v47, v40, v41, v47
	v_lshl_add_u64 v[40:41], v[72:73], 2, v[44:45]
	flat_store_dword v[40:41], v42
	v_add_u32_e32 v42, 0xc0, v154
	v_mad_i64_i32 v[40:41], s[2:3], v42, s5, 0
	v_mad_i64_i32 v[42:43], s[2:3], v42, s4, 0
	v_lshl_add_u64 v[40:41], v[40:41], 2, s[0:1]
	s_mov_b64 s[2:3], -1
	v_max_f32_e32 v44, v47, v47
	s_cbranch_vccz .LBB17_145
; %bb.144:
	v_min_f32_e32 v45, 0, v44
	v_lshl_add_u64 v[46:47], v[70:71], 2, v[40:41]
	flat_store_dword v[46:47], v45
	s_mov_b64 s[2:3], 0
.LBB17_145:
	v_lshl_add_u64 v[42:43], v[42:43], 2, s[16:17]
	s_andn2_b64 vcc, exec, s[2:3]
	v_mov_b32_e32 v45, 0
	s_cbranch_vccnz .LBB17_147
; %bb.146:
	v_lshl_add_u64 v[46:47], v[42:43], 0, v[76:77]
	flat_load_dword v45, v[46:47]
	v_lshl_add_u64 v[46:47], v[40:41], 0, v[76:77]
	s_waitcnt vmcnt(0) lgkmcnt(0)
	v_mul_f32_e32 v45, s26, v45
	v_min_f32_e32 v44, v45, v44
	flat_store_dword v[46:47], v44
	v_lshl_add_u64 v[44:45], v[64:65], 2, v[42:43]
	flat_load_dword v44, v[44:45]
	s_waitcnt vmcnt(0) lgkmcnt(0)
	v_mul_f32_e32 v45, s26, v44
.LBB17_147:
	v_pk_add_f32 v[46:47], v[24:25], v[36:37]
	s_mov_b64 s[2:3], -1
	v_min3_f32 v44, v46, v47, v106
	v_pk_add_f32 v[46:47], v[28:29], v[36:37]
	s_mov_b64 vcc, s[8:9]
	v_min3_f32 v48, v46, v47, v105
	v_pk_add_f32 v[46:47], v[26:27], v[38:39]
	s_nop 0
	v_min_f32_e32 v49, v46, v47
	v_pk_add_f32 v[46:47], v[30:31], v[38:39]
	s_nop 0
	v_min3_f32 v46, v46, v47, v48
	v_min3_f32 v47, v45, v49, v44
	v_lshl_add_u64 v[44:45], v[64:65], 2, v[40:41]
	flat_store_dword v[44:45], v47
	v_max_f32_e32 v44, v46, v46
	s_cbranch_vccz .LBB17_149
; %bb.148:
	v_min_f32_e32 v45, 0, v44
	v_lshl_add_u64 v[46:47], v[74:75], 2, v[40:41]
	flat_store_dword v[46:47], v45
	s_mov_b64 s[2:3], 0
.LBB17_149:
	s_andn2_b64 vcc, exec, s[2:3]
	v_mov_b32_e32 v45, 0
	s_cbranch_vccnz .LBB17_151
; %bb.150:
	v_lshl_add_u64 v[46:47], v[42:43], 0, v[80:81]
	flat_load_dword v45, v[46:47]
	v_lshl_add_u64 v[46:47], v[40:41], 0, v[80:81]
	s_waitcnt vmcnt(0) lgkmcnt(0)
	v_mul_f32_e32 v45, s26, v45
	v_min_f32_e32 v44, v45, v44
	flat_store_dword v[46:47], v44
	v_lshl_add_u64 v[44:45], v[66:67], 2, v[42:43]
	flat_load_dword v44, v[44:45]
	s_waitcnt vmcnt(0) lgkmcnt(0)
	v_mul_f32_e32 v45, s26, v44
.LBB17_151:
	v_pk_add_f32 v[46:47], v[20:21], v[36:37]
	s_mov_b64 s[2:3], -1
	v_min3_f32 v44, v46, v47, v104
	v_pk_add_f32 v[46:47], v[16:17], v[36:37]
	s_mov_b64 vcc, s[8:9]
	v_min3_f32 v48, v46, v47, v103
	v_pk_add_f32 v[46:47], v[22:23], v[38:39]
	s_nop 0
	v_min_f32_e32 v49, v46, v47
	v_pk_add_f32 v[46:47], v[18:19], v[38:39]
	s_nop 0
	v_min3_f32 v46, v46, v47, v48
	v_min3_f32 v47, v45, v49, v44
	v_lshl_add_u64 v[44:45], v[66:67], 2, v[40:41]
	flat_store_dword v[44:45], v47
	v_max_f32_e32 v44, v46, v46
	s_cbranch_vccz .LBB17_153
; %bb.152:
	v_min_f32_e32 v45, 0, v44
	v_lshl_add_u64 v[46:47], v[78:79], 2, v[40:41]
	flat_store_dword v[46:47], v45
	s_mov_b64 s[2:3], 0
.LBB17_153:
	;; [unrolled: 39-line block ×3, first 2 shown]
	s_andn2_b64 vcc, exec, s[2:3]
	v_mov_b32_e32 v45, 0
	s_cbranch_vccnz .LBB17_159
; %bb.158:
	v_lshl_add_u64 v[46:47], v[42:43], 0, v[86:87]
	flat_load_dword v45, v[46:47]
	v_lshl_add_u64 v[46:47], v[40:41], 0, v[86:87]
	v_lshl_add_u64 v[42:43], v[72:73], 2, v[42:43]
	s_waitcnt vmcnt(0) lgkmcnt(0)
	v_mul_f32_e32 v45, s26, v45
	v_min_f32_e32 v44, v45, v44
	flat_store_dword v[46:47], v44
	flat_load_dword v42, v[42:43]
	s_waitcnt vmcnt(0) lgkmcnt(0)
	v_mul_f32_e32 v45, s26, v42
.LBB17_159:
	v_pk_add_f32 v[36:37], v[0:1], v[36:37]
	v_pk_add_f32 v[32:33], v[32:33], v[4:5]
	v_min3_f32 v36, v36, v37, v99
	v_min3_f32 v37, v32, v33, v100
	v_pk_add_f32 v[32:33], v[2:3], v[38:39]
	s_mov_b64 vcc, s[8:9]
	v_min_f32_e32 v38, v32, v33
	v_pk_add_f32 v[32:33], v[34:35], v[6:7]
	v_min3_f32 v34, v45, v38, v36
	v_min3_f32 v37, v32, v33, v37
	v_lshl_add_u64 v[32:33], v[72:73], 2, v[40:41]
	flat_store_dword v[32:33], v34
	v_add_u32_e32 v34, 0xe0, v154
	v_mad_i64_i32 v[32:33], s[2:3], v34, s5, 0
	v_lshl_add_u64 v[32:33], v[32:33], 2, s[0:1]
	v_mad_i64_i32 v[34:35], s[0:1], v34, s4, 0
	s_mov_b64 s[0:1], -1
	v_max_f32_e32 v36, v37, v37
	s_cbranch_vccz .LBB17_161
; %bb.160:
	v_min_f32_e32 v37, 0, v36
	v_lshl_add_u64 v[38:39], v[70:71], 2, v[32:33]
	flat_store_dword v[38:39], v37
	s_mov_b64 s[0:1], 0
.LBB17_161:
	v_lshl_add_u64 v[34:35], v[34:35], 2, s[16:17]
	s_andn2_b64 vcc, exec, s[0:1]
	v_mov_b32_e32 v37, 0
	s_cbranch_vccnz .LBB17_163
; %bb.162:
	v_lshl_add_u64 v[38:39], v[34:35], 0, v[76:77]
	flat_load_dword v37, v[38:39]
	v_lshl_add_u64 v[38:39], v[32:33], 0, v[76:77]
	s_waitcnt vmcnt(0) lgkmcnt(0)
	v_mul_f32_e32 v37, s26, v37
	v_min_f32_e32 v36, v37, v36
	flat_store_dword v[38:39], v36
	v_lshl_add_u64 v[36:37], v[64:65], 2, v[34:35]
	flat_load_dword v36, v[36:37]
	s_waitcnt vmcnt(0) lgkmcnt(0)
	v_mul_f32_e32 v37, s26, v36
.LBB17_163:
	v_pk_add_f32 v[24:25], v[24:25], v[4:5]
	s_mov_b64 s[0:1], -1
	v_min3_f32 v36, v24, v25, v98
	v_pk_add_f32 v[24:25], v[28:29], v[4:5]
	s_mov_b64 vcc, s[8:9]
	v_min3_f32 v28, v24, v25, v97
	v_pk_add_f32 v[24:25], v[26:27], v[6:7]
	s_nop 0
	v_min_f32_e32 v26, v24, v25
	v_pk_add_f32 v[24:25], v[30:31], v[6:7]
	v_min3_f32 v26, v37, v26, v36
	v_min3_f32 v27, v24, v25, v28
	v_lshl_add_u64 v[24:25], v[64:65], 2, v[32:33]
	flat_store_dword v[24:25], v26
	v_max_f32_e32 v24, v27, v27
	s_cbranch_vccz .LBB17_165
; %bb.164:
	v_min_f32_e32 v25, 0, v24
	v_lshl_add_u64 v[26:27], v[74:75], 2, v[32:33]
	flat_store_dword v[26:27], v25
	s_mov_b64 s[0:1], 0
.LBB17_165:
	s_andn2_b64 vcc, exec, s[0:1]
	v_mov_b32_e32 v25, 0
	s_cbranch_vccnz .LBB17_167
; %bb.166:
	v_lshl_add_u64 v[26:27], v[34:35], 0, v[80:81]
	flat_load_dword v25, v[26:27]
	v_lshl_add_u64 v[26:27], v[32:33], 0, v[80:81]
	s_waitcnt vmcnt(0) lgkmcnt(0)
	v_mul_f32_e32 v25, s26, v25
	v_min_f32_e32 v24, v25, v24
	flat_store_dword v[26:27], v24
	v_lshl_add_u64 v[24:25], v[66:67], 2, v[34:35]
	flat_load_dword v24, v[24:25]
	s_waitcnt vmcnt(0) lgkmcnt(0)
	v_mul_f32_e32 v25, s26, v24
.LBB17_167:
	v_pk_add_f32 v[20:21], v[20:21], v[4:5]
	v_pk_add_f32 v[16:17], v[16:17], v[4:5]
	v_min3_f32 v20, v20, v21, v96
	v_min3_f32 v21, v16, v17, v95
	v_pk_add_f32 v[16:17], v[22:23], v[6:7]
	s_mov_b64 s[0:1], -1
	v_min_f32_e32 v22, v16, v17
	v_pk_add_f32 v[16:17], v[18:19], v[6:7]
	v_min3_f32 v19, v25, v22, v20
	v_min3_f32 v18, v16, v17, v21
	v_lshl_add_u64 v[16:17], v[66:67], 2, v[32:33]
	flat_store_dword v[16:17], v19
	v_max_f32_e32 v16, v18, v18
	s_mov_b64 vcc, s[8:9]
	s_cbranch_vccz .LBB17_169
; %bb.168:
	v_min_f32_e32 v17, 0, v16
	v_lshl_add_u64 v[18:19], v[78:79], 2, v[32:33]
	flat_store_dword v[18:19], v17
	s_mov_b64 s[0:1], 0
.LBB17_169:
	s_andn2_b64 vcc, exec, s[0:1]
	v_mov_b32_e32 v17, 0
	s_cbranch_vccnz .LBB17_171
; %bb.170:
	v_lshl_add_u64 v[18:19], v[34:35], 0, v[82:83]
	flat_load_dword v17, v[18:19]
	v_lshl_add_u64 v[18:19], v[32:33], 0, v[82:83]
	s_waitcnt vmcnt(0) lgkmcnt(0)
	v_mul_f32_e32 v17, s26, v17
	v_min_f32_e32 v16, v17, v16
	flat_store_dword v[18:19], v16
	v_lshl_add_u64 v[16:17], v[68:69], 2, v[34:35]
	flat_load_dword v16, v[16:17]
	s_waitcnt vmcnt(0) lgkmcnt(0)
	v_mul_f32_e32 v17, s26, v16
.LBB17_171:
	v_pk_add_f32 v[12:13], v[12:13], v[4:5]
	v_pk_add_f32 v[8:9], v[8:9], v[4:5]
	v_min3_f32 v12, v12, v13, v94
	v_min3_f32 v13, v8, v9, v93
	v_pk_add_f32 v[8:9], v[14:15], v[6:7]
	s_mov_b64 s[0:1], -1
	v_min_f32_e32 v14, v8, v9
	v_pk_add_f32 v[8:9], v[10:11], v[6:7]
	v_min3_f32 v11, v17, v14, v12
	v_min3_f32 v10, v8, v9, v13
	v_lshl_add_u64 v[8:9], v[68:69], 2, v[32:33]
	flat_store_dword v[8:9], v11
	v_max_f32_e32 v8, v10, v10
	s_mov_b64 vcc, s[8:9]
	s_cbranch_vccz .LBB17_173
; %bb.172:
	v_min_f32_e32 v9, 0, v8
	v_lshl_add_u64 v[10:11], v[84:85], 2, v[32:33]
	flat_store_dword v[10:11], v9
	s_mov_b64 s[0:1], 0
.LBB17_173:
	s_andn2_b64 vcc, exec, s[0:1]
	v_mov_b32_e32 v9, 0
	s_cbranch_vccnz .LBB17_175
; %bb.174:
	v_lshl_add_u64 v[10:11], v[34:35], 0, v[86:87]
	flat_load_dword v9, v[10:11]
	v_lshl_add_u64 v[10:11], v[32:33], 0, v[86:87]
	s_waitcnt vmcnt(0) lgkmcnt(0)
	v_mul_f32_e32 v9, s26, v9
	v_min_f32_e32 v8, v9, v8
	flat_store_dword v[10:11], v8
	v_lshl_add_u64 v[8:9], v[72:73], 2, v[34:35]
	flat_load_dword v8, v[8:9]
	s_waitcnt vmcnt(0) lgkmcnt(0)
	v_mul_f32_e32 v9, s26, v8
.LBB17_175:
	v_pk_add_f32 v[2:3], v[2:3], v[6:7]
	v_pk_add_f32 v[0:1], v[0:1], v[4:5]
	v_min_f32_e32 v2, v2, v3
	v_min3_f32 v0, v0, v1, v92
	v_min3_f32 v2, v9, v2, v0
	v_lshl_add_u64 v[0:1], v[72:73], 2, v[32:33]
	flat_store_dword v[0:1], v2
	s_endpgm
	.section	.rodata,"a",@progbits
	.p2align	6, 0x0
	.amdhsa_kernel _ZN12_GLOBAL__N_120geam_min_plus_kernelIf15HIP_vector_typeIfLj2EEfLi8ELi32ELi64ELi256ELi4ELi64ELi4ELi64ELi4ELc78ELc84ELb0ELb0ELb1EfKPKfKPfEEviiiT16_PT17_ilSA_ilS8_SA_ilPT18_ili26rocblas_geam_ex_operation_
		.amdhsa_group_segment_fixed_size 10240
		.amdhsa_private_segment_fixed_size 0
		.amdhsa_kernarg_size 128
		.amdhsa_user_sgpr_count 2
		.amdhsa_user_sgpr_dispatch_ptr 0
		.amdhsa_user_sgpr_queue_ptr 0
		.amdhsa_user_sgpr_kernarg_segment_ptr 1
		.amdhsa_user_sgpr_dispatch_id 0
		.amdhsa_user_sgpr_kernarg_preload_length 0
		.amdhsa_user_sgpr_kernarg_preload_offset 0
		.amdhsa_user_sgpr_private_segment_size 0
		.amdhsa_uses_dynamic_stack 0
		.amdhsa_enable_private_segment 0
		.amdhsa_system_sgpr_workgroup_id_x 1
		.amdhsa_system_sgpr_workgroup_id_y 0
		.amdhsa_system_sgpr_workgroup_id_z 1
		.amdhsa_system_sgpr_workgroup_info 0
		.amdhsa_system_vgpr_workitem_id 1
		.amdhsa_next_free_vgpr 162
		.amdhsa_next_free_sgpr 29
		.amdhsa_accum_offset 164
		.amdhsa_reserve_vcc 1
		.amdhsa_float_round_mode_32 0
		.amdhsa_float_round_mode_16_64 0
		.amdhsa_float_denorm_mode_32 3
		.amdhsa_float_denorm_mode_16_64 3
		.amdhsa_dx10_clamp 1
		.amdhsa_ieee_mode 1
		.amdhsa_fp16_overflow 0
		.amdhsa_tg_split 0
		.amdhsa_exception_fp_ieee_invalid_op 0
		.amdhsa_exception_fp_denorm_src 0
		.amdhsa_exception_fp_ieee_div_zero 0
		.amdhsa_exception_fp_ieee_overflow 0
		.amdhsa_exception_fp_ieee_underflow 0
		.amdhsa_exception_fp_ieee_inexact 0
		.amdhsa_exception_int_div_zero 0
	.end_amdhsa_kernel
	.section	.text._ZN12_GLOBAL__N_120geam_min_plus_kernelIf15HIP_vector_typeIfLj2EEfLi8ELi32ELi64ELi256ELi4ELi64ELi4ELi64ELi4ELc78ELc84ELb0ELb0ELb1EfKPKfKPfEEviiiT16_PT17_ilSA_ilS8_SA_ilPT18_ili26rocblas_geam_ex_operation_,"axG",@progbits,_ZN12_GLOBAL__N_120geam_min_plus_kernelIf15HIP_vector_typeIfLj2EEfLi8ELi32ELi64ELi256ELi4ELi64ELi4ELi64ELi4ELc78ELc84ELb0ELb0ELb1EfKPKfKPfEEviiiT16_PT17_ilSA_ilS8_SA_ilPT18_ili26rocblas_geam_ex_operation_,comdat
.Lfunc_end17:
	.size	_ZN12_GLOBAL__N_120geam_min_plus_kernelIf15HIP_vector_typeIfLj2EEfLi8ELi32ELi64ELi256ELi4ELi64ELi4ELi64ELi4ELc78ELc84ELb0ELb0ELb1EfKPKfKPfEEviiiT16_PT17_ilSA_ilS8_SA_ilPT18_ili26rocblas_geam_ex_operation_, .Lfunc_end17-_ZN12_GLOBAL__N_120geam_min_plus_kernelIf15HIP_vector_typeIfLj2EEfLi8ELi32ELi64ELi256ELi4ELi64ELi4ELi64ELi4ELc78ELc84ELb0ELb0ELb1EfKPKfKPfEEviiiT16_PT17_ilSA_ilS8_SA_ilPT18_ili26rocblas_geam_ex_operation_
                                        ; -- End function
	.set _ZN12_GLOBAL__N_120geam_min_plus_kernelIf15HIP_vector_typeIfLj2EEfLi8ELi32ELi64ELi256ELi4ELi64ELi4ELi64ELi4ELc78ELc84ELb0ELb0ELb1EfKPKfKPfEEviiiT16_PT17_ilSA_ilS8_SA_ilPT18_ili26rocblas_geam_ex_operation_.num_vgpr, 162
	.set _ZN12_GLOBAL__N_120geam_min_plus_kernelIf15HIP_vector_typeIfLj2EEfLi8ELi32ELi64ELi256ELi4ELi64ELi4ELi64ELi4ELc78ELc84ELb0ELb0ELb1EfKPKfKPfEEviiiT16_PT17_ilSA_ilS8_SA_ilPT18_ili26rocblas_geam_ex_operation_.num_agpr, 0
	.set _ZN12_GLOBAL__N_120geam_min_plus_kernelIf15HIP_vector_typeIfLj2EEfLi8ELi32ELi64ELi256ELi4ELi64ELi4ELi64ELi4ELc78ELc84ELb0ELb0ELb1EfKPKfKPfEEviiiT16_PT17_ilSA_ilS8_SA_ilPT18_ili26rocblas_geam_ex_operation_.numbered_sgpr, 29
	.set _ZN12_GLOBAL__N_120geam_min_plus_kernelIf15HIP_vector_typeIfLj2EEfLi8ELi32ELi64ELi256ELi4ELi64ELi4ELi64ELi4ELc78ELc84ELb0ELb0ELb1EfKPKfKPfEEviiiT16_PT17_ilSA_ilS8_SA_ilPT18_ili26rocblas_geam_ex_operation_.num_named_barrier, 0
	.set _ZN12_GLOBAL__N_120geam_min_plus_kernelIf15HIP_vector_typeIfLj2EEfLi8ELi32ELi64ELi256ELi4ELi64ELi4ELi64ELi4ELc78ELc84ELb0ELb0ELb1EfKPKfKPfEEviiiT16_PT17_ilSA_ilS8_SA_ilPT18_ili26rocblas_geam_ex_operation_.private_seg_size, 0
	.set _ZN12_GLOBAL__N_120geam_min_plus_kernelIf15HIP_vector_typeIfLj2EEfLi8ELi32ELi64ELi256ELi4ELi64ELi4ELi64ELi4ELc78ELc84ELb0ELb0ELb1EfKPKfKPfEEviiiT16_PT17_ilSA_ilS8_SA_ilPT18_ili26rocblas_geam_ex_operation_.uses_vcc, 1
	.set _ZN12_GLOBAL__N_120geam_min_plus_kernelIf15HIP_vector_typeIfLj2EEfLi8ELi32ELi64ELi256ELi4ELi64ELi4ELi64ELi4ELc78ELc84ELb0ELb0ELb1EfKPKfKPfEEviiiT16_PT17_ilSA_ilS8_SA_ilPT18_ili26rocblas_geam_ex_operation_.uses_flat_scratch, 0
	.set _ZN12_GLOBAL__N_120geam_min_plus_kernelIf15HIP_vector_typeIfLj2EEfLi8ELi32ELi64ELi256ELi4ELi64ELi4ELi64ELi4ELc78ELc84ELb0ELb0ELb1EfKPKfKPfEEviiiT16_PT17_ilSA_ilS8_SA_ilPT18_ili26rocblas_geam_ex_operation_.has_dyn_sized_stack, 0
	.set _ZN12_GLOBAL__N_120geam_min_plus_kernelIf15HIP_vector_typeIfLj2EEfLi8ELi32ELi64ELi256ELi4ELi64ELi4ELi64ELi4ELc78ELc84ELb0ELb0ELb1EfKPKfKPfEEviiiT16_PT17_ilSA_ilS8_SA_ilPT18_ili26rocblas_geam_ex_operation_.has_recursion, 0
	.set _ZN12_GLOBAL__N_120geam_min_plus_kernelIf15HIP_vector_typeIfLj2EEfLi8ELi32ELi64ELi256ELi4ELi64ELi4ELi64ELi4ELc78ELc84ELb0ELb0ELb1EfKPKfKPfEEviiiT16_PT17_ilSA_ilS8_SA_ilPT18_ili26rocblas_geam_ex_operation_.has_indirect_call, 0
	.section	.AMDGPU.csdata,"",@progbits
; Kernel info:
; codeLenInByte = 16676
; TotalNumSgprs: 35
; NumVgprs: 162
; NumAgprs: 0
; TotalNumVgprs: 162
; ScratchSize: 0
; MemoryBound: 0
; FloatMode: 240
; IeeeMode: 1
; LDSByteSize: 10240 bytes/workgroup (compile time only)
; SGPRBlocks: 4
; VGPRBlocks: 20
; NumSGPRsForWavesPerEU: 35
; NumVGPRsForWavesPerEU: 162
; AccumOffset: 164
; Occupancy: 3
; WaveLimiterHint : 1
; COMPUTE_PGM_RSRC2:SCRATCH_EN: 0
; COMPUTE_PGM_RSRC2:USER_SGPR: 2
; COMPUTE_PGM_RSRC2:TRAP_HANDLER: 0
; COMPUTE_PGM_RSRC2:TGID_X_EN: 1
; COMPUTE_PGM_RSRC2:TGID_Y_EN: 0
; COMPUTE_PGM_RSRC2:TGID_Z_EN: 1
; COMPUTE_PGM_RSRC2:TIDIG_COMP_CNT: 1
; COMPUTE_PGM_RSRC3_GFX90A:ACCUM_OFFSET: 40
; COMPUTE_PGM_RSRC3_GFX90A:TG_SPLIT: 0
	.section	.text._ZN12_GLOBAL__N_120geam_min_plus_kernelIf15HIP_vector_typeIfLj2EEfLi8ELi32ELi64ELi256ELi4ELi64ELi4ELi64ELi4ELc78ELc84ELb0ELb1ELb1EPKfKS4_KPfEEviiiT16_PT17_ilSA_ilS8_SA_ilPT18_ili26rocblas_geam_ex_operation_,"axG",@progbits,_ZN12_GLOBAL__N_120geam_min_plus_kernelIf15HIP_vector_typeIfLj2EEfLi8ELi32ELi64ELi256ELi4ELi64ELi4ELi64ELi4ELc78ELc84ELb0ELb1ELb1EPKfKS4_KPfEEviiiT16_PT17_ilSA_ilS8_SA_ilPT18_ili26rocblas_geam_ex_operation_,comdat
	.globl	_ZN12_GLOBAL__N_120geam_min_plus_kernelIf15HIP_vector_typeIfLj2EEfLi8ELi32ELi64ELi256ELi4ELi64ELi4ELi64ELi4ELc78ELc84ELb0ELb1ELb1EPKfKS4_KPfEEviiiT16_PT17_ilSA_ilS8_SA_ilPT18_ili26rocblas_geam_ex_operation_ ; -- Begin function _ZN12_GLOBAL__N_120geam_min_plus_kernelIf15HIP_vector_typeIfLj2EEfLi8ELi32ELi64ELi256ELi4ELi64ELi4ELi64ELi4ELc78ELc84ELb0ELb1ELb1EPKfKS4_KPfEEviiiT16_PT17_ilSA_ilS8_SA_ilPT18_ili26rocblas_geam_ex_operation_
	.p2align	8
	.type	_ZN12_GLOBAL__N_120geam_min_plus_kernelIf15HIP_vector_typeIfLj2EEfLi8ELi32ELi64ELi256ELi4ELi64ELi4ELi64ELi4ELc78ELc84ELb0ELb1ELb1EPKfKS4_KPfEEviiiT16_PT17_ilSA_ilS8_SA_ilPT18_ili26rocblas_geam_ex_operation_,@function
_ZN12_GLOBAL__N_120geam_min_plus_kernelIf15HIP_vector_typeIfLj2EEfLi8ELi32ELi64ELi256ELi4ELi64ELi4ELi64ELi4ELc78ELc84ELb0ELb1ELb1EPKfKS4_KPfEEviiiT16_PT17_ilSA_ilS8_SA_ilPT18_ili26rocblas_geam_ex_operation_: ; @_ZN12_GLOBAL__N_120geam_min_plus_kernelIf15HIP_vector_typeIfLj2EEfLi8ELi32ELi64ELi256ELi4ELi64ELi4ELi64ELi4ELc78ELc84ELb0ELb1ELb1EPKfKS4_KPfEEviiiT16_PT17_ilSA_ilS8_SA_ilPT18_ili26rocblas_geam_ex_operation_
; %bb.0:
	s_load_dwordx4 s[12:15], s[0:1], 0x10
	s_load_dwordx4 s[8:11], s[0:1], 0x28
	;; [unrolled: 1-line block ×3, first 2 shown]
	s_mov_b32 s18, s3
	s_mov_b32 s19, 0
	s_lshl_b64 s[16:17], s[18:19], 2
	s_waitcnt lgkmcnt(0)
	s_add_u32 s20, s12, s16
	s_addc_u32 s21, s13, s17
	s_load_dword s38, s[20:21], 0x0
	s_load_dwordx2 s[12:13], s[0:1], 0x50
	s_add_u32 s6, s6, s16
	s_addc_u32 s7, s7, s17
	s_mov_b64 s[16:17], 0
	s_waitcnt lgkmcnt(0)
	v_cmp_eq_f32_e64 s[22:23], s38, 0
	v_cmp_neq_f32_e64 s[20:21], s38, 0
	s_and_b64 vcc, exec, s[22:23]
	s_mov_b64 s[28:29], 0
	s_cbranch_vccnz .LBB18_2
; %bb.1:
	s_lshl_b64 s[22:23], s[18:19], 3
	s_add_u32 s14, s14, s22
	s_addc_u32 s15, s15, s23
	s_load_dwordx2 s[14:15], s[14:15], 0x0
	s_lshl_b64 s[8:9], s[8:9], 2
	s_waitcnt lgkmcnt(0)
	s_add_u32 s28, s14, s8
	s_addc_u32 s29, s15, s9
.LBB18_2:
	s_load_dword s33, s[6:7], 0x0
	s_andn2_b64 vcc, exec, s[20:21]
	s_cbranch_vccnz .LBB18_4
; %bb.3:
	s_lshl_b64 s[6:7], s[18:19], 3
	s_add_u32 s6, s10, s6
	s_addc_u32 s7, s11, s7
	s_load_dwordx2 s[6:7], s[6:7], 0x0
	s_lshl_b64 s[4:5], s[4:5], 2
	s_waitcnt lgkmcnt(0)
	s_add_u32 s16, s6, s4
	s_addc_u32 s17, s7, s5
.LBB18_4:
	s_load_dwordx4 s[4:7], s[0:1], 0x60
	s_waitcnt lgkmcnt(0)
	v_cmp_eq_f32_e64 s[8:9], s33, 0
	v_cmp_neq_f32_e64 s[14:15], s33, 0
	s_and_b64 vcc, exec, s[8:9]
	s_cbranch_vccnz .LBB18_6
; %bb.5:
	s_lshl_b64 s[8:9], s[18:19], 3
	s_add_u32 s8, s12, s8
	s_addc_u32 s9, s13, s9
	s_load_dwordx2 s[8:9], s[8:9], 0x0
	s_lshl_b64 s[4:5], s[4:5], 2
	s_waitcnt lgkmcnt(0)
	s_add_u32 s24, s8, s4
	s_addc_u32 s25, s9, s5
	s_branch .LBB18_7
.LBB18_6:
	s_mov_b64 s[24:25], 0
.LBB18_7:
	s_load_dword s30, s[0:1], 0x20
	s_load_dwordx4 s[20:23], s[0:1], 0x0
	s_lshl_b64 s[4:5], s[18:19], 3
	v_and_b32_e32 v74, 0x3ff, v0
	v_bfe_u32 v75, v0, 10, 10
	s_waitcnt lgkmcnt(0)
	s_ashr_i32 s31, s30, 31
	s_add_u32 s26, s6, s4
	s_addc_u32 s27, s7, s5
	s_add_i32 s3, s20, -1
	s_ashr_i32 s4, s3, 31
	s_lshr_b32 s4, s4, 26
	s_add_i32 s3, s3, s4
	s_ashr_i32 s3, s3, 6
	s_add_i32 s4, s3, 1
	v_cvt_f32_u32_e32 v1, s4
	s_not_b32 s3, s3
	v_cmp_eq_f32_e64 s[18:19], s38, 0
                                        ; implicit-def: $vgpr3
	v_rcp_iflag_f32_e32 v0, v1
	v_lshl_add_u32 v1, v75, 3, v74
	v_and_b32_e32 v2, 63, v1
	v_lshrrev_b32_e32 v76, 6, v1
	v_mul_f32_e32 v0, 0x4f7ffffe, v0
	v_cvt_u32_f32_e32 v0, v0
	v_cmp_le_i32_e64 s[10:11], s22, v76
	v_readfirstlane_b32 s5, v0
	s_mul_i32 s3, s3, s5
	s_mul_hi_u32 s3, s5, s3
	s_add_i32 s5, s5, s3
	s_mul_hi_u32 s3, s2, s5
	s_mul_i32 s5, s3, s4
	s_sub_i32 s5, s2, s5
	s_add_i32 s6, s3, 1
	s_sub_i32 s7, s5, s4
	s_cmp_ge_u32 s5, s4
	s_cselect_b32 s3, s6, s3
	s_cselect_b32 s5, s7, s5
	s_add_i32 s6, s3, 1
	s_cmp_ge_u32 s5, s4
	s_cselect_b32 s6, s6, s3
	s_mul_i32 s3, s6, s4
	s_sub_i32 s2, s2, s3
	s_lshl_b32 s36, s2, 6
	v_or_b32_e32 v56, s36, v2
	v_cmp_le_i32_e32 vcc, s20, v56
	s_or_b64 s[2:3], vcc, s[10:11]
	s_nor_b64 s[4:5], s[18:19], s[2:3]
	v_ashrrev_i32_e32 v57, 31, v56
                                        ; implicit-def: $sgpr7
	s_and_saveexec_b64 s[8:9], s[4:5]
	s_xor_b64 s[4:5], exec, s[8:9]
	s_cbranch_execz .LBB18_9
; %bb.8:
	s_add_i32 s7, s22, -1
	v_min_u32_e32 v0, s7, v76
	v_mad_i64_i32 v[0:1], s[8:9], s30, v0, 0
	v_lshl_add_u64 v[0:1], v[0:1], 2, s[28:29]
	v_lshl_add_u64 v[0:1], v[56:57], 2, v[0:1]
	flat_load_dword v0, v[0:1]
	s_waitcnt vmcnt(0) lgkmcnt(0)
	v_mul_f32_e32 v3, s38, v0
.LBB18_9:
	s_or_saveexec_b64 s[4:5], s[4:5]
	v_mov_b32_e32 v0, s7
	s_xor_b64 exec, exec, s[4:5]
; %bb.10:
	v_mov_b32_e32 v0, 0x7f7fffff
	v_cndmask_b32_e64 v3, 0, v0, s[2:3]
	s_add_i32 s2, s22, -1
	v_mov_b32_e32 v0, s2
; %bb.11:
	s_or_b64 exec, exec, s[4:5]
	s_load_dword s23, s[0:1], 0x38
	s_lshl_b32 s37, s6, 8
	v_min_i32_e32 v0, v76, v0
	v_or_b32_e32 v64, s37, v2
	v_mov_b32_e32 v5, 0x7f7fffff
	s_waitcnt lgkmcnt(0)
	v_mad_i64_i32 v[0:1], s[2:3], v0, s23, 0
	v_cmp_le_i32_e64 s[2:3], s21, v64
	s_or_b64 s[4:5], s[2:3], s[10:11]
	v_lshl_add_u64 v[0:1], v[0:1], 2, s[16:17]
	v_cndmask_b32_e64 v4, 0, v5, s[4:5]
	s_nor_b64 s[6:7], s[18:19], s[4:5]
	v_ashrrev_i32_e32 v65, 31, v64
	s_and_saveexec_b64 s[4:5], s[6:7]
	s_cbranch_execz .LBB18_13
; %bb.12:
	v_lshl_add_u64 v[6:7], v[64:65], 2, v[0:1]
	flat_load_dword v4, v[6:7]
	s_waitcnt vmcnt(0) lgkmcnt(0)
	v_mul_f32_e32 v4, s38, v4
.LBB18_13:
	s_or_b64 exec, exec, s[4:5]
	v_or_b32_e32 v6, 64, v64
	v_cmp_le_i32_e64 s[4:5], s21, v6
	s_or_b64 s[6:7], s[4:5], s[10:11]
	v_cndmask_b32_e64 v5, 0, v5, s[6:7]
	s_nor_b64 s[8:9], s[18:19], s[6:7]
	s_and_saveexec_b64 s[6:7], s[8:9]
	s_cbranch_execz .LBB18_15
; %bb.14:
	v_lshl_add_u64 v[6:7], v[64:65], 2, v[0:1]
	flat_load_dword v5, v[6:7] offset:256
	s_waitcnt vmcnt(0) lgkmcnt(0)
	v_mul_f32_e32 v5, s38, v5
.LBB18_15:
	s_or_b64 exec, exec, s[6:7]
	v_or_b32_e32 v6, 0x80, v64
	v_cmp_le_i32_e64 s[6:7], s21, v6
	v_mov_b32_e32 v7, 0x7f7fffff
	s_or_b64 s[8:9], s[6:7], s[10:11]
	v_cndmask_b32_e64 v6, 0, v7, s[8:9]
	s_nor_b64 s[12:13], s[18:19], s[8:9]
	s_and_saveexec_b64 s[8:9], s[12:13]
	s_cbranch_execz .LBB18_17
; %bb.16:
	v_lshl_add_u64 v[8:9], v[64:65], 2, v[0:1]
	flat_load_dword v6, v[8:9] offset:512
	s_waitcnt vmcnt(0) lgkmcnt(0)
	v_mul_f32_e32 v6, s38, v6
.LBB18_17:
	s_or_b64 exec, exec, s[8:9]
	v_or_b32_e32 v8, 0xc0, v64
	v_cmp_le_i32_e64 s[8:9], s21, v8
	s_or_b64 s[10:11], s[8:9], s[10:11]
	v_cndmask_b32_e64 v7, 0, v7, s[10:11]
	s_nor_b64 s[12:13], s[18:19], s[10:11]
	s_and_saveexec_b64 s[10:11], s[12:13]
	s_cbranch_execz .LBB18_19
; %bb.18:
	v_lshl_add_u64 v[0:1], v[64:65], 2, v[0:1]
	flat_load_dword v0, v[0:1] offset:768
	s_waitcnt vmcnt(0) lgkmcnt(0)
	v_mul_f32_e32 v7, s38, v0
.LBB18_19:
	s_or_b64 exec, exec, s[10:11]
	v_add_u32_e32 v0, 4, v76
	v_cmp_le_i32_e64 s[10:11], s22, v0
	s_or_b64 s[12:13], vcc, s[10:11]
	s_nor_b64 s[34:35], s[18:19], s[12:13]
                                        ; implicit-def: $vgpr58
                                        ; implicit-def: $sgpr39
	s_and_saveexec_b64 s[40:41], s[34:35]
	s_xor_b64 s[34:35], exec, s[40:41]
	s_cbranch_execz .LBB18_21
; %bb.20:
	s_add_i32 s39, s22, -1
	v_min_u32_e32 v1, s39, v0
	v_mad_u64_u32 v[8:9], s[40:41], s30, v1, 0
	v_mov_b32_e32 v10, v9
	v_mad_u64_u32 v[10:11], s[40:41], s31, v1, v[10:11]
	v_mov_b32_e32 v9, v10
	v_lshl_add_u64 v[8:9], v[8:9], 2, s[28:29]
	v_lshl_add_u64 v[8:9], v[56:57], 2, v[8:9]
	flat_load_dword v1, v[8:9]
	s_waitcnt vmcnt(0) lgkmcnt(0)
	v_mul_f32_e32 v58, s38, v1
.LBB18_21:
	s_or_saveexec_b64 s[34:35], s[34:35]
	v_mov_b32_e32 v1, s39
	s_xor_b64 exec, exec, s[34:35]
; %bb.22:
	v_mov_b32_e32 v1, 0x7f7fffff
	v_cndmask_b32_e64 v58, 0, v1, s[12:13]
	s_add_i32 s12, s22, -1
	v_mov_b32_e32 v1, s12
; %bb.23:
	s_or_b64 exec, exec, s[34:35]
	v_min_i32_e32 v0, v0, v1
	v_mad_i64_i32 v[0:1], s[12:13], v0, s23, 0
	v_mov_b32_e32 v8, 0x7f7fffff
	s_or_b64 s[12:13], s[2:3], s[10:11]
	v_lshl_add_u64 v[0:1], v[0:1], 2, s[16:17]
	v_cndmask_b32_e64 v59, 0, v8, s[12:13]
	s_nor_b64 s[34:35], s[18:19], s[12:13]
	s_and_saveexec_b64 s[12:13], s[34:35]
	s_cbranch_execz .LBB18_25
; %bb.24:
	v_lshl_add_u64 v[10:11], v[64:65], 2, v[0:1]
	flat_load_dword v9, v[10:11]
	s_waitcnt vmcnt(0) lgkmcnt(0)
	v_mul_f32_e32 v59, s38, v9
.LBB18_25:
	s_or_b64 exec, exec, s[12:13]
	s_or_b64 s[12:13], s[4:5], s[10:11]
	v_cndmask_b32_e64 v60, 0, v8, s[12:13]
	s_nor_b64 s[34:35], s[18:19], s[12:13]
	s_and_saveexec_b64 s[12:13], s[34:35]
	s_cbranch_execz .LBB18_27
; %bb.26:
	v_lshl_add_u64 v[8:9], v[64:65], 2, v[0:1]
	flat_load_dword v8, v[8:9] offset:256
	s_waitcnt vmcnt(0) lgkmcnt(0)
	v_mul_f32_e32 v60, s38, v8
.LBB18_27:
	s_or_b64 exec, exec, s[12:13]
	v_mov_b32_e32 v8, 0x7f7fffff
	s_or_b64 s[12:13], s[6:7], s[10:11]
	v_cndmask_b32_e64 v61, 0, v8, s[12:13]
	s_nor_b64 s[34:35], s[18:19], s[12:13]
	s_and_saveexec_b64 s[12:13], s[34:35]
	s_cbranch_execz .LBB18_29
; %bb.28:
	v_lshl_add_u64 v[10:11], v[64:65], 2, v[0:1]
	flat_load_dword v9, v[10:11] offset:512
	s_waitcnt vmcnt(0) lgkmcnt(0)
	v_mul_f32_e32 v61, s38, v9
.LBB18_29:
	s_or_b64 exec, exec, s[12:13]
	s_or_b64 s[10:11], s[8:9], s[10:11]
	v_cndmask_b32_e64 v62, 0, v8, s[10:11]
	s_nor_b64 s[34:35], s[18:19], s[10:11]
	s_mov_b32 s12, 0x7f7fffff
	s_and_saveexec_b64 s[10:11], s[34:35]
	s_cbranch_execz .LBB18_31
; %bb.30:
	v_lshl_add_u64 v[0:1], v[64:65], 2, v[0:1]
	flat_load_dword v0, v[0:1] offset:768
	s_waitcnt vmcnt(0) lgkmcnt(0)
	v_mul_f32_e32 v62, s38, v0
.LBB18_31:
	s_or_b64 exec, exec, s[10:11]
	v_lshlrev_b32_e32 v0, 4, v2
	v_lshl_add_u32 v79, v76, 2, v0
	v_lshlrev_b32_e32 v78, 4, v74
	s_load_dwordx2 s[26:27], s[26:27], 0x0
	ds_write_b32 v79, v3 offset:8192
	ds_write2st64_b32 v79, v4, v5 offset1:4
	ds_write2st64_b32 v79, v6, v7 offset0:8 offset1:12
	s_waitcnt lgkmcnt(0)
	s_barrier
	v_lshlrev_b32_e32 v77, 4, v75
	ds_read_b128 v[28:31], v78 offset:8192
	ds_read_b128 v[24:27], v78 offset:8320
	;; [unrolled: 1-line block ×8, first 2 shown]
	ds_read_b128 v[52:55], v77
	ds_read_b128 v[48:51], v77 offset:512
	ds_read_b128 v[44:47], v77 offset:1024
	;; [unrolled: 1-line block ×5, first 2 shown]
	s_waitcnt lgkmcnt(5)
	v_pk_add_f32 v[66:67], v[28:29], v[52:53]
	s_cmp_lt_i32 s22, 9
	v_min3_f32 v63, v66, v67, s12
	v_pk_add_f32 v[66:67], v[24:25], v[52:53]
	s_nop 0
	v_min3_f32 v68, v66, v67, s12
	v_pk_add_f32 v[66:67], v[20:21], v[52:53]
	s_nop 0
	v_min3_f32 v69, v66, v67, s12
	v_pk_add_f32 v[66:67], v[16:17], v[52:53]
	s_nop 0
	v_min3_f32 v70, v66, v67, s12
	v_pk_add_f32 v[66:67], v[12:13], v[52:53]
	s_nop 0
	v_min3_f32 v71, v66, v67, s12
	v_pk_add_f32 v[66:67], v[8:9], v[52:53]
	s_nop 0
	v_min3_f32 v72, v66, v67, s12
	v_pk_add_f32 v[66:67], v[4:5], v[52:53]
	v_pk_add_f32 v[52:53], v[0:1], v[52:53]
	v_min3_f32 v66, v66, v67, s12
	v_min3_f32 v67, v52, v53, s12
	s_waitcnt lgkmcnt(4)
	v_pk_add_f32 v[52:53], v[28:29], v[48:49]
	s_nop 0
	v_min3_f32 v73, v52, v53, s12
	v_pk_add_f32 v[52:53], v[24:25], v[48:49]
	s_nop 0
	v_min3_f32 v80, v52, v53, s12
	v_pk_add_f32 v[52:53], v[20:21], v[48:49]
	s_nop 0
	v_min3_f32 v81, v52, v53, s12
	v_pk_add_f32 v[52:53], v[16:17], v[48:49]
	s_nop 0
	v_min3_f32 v82, v52, v53, s12
	v_pk_add_f32 v[52:53], v[12:13], v[48:49]
	s_nop 0
	v_min3_f32 v83, v52, v53, s12
	v_pk_add_f32 v[52:53], v[8:9], v[48:49]
	s_nop 0
	v_min3_f32 v84, v52, v53, s12
	v_pk_add_f32 v[52:53], v[4:5], v[48:49]
	v_pk_add_f32 v[48:49], v[0:1], v[48:49]
	v_min3_f32 v85, v52, v53, s12
	v_min3_f32 v86, v48, v49, s12
	s_waitcnt lgkmcnt(3)
	v_pk_add_f32 v[48:49], v[28:29], v[44:45]
	s_nop 0
	;; [unrolled: 23-line block ×5, first 2 shown]
	v_min3_f32 v105, v36, v37, s12
	v_pk_add_f32 v[36:37], v[24:25], v[32:33]
	s_nop 0
	v_min3_f32 v106, v36, v37, s12
	v_pk_add_f32 v[36:37], v[20:21], v[32:33]
	s_nop 0
	;; [unrolled: 3-line block ×5, first 2 shown]
	v_min3_f32 v151, v36, v37, s12
	v_pk_add_f32 v[36:37], v[4:5], v[32:33]
	v_pk_add_f32 v[32:33], v[0:1], v[32:33]
	v_min3_f32 v152, v36, v37, s12
	v_min3_f32 v153, v32, v33, s12
	v_pk_add_f32 v[32:33], v[30:31], v[54:55]
	s_nop 0
	v_min3_f32 v148, v32, v33, v63
	v_pk_add_f32 v[32:33], v[26:27], v[54:55]
	s_nop 0
	;; [unrolled: 3-line block ×7, first 2 shown]
	v_min3_f32 v142, v32, v33, v66
	v_pk_add_f32 v[32:33], v[2:3], v[54:55]
	ds_read_b128 v[52:55], v77 offset:3072
	v_min3_f32 v141, v32, v33, v67
	v_pk_add_f32 v[32:33], v[30:31], v[50:51]
	ds_read_b128 v[66:69], v77 offset:3584
	v_min3_f32 v140, v32, v33, v73
	v_pk_add_f32 v[32:33], v[26:27], v[50:51]
	s_waitcnt lgkmcnt(1)
	v_pk_add_f32 v[36:37], v[20:21], v[52:53]
	v_min3_f32 v139, v32, v33, v80
	v_pk_add_f32 v[32:33], v[22:23], v[50:51]
	s_waitcnt lgkmcnt(0)
	v_pk_add_f32 v[20:21], v[20:21], v[66:67]
	v_min3_f32 v138, v32, v33, v81
	v_pk_add_f32 v[32:33], v[18:19], v[50:51]
	v_min3_f32 v20, v20, v21, s12
	v_min3_f32 v137, v32, v33, v82
	v_pk_add_f32 v[32:33], v[14:15], v[50:51]
	ds_write_b32 v79, v58 offset:9216
	ds_write2st64_b32 v79, v59, v60 offset0:16 offset1:20
	ds_write2st64_b32 v79, v61, v62 offset0:24 offset1:28
	v_min3_f32 v136, v32, v33, v83
	v_pk_add_f32 v[32:33], v[10:11], v[50:51]
	s_waitcnt lgkmcnt(0)
	v_min3_f32 v134, v32, v33, v84
	v_pk_add_f32 v[32:33], v[6:7], v[50:51]
	s_barrier
	v_min3_f32 v132, v32, v33, v85
	v_pk_add_f32 v[32:33], v[28:29], v[52:53]
	v_pk_add_f32 v[28:29], v[28:29], v[66:67]
	v_min3_f32 v63, v32, v33, s12
	v_pk_add_f32 v[32:33], v[24:25], v[52:53]
	v_min3_f32 v28, v28, v29, s12
	v_min3_f32 v70, v32, v33, s12
	v_pk_add_f32 v[32:33], v[2:3], v[50:51]
	v_min3_f32 v50, v36, v37, s12
	v_min3_f32 v135, v32, v33, v86
	v_pk_add_f32 v[32:33], v[30:31], v[46:47]
	v_pk_add_f32 v[36:37], v[16:17], v[52:53]
	v_min3_f32 v133, v32, v33, v87
	v_pk_add_f32 v[32:33], v[26:27], v[46:47]
	v_min3_f32 v51, v36, v37, s12
	v_min3_f32 v131, v32, v33, v88
	v_pk_add_f32 v[32:33], v[22:23], v[46:47]
	v_pk_add_f32 v[36:37], v[4:5], v[52:53]
	v_min3_f32 v130, v32, v33, v89
	v_pk_add_f32 v[32:33], v[18:19], v[46:47]
	v_pk_add_f32 v[4:5], v[4:5], v[66:67]
	v_min3_f32 v129, v32, v33, v90
	v_pk_add_f32 v[32:33], v[14:15], v[46:47]
	v_min3_f32 v4, v4, v5, s12
	v_min3_f32 v128, v32, v33, v91
	v_pk_add_f32 v[32:33], v[10:11], v[46:47]
	v_pk_add_f32 v[24:25], v[24:25], v[66:67]
	v_min3_f32 v127, v32, v33, v92
	v_pk_add_f32 v[32:33], v[6:7], v[46:47]
	v_pk_add_f32 v[16:17], v[16:17], v[66:67]
	v_min3_f32 v126, v32, v33, v48
	v_pk_add_f32 v[32:33], v[12:13], v[52:53]
	v_min3_f32 v29, v24, v25, s12
	v_min3_f32 v48, v32, v33, s12
	v_pk_add_f32 v[32:33], v[8:9], v[52:53]
	v_min3_f32 v21, v16, v17, s12
	;; [unrolled: 3-line block ×3, first 2 shown]
	v_min3_f32 v125, v32, v33, v49
	v_pk_add_f32 v[32:33], v[30:31], v[42:43]
	v_pk_add_f32 v[36:37], v[0:1], v[52:53]
	v_min3_f32 v123, v32, v33, v93
	v_pk_add_f32 v[32:33], v[26:27], v[42:43]
	v_pk_add_f32 v[0:1], v[0:1], v[66:67]
	v_min3_f32 v122, v32, v33, v94
	v_pk_add_f32 v[32:33], v[22:23], v[42:43]
	v_min3_f32 v5, v0, v1, s12
	v_min3_f32 v121, v32, v33, v95
	v_pk_add_f32 v[32:33], v[18:19], v[42:43]
	v_pk_add_f32 v[0:1], v[30:31], v[54:55]
	v_min3_f32 v120, v32, v33, v96
	v_pk_add_f32 v[32:33], v[14:15], v[42:43]
	v_min3_f32 v36, v36, v37, s12
	;; [unrolled: 6-line block ×4, first 2 shown]
	v_min3_f32 v115, v32, v33, v99
	v_min3_f32 v99, v0, v1, v63
	v_pk_add_f32 v[0:1], v[26:27], v[54:55]
	v_pk_add_f32 v[32:33], v[26:27], v[38:39]
	v_min3_f32 v98, v0, v1, v70
	v_pk_add_f32 v[0:1], v[22:23], v[54:55]
	v_min3_f32 v114, v32, v33, v100
	v_min3_f32 v97, v0, v1, v50
	v_pk_add_f32 v[0:1], v[18:19], v[54:55]
	v_pk_add_f32 v[32:33], v[22:23], v[38:39]
	v_min3_f32 v96, v0, v1, v51
	v_pk_add_f32 v[0:1], v[14:15], v[54:55]
	;; [unrolled: 6-line block ×4, first 2 shown]
	v_pk_add_f32 v[16:17], v[22:23], v[34:35]
	v_min3_f32 v91, v0, v1, v28
	v_pk_add_f32 v[0:1], v[26:27], v[68:69]
	v_pk_add_f32 v[12:13], v[12:13], v[66:67]
	v_min3_f32 v90, v0, v1, v29
	v_pk_add_f32 v[0:1], v[22:23], v[68:69]
	v_min3_f32 v111, v32, v33, v103
	v_min3_f32 v89, v0, v1, v20
	v_pk_add_f32 v[0:1], v[18:19], v[68:69]
	v_pk_add_f32 v[32:33], v[10:11], v[38:39]
	v_min3_f32 v105, v16, v17, v124
	v_pk_add_f32 v[16:17], v[18:19], v[34:35]
	v_min3_f32 v12, v12, v13, s12
	;; [unrolled: 2-line block ×4, first 2 shown]
	v_min3_f32 v104, v16, v17, v149
	v_pk_add_f32 v[16:17], v[14:15], v[34:35]
	v_min3_f32 v13, v8, v9, s12
	v_min3_f32 v86, v0, v1, v12
	v_pk_add_f32 v[0:1], v[10:11], v[68:69]
	v_min3_f32 v103, v16, v17, v150
	v_pk_add_f32 v[16:17], v[10:11], v[34:35]
	;; [unrolled: 2-line block ×3, first 2 shown]
	v_pk_add_f32 v[32:33], v[6:7], v[38:39]
	v_pk_add_f32 v[24:25], v[2:3], v[38:39]
	v_min3_f32 v102, v16, v17, v151
	v_pk_add_f32 v[16:17], v[6:7], v[34:35]
	v_pk_add_f32 v[8:9], v[2:3], v[34:35]
	v_min3_f32 v84, v0, v1, v4
	v_pk_add_f32 v[0:1], v[2:3], v[68:69]
	v_min3_f32 v109, v32, v33, v40
	v_min3_f32 v108, v24, v25, v41
	;; [unrolled: 1-line block ×5, first 2 shown]
	s_cbranch_scc1 .LBB18_58
; %bb.32:
	v_mov_b32_e32 v0, 0x2400
	v_lshl_add_u32 v124, v74, 4, v0
	v_mov_b32_e32 v0, 0x1000
	v_lshl_add_u32 v149, v75, 4, v0
	v_add_u32_e32 v0, 12, v76
	v_mad_i64_i32 v[0:1], s[10:11], v0, s30, 0
	v_lshlrev_b64 v[68:69], 2, v[0:1]
	v_add_u32_e32 v0, 8, v76
	v_mad_i64_i32 v[0:1], s[10:11], v0, s30, 0
	v_or_b32_e32 v80, 0x2000, v79
	v_add_u32_e32 v81, 0x2000, v78
	v_add_u32_e32 v82, 0x2400, v79
	v_or_b32_e32 v83, 0x1000, v79
	s_add_i32 s34, s22, -8
	v_lshl_add_u64 v[66:67], v[56:57], 2, s[28:29]
	s_add_i32 s35, s22, -1
	s_lshl_b64 s[28:29], s[30:31], 5
	v_lshlrev_b64 v[70:71], 2, v[0:1]
	s_mov_b32 s39, 0
	v_mov_b32_e32 v150, 0x7f7fffff
	s_branch .LBB18_34
.LBB18_33:                              ;   in Loop: Header=BB18_34 Depth=1
	s_or_b64 exec, exec, s[10:11]
	v_pk_add_f32 v[72:73], v[28:29], v[60:61]
	s_add_i32 s39, s39, 8
	v_min3_f32 v148, v72, v73, v148
	v_pk_add_f32 v[72:73], v[24:25], v[60:61]
	s_cmp_ge_i32 s39, s34
	v_min3_f32 v147, v72, v73, v147
	v_pk_add_f32 v[72:73], v[20:21], v[60:61]
	v_lshl_add_u64 v[66:67], v[66:67], 0, s[28:29]
	v_min3_f32 v146, v72, v73, v146
	v_pk_add_f32 v[72:73], v[16:17], v[60:61]
	s_nop 0
	v_min3_f32 v145, v72, v73, v145
	v_pk_add_f32 v[72:73], v[12:13], v[60:61]
	s_nop 0
	v_min3_f32 v144, v72, v73, v144
	v_pk_add_f32 v[72:73], v[8:9], v[60:61]
	s_nop 0
	v_min3_f32 v143, v72, v73, v143
	v_pk_add_f32 v[72:73], v[4:5], v[60:61]
	v_pk_add_f32 v[60:61], v[0:1], v[60:61]
	v_min3_f32 v72, v72, v73, v142
	v_min3_f32 v73, v60, v61, v141
	v_pk_add_f32 v[60:61], v[28:29], v[56:57]
	s_nop 0
	v_min3_f32 v140, v60, v61, v140
	v_pk_add_f32 v[60:61], v[24:25], v[56:57]
	s_nop 0
	v_min3_f32 v139, v60, v61, v139
	v_pk_add_f32 v[60:61], v[20:21], v[56:57]
	s_nop 0
	v_min3_f32 v138, v60, v61, v138
	v_pk_add_f32 v[60:61], v[16:17], v[56:57]
	s_nop 0
	v_min3_f32 v137, v60, v61, v137
	v_pk_add_f32 v[60:61], v[12:13], v[56:57]
	s_nop 0
	v_min3_f32 v136, v60, v61, v136
	v_pk_add_f32 v[60:61], v[8:9], v[56:57]
	s_nop 0
	v_min3_f32 v134, v60, v61, v134
	v_pk_add_f32 v[60:61], v[4:5], v[56:57]
	v_pk_add_f32 v[56:57], v[0:1], v[56:57]
	v_min3_f32 v60, v60, v61, v132
	v_min3_f32 v61, v56, v57, v135
	v_pk_add_f32 v[56:57], v[28:29], v[52:53]
	s_nop 0
	v_min3_f32 v132, v56, v57, v133
	v_pk_add_f32 v[56:57], v[24:25], v[52:53]
	s_nop 0
	v_min3_f32 v131, v56, v57, v131
	v_pk_add_f32 v[56:57], v[20:21], v[52:53]
	s_nop 0
	;; [unrolled: 22-line block ×5, first 2 shown]
	v_min3_f32 v105, v44, v45, v105
	v_pk_add_f32 v[44:45], v[16:17], v[40:41]
	s_nop 0
	v_min3_f32 v104, v44, v45, v104
	v_pk_add_f32 v[44:45], v[12:13], v[40:41]
	s_nop 0
	;; [unrolled: 3-line block ×3, first 2 shown]
	v_min3_f32 v102, v44, v45, v102
	v_pk_add_f32 v[44:45], v[4:5], v[40:41]
	v_pk_add_f32 v[40:41], v[0:1], v[40:41]
	v_min3_f32 v44, v44, v45, v101
	v_min3_f32 v45, v40, v41, v100
	v_pk_add_f32 v[40:41], v[28:29], v[36:37]
	v_pk_add_f32 v[28:29], v[28:29], v[32:33]
	v_min3_f32 v99, v40, v41, v99
	v_pk_add_f32 v[40:41], v[24:25], v[36:37]
	v_pk_add_f32 v[24:25], v[24:25], v[32:33]
	;; [unrolled: 3-line block ×7, first 2 shown]
	v_pk_add_f32 v[4:5], v[4:5], v[32:33]
	v_pk_add_f32 v[0:1], v[0:1], v[32:33]
	v_min3_f32 v4, v4, v5, v84
	v_min3_f32 v5, v0, v1, v88
	v_pk_add_f32 v[0:1], v[30:31], v[62:63]
	v_min3_f32 v8, v8, v9, v85
	v_min3_f32 v84, v0, v1, v148
	;; [unrolled: 3-line block ×9, first 2 shown]
	v_pk_add_f32 v[0:1], v[30:31], v[58:59]
	s_nop 0
	v_min3_f32 v92, v0, v1, v140
	v_pk_add_f32 v[0:1], v[26:27], v[58:59]
	s_nop 0
	v_min3_f32 v93, v0, v1, v139
	v_pk_add_f32 v[0:1], v[22:23], v[58:59]
	s_nop 0
	v_min3_f32 v100, v0, v1, v138
	v_pk_add_f32 v[0:1], v[18:19], v[58:59]
	s_nop 0
	v_min3_f32 v101, v0, v1, v137
	v_pk_add_f32 v[0:1], v[14:15], v[58:59]
	s_nop 0
	v_min3_f32 v108, v0, v1, v136
	v_pk_add_f32 v[0:1], v[10:11], v[58:59]
	s_nop 0
	v_min3_f32 v109, v0, v1, v134
	v_pk_add_f32 v[0:1], v[6:7], v[58:59]
	s_nop 0
	v_min3_f32 v116, v0, v1, v60
	v_pk_add_f32 v[0:1], v[2:3], v[58:59]
	s_nop 0
	v_min3_f32 v117, v0, v1, v61
	v_pk_add_f32 v[0:1], v[30:31], v[54:55]
	s_nop 0
	v_min3_f32 v125, v0, v1, v132
	v_pk_add_f32 v[0:1], v[26:27], v[54:55]
	s_nop 0
	v_min3_f32 v126, v0, v1, v131
	v_pk_add_f32 v[0:1], v[22:23], v[54:55]
	s_nop 0
	v_min3_f32 v130, v0, v1, v130
	v_pk_add_f32 v[0:1], v[18:19], v[54:55]
	s_nop 0
	v_min3_f32 v129, v0, v1, v129
	v_pk_add_f32 v[0:1], v[14:15], v[54:55]
	s_nop 0
	v_min3_f32 v128, v0, v1, v128
	v_pk_add_f32 v[0:1], v[10:11], v[54:55]
	s_nop 0
	v_min3_f32 v127, v0, v1, v127
	v_pk_add_f32 v[0:1], v[6:7], v[54:55]
	s_nop 0
	v_min3_f32 v131, v0, v1, v56
	v_pk_add_f32 v[0:1], v[2:3], v[54:55]
	s_nop 0
	v_min3_f32 v132, v0, v1, v57
	v_pk_add_f32 v[0:1], v[30:31], v[50:51]
	s_nop 0
	v_min3_f32 v123, v0, v1, v123
	v_pk_add_f32 v[0:1], v[26:27], v[50:51]
	s_nop 0
	v_min3_f32 v122, v0, v1, v122
	v_pk_add_f32 v[0:1], v[22:23], v[50:51]
	s_nop 0
	v_min3_f32 v121, v0, v1, v121
	v_pk_add_f32 v[0:1], v[18:19], v[50:51]
	s_nop 0
	v_min3_f32 v120, v0, v1, v120
	v_pk_add_f32 v[0:1], v[14:15], v[50:51]
	s_nop 0
	v_min3_f32 v119, v0, v1, v119
	v_pk_add_f32 v[0:1], v[10:11], v[50:51]
	s_nop 0
	v_min3_f32 v118, v0, v1, v118
	v_pk_add_f32 v[0:1], v[6:7], v[50:51]
	s_nop 0
	v_min3_f32 v133, v0, v1, v52
	v_pk_add_f32 v[0:1], v[2:3], v[50:51]
	s_nop 0
	v_min3_f32 v134, v0, v1, v53
	v_pk_add_f32 v[0:1], v[30:31], v[46:47]
	s_nop 0
	v_min3_f32 v115, v0, v1, v115
	v_pk_add_f32 v[0:1], v[26:27], v[46:47]
	s_nop 0
	v_min3_f32 v114, v0, v1, v114
	v_pk_add_f32 v[0:1], v[22:23], v[46:47]
	s_nop 0
	v_min3_f32 v113, v0, v1, v113
	v_pk_add_f32 v[0:1], v[18:19], v[46:47]
	s_nop 0
	v_min3_f32 v112, v0, v1, v112
	v_pk_add_f32 v[0:1], v[14:15], v[46:47]
	s_nop 0
	v_min3_f32 v111, v0, v1, v111
	v_pk_add_f32 v[0:1], v[10:11], v[46:47]
	s_nop 0
	v_min3_f32 v110, v0, v1, v110
	v_pk_add_f32 v[0:1], v[6:7], v[46:47]
	s_nop 0
	v_min3_f32 v135, v0, v1, v48
	v_pk_add_f32 v[0:1], v[2:3], v[46:47]
	s_nop 0
	v_min3_f32 v136, v0, v1, v49
	v_pk_add_f32 v[0:1], v[30:31], v[42:43]
	s_nop 0
	v_min3_f32 v107, v0, v1, v107
	v_pk_add_f32 v[0:1], v[26:27], v[42:43]
	s_nop 0
	v_min3_f32 v106, v0, v1, v106
	v_pk_add_f32 v[0:1], v[22:23], v[42:43]
	s_nop 0
	v_min3_f32 v105, v0, v1, v105
	v_pk_add_f32 v[0:1], v[18:19], v[42:43]
	s_nop 0
	v_min3_f32 v104, v0, v1, v104
	v_pk_add_f32 v[0:1], v[14:15], v[42:43]
	s_nop 0
	v_min3_f32 v103, v0, v1, v103
	v_pk_add_f32 v[0:1], v[10:11], v[42:43]
	s_nop 0
	v_min3_f32 v102, v0, v1, v102
	v_pk_add_f32 v[0:1], v[6:7], v[42:43]
	s_nop 0
	v_min3_f32 v137, v0, v1, v44
	v_pk_add_f32 v[0:1], v[2:3], v[42:43]
	s_nop 0
	v_min3_f32 v138, v0, v1, v45
	v_pk_add_f32 v[0:1], v[30:31], v[38:39]
	s_nop 0
	v_min3_f32 v99, v0, v1, v99
	v_pk_add_f32 v[0:1], v[26:27], v[38:39]
	s_nop 0
	v_min3_f32 v98, v0, v1, v98
	v_pk_add_f32 v[0:1], v[22:23], v[38:39]
	s_nop 0
	v_min3_f32 v97, v0, v1, v97
	v_pk_add_f32 v[0:1], v[18:19], v[38:39]
	s_nop 0
	v_min3_f32 v96, v0, v1, v96
	v_pk_add_f32 v[0:1], v[14:15], v[38:39]
	s_nop 0
	v_min3_f32 v95, v0, v1, v95
	v_pk_add_f32 v[0:1], v[10:11], v[38:39]
	s_nop 0
	v_min3_f32 v94, v0, v1, v94
	v_pk_add_f32 v[0:1], v[6:7], v[38:39]
	s_nop 0
	v_min3_f32 v139, v0, v1, v40
	v_pk_add_f32 v[0:1], v[2:3], v[38:39]
	s_nop 0
	v_min3_f32 v140, v0, v1, v36
	v_pk_add_f32 v[0:1], v[30:31], v[34:35]
	s_nop 0
	v_min3_f32 v141, v0, v1, v28
	v_pk_add_f32 v[0:1], v[26:27], v[34:35]
	s_nop 0
	v_min3_f32 v142, v0, v1, v24
	v_pk_add_f32 v[0:1], v[22:23], v[34:35]
	s_nop 0
	v_min3_f32 v143, v0, v1, v20
	v_pk_add_f32 v[0:1], v[18:19], v[34:35]
	s_nop 0
	v_min3_f32 v144, v0, v1, v16
	v_pk_add_f32 v[0:1], v[14:15], v[34:35]
	s_nop 0
	v_min3_f32 v145, v0, v1, v12
	v_pk_add_f32 v[0:1], v[10:11], v[34:35]
	s_nop 0
	v_min3_f32 v146, v0, v1, v8
	v_pk_add_f32 v[0:1], v[6:7], v[34:35]
	s_nop 0
	v_min3_f32 v147, v0, v1, v4
	v_pk_add_f32 v[0:1], v[2:3], v[34:35]
	s_nop 0
	v_min3_f32 v148, v0, v1, v5
	ds_read_b128 v[0:3], v81
	ds_read_b128 v[4:7], v81 offset:128
	ds_read_b128 v[8:11], v81 offset:256
	;; [unrolled: 1-line block ×7, first 2 shown]
	ds_read_b128 v[36:39], v77
	ds_read_b128 v[40:43], v77 offset:512
	ds_read_b128 v[44:47], v77 offset:1024
	;; [unrolled: 1-line block ×7, first 2 shown]
	s_waitcnt lgkmcnt(7)
	v_pk_add_f32 v[72:73], v[0:1], v[36:37]
	ds_write_b32 v82, v151
	ds_write2st64_b32 v83, v152, v153 offset1:4
	ds_write2st64_b32 v83, v154, v155 offset0:8 offset1:12
	v_min3_f32 v84, v72, v73, v84
	v_pk_add_f32 v[72:73], v[4:5], v[36:37]
	s_waitcnt lgkmcnt(0)
	v_min3_f32 v85, v72, v73, v85
	v_pk_add_f32 v[72:73], v[8:9], v[36:37]
	s_barrier
	v_min3_f32 v86, v72, v73, v86
	v_pk_add_f32 v[72:73], v[12:13], v[36:37]
	s_nop 0
	v_min3_f32 v87, v72, v73, v87
	v_pk_add_f32 v[72:73], v[16:17], v[36:37]
	s_nop 0
	;; [unrolled: 3-line block ×3, first 2 shown]
	v_min3_f32 v89, v72, v73, v89
	v_pk_add_f32 v[72:73], v[24:25], v[36:37]
	v_pk_add_f32 v[36:37], v[28:29], v[36:37]
	v_min3_f32 v72, v72, v73, v90
	v_min3_f32 v73, v36, v37, v91
	v_pk_add_f32 v[36:37], v[0:1], v[40:41]
	s_nop 0
	v_min3_f32 v90, v36, v37, v92
	v_pk_add_f32 v[36:37], v[4:5], v[40:41]
	s_nop 0
	;; [unrolled: 3-line block ×40, first 2 shown]
	v_min3_f32 v56, v36, v37, v138
	v_pk_add_f32 v[36:37], v[0:1], v[60:61]
	v_pk_add_f32 v[0:1], v[0:1], v[32:33]
	v_min3_f32 v57, v36, v37, v99
	v_pk_add_f32 v[36:37], v[4:5], v[60:61]
	s_nop 0
	v_min3_f32 v98, v36, v37, v98
	v_pk_add_f32 v[36:37], v[8:9], v[60:61]
	s_nop 0
	;; [unrolled: 3-line block ×7, first 2 shown]
	v_min3_f32 v36, v36, v37, v140
	v_min3_f32 v37, v0, v1, v141
	v_pk_add_f32 v[0:1], v[4:5], v[32:33]
	s_nop 0
	v_min3_f32 v4, v0, v1, v142
	v_pk_add_f32 v[0:1], v[8:9], v[32:33]
	s_nop 0
	;; [unrolled: 3-line block ×71, first 2 shown]
	v_min3_f32 v88, v0, v1, v16
	s_cbranch_scc1 .LBB18_58
.LBB18_34:                              ; =>This Inner Loop Header: Depth=1
	v_add_u32_e32 v72, s39, v76
	v_add_u32_e32 v0, 8, v72
	v_cmp_le_i32_e64 s[10:11], s22, v0
	s_or_b64 s[12:13], vcc, s[10:11]
	s_nor_b64 s[30:31], s[18:19], s[12:13]
                                        ; implicit-def: $vgpr73
	s_and_saveexec_b64 s[40:41], s[30:31]
	s_xor_b64 s[30:31], exec, s[40:41]
	s_cbranch_execz .LBB18_36
; %bb.35:                               ;   in Loop: Header=BB18_34 Depth=1
	v_lshl_add_u64 v[2:3], v[66:67], 0, v[70:71]
	flat_load_dword v1, v[2:3]
	s_waitcnt vmcnt(0) lgkmcnt(0)
	v_mul_f32_e32 v73, s38, v1
.LBB18_36:                              ;   in Loop: Header=BB18_34 Depth=1
	s_andn2_saveexec_b64 s[30:31], s[30:31]
; %bb.37:                               ;   in Loop: Header=BB18_34 Depth=1
	v_cndmask_b32_e64 v73, 0, v150, s[12:13]
; %bb.38:                               ;   in Loop: Header=BB18_34 Depth=1
	s_or_b64 exec, exec, s[30:31]
	v_min_i32_e32 v0, s35, v0
	v_mad_i64_i32 v[0:1], s[12:13], v0, s23, 0
	v_lshl_add_u64 v[0:1], v[0:1], 2, s[16:17]
	s_or_b64 s[12:13], s[2:3], s[10:11]
	v_cndmask_b32_e64 v151, 0, v150, s[12:13]
	s_nor_b64 s[30:31], s[18:19], s[12:13]
	v_lshl_add_u64 v[0:1], v[64:65], 2, v[0:1]
	s_and_saveexec_b64 s[12:13], s[30:31]
	s_cbranch_execz .LBB18_40
; %bb.39:                               ;   in Loop: Header=BB18_34 Depth=1
	flat_load_dword v2, v[0:1]
	s_waitcnt vmcnt(0) lgkmcnt(0)
	v_mul_f32_e32 v151, s38, v2
.LBB18_40:                              ;   in Loop: Header=BB18_34 Depth=1
	s_or_b64 exec, exec, s[12:13]
	s_or_b64 s[12:13], s[4:5], s[10:11]
	v_cndmask_b32_e64 v152, 0, v150, s[12:13]
	s_nor_b64 s[30:31], s[18:19], s[12:13]
	s_and_saveexec_b64 s[12:13], s[30:31]
	s_cbranch_execz .LBB18_42
; %bb.41:                               ;   in Loop: Header=BB18_34 Depth=1
	flat_load_dword v2, v[0:1] offset:256
	s_waitcnt vmcnt(0) lgkmcnt(0)
	v_mul_f32_e32 v152, s38, v2
.LBB18_42:                              ;   in Loop: Header=BB18_34 Depth=1
	s_or_b64 exec, exec, s[12:13]
	s_or_b64 s[12:13], s[6:7], s[10:11]
	v_cndmask_b32_e64 v153, 0, v150, s[12:13]
	s_nor_b64 s[30:31], s[18:19], s[12:13]
	s_and_saveexec_b64 s[12:13], s[30:31]
	s_cbranch_execz .LBB18_44
; %bb.43:                               ;   in Loop: Header=BB18_34 Depth=1
	flat_load_dword v2, v[0:1] offset:512
	s_waitcnt vmcnt(0) lgkmcnt(0)
	v_mul_f32_e32 v153, s38, v2
.LBB18_44:                              ;   in Loop: Header=BB18_34 Depth=1
	;; [unrolled: 11-line block ×3, first 2 shown]
	s_or_b64 exec, exec, s[10:11]
	ds_read_b128 v[28:31], v124
	ds_read_b128 v[24:27], v124 offset:128
	ds_read_b128 v[20:23], v124 offset:256
	;; [unrolled: 1-line block ×7, first 2 shown]
	ds_read_b128 v[60:63], v149
	ds_read_b128 v[56:59], v149 offset:512
	ds_read_b128 v[52:55], v149 offset:1024
	;; [unrolled: 1-line block ×7, first 2 shown]
	v_add_u32_e32 v72, 12, v72
	v_cmp_le_i32_e64 s[10:11], s22, v72
	s_or_b64 s[12:13], vcc, s[10:11]
	s_nor_b64 s[30:31], s[18:19], s[12:13]
	ds_write_b32 v80, v73
	ds_write2st64_b32 v79, v151, v152 offset1:4
	ds_write2st64_b32 v79, v153, v154 offset0:8 offset1:12
	s_waitcnt lgkmcnt(0)
	s_barrier
                                        ; implicit-def: $vgpr151
	s_and_saveexec_b64 s[40:41], s[30:31]
	s_xor_b64 s[30:31], exec, s[40:41]
	s_cbranch_execz .LBB18_48
; %bb.47:                               ;   in Loop: Header=BB18_34 Depth=1
	v_lshl_add_u64 v[152:153], v[66:67], 0, v[68:69]
	flat_load_dword v73, v[152:153]
	s_waitcnt vmcnt(0) lgkmcnt(0)
	v_mul_f32_e32 v151, s38, v73
.LBB18_48:                              ;   in Loop: Header=BB18_34 Depth=1
	s_andn2_saveexec_b64 s[30:31], s[30:31]
; %bb.49:                               ;   in Loop: Header=BB18_34 Depth=1
	v_cndmask_b32_e64 v151, 0, v150, s[12:13]
; %bb.50:                               ;   in Loop: Header=BB18_34 Depth=1
	s_or_b64 exec, exec, s[30:31]
	v_min_i32_e32 v72, s35, v72
	v_mad_i64_i32 v[72:73], s[12:13], v72, s23, 0
	v_lshl_add_u64 v[72:73], v[72:73], 2, s[16:17]
	s_or_b64 s[12:13], s[2:3], s[10:11]
	v_cndmask_b32_e64 v152, 0, v150, s[12:13]
	s_nor_b64 s[30:31], s[18:19], s[12:13]
	v_lshl_add_u64 v[72:73], v[64:65], 2, v[72:73]
	s_and_saveexec_b64 s[12:13], s[30:31]
	s_cbranch_execz .LBB18_52
; %bb.51:                               ;   in Loop: Header=BB18_34 Depth=1
	flat_load_dword v152, v[72:73]
	s_waitcnt vmcnt(0) lgkmcnt(0)
	v_mul_f32_e32 v152, s38, v152
.LBB18_52:                              ;   in Loop: Header=BB18_34 Depth=1
	s_or_b64 exec, exec, s[12:13]
	s_or_b64 s[12:13], s[4:5], s[10:11]
	v_cndmask_b32_e64 v153, 0, v150, s[12:13]
	s_nor_b64 s[30:31], s[18:19], s[12:13]
	s_and_saveexec_b64 s[12:13], s[30:31]
	s_cbranch_execz .LBB18_54
; %bb.53:                               ;   in Loop: Header=BB18_34 Depth=1
	flat_load_dword v153, v[72:73] offset:256
	s_waitcnt vmcnt(0) lgkmcnt(0)
	v_mul_f32_e32 v153, s38, v153
.LBB18_54:                              ;   in Loop: Header=BB18_34 Depth=1
	s_or_b64 exec, exec, s[12:13]
	s_or_b64 s[12:13], s[6:7], s[10:11]
	v_cndmask_b32_e64 v154, 0, v150, s[12:13]
	s_nor_b64 s[30:31], s[18:19], s[12:13]
	s_and_saveexec_b64 s[12:13], s[30:31]
	s_cbranch_execz .LBB18_56
; %bb.55:                               ;   in Loop: Header=BB18_34 Depth=1
	flat_load_dword v154, v[72:73] offset:512
	s_waitcnt vmcnt(0) lgkmcnt(0)
	v_mul_f32_e32 v154, s38, v154
.LBB18_56:                              ;   in Loop: Header=BB18_34 Depth=1
	s_or_b64 exec, exec, s[12:13]
	s_or_b64 s[10:11], s[8:9], s[10:11]
	v_cndmask_b32_e64 v155, 0, v150, s[10:11]
	s_nor_b64 s[12:13], s[18:19], s[10:11]
	s_and_saveexec_b64 s[10:11], s[12:13]
	s_cbranch_execz .LBB18_33
; %bb.57:                               ;   in Loop: Header=BB18_34 Depth=1
	flat_load_dword v72, v[72:73] offset:768
	s_waitcnt vmcnt(0) lgkmcnt(0)
	v_mul_f32_e32 v155, s38, v72
	s_branch .LBB18_33
.LBB18_58:
	s_load_dwordx2 s[2:3], s[0:1], 0x78
	s_load_dword s29, s[0:1], 0x58
	s_load_dword s28, s[0:1], 0x70
	ds_read_b128 v[32:35], v78 offset:9216
	ds_read_b128 v[28:31], v78 offset:9344
	;; [unrolled: 1-line block ×16, first 2 shown]
	s_waitcnt lgkmcnt(0)
	s_lshl_b64 s[0:1], s[2:3], 2
	s_add_u32 s22, s26, s0
	v_add_u32_e32 v124, s37, v75
	s_addc_u32 s23, s27, s1
	v_mad_i64_i32 v[66:67], s[0:1], v124, s29, 0
	v_add_u32_e32 v64, s36, v74
	v_lshl_add_u64 v[82:83], v[66:67], 2, s[24:25]
	v_mad_i64_i32 v[66:67], s[0:1], v124, s28, 0
	v_cmp_gt_i32_e64 s[18:19], s21, v124
	v_lshl_add_u64 v[80:81], v[66:67], 2, s[22:23]
	v_cmp_gt_i32_e64 s[2:3], s20, v64
	v_cndmask_b32_e64 v66, 0, 1, s[14:15]
	s_and_b64 s[6:7], s[2:3], s[18:19]
	v_ashrrev_i32_e32 v65, 31, v64
	v_cmp_ne_u32_e64 s[0:1], 1, v66
	s_and_saveexec_b64 s[4:5], s[6:7]
	s_cbranch_execz .LBB18_63
; %bb.59:
	s_and_b64 vcc, exec, s[0:1]
	s_cbranch_vccnz .LBB18_61
; %bb.60:
	v_lshl_add_u64 v[66:67], v[64:65], 2, v[82:83]
	flat_load_dword v66, v[66:67]
	s_waitcnt vmcnt(0) lgkmcnt(0)
	v_mul_f32_e32 v66, s33, v66
	s_branch .LBB18_62
.LBB18_61:
	v_mov_b32_e32 v66, 0
.LBB18_62:
	v_pk_add_f32 v[68:69], v[32:33], v[60:61]
	s_nop 0
	v_min3_f32 v67, v68, v69, v148
	v_pk_add_f32 v[68:69], v[34:35], v[62:63]
	s_nop 0
	v_min_f32_e32 v68, v68, v69
	v_min3_f32 v68, v66, v68, v67
	v_lshl_add_u64 v[66:67], v[64:65], 2, v[80:81]
	flat_store_dword v[66:67], v68
.LBB18_63:
	s_or_b64 exec, exec, s[4:5]
	v_add_u32_e32 v66, 8, v64
	v_cmp_gt_i32_e64 s[4:5], s20, v66
	s_and_b64 s[8:9], s[4:5], s[18:19]
	v_ashrrev_i32_e32 v67, 31, v66
	s_and_saveexec_b64 s[6:7], s[8:9]
	s_cbranch_execz .LBB18_68
; %bb.64:
	s_and_b64 vcc, exec, s[0:1]
	s_cbranch_vccnz .LBB18_66
; %bb.65:
	v_lshl_add_u64 v[68:69], v[66:67], 2, v[82:83]
	flat_load_dword v68, v[68:69]
	s_waitcnt vmcnt(0) lgkmcnt(0)
	v_mul_f32_e32 v68, s33, v68
	s_branch .LBB18_67
.LBB18_66:
	v_mov_b32_e32 v68, 0
.LBB18_67:
	v_pk_add_f32 v[70:71], v[28:29], v[60:61]
	s_nop 0
	v_min3_f32 v69, v70, v71, v147
	v_pk_add_f32 v[70:71], v[30:31], v[62:63]
	s_nop 0
	v_min_f32_e32 v70, v70, v71
	v_min3_f32 v70, v68, v70, v69
	v_lshl_add_u64 v[68:69], v[66:67], 2, v[80:81]
	flat_store_dword v[68:69], v70
.LBB18_68:
	s_or_b64 exec, exec, s[6:7]
	v_add_u32_e32 v68, 16, v64
	v_cmp_gt_i32_e64 s[6:7], s20, v68
	s_and_b64 s[10:11], s[6:7], s[18:19]
	v_ashrrev_i32_e32 v69, 31, v68
	;; [unrolled: 29-line block ×7, first 2 shown]
	s_and_saveexec_b64 s[18:19], s[26:27]
	s_cbranch_execz .LBB18_98
; %bb.94:
	s_and_b64 vcc, exec, s[0:1]
	s_cbranch_vccnz .LBB18_96
; %bb.95:
	v_lshl_add_u64 v[82:83], v[78:79], 2, v[82:83]
	flat_load_dword v82, v[82:83]
	s_waitcnt vmcnt(0) lgkmcnt(0)
	v_mul_f32_e32 v82, s33, v82
	s_branch .LBB18_97
.LBB18_96:
	v_mov_b32_e32 v82, 0
.LBB18_97:
	v_pk_add_f32 v[60:61], v[0:1], v[60:61]
	s_nop 0
	v_min3_f32 v83, v60, v61, v141
	v_pk_add_f32 v[60:61], v[2:3], v[62:63]
	s_nop 0
	v_min_f32_e32 v60, v60, v61
	v_min3_f32 v62, v82, v60, v83
	v_lshl_add_u64 v[60:61], v[78:79], 2, v[80:81]
	flat_store_dword v[60:61], v62
.LBB18_98:
	s_or_b64 exec, exec, s[18:19]
	v_add_u32_e32 v80, 32, v124
	v_mad_i64_i32 v[60:61], s[26:27], v80, s29, 0
	v_cmp_gt_i32_e64 s[18:19], s21, v80
	v_lshl_add_u64 v[62:63], v[60:61], 2, s[24:25]
	v_mad_i64_i32 v[60:61], s[26:27], v80, s28, 0
	v_lshl_add_u64 v[60:61], v[60:61], 2, s[22:23]
	s_and_b64 s[30:31], s[2:3], s[18:19]
	s_and_saveexec_b64 s[26:27], s[30:31]
	s_cbranch_execnz .LBB18_106
; %bb.99:
	s_or_b64 exec, exec, s[26:27]
	s_and_b64 s[30:31], s[4:5], s[18:19]
	s_and_saveexec_b64 s[26:27], s[30:31]
	s_cbranch_execnz .LBB18_110
.LBB18_100:
	s_or_b64 exec, exec, s[26:27]
	s_and_b64 s[30:31], s[6:7], s[18:19]
	s_and_saveexec_b64 s[26:27], s[30:31]
	s_cbranch_execnz .LBB18_114
.LBB18_101:
	s_or_b64 exec, exec, s[26:27]
	s_and_b64 s[30:31], s[8:9], s[18:19]
	s_and_saveexec_b64 s[26:27], s[30:31]
	s_cbranch_execnz .LBB18_118
.LBB18_102:
	s_or_b64 exec, exec, s[26:27]
	s_and_b64 s[30:31], s[10:11], s[18:19]
	s_and_saveexec_b64 s[26:27], s[30:31]
	s_cbranch_execnz .LBB18_122
.LBB18_103:
	s_or_b64 exec, exec, s[26:27]
	s_and_b64 s[30:31], s[12:13], s[18:19]
	s_and_saveexec_b64 s[26:27], s[30:31]
	s_cbranch_execnz .LBB18_126
.LBB18_104:
	s_or_b64 exec, exec, s[26:27]
	s_and_b64 s[30:31], s[14:15], s[18:19]
	s_and_saveexec_b64 s[26:27], s[30:31]
	s_cbranch_execnz .LBB18_130
.LBB18_105:
	s_or_b64 exec, exec, s[26:27]
	s_and_b64 s[26:27], s[16:17], s[18:19]
	s_and_saveexec_b64 s[18:19], s[26:27]
	s_cbranch_execnz .LBB18_134
	s_branch .LBB18_138
.LBB18_106:
	s_and_b64 vcc, exec, s[0:1]
	s_cbranch_vccnz .LBB18_108
; %bb.107:
	v_lshl_add_u64 v[80:81], v[64:65], 2, v[62:63]
	flat_load_dword v80, v[80:81]
	s_waitcnt vmcnt(0) lgkmcnt(0)
	v_mul_f32_e32 v80, s33, v80
	s_branch .LBB18_109
.LBB18_108:
	v_mov_b32_e32 v80, 0
.LBB18_109:
	v_pk_add_f32 v[82:83], v[32:33], v[56:57]
	s_nop 0
	v_min3_f32 v81, v82, v83, v140
	v_pk_add_f32 v[82:83], v[34:35], v[58:59]
	s_nop 0
	v_min_f32_e32 v82, v82, v83
	v_min3_f32 v82, v80, v82, v81
	v_lshl_add_u64 v[80:81], v[64:65], 2, v[60:61]
	flat_store_dword v[80:81], v82
	s_or_b64 exec, exec, s[26:27]
	s_and_b64 s[30:31], s[4:5], s[18:19]
	s_and_saveexec_b64 s[26:27], s[30:31]
	s_cbranch_execz .LBB18_100
.LBB18_110:
	s_and_b64 vcc, exec, s[0:1]
	s_cbranch_vccnz .LBB18_112
; %bb.111:
	v_lshl_add_u64 v[80:81], v[66:67], 2, v[62:63]
	flat_load_dword v80, v[80:81]
	s_waitcnt vmcnt(0) lgkmcnt(0)
	v_mul_f32_e32 v80, s33, v80
	s_branch .LBB18_113
.LBB18_112:
	v_mov_b32_e32 v80, 0
.LBB18_113:
	v_pk_add_f32 v[82:83], v[28:29], v[56:57]
	s_nop 0
	v_min3_f32 v81, v82, v83, v139
	v_pk_add_f32 v[82:83], v[30:31], v[58:59]
	s_nop 0
	v_min_f32_e32 v82, v82, v83
	v_min3_f32 v82, v80, v82, v81
	v_lshl_add_u64 v[80:81], v[66:67], 2, v[60:61]
	flat_store_dword v[80:81], v82
	s_or_b64 exec, exec, s[26:27]
	s_and_b64 s[30:31], s[6:7], s[18:19]
	s_and_saveexec_b64 s[26:27], s[30:31]
	s_cbranch_execz .LBB18_101
.LBB18_114:
	s_and_b64 vcc, exec, s[0:1]
	s_cbranch_vccnz .LBB18_116
; %bb.115:
	v_lshl_add_u64 v[80:81], v[68:69], 2, v[62:63]
	flat_load_dword v80, v[80:81]
	s_waitcnt vmcnt(0) lgkmcnt(0)
	v_mul_f32_e32 v80, s33, v80
	s_branch .LBB18_117
.LBB18_116:
	v_mov_b32_e32 v80, 0
.LBB18_117:
	v_pk_add_f32 v[82:83], v[24:25], v[56:57]
	s_nop 0
	v_min3_f32 v81, v82, v83, v138
	v_pk_add_f32 v[82:83], v[26:27], v[58:59]
	s_nop 0
	v_min_f32_e32 v82, v82, v83
	v_min3_f32 v82, v80, v82, v81
	v_lshl_add_u64 v[80:81], v[68:69], 2, v[60:61]
	flat_store_dword v[80:81], v82
	s_or_b64 exec, exec, s[26:27]
	s_and_b64 s[30:31], s[8:9], s[18:19]
	s_and_saveexec_b64 s[26:27], s[30:31]
	s_cbranch_execz .LBB18_102
.LBB18_118:
	s_and_b64 vcc, exec, s[0:1]
	s_cbranch_vccnz .LBB18_120
; %bb.119:
	v_lshl_add_u64 v[80:81], v[70:71], 2, v[62:63]
	flat_load_dword v80, v[80:81]
	s_waitcnt vmcnt(0) lgkmcnt(0)
	v_mul_f32_e32 v80, s33, v80
	s_branch .LBB18_121
.LBB18_120:
	v_mov_b32_e32 v80, 0
.LBB18_121:
	v_pk_add_f32 v[82:83], v[20:21], v[56:57]
	s_nop 0
	v_min3_f32 v81, v82, v83, v137
	v_pk_add_f32 v[82:83], v[22:23], v[58:59]
	s_nop 0
	v_min_f32_e32 v82, v82, v83
	v_min3_f32 v82, v80, v82, v81
	v_lshl_add_u64 v[80:81], v[70:71], 2, v[60:61]
	flat_store_dword v[80:81], v82
	s_or_b64 exec, exec, s[26:27]
	s_and_b64 s[30:31], s[10:11], s[18:19]
	s_and_saveexec_b64 s[26:27], s[30:31]
	s_cbranch_execz .LBB18_103
.LBB18_122:
	s_and_b64 vcc, exec, s[0:1]
	s_cbranch_vccnz .LBB18_124
; %bb.123:
	v_lshl_add_u64 v[80:81], v[72:73], 2, v[62:63]
	flat_load_dword v80, v[80:81]
	s_waitcnt vmcnt(0) lgkmcnt(0)
	v_mul_f32_e32 v80, s33, v80
	s_branch .LBB18_125
.LBB18_124:
	v_mov_b32_e32 v80, 0
.LBB18_125:
	v_pk_add_f32 v[82:83], v[16:17], v[56:57]
	s_nop 0
	v_min3_f32 v81, v82, v83, v136
	v_pk_add_f32 v[82:83], v[18:19], v[58:59]
	s_nop 0
	v_min_f32_e32 v82, v82, v83
	v_min3_f32 v82, v80, v82, v81
	v_lshl_add_u64 v[80:81], v[72:73], 2, v[60:61]
	flat_store_dword v[80:81], v82
	s_or_b64 exec, exec, s[26:27]
	s_and_b64 s[30:31], s[12:13], s[18:19]
	s_and_saveexec_b64 s[26:27], s[30:31]
	s_cbranch_execz .LBB18_104
.LBB18_126:
	s_and_b64 vcc, exec, s[0:1]
	s_cbranch_vccnz .LBB18_128
; %bb.127:
	v_lshl_add_u64 v[80:81], v[74:75], 2, v[62:63]
	flat_load_dword v80, v[80:81]
	s_waitcnt vmcnt(0) lgkmcnt(0)
	v_mul_f32_e32 v80, s33, v80
	s_branch .LBB18_129
.LBB18_128:
	v_mov_b32_e32 v80, 0
.LBB18_129:
	v_pk_add_f32 v[82:83], v[12:13], v[56:57]
	s_nop 0
	v_min3_f32 v81, v82, v83, v134
	v_pk_add_f32 v[82:83], v[14:15], v[58:59]
	s_nop 0
	v_min_f32_e32 v82, v82, v83
	v_min3_f32 v82, v80, v82, v81
	v_lshl_add_u64 v[80:81], v[74:75], 2, v[60:61]
	flat_store_dword v[80:81], v82
	s_or_b64 exec, exec, s[26:27]
	s_and_b64 s[30:31], s[14:15], s[18:19]
	s_and_saveexec_b64 s[26:27], s[30:31]
	s_cbranch_execz .LBB18_105
.LBB18_130:
	s_and_b64 vcc, exec, s[0:1]
	s_cbranch_vccnz .LBB18_132
; %bb.131:
	v_lshl_add_u64 v[80:81], v[76:77], 2, v[62:63]
	flat_load_dword v80, v[80:81]
	s_waitcnt vmcnt(0) lgkmcnt(0)
	v_mul_f32_e32 v80, s33, v80
	s_branch .LBB18_133
.LBB18_132:
	v_mov_b32_e32 v80, 0
.LBB18_133:
	v_pk_add_f32 v[82:83], v[8:9], v[56:57]
	s_nop 0
	v_min3_f32 v81, v82, v83, v132
	v_pk_add_f32 v[82:83], v[10:11], v[58:59]
	s_nop 0
	v_min_f32_e32 v82, v82, v83
	v_min3_f32 v82, v80, v82, v81
	v_lshl_add_u64 v[80:81], v[76:77], 2, v[60:61]
	flat_store_dword v[80:81], v82
	s_or_b64 exec, exec, s[26:27]
	s_and_b64 s[26:27], s[16:17], s[18:19]
	s_and_saveexec_b64 s[18:19], s[26:27]
	s_cbranch_execz .LBB18_138
.LBB18_134:
	s_and_b64 vcc, exec, s[0:1]
	s_cbranch_vccnz .LBB18_136
; %bb.135:
	v_lshl_add_u64 v[62:63], v[78:79], 2, v[62:63]
	flat_load_dword v62, v[62:63]
	s_waitcnt vmcnt(0) lgkmcnt(0)
	v_mul_f32_e32 v62, s33, v62
	s_branch .LBB18_137
.LBB18_136:
	v_mov_b32_e32 v62, 0
.LBB18_137:
	v_pk_add_f32 v[56:57], v[0:1], v[56:57]
	s_nop 0
	v_min3_f32 v63, v56, v57, v135
	v_pk_add_f32 v[56:57], v[2:3], v[58:59]
	s_nop 0
	v_min_f32_e32 v56, v56, v57
	v_min3_f32 v58, v62, v56, v63
	v_lshl_add_u64 v[56:57], v[78:79], 2, v[60:61]
	flat_store_dword v[56:57], v58
.LBB18_138:
	s_or_b64 exec, exec, s[18:19]
	v_add_u32_e32 v60, 64, v124
	v_mad_i64_i32 v[56:57], s[26:27], v60, s29, 0
	v_cmp_gt_i32_e64 s[18:19], s21, v60
	v_lshl_add_u64 v[58:59], v[56:57], 2, s[24:25]
	v_mad_i64_i32 v[56:57], s[26:27], v60, s28, 0
	v_lshl_add_u64 v[56:57], v[56:57], 2, s[22:23]
	s_and_b64 s[30:31], s[2:3], s[18:19]
	s_and_saveexec_b64 s[26:27], s[30:31]
	s_cbranch_execnz .LBB18_146
; %bb.139:
	s_or_b64 exec, exec, s[26:27]
	s_and_b64 s[30:31], s[4:5], s[18:19]
	s_and_saveexec_b64 s[26:27], s[30:31]
	s_cbranch_execnz .LBB18_150
.LBB18_140:
	s_or_b64 exec, exec, s[26:27]
	s_and_b64 s[30:31], s[6:7], s[18:19]
	s_and_saveexec_b64 s[26:27], s[30:31]
	s_cbranch_execnz .LBB18_154
.LBB18_141:
	s_or_b64 exec, exec, s[26:27]
	s_and_b64 s[30:31], s[8:9], s[18:19]
	s_and_saveexec_b64 s[26:27], s[30:31]
	s_cbranch_execnz .LBB18_158
.LBB18_142:
	s_or_b64 exec, exec, s[26:27]
	s_and_b64 s[30:31], s[10:11], s[18:19]
	s_and_saveexec_b64 s[26:27], s[30:31]
	s_cbranch_execnz .LBB18_162
.LBB18_143:
	s_or_b64 exec, exec, s[26:27]
	s_and_b64 s[30:31], s[12:13], s[18:19]
	s_and_saveexec_b64 s[26:27], s[30:31]
	s_cbranch_execnz .LBB18_166
.LBB18_144:
	s_or_b64 exec, exec, s[26:27]
	s_and_b64 s[30:31], s[14:15], s[18:19]
	s_and_saveexec_b64 s[26:27], s[30:31]
	s_cbranch_execnz .LBB18_170
.LBB18_145:
	s_or_b64 exec, exec, s[26:27]
	s_and_b64 s[26:27], s[16:17], s[18:19]
	s_and_saveexec_b64 s[18:19], s[26:27]
	s_cbranch_execnz .LBB18_174
	s_branch .LBB18_178
.LBB18_146:
	s_and_b64 vcc, exec, s[0:1]
	s_cbranch_vccnz .LBB18_148
; %bb.147:
	v_lshl_add_u64 v[60:61], v[64:65], 2, v[58:59]
	flat_load_dword v60, v[60:61]
	s_waitcnt vmcnt(0) lgkmcnt(0)
	v_mul_f32_e32 v60, s33, v60
	s_branch .LBB18_149
.LBB18_148:
	v_mov_b32_e32 v60, 0
.LBB18_149:
	v_pk_add_f32 v[62:63], v[32:33], v[52:53]
	s_nop 0
	v_min3_f32 v61, v62, v63, v133
	v_pk_add_f32 v[62:63], v[34:35], v[54:55]
	s_nop 0
	v_min_f32_e32 v62, v62, v63
	v_min3_f32 v62, v60, v62, v61
	v_lshl_add_u64 v[60:61], v[64:65], 2, v[56:57]
	flat_store_dword v[60:61], v62
	s_or_b64 exec, exec, s[26:27]
	s_and_b64 s[30:31], s[4:5], s[18:19]
	s_and_saveexec_b64 s[26:27], s[30:31]
	s_cbranch_execz .LBB18_140
.LBB18_150:
	s_and_b64 vcc, exec, s[0:1]
	s_cbranch_vccnz .LBB18_152
; %bb.151:
	v_lshl_add_u64 v[60:61], v[66:67], 2, v[58:59]
	flat_load_dword v60, v[60:61]
	s_waitcnt vmcnt(0) lgkmcnt(0)
	v_mul_f32_e32 v60, s33, v60
	s_branch .LBB18_153
.LBB18_152:
	v_mov_b32_e32 v60, 0
.LBB18_153:
	v_pk_add_f32 v[62:63], v[28:29], v[52:53]
	s_nop 0
	v_min3_f32 v61, v62, v63, v131
	v_pk_add_f32 v[62:63], v[30:31], v[54:55]
	s_nop 0
	v_min_f32_e32 v62, v62, v63
	v_min3_f32 v62, v60, v62, v61
	v_lshl_add_u64 v[60:61], v[66:67], 2, v[56:57]
	flat_store_dword v[60:61], v62
	s_or_b64 exec, exec, s[26:27]
	s_and_b64 s[30:31], s[6:7], s[18:19]
	s_and_saveexec_b64 s[26:27], s[30:31]
	s_cbranch_execz .LBB18_141
.LBB18_154:
	s_and_b64 vcc, exec, s[0:1]
	s_cbranch_vccnz .LBB18_156
; %bb.155:
	v_lshl_add_u64 v[60:61], v[68:69], 2, v[58:59]
	flat_load_dword v60, v[60:61]
	s_waitcnt vmcnt(0) lgkmcnt(0)
	v_mul_f32_e32 v60, s33, v60
	s_branch .LBB18_157
.LBB18_156:
	v_mov_b32_e32 v60, 0
.LBB18_157:
	v_pk_add_f32 v[62:63], v[24:25], v[52:53]
	s_nop 0
	v_min3_f32 v61, v62, v63, v130
	v_pk_add_f32 v[62:63], v[26:27], v[54:55]
	s_nop 0
	v_min_f32_e32 v62, v62, v63
	v_min3_f32 v62, v60, v62, v61
	v_lshl_add_u64 v[60:61], v[68:69], 2, v[56:57]
	flat_store_dword v[60:61], v62
	s_or_b64 exec, exec, s[26:27]
	s_and_b64 s[30:31], s[8:9], s[18:19]
	s_and_saveexec_b64 s[26:27], s[30:31]
	s_cbranch_execz .LBB18_142
.LBB18_158:
	s_and_b64 vcc, exec, s[0:1]
	s_cbranch_vccnz .LBB18_160
; %bb.159:
	v_lshl_add_u64 v[60:61], v[70:71], 2, v[58:59]
	flat_load_dword v60, v[60:61]
	s_waitcnt vmcnt(0) lgkmcnt(0)
	v_mul_f32_e32 v60, s33, v60
	s_branch .LBB18_161
.LBB18_160:
	v_mov_b32_e32 v60, 0
.LBB18_161:
	v_pk_add_f32 v[62:63], v[20:21], v[52:53]
	s_nop 0
	v_min3_f32 v61, v62, v63, v129
	v_pk_add_f32 v[62:63], v[22:23], v[54:55]
	s_nop 0
	v_min_f32_e32 v62, v62, v63
	v_min3_f32 v62, v60, v62, v61
	v_lshl_add_u64 v[60:61], v[70:71], 2, v[56:57]
	flat_store_dword v[60:61], v62
	s_or_b64 exec, exec, s[26:27]
	s_and_b64 s[30:31], s[10:11], s[18:19]
	s_and_saveexec_b64 s[26:27], s[30:31]
	s_cbranch_execz .LBB18_143
.LBB18_162:
	s_and_b64 vcc, exec, s[0:1]
	s_cbranch_vccnz .LBB18_164
; %bb.163:
	v_lshl_add_u64 v[60:61], v[72:73], 2, v[58:59]
	flat_load_dword v60, v[60:61]
	s_waitcnt vmcnt(0) lgkmcnt(0)
	v_mul_f32_e32 v60, s33, v60
	s_branch .LBB18_165
.LBB18_164:
	v_mov_b32_e32 v60, 0
.LBB18_165:
	v_pk_add_f32 v[62:63], v[16:17], v[52:53]
	s_nop 0
	v_min3_f32 v61, v62, v63, v128
	v_pk_add_f32 v[62:63], v[18:19], v[54:55]
	s_nop 0
	v_min_f32_e32 v62, v62, v63
	v_min3_f32 v62, v60, v62, v61
	v_lshl_add_u64 v[60:61], v[72:73], 2, v[56:57]
	flat_store_dword v[60:61], v62
	s_or_b64 exec, exec, s[26:27]
	s_and_b64 s[30:31], s[12:13], s[18:19]
	s_and_saveexec_b64 s[26:27], s[30:31]
	s_cbranch_execz .LBB18_144
.LBB18_166:
	s_and_b64 vcc, exec, s[0:1]
	s_cbranch_vccnz .LBB18_168
; %bb.167:
	v_lshl_add_u64 v[60:61], v[74:75], 2, v[58:59]
	flat_load_dword v60, v[60:61]
	s_waitcnt vmcnt(0) lgkmcnt(0)
	v_mul_f32_e32 v60, s33, v60
	s_branch .LBB18_169
.LBB18_168:
	v_mov_b32_e32 v60, 0
.LBB18_169:
	v_pk_add_f32 v[62:63], v[12:13], v[52:53]
	s_nop 0
	v_min3_f32 v61, v62, v63, v127
	v_pk_add_f32 v[62:63], v[14:15], v[54:55]
	s_nop 0
	v_min_f32_e32 v62, v62, v63
	v_min3_f32 v62, v60, v62, v61
	v_lshl_add_u64 v[60:61], v[74:75], 2, v[56:57]
	flat_store_dword v[60:61], v62
	s_or_b64 exec, exec, s[26:27]
	s_and_b64 s[30:31], s[14:15], s[18:19]
	s_and_saveexec_b64 s[26:27], s[30:31]
	s_cbranch_execz .LBB18_145
.LBB18_170:
	s_and_b64 vcc, exec, s[0:1]
	s_cbranch_vccnz .LBB18_172
; %bb.171:
	v_lshl_add_u64 v[60:61], v[76:77], 2, v[58:59]
	flat_load_dword v60, v[60:61]
	s_waitcnt vmcnt(0) lgkmcnt(0)
	v_mul_f32_e32 v60, s33, v60
	s_branch .LBB18_173
.LBB18_172:
	v_mov_b32_e32 v60, 0
.LBB18_173:
	v_pk_add_f32 v[62:63], v[8:9], v[52:53]
	s_nop 0
	v_min3_f32 v61, v62, v63, v126
	v_pk_add_f32 v[62:63], v[10:11], v[54:55]
	s_nop 0
	v_min_f32_e32 v62, v62, v63
	v_min3_f32 v62, v60, v62, v61
	v_lshl_add_u64 v[60:61], v[76:77], 2, v[56:57]
	flat_store_dword v[60:61], v62
	s_or_b64 exec, exec, s[26:27]
	s_and_b64 s[26:27], s[16:17], s[18:19]
	s_and_saveexec_b64 s[18:19], s[26:27]
	s_cbranch_execz .LBB18_178
.LBB18_174:
	s_and_b64 vcc, exec, s[0:1]
	s_cbranch_vccnz .LBB18_176
; %bb.175:
	v_lshl_add_u64 v[58:59], v[78:79], 2, v[58:59]
	flat_load_dword v58, v[58:59]
	s_waitcnt vmcnt(0) lgkmcnt(0)
	v_mul_f32_e32 v58, s33, v58
	s_branch .LBB18_177
.LBB18_176:
	v_mov_b32_e32 v58, 0
.LBB18_177:
	v_pk_add_f32 v[52:53], v[0:1], v[52:53]
	s_nop 0
	v_min3_f32 v59, v52, v53, v125
	v_pk_add_f32 v[52:53], v[2:3], v[54:55]
	s_nop 0
	v_min_f32_e32 v52, v52, v53
	v_min3_f32 v54, v58, v52, v59
	v_lshl_add_u64 v[52:53], v[78:79], 2, v[56:57]
	flat_store_dword v[52:53], v54
.LBB18_178:
	s_or_b64 exec, exec, s[18:19]
	v_add_u32_e32 v56, 0x60, v124
	v_mad_i64_i32 v[52:53], s[26:27], v56, s29, 0
	v_cmp_gt_i32_e64 s[18:19], s21, v56
	v_lshl_add_u64 v[54:55], v[52:53], 2, s[24:25]
	v_mad_i64_i32 v[52:53], s[26:27], v56, s28, 0
	v_lshl_add_u64 v[52:53], v[52:53], 2, s[22:23]
	s_and_b64 s[30:31], s[2:3], s[18:19]
	s_and_saveexec_b64 s[26:27], s[30:31]
	s_cbranch_execnz .LBB18_186
; %bb.179:
	s_or_b64 exec, exec, s[26:27]
	s_and_b64 s[30:31], s[4:5], s[18:19]
	s_and_saveexec_b64 s[26:27], s[30:31]
	s_cbranch_execnz .LBB18_190
.LBB18_180:
	s_or_b64 exec, exec, s[26:27]
	s_and_b64 s[30:31], s[6:7], s[18:19]
	s_and_saveexec_b64 s[26:27], s[30:31]
	s_cbranch_execnz .LBB18_194
.LBB18_181:
	s_or_b64 exec, exec, s[26:27]
	s_and_b64 s[30:31], s[8:9], s[18:19]
	s_and_saveexec_b64 s[26:27], s[30:31]
	s_cbranch_execnz .LBB18_198
.LBB18_182:
	s_or_b64 exec, exec, s[26:27]
	s_and_b64 s[30:31], s[10:11], s[18:19]
	s_and_saveexec_b64 s[26:27], s[30:31]
	s_cbranch_execnz .LBB18_202
.LBB18_183:
	s_or_b64 exec, exec, s[26:27]
	s_and_b64 s[30:31], s[12:13], s[18:19]
	s_and_saveexec_b64 s[26:27], s[30:31]
	s_cbranch_execnz .LBB18_206
.LBB18_184:
	s_or_b64 exec, exec, s[26:27]
	s_and_b64 s[30:31], s[14:15], s[18:19]
	s_and_saveexec_b64 s[26:27], s[30:31]
	s_cbranch_execnz .LBB18_210
.LBB18_185:
	s_or_b64 exec, exec, s[26:27]
	s_and_b64 s[26:27], s[16:17], s[18:19]
	s_and_saveexec_b64 s[18:19], s[26:27]
	s_cbranch_execnz .LBB18_214
	s_branch .LBB18_218
.LBB18_186:
	s_and_b64 vcc, exec, s[0:1]
	s_cbranch_vccnz .LBB18_188
; %bb.187:
	v_lshl_add_u64 v[56:57], v[64:65], 2, v[54:55]
	flat_load_dword v56, v[56:57]
	s_waitcnt vmcnt(0) lgkmcnt(0)
	v_mul_f32_e32 v56, s33, v56
	s_branch .LBB18_189
.LBB18_188:
	v_mov_b32_e32 v56, 0
.LBB18_189:
	v_pk_add_f32 v[58:59], v[32:33], v[48:49]
	s_nop 0
	v_min3_f32 v57, v58, v59, v123
	v_pk_add_f32 v[58:59], v[34:35], v[50:51]
	s_nop 0
	v_min_f32_e32 v58, v58, v59
	v_min3_f32 v58, v56, v58, v57
	v_lshl_add_u64 v[56:57], v[64:65], 2, v[52:53]
	flat_store_dword v[56:57], v58
	s_or_b64 exec, exec, s[26:27]
	s_and_b64 s[30:31], s[4:5], s[18:19]
	s_and_saveexec_b64 s[26:27], s[30:31]
	s_cbranch_execz .LBB18_180
.LBB18_190:
	s_and_b64 vcc, exec, s[0:1]
	s_cbranch_vccnz .LBB18_192
; %bb.191:
	v_lshl_add_u64 v[56:57], v[66:67], 2, v[54:55]
	flat_load_dword v56, v[56:57]
	s_waitcnt vmcnt(0) lgkmcnt(0)
	v_mul_f32_e32 v56, s33, v56
	s_branch .LBB18_193
.LBB18_192:
	v_mov_b32_e32 v56, 0
.LBB18_193:
	v_pk_add_f32 v[58:59], v[28:29], v[48:49]
	s_nop 0
	v_min3_f32 v57, v58, v59, v122
	v_pk_add_f32 v[58:59], v[30:31], v[50:51]
	s_nop 0
	v_min_f32_e32 v58, v58, v59
	v_min3_f32 v58, v56, v58, v57
	v_lshl_add_u64 v[56:57], v[66:67], 2, v[52:53]
	flat_store_dword v[56:57], v58
	s_or_b64 exec, exec, s[26:27]
	s_and_b64 s[30:31], s[6:7], s[18:19]
	s_and_saveexec_b64 s[26:27], s[30:31]
	s_cbranch_execz .LBB18_181
.LBB18_194:
	s_and_b64 vcc, exec, s[0:1]
	s_cbranch_vccnz .LBB18_196
; %bb.195:
	v_lshl_add_u64 v[56:57], v[68:69], 2, v[54:55]
	flat_load_dword v56, v[56:57]
	s_waitcnt vmcnt(0) lgkmcnt(0)
	v_mul_f32_e32 v56, s33, v56
	s_branch .LBB18_197
.LBB18_196:
	v_mov_b32_e32 v56, 0
.LBB18_197:
	v_pk_add_f32 v[58:59], v[24:25], v[48:49]
	s_nop 0
	v_min3_f32 v57, v58, v59, v121
	v_pk_add_f32 v[58:59], v[26:27], v[50:51]
	s_nop 0
	v_min_f32_e32 v58, v58, v59
	v_min3_f32 v58, v56, v58, v57
	v_lshl_add_u64 v[56:57], v[68:69], 2, v[52:53]
	flat_store_dword v[56:57], v58
	s_or_b64 exec, exec, s[26:27]
	s_and_b64 s[30:31], s[8:9], s[18:19]
	s_and_saveexec_b64 s[26:27], s[30:31]
	s_cbranch_execz .LBB18_182
.LBB18_198:
	s_and_b64 vcc, exec, s[0:1]
	s_cbranch_vccnz .LBB18_200
; %bb.199:
	v_lshl_add_u64 v[56:57], v[70:71], 2, v[54:55]
	flat_load_dword v56, v[56:57]
	s_waitcnt vmcnt(0) lgkmcnt(0)
	v_mul_f32_e32 v56, s33, v56
	s_branch .LBB18_201
.LBB18_200:
	v_mov_b32_e32 v56, 0
.LBB18_201:
	v_pk_add_f32 v[58:59], v[20:21], v[48:49]
	s_nop 0
	v_min3_f32 v57, v58, v59, v120
	v_pk_add_f32 v[58:59], v[22:23], v[50:51]
	s_nop 0
	v_min_f32_e32 v58, v58, v59
	v_min3_f32 v58, v56, v58, v57
	v_lshl_add_u64 v[56:57], v[70:71], 2, v[52:53]
	flat_store_dword v[56:57], v58
	s_or_b64 exec, exec, s[26:27]
	s_and_b64 s[30:31], s[10:11], s[18:19]
	s_and_saveexec_b64 s[26:27], s[30:31]
	s_cbranch_execz .LBB18_183
.LBB18_202:
	s_and_b64 vcc, exec, s[0:1]
	s_cbranch_vccnz .LBB18_204
; %bb.203:
	v_lshl_add_u64 v[56:57], v[72:73], 2, v[54:55]
	flat_load_dword v56, v[56:57]
	s_waitcnt vmcnt(0) lgkmcnt(0)
	v_mul_f32_e32 v56, s33, v56
	s_branch .LBB18_205
.LBB18_204:
	v_mov_b32_e32 v56, 0
.LBB18_205:
	v_pk_add_f32 v[58:59], v[16:17], v[48:49]
	s_nop 0
	v_min3_f32 v57, v58, v59, v119
	v_pk_add_f32 v[58:59], v[18:19], v[50:51]
	s_nop 0
	v_min_f32_e32 v58, v58, v59
	v_min3_f32 v58, v56, v58, v57
	v_lshl_add_u64 v[56:57], v[72:73], 2, v[52:53]
	flat_store_dword v[56:57], v58
	s_or_b64 exec, exec, s[26:27]
	s_and_b64 s[30:31], s[12:13], s[18:19]
	s_and_saveexec_b64 s[26:27], s[30:31]
	s_cbranch_execz .LBB18_184
.LBB18_206:
	s_and_b64 vcc, exec, s[0:1]
	s_cbranch_vccnz .LBB18_208
; %bb.207:
	v_lshl_add_u64 v[56:57], v[74:75], 2, v[54:55]
	flat_load_dword v56, v[56:57]
	s_waitcnt vmcnt(0) lgkmcnt(0)
	v_mul_f32_e32 v56, s33, v56
	s_branch .LBB18_209
.LBB18_208:
	v_mov_b32_e32 v56, 0
.LBB18_209:
	v_pk_add_f32 v[58:59], v[12:13], v[48:49]
	s_nop 0
	v_min3_f32 v57, v58, v59, v118
	v_pk_add_f32 v[58:59], v[14:15], v[50:51]
	s_nop 0
	v_min_f32_e32 v58, v58, v59
	v_min3_f32 v58, v56, v58, v57
	v_lshl_add_u64 v[56:57], v[74:75], 2, v[52:53]
	flat_store_dword v[56:57], v58
	s_or_b64 exec, exec, s[26:27]
	s_and_b64 s[30:31], s[14:15], s[18:19]
	s_and_saveexec_b64 s[26:27], s[30:31]
	s_cbranch_execz .LBB18_185
.LBB18_210:
	s_and_b64 vcc, exec, s[0:1]
	s_cbranch_vccnz .LBB18_212
; %bb.211:
	v_lshl_add_u64 v[56:57], v[76:77], 2, v[54:55]
	flat_load_dword v56, v[56:57]
	s_waitcnt vmcnt(0) lgkmcnt(0)
	v_mul_f32_e32 v56, s33, v56
	s_branch .LBB18_213
.LBB18_212:
	v_mov_b32_e32 v56, 0
.LBB18_213:
	v_pk_add_f32 v[58:59], v[8:9], v[48:49]
	s_nop 0
	v_min3_f32 v57, v58, v59, v117
	v_pk_add_f32 v[58:59], v[10:11], v[50:51]
	s_nop 0
	v_min_f32_e32 v58, v58, v59
	v_min3_f32 v58, v56, v58, v57
	v_lshl_add_u64 v[56:57], v[76:77], 2, v[52:53]
	flat_store_dword v[56:57], v58
	s_or_b64 exec, exec, s[26:27]
	s_and_b64 s[26:27], s[16:17], s[18:19]
	s_and_saveexec_b64 s[18:19], s[26:27]
	s_cbranch_execz .LBB18_218
.LBB18_214:
	s_and_b64 vcc, exec, s[0:1]
	s_cbranch_vccnz .LBB18_216
; %bb.215:
	v_lshl_add_u64 v[54:55], v[78:79], 2, v[54:55]
	flat_load_dword v54, v[54:55]
	s_waitcnt vmcnt(0) lgkmcnt(0)
	v_mul_f32_e32 v54, s33, v54
	s_branch .LBB18_217
.LBB18_216:
	v_mov_b32_e32 v54, 0
.LBB18_217:
	v_pk_add_f32 v[48:49], v[0:1], v[48:49]
	s_nop 0
	v_min3_f32 v55, v48, v49, v116
	v_pk_add_f32 v[48:49], v[2:3], v[50:51]
	s_nop 0
	v_min_f32_e32 v48, v48, v49
	v_min3_f32 v50, v54, v48, v55
	v_lshl_add_u64 v[48:49], v[78:79], 2, v[52:53]
	flat_store_dword v[48:49], v50
.LBB18_218:
	s_or_b64 exec, exec, s[18:19]
	v_add_u32_e32 v52, 0x80, v124
	v_mad_i64_i32 v[48:49], s[26:27], v52, s29, 0
	v_cmp_gt_i32_e64 s[18:19], s21, v52
	v_lshl_add_u64 v[50:51], v[48:49], 2, s[24:25]
	v_mad_i64_i32 v[48:49], s[26:27], v52, s28, 0
	v_lshl_add_u64 v[48:49], v[48:49], 2, s[22:23]
	s_and_b64 s[30:31], s[2:3], s[18:19]
	s_and_saveexec_b64 s[26:27], s[30:31]
	s_cbranch_execnz .LBB18_226
; %bb.219:
	s_or_b64 exec, exec, s[26:27]
	s_and_b64 s[30:31], s[4:5], s[18:19]
	s_and_saveexec_b64 s[26:27], s[30:31]
	s_cbranch_execnz .LBB18_230
.LBB18_220:
	s_or_b64 exec, exec, s[26:27]
	s_and_b64 s[30:31], s[6:7], s[18:19]
	s_and_saveexec_b64 s[26:27], s[30:31]
	s_cbranch_execnz .LBB18_234
.LBB18_221:
	s_or_b64 exec, exec, s[26:27]
	s_and_b64 s[30:31], s[8:9], s[18:19]
	s_and_saveexec_b64 s[26:27], s[30:31]
	s_cbranch_execnz .LBB18_238
.LBB18_222:
	s_or_b64 exec, exec, s[26:27]
	s_and_b64 s[30:31], s[10:11], s[18:19]
	s_and_saveexec_b64 s[26:27], s[30:31]
	s_cbranch_execnz .LBB18_242
.LBB18_223:
	s_or_b64 exec, exec, s[26:27]
	s_and_b64 s[30:31], s[12:13], s[18:19]
	s_and_saveexec_b64 s[26:27], s[30:31]
	s_cbranch_execnz .LBB18_246
.LBB18_224:
	s_or_b64 exec, exec, s[26:27]
	s_and_b64 s[30:31], s[14:15], s[18:19]
	s_and_saveexec_b64 s[26:27], s[30:31]
	s_cbranch_execnz .LBB18_250
.LBB18_225:
	s_or_b64 exec, exec, s[26:27]
	s_and_b64 s[26:27], s[16:17], s[18:19]
	s_and_saveexec_b64 s[18:19], s[26:27]
	s_cbranch_execnz .LBB18_254
	s_branch .LBB18_258
.LBB18_226:
	s_and_b64 vcc, exec, s[0:1]
	s_cbranch_vccnz .LBB18_228
; %bb.227:
	v_lshl_add_u64 v[52:53], v[64:65], 2, v[50:51]
	flat_load_dword v52, v[52:53]
	s_waitcnt vmcnt(0) lgkmcnt(0)
	v_mul_f32_e32 v52, s33, v52
	s_branch .LBB18_229
.LBB18_228:
	v_mov_b32_e32 v52, 0
.LBB18_229:
	v_pk_add_f32 v[54:55], v[32:33], v[44:45]
	s_nop 0
	v_min3_f32 v53, v54, v55, v115
	v_pk_add_f32 v[54:55], v[34:35], v[46:47]
	s_nop 0
	v_min_f32_e32 v54, v54, v55
	v_min3_f32 v54, v52, v54, v53
	v_lshl_add_u64 v[52:53], v[64:65], 2, v[48:49]
	flat_store_dword v[52:53], v54
	s_or_b64 exec, exec, s[26:27]
	s_and_b64 s[30:31], s[4:5], s[18:19]
	s_and_saveexec_b64 s[26:27], s[30:31]
	s_cbranch_execz .LBB18_220
.LBB18_230:
	s_and_b64 vcc, exec, s[0:1]
	s_cbranch_vccnz .LBB18_232
; %bb.231:
	v_lshl_add_u64 v[52:53], v[66:67], 2, v[50:51]
	flat_load_dword v52, v[52:53]
	s_waitcnt vmcnt(0) lgkmcnt(0)
	v_mul_f32_e32 v52, s33, v52
	s_branch .LBB18_233
.LBB18_232:
	v_mov_b32_e32 v52, 0
.LBB18_233:
	v_pk_add_f32 v[54:55], v[28:29], v[44:45]
	s_nop 0
	v_min3_f32 v53, v54, v55, v114
	v_pk_add_f32 v[54:55], v[30:31], v[46:47]
	s_nop 0
	v_min_f32_e32 v54, v54, v55
	v_min3_f32 v54, v52, v54, v53
	v_lshl_add_u64 v[52:53], v[66:67], 2, v[48:49]
	flat_store_dword v[52:53], v54
	s_or_b64 exec, exec, s[26:27]
	s_and_b64 s[30:31], s[6:7], s[18:19]
	s_and_saveexec_b64 s[26:27], s[30:31]
	s_cbranch_execz .LBB18_221
.LBB18_234:
	s_and_b64 vcc, exec, s[0:1]
	s_cbranch_vccnz .LBB18_236
; %bb.235:
	v_lshl_add_u64 v[52:53], v[68:69], 2, v[50:51]
	flat_load_dword v52, v[52:53]
	s_waitcnt vmcnt(0) lgkmcnt(0)
	v_mul_f32_e32 v52, s33, v52
	s_branch .LBB18_237
.LBB18_236:
	v_mov_b32_e32 v52, 0
.LBB18_237:
	v_pk_add_f32 v[54:55], v[24:25], v[44:45]
	s_nop 0
	v_min3_f32 v53, v54, v55, v113
	v_pk_add_f32 v[54:55], v[26:27], v[46:47]
	s_nop 0
	v_min_f32_e32 v54, v54, v55
	v_min3_f32 v54, v52, v54, v53
	v_lshl_add_u64 v[52:53], v[68:69], 2, v[48:49]
	flat_store_dword v[52:53], v54
	s_or_b64 exec, exec, s[26:27]
	s_and_b64 s[30:31], s[8:9], s[18:19]
	s_and_saveexec_b64 s[26:27], s[30:31]
	s_cbranch_execz .LBB18_222
.LBB18_238:
	s_and_b64 vcc, exec, s[0:1]
	s_cbranch_vccnz .LBB18_240
; %bb.239:
	v_lshl_add_u64 v[52:53], v[70:71], 2, v[50:51]
	flat_load_dword v52, v[52:53]
	s_waitcnt vmcnt(0) lgkmcnt(0)
	v_mul_f32_e32 v52, s33, v52
	s_branch .LBB18_241
.LBB18_240:
	v_mov_b32_e32 v52, 0
.LBB18_241:
	v_pk_add_f32 v[54:55], v[20:21], v[44:45]
	s_nop 0
	v_min3_f32 v53, v54, v55, v112
	v_pk_add_f32 v[54:55], v[22:23], v[46:47]
	s_nop 0
	v_min_f32_e32 v54, v54, v55
	v_min3_f32 v54, v52, v54, v53
	v_lshl_add_u64 v[52:53], v[70:71], 2, v[48:49]
	flat_store_dword v[52:53], v54
	s_or_b64 exec, exec, s[26:27]
	s_and_b64 s[30:31], s[10:11], s[18:19]
	s_and_saveexec_b64 s[26:27], s[30:31]
	s_cbranch_execz .LBB18_223
.LBB18_242:
	s_and_b64 vcc, exec, s[0:1]
	s_cbranch_vccnz .LBB18_244
; %bb.243:
	v_lshl_add_u64 v[52:53], v[72:73], 2, v[50:51]
	flat_load_dword v52, v[52:53]
	s_waitcnt vmcnt(0) lgkmcnt(0)
	v_mul_f32_e32 v52, s33, v52
	s_branch .LBB18_245
.LBB18_244:
	v_mov_b32_e32 v52, 0
.LBB18_245:
	v_pk_add_f32 v[54:55], v[16:17], v[44:45]
	s_nop 0
	v_min3_f32 v53, v54, v55, v111
	v_pk_add_f32 v[54:55], v[18:19], v[46:47]
	s_nop 0
	v_min_f32_e32 v54, v54, v55
	v_min3_f32 v54, v52, v54, v53
	v_lshl_add_u64 v[52:53], v[72:73], 2, v[48:49]
	flat_store_dword v[52:53], v54
	s_or_b64 exec, exec, s[26:27]
	s_and_b64 s[30:31], s[12:13], s[18:19]
	s_and_saveexec_b64 s[26:27], s[30:31]
	s_cbranch_execz .LBB18_224
.LBB18_246:
	s_and_b64 vcc, exec, s[0:1]
	s_cbranch_vccnz .LBB18_248
; %bb.247:
	v_lshl_add_u64 v[52:53], v[74:75], 2, v[50:51]
	flat_load_dword v52, v[52:53]
	s_waitcnt vmcnt(0) lgkmcnt(0)
	v_mul_f32_e32 v52, s33, v52
	s_branch .LBB18_249
.LBB18_248:
	v_mov_b32_e32 v52, 0
.LBB18_249:
	v_pk_add_f32 v[54:55], v[12:13], v[44:45]
	s_nop 0
	v_min3_f32 v53, v54, v55, v110
	v_pk_add_f32 v[54:55], v[14:15], v[46:47]
	s_nop 0
	v_min_f32_e32 v54, v54, v55
	v_min3_f32 v54, v52, v54, v53
	v_lshl_add_u64 v[52:53], v[74:75], 2, v[48:49]
	flat_store_dword v[52:53], v54
	s_or_b64 exec, exec, s[26:27]
	s_and_b64 s[30:31], s[14:15], s[18:19]
	s_and_saveexec_b64 s[26:27], s[30:31]
	s_cbranch_execz .LBB18_225
.LBB18_250:
	s_and_b64 vcc, exec, s[0:1]
	s_cbranch_vccnz .LBB18_252
; %bb.251:
	v_lshl_add_u64 v[52:53], v[76:77], 2, v[50:51]
	flat_load_dword v52, v[52:53]
	s_waitcnt vmcnt(0) lgkmcnt(0)
	v_mul_f32_e32 v52, s33, v52
	s_branch .LBB18_253
.LBB18_252:
	v_mov_b32_e32 v52, 0
.LBB18_253:
	v_pk_add_f32 v[54:55], v[8:9], v[44:45]
	s_nop 0
	v_min3_f32 v53, v54, v55, v109
	v_pk_add_f32 v[54:55], v[10:11], v[46:47]
	s_nop 0
	v_min_f32_e32 v54, v54, v55
	v_min3_f32 v54, v52, v54, v53
	v_lshl_add_u64 v[52:53], v[76:77], 2, v[48:49]
	flat_store_dword v[52:53], v54
	s_or_b64 exec, exec, s[26:27]
	s_and_b64 s[26:27], s[16:17], s[18:19]
	s_and_saveexec_b64 s[18:19], s[26:27]
	s_cbranch_execz .LBB18_258
.LBB18_254:
	s_and_b64 vcc, exec, s[0:1]
	s_cbranch_vccnz .LBB18_256
; %bb.255:
	v_lshl_add_u64 v[50:51], v[78:79], 2, v[50:51]
	flat_load_dword v50, v[50:51]
	s_waitcnt vmcnt(0) lgkmcnt(0)
	v_mul_f32_e32 v50, s33, v50
	s_branch .LBB18_257
.LBB18_256:
	v_mov_b32_e32 v50, 0
.LBB18_257:
	v_pk_add_f32 v[44:45], v[0:1], v[44:45]
	s_nop 0
	v_min3_f32 v51, v44, v45, v108
	v_pk_add_f32 v[44:45], v[2:3], v[46:47]
	s_nop 0
	v_min_f32_e32 v44, v44, v45
	v_min3_f32 v46, v50, v44, v51
	v_lshl_add_u64 v[44:45], v[78:79], 2, v[48:49]
	flat_store_dword v[44:45], v46
.LBB18_258:
	s_or_b64 exec, exec, s[18:19]
	v_add_u32_e32 v48, 0xa0, v124
	v_mad_i64_i32 v[44:45], s[26:27], v48, s29, 0
	v_cmp_gt_i32_e64 s[18:19], s21, v48
	v_lshl_add_u64 v[46:47], v[44:45], 2, s[24:25]
	v_mad_i64_i32 v[44:45], s[26:27], v48, s28, 0
	v_lshl_add_u64 v[44:45], v[44:45], 2, s[22:23]
	s_and_b64 s[30:31], s[2:3], s[18:19]
	s_and_saveexec_b64 s[26:27], s[30:31]
	s_cbranch_execnz .LBB18_266
; %bb.259:
	s_or_b64 exec, exec, s[26:27]
	s_and_b64 s[30:31], s[4:5], s[18:19]
	s_and_saveexec_b64 s[26:27], s[30:31]
	s_cbranch_execnz .LBB18_270
.LBB18_260:
	s_or_b64 exec, exec, s[26:27]
	s_and_b64 s[30:31], s[6:7], s[18:19]
	s_and_saveexec_b64 s[26:27], s[30:31]
	s_cbranch_execnz .LBB18_274
.LBB18_261:
	s_or_b64 exec, exec, s[26:27]
	s_and_b64 s[30:31], s[8:9], s[18:19]
	s_and_saveexec_b64 s[26:27], s[30:31]
	s_cbranch_execnz .LBB18_278
.LBB18_262:
	s_or_b64 exec, exec, s[26:27]
	s_and_b64 s[30:31], s[10:11], s[18:19]
	s_and_saveexec_b64 s[26:27], s[30:31]
	s_cbranch_execnz .LBB18_282
.LBB18_263:
	s_or_b64 exec, exec, s[26:27]
	s_and_b64 s[30:31], s[12:13], s[18:19]
	s_and_saveexec_b64 s[26:27], s[30:31]
	s_cbranch_execnz .LBB18_286
.LBB18_264:
	s_or_b64 exec, exec, s[26:27]
	s_and_b64 s[30:31], s[14:15], s[18:19]
	s_and_saveexec_b64 s[26:27], s[30:31]
	s_cbranch_execnz .LBB18_290
.LBB18_265:
	s_or_b64 exec, exec, s[26:27]
	s_and_b64 s[26:27], s[16:17], s[18:19]
	s_and_saveexec_b64 s[18:19], s[26:27]
	s_cbranch_execnz .LBB18_294
	s_branch .LBB18_298
.LBB18_266:
	s_and_b64 vcc, exec, s[0:1]
	s_cbranch_vccnz .LBB18_268
; %bb.267:
	v_lshl_add_u64 v[48:49], v[64:65], 2, v[46:47]
	flat_load_dword v48, v[48:49]
	s_waitcnt vmcnt(0) lgkmcnt(0)
	v_mul_f32_e32 v48, s33, v48
	s_branch .LBB18_269
.LBB18_268:
	v_mov_b32_e32 v48, 0
.LBB18_269:
	v_pk_add_f32 v[50:51], v[32:33], v[40:41]
	s_nop 0
	v_min3_f32 v49, v50, v51, v107
	v_pk_add_f32 v[50:51], v[34:35], v[42:43]
	s_nop 0
	v_min_f32_e32 v50, v50, v51
	v_min3_f32 v50, v48, v50, v49
	v_lshl_add_u64 v[48:49], v[64:65], 2, v[44:45]
	flat_store_dword v[48:49], v50
	s_or_b64 exec, exec, s[26:27]
	s_and_b64 s[30:31], s[4:5], s[18:19]
	s_and_saveexec_b64 s[26:27], s[30:31]
	s_cbranch_execz .LBB18_260
.LBB18_270:
	s_and_b64 vcc, exec, s[0:1]
	s_cbranch_vccnz .LBB18_272
; %bb.271:
	v_lshl_add_u64 v[48:49], v[66:67], 2, v[46:47]
	flat_load_dword v48, v[48:49]
	s_waitcnt vmcnt(0) lgkmcnt(0)
	v_mul_f32_e32 v48, s33, v48
	s_branch .LBB18_273
.LBB18_272:
	v_mov_b32_e32 v48, 0
.LBB18_273:
	v_pk_add_f32 v[50:51], v[28:29], v[40:41]
	s_nop 0
	v_min3_f32 v49, v50, v51, v106
	v_pk_add_f32 v[50:51], v[30:31], v[42:43]
	s_nop 0
	v_min_f32_e32 v50, v50, v51
	v_min3_f32 v50, v48, v50, v49
	v_lshl_add_u64 v[48:49], v[66:67], 2, v[44:45]
	flat_store_dword v[48:49], v50
	s_or_b64 exec, exec, s[26:27]
	s_and_b64 s[30:31], s[6:7], s[18:19]
	s_and_saveexec_b64 s[26:27], s[30:31]
	s_cbranch_execz .LBB18_261
.LBB18_274:
	s_and_b64 vcc, exec, s[0:1]
	s_cbranch_vccnz .LBB18_276
; %bb.275:
	v_lshl_add_u64 v[48:49], v[68:69], 2, v[46:47]
	flat_load_dword v48, v[48:49]
	s_waitcnt vmcnt(0) lgkmcnt(0)
	v_mul_f32_e32 v48, s33, v48
	s_branch .LBB18_277
.LBB18_276:
	v_mov_b32_e32 v48, 0
.LBB18_277:
	v_pk_add_f32 v[50:51], v[24:25], v[40:41]
	s_nop 0
	v_min3_f32 v49, v50, v51, v105
	v_pk_add_f32 v[50:51], v[26:27], v[42:43]
	s_nop 0
	v_min_f32_e32 v50, v50, v51
	v_min3_f32 v50, v48, v50, v49
	v_lshl_add_u64 v[48:49], v[68:69], 2, v[44:45]
	flat_store_dword v[48:49], v50
	s_or_b64 exec, exec, s[26:27]
	s_and_b64 s[30:31], s[8:9], s[18:19]
	s_and_saveexec_b64 s[26:27], s[30:31]
	s_cbranch_execz .LBB18_262
.LBB18_278:
	s_and_b64 vcc, exec, s[0:1]
	s_cbranch_vccnz .LBB18_280
; %bb.279:
	v_lshl_add_u64 v[48:49], v[70:71], 2, v[46:47]
	flat_load_dword v48, v[48:49]
	s_waitcnt vmcnt(0) lgkmcnt(0)
	v_mul_f32_e32 v48, s33, v48
	s_branch .LBB18_281
.LBB18_280:
	v_mov_b32_e32 v48, 0
.LBB18_281:
	v_pk_add_f32 v[50:51], v[20:21], v[40:41]
	s_nop 0
	v_min3_f32 v49, v50, v51, v104
	v_pk_add_f32 v[50:51], v[22:23], v[42:43]
	s_nop 0
	v_min_f32_e32 v50, v50, v51
	v_min3_f32 v50, v48, v50, v49
	v_lshl_add_u64 v[48:49], v[70:71], 2, v[44:45]
	flat_store_dword v[48:49], v50
	s_or_b64 exec, exec, s[26:27]
	s_and_b64 s[30:31], s[10:11], s[18:19]
	s_and_saveexec_b64 s[26:27], s[30:31]
	s_cbranch_execz .LBB18_263
.LBB18_282:
	s_and_b64 vcc, exec, s[0:1]
	s_cbranch_vccnz .LBB18_284
; %bb.283:
	v_lshl_add_u64 v[48:49], v[72:73], 2, v[46:47]
	flat_load_dword v48, v[48:49]
	s_waitcnt vmcnt(0) lgkmcnt(0)
	v_mul_f32_e32 v48, s33, v48
	s_branch .LBB18_285
.LBB18_284:
	v_mov_b32_e32 v48, 0
.LBB18_285:
	v_pk_add_f32 v[50:51], v[16:17], v[40:41]
	s_nop 0
	v_min3_f32 v49, v50, v51, v103
	v_pk_add_f32 v[50:51], v[18:19], v[42:43]
	s_nop 0
	v_min_f32_e32 v50, v50, v51
	v_min3_f32 v50, v48, v50, v49
	v_lshl_add_u64 v[48:49], v[72:73], 2, v[44:45]
	flat_store_dword v[48:49], v50
	s_or_b64 exec, exec, s[26:27]
	s_and_b64 s[30:31], s[12:13], s[18:19]
	s_and_saveexec_b64 s[26:27], s[30:31]
	s_cbranch_execz .LBB18_264
.LBB18_286:
	s_and_b64 vcc, exec, s[0:1]
	s_cbranch_vccnz .LBB18_288
; %bb.287:
	v_lshl_add_u64 v[48:49], v[74:75], 2, v[46:47]
	flat_load_dword v48, v[48:49]
	s_waitcnt vmcnt(0) lgkmcnt(0)
	v_mul_f32_e32 v48, s33, v48
	s_branch .LBB18_289
.LBB18_288:
	v_mov_b32_e32 v48, 0
.LBB18_289:
	v_pk_add_f32 v[50:51], v[12:13], v[40:41]
	s_nop 0
	v_min3_f32 v49, v50, v51, v102
	v_pk_add_f32 v[50:51], v[14:15], v[42:43]
	s_nop 0
	v_min_f32_e32 v50, v50, v51
	v_min3_f32 v50, v48, v50, v49
	v_lshl_add_u64 v[48:49], v[74:75], 2, v[44:45]
	flat_store_dword v[48:49], v50
	s_or_b64 exec, exec, s[26:27]
	s_and_b64 s[30:31], s[14:15], s[18:19]
	s_and_saveexec_b64 s[26:27], s[30:31]
	s_cbranch_execz .LBB18_265
.LBB18_290:
	s_and_b64 vcc, exec, s[0:1]
	s_cbranch_vccnz .LBB18_292
; %bb.291:
	v_lshl_add_u64 v[48:49], v[76:77], 2, v[46:47]
	flat_load_dword v48, v[48:49]
	s_waitcnt vmcnt(0) lgkmcnt(0)
	v_mul_f32_e32 v48, s33, v48
	s_branch .LBB18_293
.LBB18_292:
	v_mov_b32_e32 v48, 0
.LBB18_293:
	v_pk_add_f32 v[50:51], v[8:9], v[40:41]
	s_nop 0
	v_min3_f32 v49, v50, v51, v101
	v_pk_add_f32 v[50:51], v[10:11], v[42:43]
	s_nop 0
	v_min_f32_e32 v50, v50, v51
	v_min3_f32 v50, v48, v50, v49
	v_lshl_add_u64 v[48:49], v[76:77], 2, v[44:45]
	flat_store_dword v[48:49], v50
	s_or_b64 exec, exec, s[26:27]
	s_and_b64 s[26:27], s[16:17], s[18:19]
	s_and_saveexec_b64 s[18:19], s[26:27]
	s_cbranch_execz .LBB18_298
.LBB18_294:
	s_and_b64 vcc, exec, s[0:1]
	s_cbranch_vccnz .LBB18_296
; %bb.295:
	v_lshl_add_u64 v[46:47], v[78:79], 2, v[46:47]
	flat_load_dword v46, v[46:47]
	s_waitcnt vmcnt(0) lgkmcnt(0)
	v_mul_f32_e32 v46, s33, v46
	s_branch .LBB18_297
.LBB18_296:
	v_mov_b32_e32 v46, 0
.LBB18_297:
	v_pk_add_f32 v[40:41], v[0:1], v[40:41]
	s_nop 0
	v_min3_f32 v47, v40, v41, v100
	v_pk_add_f32 v[40:41], v[2:3], v[42:43]
	s_nop 0
	v_min_f32_e32 v40, v40, v41
	v_min3_f32 v42, v46, v40, v47
	v_lshl_add_u64 v[40:41], v[78:79], 2, v[44:45]
	flat_store_dword v[40:41], v42
.LBB18_298:
	s_or_b64 exec, exec, s[18:19]
	v_add_u32_e32 v44, 0xc0, v124
	v_mad_i64_i32 v[40:41], s[26:27], v44, s29, 0
	v_cmp_gt_i32_e64 s[18:19], s21, v44
	v_lshl_add_u64 v[42:43], v[40:41], 2, s[24:25]
	v_mad_i64_i32 v[40:41], s[26:27], v44, s28, 0
	v_lshl_add_u64 v[40:41], v[40:41], 2, s[22:23]
	s_and_b64 s[30:31], s[2:3], s[18:19]
	s_and_saveexec_b64 s[26:27], s[30:31]
	s_cbranch_execnz .LBB18_306
; %bb.299:
	s_or_b64 exec, exec, s[26:27]
	s_and_b64 s[30:31], s[4:5], s[18:19]
	s_and_saveexec_b64 s[26:27], s[30:31]
	s_cbranch_execnz .LBB18_310
.LBB18_300:
	s_or_b64 exec, exec, s[26:27]
	s_and_b64 s[30:31], s[6:7], s[18:19]
	s_and_saveexec_b64 s[26:27], s[30:31]
	s_cbranch_execnz .LBB18_314
.LBB18_301:
	s_or_b64 exec, exec, s[26:27]
	s_and_b64 s[30:31], s[8:9], s[18:19]
	s_and_saveexec_b64 s[26:27], s[30:31]
	s_cbranch_execnz .LBB18_318
.LBB18_302:
	s_or_b64 exec, exec, s[26:27]
	s_and_b64 s[30:31], s[10:11], s[18:19]
	s_and_saveexec_b64 s[26:27], s[30:31]
	s_cbranch_execnz .LBB18_322
.LBB18_303:
	s_or_b64 exec, exec, s[26:27]
	s_and_b64 s[30:31], s[12:13], s[18:19]
	s_and_saveexec_b64 s[26:27], s[30:31]
	s_cbranch_execnz .LBB18_326
.LBB18_304:
	s_or_b64 exec, exec, s[26:27]
	s_and_b64 s[30:31], s[14:15], s[18:19]
	s_and_saveexec_b64 s[26:27], s[30:31]
	s_cbranch_execnz .LBB18_330
.LBB18_305:
	s_or_b64 exec, exec, s[26:27]
	s_and_b64 s[26:27], s[16:17], s[18:19]
	s_and_saveexec_b64 s[18:19], s[26:27]
	s_cbranch_execnz .LBB18_334
	s_branch .LBB18_338
.LBB18_306:
	s_and_b64 vcc, exec, s[0:1]
	s_cbranch_vccnz .LBB18_308
; %bb.307:
	v_lshl_add_u64 v[44:45], v[64:65], 2, v[42:43]
	flat_load_dword v44, v[44:45]
	s_waitcnt vmcnt(0) lgkmcnt(0)
	v_mul_f32_e32 v44, s33, v44
	s_branch .LBB18_309
.LBB18_308:
	v_mov_b32_e32 v44, 0
.LBB18_309:
	v_pk_add_f32 v[46:47], v[32:33], v[36:37]
	s_nop 0
	v_min3_f32 v45, v46, v47, v99
	v_pk_add_f32 v[46:47], v[34:35], v[38:39]
	s_nop 0
	v_min_f32_e32 v46, v46, v47
	v_min3_f32 v46, v44, v46, v45
	v_lshl_add_u64 v[44:45], v[64:65], 2, v[40:41]
	flat_store_dword v[44:45], v46
	s_or_b64 exec, exec, s[26:27]
	s_and_b64 s[30:31], s[4:5], s[18:19]
	s_and_saveexec_b64 s[26:27], s[30:31]
	s_cbranch_execz .LBB18_300
.LBB18_310:
	s_and_b64 vcc, exec, s[0:1]
	s_cbranch_vccnz .LBB18_312
; %bb.311:
	v_lshl_add_u64 v[44:45], v[66:67], 2, v[42:43]
	flat_load_dword v44, v[44:45]
	s_waitcnt vmcnt(0) lgkmcnt(0)
	v_mul_f32_e32 v44, s33, v44
	s_branch .LBB18_313
.LBB18_312:
	v_mov_b32_e32 v44, 0
.LBB18_313:
	v_pk_add_f32 v[46:47], v[28:29], v[36:37]
	s_nop 0
	v_min3_f32 v45, v46, v47, v98
	v_pk_add_f32 v[46:47], v[30:31], v[38:39]
	s_nop 0
	v_min_f32_e32 v46, v46, v47
	v_min3_f32 v46, v44, v46, v45
	v_lshl_add_u64 v[44:45], v[66:67], 2, v[40:41]
	flat_store_dword v[44:45], v46
	s_or_b64 exec, exec, s[26:27]
	s_and_b64 s[30:31], s[6:7], s[18:19]
	s_and_saveexec_b64 s[26:27], s[30:31]
	s_cbranch_execz .LBB18_301
.LBB18_314:
	s_and_b64 vcc, exec, s[0:1]
	s_cbranch_vccnz .LBB18_316
; %bb.315:
	v_lshl_add_u64 v[44:45], v[68:69], 2, v[42:43]
	flat_load_dword v44, v[44:45]
	s_waitcnt vmcnt(0) lgkmcnt(0)
	v_mul_f32_e32 v44, s33, v44
	s_branch .LBB18_317
.LBB18_316:
	v_mov_b32_e32 v44, 0
.LBB18_317:
	v_pk_add_f32 v[46:47], v[24:25], v[36:37]
	s_nop 0
	v_min3_f32 v45, v46, v47, v97
	v_pk_add_f32 v[46:47], v[26:27], v[38:39]
	s_nop 0
	v_min_f32_e32 v46, v46, v47
	v_min3_f32 v46, v44, v46, v45
	v_lshl_add_u64 v[44:45], v[68:69], 2, v[40:41]
	flat_store_dword v[44:45], v46
	s_or_b64 exec, exec, s[26:27]
	s_and_b64 s[30:31], s[8:9], s[18:19]
	s_and_saveexec_b64 s[26:27], s[30:31]
	s_cbranch_execz .LBB18_302
.LBB18_318:
	s_and_b64 vcc, exec, s[0:1]
	s_cbranch_vccnz .LBB18_320
; %bb.319:
	v_lshl_add_u64 v[44:45], v[70:71], 2, v[42:43]
	flat_load_dword v44, v[44:45]
	s_waitcnt vmcnt(0) lgkmcnt(0)
	v_mul_f32_e32 v44, s33, v44
	s_branch .LBB18_321
.LBB18_320:
	v_mov_b32_e32 v44, 0
.LBB18_321:
	v_pk_add_f32 v[46:47], v[20:21], v[36:37]
	s_nop 0
	v_min3_f32 v45, v46, v47, v96
	v_pk_add_f32 v[46:47], v[22:23], v[38:39]
	s_nop 0
	v_min_f32_e32 v46, v46, v47
	v_min3_f32 v46, v44, v46, v45
	v_lshl_add_u64 v[44:45], v[70:71], 2, v[40:41]
	flat_store_dword v[44:45], v46
	s_or_b64 exec, exec, s[26:27]
	s_and_b64 s[30:31], s[10:11], s[18:19]
	s_and_saveexec_b64 s[26:27], s[30:31]
	s_cbranch_execz .LBB18_303
.LBB18_322:
	s_and_b64 vcc, exec, s[0:1]
	s_cbranch_vccnz .LBB18_324
; %bb.323:
	v_lshl_add_u64 v[44:45], v[72:73], 2, v[42:43]
	flat_load_dword v44, v[44:45]
	s_waitcnt vmcnt(0) lgkmcnt(0)
	v_mul_f32_e32 v44, s33, v44
	s_branch .LBB18_325
.LBB18_324:
	v_mov_b32_e32 v44, 0
.LBB18_325:
	v_pk_add_f32 v[46:47], v[16:17], v[36:37]
	s_nop 0
	v_min3_f32 v45, v46, v47, v95
	v_pk_add_f32 v[46:47], v[18:19], v[38:39]
	s_nop 0
	v_min_f32_e32 v46, v46, v47
	v_min3_f32 v46, v44, v46, v45
	v_lshl_add_u64 v[44:45], v[72:73], 2, v[40:41]
	flat_store_dword v[44:45], v46
	s_or_b64 exec, exec, s[26:27]
	s_and_b64 s[30:31], s[12:13], s[18:19]
	s_and_saveexec_b64 s[26:27], s[30:31]
	s_cbranch_execz .LBB18_304
.LBB18_326:
	s_and_b64 vcc, exec, s[0:1]
	s_cbranch_vccnz .LBB18_328
; %bb.327:
	v_lshl_add_u64 v[44:45], v[74:75], 2, v[42:43]
	flat_load_dword v44, v[44:45]
	s_waitcnt vmcnt(0) lgkmcnt(0)
	v_mul_f32_e32 v44, s33, v44
	s_branch .LBB18_329
.LBB18_328:
	v_mov_b32_e32 v44, 0
.LBB18_329:
	v_pk_add_f32 v[46:47], v[12:13], v[36:37]
	s_nop 0
	v_min3_f32 v45, v46, v47, v94
	v_pk_add_f32 v[46:47], v[14:15], v[38:39]
	s_nop 0
	v_min_f32_e32 v46, v46, v47
	v_min3_f32 v46, v44, v46, v45
	v_lshl_add_u64 v[44:45], v[74:75], 2, v[40:41]
	flat_store_dword v[44:45], v46
	s_or_b64 exec, exec, s[26:27]
	s_and_b64 s[30:31], s[14:15], s[18:19]
	s_and_saveexec_b64 s[26:27], s[30:31]
	s_cbranch_execz .LBB18_305
.LBB18_330:
	s_and_b64 vcc, exec, s[0:1]
	s_cbranch_vccnz .LBB18_332
; %bb.331:
	v_lshl_add_u64 v[44:45], v[76:77], 2, v[42:43]
	flat_load_dword v44, v[44:45]
	s_waitcnt vmcnt(0) lgkmcnt(0)
	v_mul_f32_e32 v44, s33, v44
	s_branch .LBB18_333
.LBB18_332:
	v_mov_b32_e32 v44, 0
.LBB18_333:
	v_pk_add_f32 v[46:47], v[8:9], v[36:37]
	s_nop 0
	v_min3_f32 v45, v46, v47, v93
	v_pk_add_f32 v[46:47], v[10:11], v[38:39]
	s_nop 0
	v_min_f32_e32 v46, v46, v47
	v_min3_f32 v46, v44, v46, v45
	v_lshl_add_u64 v[44:45], v[76:77], 2, v[40:41]
	flat_store_dword v[44:45], v46
	s_or_b64 exec, exec, s[26:27]
	s_and_b64 s[26:27], s[16:17], s[18:19]
	s_and_saveexec_b64 s[18:19], s[26:27]
	s_cbranch_execz .LBB18_338
.LBB18_334:
	s_and_b64 vcc, exec, s[0:1]
	s_cbranch_vccnz .LBB18_336
; %bb.335:
	v_lshl_add_u64 v[42:43], v[78:79], 2, v[42:43]
	flat_load_dword v42, v[42:43]
	s_waitcnt vmcnt(0) lgkmcnt(0)
	v_mul_f32_e32 v42, s33, v42
	s_branch .LBB18_337
.LBB18_336:
	v_mov_b32_e32 v42, 0
.LBB18_337:
	v_pk_add_f32 v[36:37], v[0:1], v[36:37]
	s_nop 0
	v_min3_f32 v43, v36, v37, v92
	v_pk_add_f32 v[36:37], v[2:3], v[38:39]
	s_nop 0
	v_min_f32_e32 v36, v36, v37
	v_min3_f32 v38, v42, v36, v43
	v_lshl_add_u64 v[36:37], v[78:79], 2, v[40:41]
	flat_store_dword v[36:37], v38
.LBB18_338:
	s_or_b64 exec, exec, s[18:19]
	v_add_u32_e32 v40, 0xe0, v124
	v_cmp_gt_i32_e64 s[18:19], s21, v40
	v_mad_i64_i32 v[36:37], s[20:21], v40, s29, 0
	v_lshl_add_u64 v[38:39], v[36:37], 2, s[24:25]
	v_mad_i64_i32 v[36:37], s[20:21], v40, s28, 0
	v_lshl_add_u64 v[36:37], v[36:37], 2, s[22:23]
	s_and_b64 s[20:21], s[2:3], s[18:19]
	s_and_saveexec_b64 s[2:3], s[20:21]
	s_cbranch_execnz .LBB18_347
; %bb.339:
	s_or_b64 exec, exec, s[2:3]
	s_and_b64 s[4:5], s[4:5], s[18:19]
	s_and_saveexec_b64 s[2:3], s[4:5]
	s_cbranch_execnz .LBB18_351
.LBB18_340:
	s_or_b64 exec, exec, s[2:3]
	s_and_b64 s[4:5], s[6:7], s[18:19]
	s_and_saveexec_b64 s[2:3], s[4:5]
	s_cbranch_execnz .LBB18_355
.LBB18_341:
	s_or_b64 exec, exec, s[2:3]
	s_and_b64 s[4:5], s[8:9], s[18:19]
	s_and_saveexec_b64 s[2:3], s[4:5]
	s_cbranch_execnz .LBB18_359
.LBB18_342:
	s_or_b64 exec, exec, s[2:3]
	s_and_b64 s[4:5], s[10:11], s[18:19]
	s_and_saveexec_b64 s[2:3], s[4:5]
	s_cbranch_execnz .LBB18_363
.LBB18_343:
	s_or_b64 exec, exec, s[2:3]
	s_and_b64 s[4:5], s[12:13], s[18:19]
	s_and_saveexec_b64 s[2:3], s[4:5]
	s_cbranch_execnz .LBB18_367
.LBB18_344:
	s_or_b64 exec, exec, s[2:3]
	s_and_b64 s[4:5], s[14:15], s[18:19]
	s_and_saveexec_b64 s[2:3], s[4:5]
	s_cbranch_execnz .LBB18_371
.LBB18_345:
	s_or_b64 exec, exec, s[2:3]
	s_and_b64 s[2:3], s[16:17], s[18:19]
	s_and_saveexec_b64 s[4:5], s[2:3]
	s_cbranch_execnz .LBB18_375
.LBB18_346:
	s_endpgm
.LBB18_347:
	s_and_b64 vcc, exec, s[0:1]
	s_cbranch_vccnz .LBB18_349
; %bb.348:
	v_lshl_add_u64 v[40:41], v[64:65], 2, v[38:39]
	flat_load_dword v40, v[40:41]
	s_waitcnt vmcnt(0) lgkmcnt(0)
	v_mul_f32_e32 v40, s33, v40
	s_branch .LBB18_350
.LBB18_349:
	v_mov_b32_e32 v40, 0
.LBB18_350:
	v_pk_add_f32 v[32:33], v[32:33], v[4:5]
	s_nop 0
	v_min3_f32 v41, v32, v33, v91
	v_pk_add_f32 v[32:33], v[34:35], v[6:7]
	s_nop 0
	v_min_f32_e32 v32, v32, v33
	v_min3_f32 v34, v40, v32, v41
	v_lshl_add_u64 v[32:33], v[64:65], 2, v[36:37]
	flat_store_dword v[32:33], v34
	s_or_b64 exec, exec, s[2:3]
	s_and_b64 s[4:5], s[4:5], s[18:19]
	s_and_saveexec_b64 s[2:3], s[4:5]
	s_cbranch_execz .LBB18_340
.LBB18_351:
	s_and_b64 vcc, exec, s[0:1]
	s_cbranch_vccnz .LBB18_353
; %bb.352:
	v_lshl_add_u64 v[32:33], v[66:67], 2, v[38:39]
	flat_load_dword v32, v[32:33]
	s_waitcnt vmcnt(0) lgkmcnt(0)
	v_mul_f32_e32 v32, s33, v32
	s_branch .LBB18_354
.LBB18_353:
	v_mov_b32_e32 v32, 0
.LBB18_354:
	v_pk_add_f32 v[28:29], v[28:29], v[4:5]
	s_nop 0
	v_min3_f32 v33, v28, v29, v90
	v_pk_add_f32 v[28:29], v[30:31], v[6:7]
	s_nop 0
	v_min_f32_e32 v28, v28, v29
	v_min3_f32 v30, v32, v28, v33
	v_lshl_add_u64 v[28:29], v[66:67], 2, v[36:37]
	flat_store_dword v[28:29], v30
	s_or_b64 exec, exec, s[2:3]
	s_and_b64 s[4:5], s[6:7], s[18:19]
	s_and_saveexec_b64 s[2:3], s[4:5]
	s_cbranch_execz .LBB18_341
.LBB18_355:
	s_and_b64 vcc, exec, s[0:1]
	s_cbranch_vccnz .LBB18_357
; %bb.356:
	v_lshl_add_u64 v[28:29], v[68:69], 2, v[38:39]
	flat_load_dword v28, v[28:29]
	s_waitcnt vmcnt(0) lgkmcnt(0)
	v_mul_f32_e32 v28, s33, v28
	s_branch .LBB18_358
.LBB18_357:
	v_mov_b32_e32 v28, 0
.LBB18_358:
	v_pk_add_f32 v[24:25], v[24:25], v[4:5]
	s_nop 0
	v_min3_f32 v29, v24, v25, v89
	v_pk_add_f32 v[24:25], v[26:27], v[6:7]
	s_nop 0
	v_min_f32_e32 v24, v24, v25
	v_min3_f32 v26, v28, v24, v29
	v_lshl_add_u64 v[24:25], v[68:69], 2, v[36:37]
	flat_store_dword v[24:25], v26
	s_or_b64 exec, exec, s[2:3]
	s_and_b64 s[4:5], s[8:9], s[18:19]
	s_and_saveexec_b64 s[2:3], s[4:5]
	s_cbranch_execz .LBB18_342
.LBB18_359:
	s_and_b64 vcc, exec, s[0:1]
	s_cbranch_vccnz .LBB18_361
; %bb.360:
	v_lshl_add_u64 v[24:25], v[70:71], 2, v[38:39]
	flat_load_dword v24, v[24:25]
	s_waitcnt vmcnt(0) lgkmcnt(0)
	v_mul_f32_e32 v24, s33, v24
	s_branch .LBB18_362
.LBB18_361:
	v_mov_b32_e32 v24, 0
.LBB18_362:
	v_pk_add_f32 v[20:21], v[20:21], v[4:5]
	s_nop 0
	v_min3_f32 v25, v20, v21, v87
	v_pk_add_f32 v[20:21], v[22:23], v[6:7]
	s_nop 0
	v_min_f32_e32 v20, v20, v21
	v_min3_f32 v22, v24, v20, v25
	v_lshl_add_u64 v[20:21], v[70:71], 2, v[36:37]
	flat_store_dword v[20:21], v22
	s_or_b64 exec, exec, s[2:3]
	s_and_b64 s[4:5], s[10:11], s[18:19]
	s_and_saveexec_b64 s[2:3], s[4:5]
	s_cbranch_execz .LBB18_343
.LBB18_363:
	s_and_b64 vcc, exec, s[0:1]
	s_cbranch_vccnz .LBB18_365
; %bb.364:
	v_lshl_add_u64 v[20:21], v[72:73], 2, v[38:39]
	flat_load_dword v20, v[20:21]
	s_waitcnt vmcnt(0) lgkmcnt(0)
	v_mul_f32_e32 v20, s33, v20
	s_branch .LBB18_366
.LBB18_365:
	v_mov_b32_e32 v20, 0
.LBB18_366:
	v_pk_add_f32 v[16:17], v[16:17], v[4:5]
	s_nop 0
	v_min3_f32 v21, v16, v17, v86
	v_pk_add_f32 v[16:17], v[18:19], v[6:7]
	s_nop 0
	v_min_f32_e32 v16, v16, v17
	v_min3_f32 v18, v20, v16, v21
	v_lshl_add_u64 v[16:17], v[72:73], 2, v[36:37]
	flat_store_dword v[16:17], v18
	s_or_b64 exec, exec, s[2:3]
	s_and_b64 s[4:5], s[12:13], s[18:19]
	s_and_saveexec_b64 s[2:3], s[4:5]
	s_cbranch_execz .LBB18_344
.LBB18_367:
	s_and_b64 vcc, exec, s[0:1]
	s_cbranch_vccnz .LBB18_369
; %bb.368:
	v_lshl_add_u64 v[16:17], v[74:75], 2, v[38:39]
	flat_load_dword v16, v[16:17]
	s_waitcnt vmcnt(0) lgkmcnt(0)
	v_mul_f32_e32 v16, s33, v16
	s_branch .LBB18_370
.LBB18_369:
	v_mov_b32_e32 v16, 0
.LBB18_370:
	v_pk_add_f32 v[12:13], v[12:13], v[4:5]
	s_nop 0
	v_min3_f32 v17, v12, v13, v85
	v_pk_add_f32 v[12:13], v[14:15], v[6:7]
	s_nop 0
	v_min_f32_e32 v12, v12, v13
	v_min3_f32 v14, v16, v12, v17
	v_lshl_add_u64 v[12:13], v[74:75], 2, v[36:37]
	flat_store_dword v[12:13], v14
	s_or_b64 exec, exec, s[2:3]
	s_and_b64 s[4:5], s[14:15], s[18:19]
	s_and_saveexec_b64 s[2:3], s[4:5]
	s_cbranch_execz .LBB18_345
.LBB18_371:
	s_and_b64 vcc, exec, s[0:1]
	s_cbranch_vccnz .LBB18_373
; %bb.372:
	v_lshl_add_u64 v[12:13], v[76:77], 2, v[38:39]
	flat_load_dword v12, v[12:13]
	s_waitcnt vmcnt(0) lgkmcnt(0)
	v_mul_f32_e32 v12, s33, v12
	s_branch .LBB18_374
.LBB18_373:
	v_mov_b32_e32 v12, 0
.LBB18_374:
	v_pk_add_f32 v[8:9], v[8:9], v[4:5]
	s_nop 0
	v_min3_f32 v13, v8, v9, v84
	v_pk_add_f32 v[8:9], v[10:11], v[6:7]
	s_nop 0
	v_min_f32_e32 v8, v8, v9
	v_min3_f32 v10, v12, v8, v13
	v_lshl_add_u64 v[8:9], v[76:77], 2, v[36:37]
	flat_store_dword v[8:9], v10
	s_or_b64 exec, exec, s[2:3]
	s_and_b64 s[2:3], s[16:17], s[18:19]
	s_and_saveexec_b64 s[4:5], s[2:3]
	s_cbranch_execz .LBB18_346
.LBB18_375:
	s_and_b64 vcc, exec, s[0:1]
	s_cbranch_vccnz .LBB18_377
; %bb.376:
	v_lshl_add_u64 v[8:9], v[78:79], 2, v[38:39]
	flat_load_dword v8, v[8:9]
	s_waitcnt vmcnt(0) lgkmcnt(0)
	v_mul_f32_e32 v8, s33, v8
	s_branch .LBB18_378
.LBB18_377:
	v_mov_b32_e32 v8, 0
.LBB18_378:
	v_pk_add_f32 v[0:1], v[0:1], v[4:5]
	s_nop 0
	v_min3_f32 v4, v0, v1, v88
	v_pk_add_f32 v[0:1], v[2:3], v[6:7]
	s_nop 0
	v_min_f32_e32 v0, v0, v1
	v_min3_f32 v2, v8, v0, v4
	v_lshl_add_u64 v[0:1], v[78:79], 2, v[36:37]
	flat_store_dword v[0:1], v2
	s_endpgm
	.section	.rodata,"a",@progbits
	.p2align	6, 0x0
	.amdhsa_kernel _ZN12_GLOBAL__N_120geam_min_plus_kernelIf15HIP_vector_typeIfLj2EEfLi8ELi32ELi64ELi256ELi4ELi64ELi4ELi64ELi4ELc78ELc84ELb0ELb1ELb1EPKfKS4_KPfEEviiiT16_PT17_ilSA_ilS8_SA_ilPT18_ili26rocblas_geam_ex_operation_
		.amdhsa_group_segment_fixed_size 10240
		.amdhsa_private_segment_fixed_size 0
		.amdhsa_kernarg_size 136
		.amdhsa_user_sgpr_count 2
		.amdhsa_user_sgpr_dispatch_ptr 0
		.amdhsa_user_sgpr_queue_ptr 0
		.amdhsa_user_sgpr_kernarg_segment_ptr 1
		.amdhsa_user_sgpr_dispatch_id 0
		.amdhsa_user_sgpr_kernarg_preload_length 0
		.amdhsa_user_sgpr_kernarg_preload_offset 0
		.amdhsa_user_sgpr_private_segment_size 0
		.amdhsa_uses_dynamic_stack 0
		.amdhsa_enable_private_segment 0
		.amdhsa_system_sgpr_workgroup_id_x 1
		.amdhsa_system_sgpr_workgroup_id_y 0
		.amdhsa_system_sgpr_workgroup_id_z 1
		.amdhsa_system_sgpr_workgroup_info 0
		.amdhsa_system_vgpr_workitem_id 1
		.amdhsa_next_free_vgpr 161
		.amdhsa_next_free_sgpr 42
		.amdhsa_accum_offset 164
		.amdhsa_reserve_vcc 1
		.amdhsa_float_round_mode_32 0
		.amdhsa_float_round_mode_16_64 0
		.amdhsa_float_denorm_mode_32 3
		.amdhsa_float_denorm_mode_16_64 3
		.amdhsa_dx10_clamp 1
		.amdhsa_ieee_mode 1
		.amdhsa_fp16_overflow 0
		.amdhsa_tg_split 0
		.amdhsa_exception_fp_ieee_invalid_op 0
		.amdhsa_exception_fp_denorm_src 0
		.amdhsa_exception_fp_ieee_div_zero 0
		.amdhsa_exception_fp_ieee_overflow 0
		.amdhsa_exception_fp_ieee_underflow 0
		.amdhsa_exception_fp_ieee_inexact 0
		.amdhsa_exception_int_div_zero 0
	.end_amdhsa_kernel
	.section	.text._ZN12_GLOBAL__N_120geam_min_plus_kernelIf15HIP_vector_typeIfLj2EEfLi8ELi32ELi64ELi256ELi4ELi64ELi4ELi64ELi4ELc78ELc84ELb0ELb1ELb1EPKfKS4_KPfEEviiiT16_PT17_ilSA_ilS8_SA_ilPT18_ili26rocblas_geam_ex_operation_,"axG",@progbits,_ZN12_GLOBAL__N_120geam_min_plus_kernelIf15HIP_vector_typeIfLj2EEfLi8ELi32ELi64ELi256ELi4ELi64ELi4ELi64ELi4ELc78ELc84ELb0ELb1ELb1EPKfKS4_KPfEEviiiT16_PT17_ilSA_ilS8_SA_ilPT18_ili26rocblas_geam_ex_operation_,comdat
.Lfunc_end18:
	.size	_ZN12_GLOBAL__N_120geam_min_plus_kernelIf15HIP_vector_typeIfLj2EEfLi8ELi32ELi64ELi256ELi4ELi64ELi4ELi64ELi4ELc78ELc84ELb0ELb1ELb1EPKfKS4_KPfEEviiiT16_PT17_ilSA_ilS8_SA_ilPT18_ili26rocblas_geam_ex_operation_, .Lfunc_end18-_ZN12_GLOBAL__N_120geam_min_plus_kernelIf15HIP_vector_typeIfLj2EEfLi8ELi32ELi64ELi256ELi4ELi64ELi4ELi64ELi4ELc78ELc84ELb0ELb1ELb1EPKfKS4_KPfEEviiiT16_PT17_ilSA_ilS8_SA_ilPT18_ili26rocblas_geam_ex_operation_
                                        ; -- End function
	.set _ZN12_GLOBAL__N_120geam_min_plus_kernelIf15HIP_vector_typeIfLj2EEfLi8ELi32ELi64ELi256ELi4ELi64ELi4ELi64ELi4ELc78ELc84ELb0ELb1ELb1EPKfKS4_KPfEEviiiT16_PT17_ilSA_ilS8_SA_ilPT18_ili26rocblas_geam_ex_operation_.num_vgpr, 161
	.set _ZN12_GLOBAL__N_120geam_min_plus_kernelIf15HIP_vector_typeIfLj2EEfLi8ELi32ELi64ELi256ELi4ELi64ELi4ELi64ELi4ELc78ELc84ELb0ELb1ELb1EPKfKS4_KPfEEviiiT16_PT17_ilSA_ilS8_SA_ilPT18_ili26rocblas_geam_ex_operation_.num_agpr, 0
	.set _ZN12_GLOBAL__N_120geam_min_plus_kernelIf15HIP_vector_typeIfLj2EEfLi8ELi32ELi64ELi256ELi4ELi64ELi4ELi64ELi4ELc78ELc84ELb0ELb1ELb1EPKfKS4_KPfEEviiiT16_PT17_ilSA_ilS8_SA_ilPT18_ili26rocblas_geam_ex_operation_.numbered_sgpr, 42
	.set _ZN12_GLOBAL__N_120geam_min_plus_kernelIf15HIP_vector_typeIfLj2EEfLi8ELi32ELi64ELi256ELi4ELi64ELi4ELi64ELi4ELc78ELc84ELb0ELb1ELb1EPKfKS4_KPfEEviiiT16_PT17_ilSA_ilS8_SA_ilPT18_ili26rocblas_geam_ex_operation_.num_named_barrier, 0
	.set _ZN12_GLOBAL__N_120geam_min_plus_kernelIf15HIP_vector_typeIfLj2EEfLi8ELi32ELi64ELi256ELi4ELi64ELi4ELi64ELi4ELc78ELc84ELb0ELb1ELb1EPKfKS4_KPfEEviiiT16_PT17_ilSA_ilS8_SA_ilPT18_ili26rocblas_geam_ex_operation_.private_seg_size, 0
	.set _ZN12_GLOBAL__N_120geam_min_plus_kernelIf15HIP_vector_typeIfLj2EEfLi8ELi32ELi64ELi256ELi4ELi64ELi4ELi64ELi4ELc78ELc84ELb0ELb1ELb1EPKfKS4_KPfEEviiiT16_PT17_ilSA_ilS8_SA_ilPT18_ili26rocblas_geam_ex_operation_.uses_vcc, 1
	.set _ZN12_GLOBAL__N_120geam_min_plus_kernelIf15HIP_vector_typeIfLj2EEfLi8ELi32ELi64ELi256ELi4ELi64ELi4ELi64ELi4ELc78ELc84ELb0ELb1ELb1EPKfKS4_KPfEEviiiT16_PT17_ilSA_ilS8_SA_ilPT18_ili26rocblas_geam_ex_operation_.uses_flat_scratch, 0
	.set _ZN12_GLOBAL__N_120geam_min_plus_kernelIf15HIP_vector_typeIfLj2EEfLi8ELi32ELi64ELi256ELi4ELi64ELi4ELi64ELi4ELc78ELc84ELb0ELb1ELb1EPKfKS4_KPfEEviiiT16_PT17_ilSA_ilS8_SA_ilPT18_ili26rocblas_geam_ex_operation_.has_dyn_sized_stack, 0
	.set _ZN12_GLOBAL__N_120geam_min_plus_kernelIf15HIP_vector_typeIfLj2EEfLi8ELi32ELi64ELi256ELi4ELi64ELi4ELi64ELi4ELc78ELc84ELb0ELb1ELb1EPKfKS4_KPfEEviiiT16_PT17_ilSA_ilS8_SA_ilPT18_ili26rocblas_geam_ex_operation_.has_recursion, 0
	.set _ZN12_GLOBAL__N_120geam_min_plus_kernelIf15HIP_vector_typeIfLj2EEfLi8ELi32ELi64ELi256ELi4ELi64ELi4ELi64ELi4ELc78ELc84ELb0ELb1ELb1EPKfKS4_KPfEEviiiT16_PT17_ilSA_ilS8_SA_ilPT18_ili26rocblas_geam_ex_operation_.has_indirect_call, 0
	.section	.AMDGPU.csdata,"",@progbits
; Kernel info:
; codeLenInByte = 18684
; TotalNumSgprs: 48
; NumVgprs: 161
; NumAgprs: 0
; TotalNumVgprs: 161
; ScratchSize: 0
; MemoryBound: 0
; FloatMode: 240
; IeeeMode: 1
; LDSByteSize: 10240 bytes/workgroup (compile time only)
; SGPRBlocks: 5
; VGPRBlocks: 20
; NumSGPRsForWavesPerEU: 48
; NumVGPRsForWavesPerEU: 161
; AccumOffset: 164
; Occupancy: 3
; WaveLimiterHint : 1
; COMPUTE_PGM_RSRC2:SCRATCH_EN: 0
; COMPUTE_PGM_RSRC2:USER_SGPR: 2
; COMPUTE_PGM_RSRC2:TRAP_HANDLER: 0
; COMPUTE_PGM_RSRC2:TGID_X_EN: 1
; COMPUTE_PGM_RSRC2:TGID_Y_EN: 0
; COMPUTE_PGM_RSRC2:TGID_Z_EN: 1
; COMPUTE_PGM_RSRC2:TIDIG_COMP_CNT: 1
; COMPUTE_PGM_RSRC3_GFX90A:ACCUM_OFFSET: 40
; COMPUTE_PGM_RSRC3_GFX90A:TG_SPLIT: 0
	.section	.text._ZN12_GLOBAL__N_120geam_min_plus_kernelIf15HIP_vector_typeIfLj2EEfLi8ELi32ELi64ELi256ELi4ELi64ELi4ELi64ELi4ELc78ELc84ELb1ELb1ELb1EfKPKfKPfEEviiiT16_PT17_ilSA_ilS8_SA_ilPT18_ili26rocblas_geam_ex_operation_,"axG",@progbits,_ZN12_GLOBAL__N_120geam_min_plus_kernelIf15HIP_vector_typeIfLj2EEfLi8ELi32ELi64ELi256ELi4ELi64ELi4ELi64ELi4ELc78ELc84ELb1ELb1ELb1EfKPKfKPfEEviiiT16_PT17_ilSA_ilS8_SA_ilPT18_ili26rocblas_geam_ex_operation_,comdat
	.globl	_ZN12_GLOBAL__N_120geam_min_plus_kernelIf15HIP_vector_typeIfLj2EEfLi8ELi32ELi64ELi256ELi4ELi64ELi4ELi64ELi4ELc78ELc84ELb1ELb1ELb1EfKPKfKPfEEviiiT16_PT17_ilSA_ilS8_SA_ilPT18_ili26rocblas_geam_ex_operation_ ; -- Begin function _ZN12_GLOBAL__N_120geam_min_plus_kernelIf15HIP_vector_typeIfLj2EEfLi8ELi32ELi64ELi256ELi4ELi64ELi4ELi64ELi4ELc78ELc84ELb1ELb1ELb1EfKPKfKPfEEviiiT16_PT17_ilSA_ilS8_SA_ilPT18_ili26rocblas_geam_ex_operation_
	.p2align	8
	.type	_ZN12_GLOBAL__N_120geam_min_plus_kernelIf15HIP_vector_typeIfLj2EEfLi8ELi32ELi64ELi256ELi4ELi64ELi4ELi64ELi4ELc78ELc84ELb1ELb1ELb1EfKPKfKPfEEviiiT16_PT17_ilSA_ilS8_SA_ilPT18_ili26rocblas_geam_ex_operation_,@function
_ZN12_GLOBAL__N_120geam_min_plus_kernelIf15HIP_vector_typeIfLj2EEfLi8ELi32ELi64ELi256ELi4ELi64ELi4ELi64ELi4ELc78ELc84ELb1ELb1ELb1EfKPKfKPfEEviiiT16_PT17_ilSA_ilS8_SA_ilPT18_ili26rocblas_geam_ex_operation_: ; @_ZN12_GLOBAL__N_120geam_min_plus_kernelIf15HIP_vector_typeIfLj2EEfLi8ELi32ELi64ELi256ELi4ELi64ELi4ELi64ELi4ELc78ELc84ELb1ELb1ELb1EfKPKfKPfEEviiiT16_PT17_ilSA_ilS8_SA_ilPT18_ili26rocblas_geam_ex_operation_
; %bb.0:
	s_load_dwordx4 s[20:23], s[0:1], 0x0
	s_load_dwordx4 s[4:7], s[0:1], 0x20
	s_mov_b32 s8, s3
	s_mov_b32 s9, 0
	s_waitcnt lgkmcnt(0)
	v_cmp_eq_f32_e64 s[10:11], s23, 0
	s_and_b64 vcc, exec, s[10:11]
	s_cbranch_vccnz .LBB19_3
; %bb.1:
	s_load_dwordx2 s[12:13], s[0:1], 0x10
	s_lshl_b64 s[14:15], s[8:9], 3
	s_waitcnt lgkmcnt(0)
	s_add_u32 s12, s12, s14
	s_addc_u32 s13, s13, s15
	s_load_dwordx2 s[12:13], s[12:13], 0x0
	s_lshl_b64 s[4:5], s[4:5], 2
	s_waitcnt lgkmcnt(0)
	s_add_u32 s16, s12, s4
	s_addc_u32 s17, s13, s5
	s_andn2_b64 vcc, exec, s[10:11]
	s_cbranch_vccnz .LBB19_4
.LBB19_2:
	s_mov_b32 s11, 0
	s_mov_b32 s10, s8
	s_mov_b64 s[24:25], 0
	s_mov_b64 s[18:19], 0
	s_cbranch_execz .LBB19_5
	s_branch .LBB19_6
.LBB19_3:
	s_mov_b64 s[16:17], 0
	s_andn2_b64 vcc, exec, s[10:11]
	s_cbranch_vccz .LBB19_2
.LBB19_4:
	s_mov_b64 s[10:11], s[8:9]
	s_mov_b64 s[24:25], 0
	;; [unrolled: 1-line block ×3, first 2 shown]
.LBB19_5:
	s_lshl_b64 s[8:9], s[8:9], 3
	s_add_u32 s6, s6, s8
	s_load_dwordx2 s[4:5], s[0:1], 0x38
	s_addc_u32 s7, s7, s9
	s_load_dwordx2 s[6:7], s[6:7], 0x0
	s_waitcnt lgkmcnt(0)
	s_lshl_b64 s[4:5], s[4:5], 2
	s_add_u32 s18, s6, s4
	s_addc_u32 s19, s7, s5
.LBB19_6:
	s_load_dword s33, s[0:1], 0x40
	s_load_dwordx4 s[4:7], s[0:1], 0x58
	s_waitcnt lgkmcnt(0)
	v_cmp_eq_f32_e64 s[8:9], s33, 0
	v_cmp_neq_f32_e64 s[12:13], s33, 0
	s_and_b64 vcc, exec, s[8:9]
	s_cbranch_vccnz .LBB19_8
; %bb.7:
	s_load_dwordx2 s[8:9], s[0:1], 0x48
	s_lshl_b64 s[14:15], s[10:11], 3
	s_waitcnt lgkmcnt(0)
	s_add_u32 s8, s8, s14
	s_addc_u32 s9, s9, s15
	s_load_dwordx2 s[8:9], s[8:9], 0x0
	s_lshl_b64 s[4:5], s[4:5], 2
	s_waitcnt lgkmcnt(0)
	s_add_u32 s24, s8, s4
	s_addc_u32 s25, s9, s5
.LBB19_8:
	s_load_dword s26, s[0:1], 0x18
	s_lshl_b64 s[4:5], s[10:11], 3
	v_and_b32_e32 v65, 0x3ff, v0
	v_bfe_u32 v80, v0, 10, 10
	v_mov_b32_e32 v2, 0x7f7fffff
	s_waitcnt lgkmcnt(0)
	s_ashr_i32 s27, s26, 31
	s_add_u32 s14, s6, s4
	s_addc_u32 s15, s7, s5
	s_add_i32 s3, s20, -1
	s_ashr_i32 s4, s3, 31
	s_lshr_b32 s4, s4, 26
	s_add_i32 s3, s3, s4
	s_ashr_i32 s3, s3, 6
	s_add_i32 s5, s3, 1
	v_cvt_f32_u32_e32 v1, s5
	s_not_b32 s3, s3
	v_mov_b32_e32 v4, 0x7f7fffff
	v_rcp_iflag_f32_e32 v0, v1
	v_lshl_add_u32 v1, v80, 3, v65
	v_and_b32_e32 v3, 63, v1
	v_lshrrev_b32_e32 v64, 6, v1
	v_mul_f32_e32 v0, 0x4f7ffffe, v0
	v_cvt_u32_f32_e32 v0, v0
	v_cmp_le_i32_e64 s[10:11], s22, v64
	v_readfirstlane_b32 s4, v0
	s_mul_i32 s3, s3, s4
	s_mul_hi_u32 s3, s4, s3
	s_add_i32 s4, s4, s3
	s_mul_hi_u32 s3, s2, s4
	s_mul_i32 s4, s3, s5
	s_sub_i32 s4, s2, s4
	s_add_i32 s6, s3, 1
	s_sub_i32 s7, s4, s5
	s_cmp_ge_u32 s4, s5
	s_cselect_b32 s3, s6, s3
	s_cselect_b32 s4, s7, s4
	s_add_i32 s6, s3, 1
	s_cmp_ge_u32 s4, s5
	s_cselect_b32 s4, s6, s3
	s_mul_i32 s3, s4, s5
	s_sub_i32 s2, s2, s3
	s_lshl_b32 s34, s2, 6
	v_or_b32_e32 v56, s34, v3
	v_cmp_le_i32_e32 vcc, s20, v56
	v_ashrrev_i32_e32 v57, 31, v56
	s_nor_b64 s[6:7], vcc, s[10:11]
	s_and_saveexec_b64 s[2:3], s[6:7]
	s_cbranch_execz .LBB19_10
; %bb.9:
	v_mad_i64_i32 v[0:1], s[6:7], s26, v64, 0
	v_lshl_add_u64 v[0:1], v[0:1], 2, s[16:17]
	v_lshl_add_u64 v[0:1], v[56:57], 2, v[0:1]
	flat_load_dword v4, v[0:1]
.LBB19_10:
	s_or_b64 exec, exec, s[2:3]
	s_load_dword s28, s[0:1], 0x30
	s_lshl_b32 s35, s4, 8
	v_or_b32_e32 v58, s35, v3
	v_cmp_le_i32_e64 s[2:3], s21, v58
	s_nor_b64 s[6:7], s[2:3], s[10:11]
	s_waitcnt lgkmcnt(0)
	v_mad_i64_i32 v[0:1], s[4:5], v64, s28, 0
	v_lshl_add_u64 v[0:1], v[0:1], 2, s[18:19]
	v_ashrrev_i32_e32 v59, 31, v58
	s_and_saveexec_b64 s[4:5], s[6:7]
	s_cbranch_execz .LBB19_12
; %bb.11:
	v_lshl_add_u64 v[6:7], v[58:59], 2, v[0:1]
	flat_load_dword v2, v[6:7]
.LBB19_12:
	s_or_b64 exec, exec, s[4:5]
	v_or_b32_e32 v5, 64, v58
	v_cmp_le_i32_e64 s[4:5], s21, v5
	s_nor_b64 s[8:9], s[4:5], s[10:11]
	v_mov_b32_e32 v5, 0x7f7fffff
	v_mov_b32_e32 v6, 0x7f7fffff
	s_and_saveexec_b64 s[6:7], s[8:9]
	s_cbranch_execz .LBB19_14
; %bb.13:
	v_lshl_add_u64 v[6:7], v[58:59], 2, v[0:1]
	flat_load_dword v6, v[6:7] offset:256
.LBB19_14:
	s_or_b64 exec, exec, s[6:7]
	v_or_b32_e32 v7, 0x80, v58
	v_cmp_le_i32_e64 s[6:7], s21, v7
	s_ashr_i32 s29, s28, 31
	s_nor_b64 s[30:31], s[6:7], s[10:11]
	s_and_saveexec_b64 s[8:9], s[30:31]
	s_cbranch_execz .LBB19_16
; %bb.15:
	v_lshl_add_u64 v[8:9], v[58:59], 2, v[0:1]
	flat_load_dword v5, v[8:9] offset:512
.LBB19_16:
	s_or_b64 exec, exec, s[8:9]
	v_or_b32_e32 v7, 0xc0, v58
	v_cmp_le_i32_e64 s[8:9], s21, v7
	s_nor_b64 s[30:31], s[8:9], s[10:11]
	v_mov_b32_e32 v60, 0x7f7fffff
	v_mov_b32_e32 v7, 0x7f7fffff
	s_and_saveexec_b64 s[10:11], s[30:31]
	s_cbranch_execz .LBB19_18
; %bb.17:
	v_lshl_add_u64 v[0:1], v[58:59], 2, v[0:1]
	flat_load_dword v7, v[0:1] offset:768
.LBB19_18:
	s_or_b64 exec, exec, s[10:11]
	v_add_u32_e32 v0, 4, v64
	v_cmp_le_i32_e64 s[10:11], s22, v0
	s_nor_b64 s[36:37], vcc, s[10:11]
	s_and_saveexec_b64 s[30:31], s[36:37]
	s_cbranch_execz .LBB19_20
; %bb.19:
	v_mad_u64_u32 v[8:9], s[36:37], s26, v0, 0
	v_mov_b32_e32 v10, v9
	v_mad_u64_u32 v[10:11], s[36:37], s27, v0, v[10:11]
	v_mov_b32_e32 v9, v10
	v_lshl_add_u64 v[8:9], v[8:9], 2, s[16:17]
	v_lshl_add_u64 v[8:9], v[56:57], 2, v[8:9]
	flat_load_dword v60, v[8:9]
.LBB19_20:
	s_or_b64 exec, exec, s[30:31]
	v_mad_u64_u32 v[8:9], s[30:31], v0, s28, 0
	v_mov_b32_e32 v10, v9
	v_mad_u64_u32 v[0:1], s[30:31], v0, s29, v[10:11]
	v_mov_b32_e32 v9, v0
	v_lshl_add_u64 v[0:1], v[8:9], 2, s[18:19]
	s_nor_b64 s[36:37], s[2:3], s[10:11]
	v_mov_b32_e32 v61, 0x7f7fffff
	v_mov_b32_e32 v62, 0x7f7fffff
	s_and_saveexec_b64 s[30:31], s[36:37]
	s_cbranch_execz .LBB19_22
; %bb.21:
	v_lshl_add_u64 v[8:9], v[58:59], 2, v[0:1]
	flat_load_dword v62, v[8:9]
.LBB19_22:
	s_or_b64 exec, exec, s[30:31]
	s_nor_b64 s[36:37], s[4:5], s[10:11]
	s_and_saveexec_b64 s[30:31], s[36:37]
	s_cbranch_execz .LBB19_24
; %bb.23:
	v_lshl_add_u64 v[8:9], v[58:59], 2, v[0:1]
	flat_load_dword v61, v[8:9] offset:256
.LBB19_24:
	s_or_b64 exec, exec, s[30:31]
	s_nor_b64 s[36:37], s[6:7], s[10:11]
	v_mov_b32_e32 v63, 0x7f7fffff
	v_mov_b32_e32 v66, 0x7f7fffff
	s_and_saveexec_b64 s[30:31], s[36:37]
	s_cbranch_execz .LBB19_26
; %bb.25:
	v_lshl_add_u64 v[8:9], v[58:59], 2, v[0:1]
	flat_load_dword v66, v[8:9] offset:512
.LBB19_26:
	s_or_b64 exec, exec, s[30:31]
	s_nor_b64 s[30:31], s[8:9], s[10:11]
	s_and_saveexec_b64 s[10:11], s[30:31]
	s_cbranch_execz .LBB19_28
; %bb.27:
	v_lshl_add_u64 v[0:1], v[58:59], 2, v[0:1]
	flat_load_dword v63, v[0:1] offset:768
.LBB19_28:
	s_or_b64 exec, exec, s[10:11]
	v_lshlrev_b32_e32 v0, 4, v3
	v_lshl_add_u32 v83, v64, 2, v0
	v_lshlrev_b32_e32 v82, 4, v65
	s_load_dwordx2 s[14:15], s[14:15], 0x0
	s_waitcnt vmcnt(0)
	ds_write_b32 v83, v4 offset:8192
	s_waitcnt lgkmcnt(0)
	ds_write2st64_b32 v83, v2, v6 offset1:4
	ds_write2st64_b32 v83, v5, v7 offset0:8 offset1:12
	s_waitcnt lgkmcnt(0)
	s_barrier
	v_lshlrev_b32_e32 v81, 4, v80
	ds_read_b128 v[28:31], v82 offset:8192
	ds_read_b128 v[24:27], v82 offset:8320
	;; [unrolled: 1-line block ×8, first 2 shown]
	ds_read_b128 v[52:55], v81
	ds_read_b128 v[48:51], v81 offset:512
	ds_read_b128 v[44:47], v81 offset:1024
	;; [unrolled: 1-line block ×5, first 2 shown]
	s_waitcnt lgkmcnt(5)
	v_pk_add_f32 v[68:69], v[28:29], v[52:53]
	s_mov_b32 s10, 0x7f7fffff
	v_min3_f32 v67, v68, v69, s10
	v_pk_add_f32 v[68:69], v[24:25], v[52:53]
	s_cmp_lt_i32 s22, 9
	v_min3_f32 v70, v68, v69, s10
	v_pk_add_f32 v[68:69], v[20:21], v[52:53]
	s_nop 0
	v_min3_f32 v71, v68, v69, s10
	v_pk_add_f32 v[68:69], v[16:17], v[52:53]
	s_nop 0
	v_min3_f32 v72, v68, v69, s10
	v_pk_add_f32 v[68:69], v[12:13], v[52:53]
	s_nop 0
	v_min3_f32 v73, v68, v69, s10
	v_pk_add_f32 v[68:69], v[8:9], v[52:53]
	s_nop 0
	v_min3_f32 v74, v68, v69, s10
	v_pk_add_f32 v[68:69], v[4:5], v[52:53]
	v_pk_add_f32 v[52:53], v[0:1], v[52:53]
	v_min3_f32 v68, v68, v69, s10
	v_min3_f32 v69, v52, v53, s10
	s_waitcnt lgkmcnt(4)
	v_pk_add_f32 v[52:53], v[28:29], v[48:49]
	s_nop 0
	v_min3_f32 v75, v52, v53, s10
	v_pk_add_f32 v[52:53], v[24:25], v[48:49]
	s_nop 0
	v_min3_f32 v76, v52, v53, s10
	v_pk_add_f32 v[52:53], v[20:21], v[48:49]
	s_nop 0
	v_min3_f32 v77, v52, v53, s10
	v_pk_add_f32 v[52:53], v[16:17], v[48:49]
	s_nop 0
	v_min3_f32 v78, v52, v53, s10
	v_pk_add_f32 v[52:53], v[12:13], v[48:49]
	s_nop 0
	v_min3_f32 v79, v52, v53, s10
	v_pk_add_f32 v[52:53], v[8:9], v[48:49]
	s_nop 0
	v_min3_f32 v84, v52, v53, s10
	v_pk_add_f32 v[52:53], v[4:5], v[48:49]
	v_pk_add_f32 v[48:49], v[0:1], v[48:49]
	v_min3_f32 v85, v52, v53, s10
	v_min3_f32 v86, v48, v49, s10
	s_waitcnt lgkmcnt(3)
	v_pk_add_f32 v[48:49], v[28:29], v[44:45]
	s_nop 0
	v_min3_f32 v87, v48, v49, s10
	v_pk_add_f32 v[48:49], v[24:25], v[44:45]
	s_nop 0
	;; [unrolled: 23-line block ×5, first 2 shown]
	v_min3_f32 v106, v36, v37, s10
	v_pk_add_f32 v[36:37], v[20:21], v[32:33]
	s_nop 0
	v_min3_f32 v123, v36, v37, s10
	v_pk_add_f32 v[36:37], v[16:17], v[32:33]
	s_nop 0
	;; [unrolled: 3-line block ×4, first 2 shown]
	v_min3_f32 v151, v36, v37, s10
	v_pk_add_f32 v[36:37], v[4:5], v[32:33]
	v_pk_add_f32 v[32:33], v[0:1], v[32:33]
	v_min3_f32 v152, v36, v37, s10
	v_pk_add_f32 v[36:37], v[30:31], v[54:55]
	s_nop 0
	v_min3_f32 v148, v36, v37, v67
	v_pk_add_f32 v[36:37], v[26:27], v[54:55]
	v_min3_f32 v67, v32, v33, s10
	v_min3_f32 v147, v36, v37, v70
	v_pk_add_f32 v[36:37], v[22:23], v[54:55]
	s_nop 0
	v_min3_f32 v146, v36, v37, v71
	v_pk_add_f32 v[36:37], v[18:19], v[54:55]
	s_nop 0
	;; [unrolled: 3-line block ×5, first 2 shown]
	v_min3_f32 v142, v36, v37, v68
	v_pk_add_f32 v[36:37], v[2:3], v[54:55]
	ds_read_b128 v[52:55], v81 offset:3072
	v_min3_f32 v141, v36, v37, v69
	ds_read_b128 v[68:71], v81 offset:3584
	v_pk_add_f32 v[36:37], v[30:31], v[50:51]
	ds_write_b32 v83, v60 offset:9216
	ds_write2st64_b32 v83, v62, v61 offset0:16 offset1:20
	ds_write2st64_b32 v83, v66, v63 offset0:24 offset1:28
	s_waitcnt lgkmcnt(4)
	v_pk_add_f32 v[32:33], v[28:29], v[52:53]
	v_min3_f32 v140, v36, v37, v75
	v_min3_f32 v72, v32, v33, s10
	v_pk_add_f32 v[32:33], v[2:3], v[50:51]
	v_pk_add_f32 v[36:37], v[26:27], v[50:51]
	v_min3_f32 v135, v32, v33, v86
	v_pk_add_f32 v[32:33], v[30:31], v[46:47]
	v_min3_f32 v139, v36, v37, v76
	v_min3_f32 v133, v32, v33, v87
	v_pk_add_f32 v[32:33], v[26:27], v[46:47]
	v_pk_add_f32 v[36:37], v[22:23], v[50:51]
	v_min3_f32 v131, v32, v33, v88
	;; [unrolled: 6-line block ×10, first 2 shown]
	v_pk_add_f32 v[32:33], v[30:31], v[38:39]
	s_waitcnt lgkmcnt(3)
	v_pk_add_f32 v[8:9], v[8:9], v[68:69]
	v_pk_add_f32 v[4:5], v[4:5], v[68:69]
	v_min3_f32 v115, v32, v33, v99
	v_pk_add_f32 v[32:33], v[26:27], v[38:39]
	v_min3_f32 v8, v8, v9, s10
	v_min3_f32 v9, v4, v5, s10
	v_pk_add_f32 v[4:5], v[30:31], v[54:55]
	v_min3_f32 v114, v32, v33, v100
	v_pk_add_f32 v[32:33], v[22:23], v[38:39]
	;; [unrolled: 2-line block ×11, first 2 shown]
	v_min3_f32 v36, v36, v37, s10
	v_min3_f32 v109, v32, v33, v40
	v_pk_add_f32 v[32:33], v[0:1], v[52:53]
	v_min3_f32 v94, v4, v5, v46
	v_pk_add_f32 v[4:5], v[6:7], v[54:55]
	v_pk_add_f32 v[0:1], v[0:1], v[68:69]
	v_min3_f32 v32, v32, v33, s10
	v_pk_add_f32 v[28:29], v[28:29], v[68:69]
	v_min3_f32 v93, v4, v5, v36
	v_min3_f32 v4, v0, v1, s10
	v_pk_add_f32 v[0:1], v[2:3], v[54:55]
	v_min3_f32 v33, v28, v29, s10
	v_pk_add_f32 v[24:25], v[24:25], v[68:69]
	v_pk_add_f32 v[20:21], v[20:21], v[68:69]
	v_min3_f32 v92, v0, v1, v32
	v_pk_add_f32 v[0:1], v[30:31], v[70:71]
	v_min3_f32 v24, v24, v25, s10
	v_min3_f32 v25, v20, v21, s10
	v_pk_add_f32 v[20:21], v[30:31], v[34:35]
	v_min3_f32 v91, v0, v1, v33
	v_pk_add_f32 v[0:1], v[26:27], v[70:71]
	v_min3_f32 v107, v20, v21, v105
	v_pk_add_f32 v[20:21], v[26:27], v[34:35]
	v_pk_add_f32 v[16:17], v[16:17], v[68:69]
	v_min3_f32 v90, v0, v1, v24
	v_pk_add_f32 v[0:1], v[22:23], v[70:71]
	v_min3_f32 v106, v20, v21, v106
	;; [unrolled: 2-line block ×6, first 2 shown]
	v_min3_f32 v87, v0, v1, v16
	v_pk_add_f32 v[0:1], v[14:15], v[70:71]
	v_min3_f32 v104, v20, v21, v149
	v_pk_add_f32 v[20:21], v[14:15], v[34:35]
	;; [unrolled: 2-line block ×5, first 2 shown]
	v_pk_add_f32 v[28:29], v[2:3], v[38:39]
	v_min3_f32 v102, v20, v21, v151
	v_pk_add_f32 v[20:21], v[6:7], v[34:35]
	v_pk_add_f32 v[12:13], v[2:3], v[34:35]
	v_min3_f32 v84, v0, v1, v9
	v_pk_add_f32 v[0:1], v[2:3], v[70:71]
	v_min3_f32 v108, v28, v29, v41
	v_min3_f32 v101, v20, v21, v152
	;; [unrolled: 1-line block ×4, first 2 shown]
	s_waitcnt lgkmcnt(0)
	s_barrier
	s_cbranch_scc1 .LBB19_51
; %bb.29:
	v_mov_b32_e32 v0, 0x2400
	v_lshl_add_u32 v152, v65, 4, v0
	v_mov_b32_e32 v0, 0x1000
	v_add_u32_e32 v2, 8, v64
	v_lshl_add_u32 v153, v80, 4, v0
	v_mad_i64_i32 v[0:1], s[10:11], v2, s26, 0
	v_lshlrev_b64 v[68:69], 2, v[0:1]
	v_mad_i64_i32 v[0:1], s[10:11], v2, s28, 0
	v_add_u32_e32 v2, 12, v64
	v_lshlrev_b64 v[70:71], 2, v[0:1]
	v_mad_i64_i32 v[0:1], s[10:11], v2, s28, 0
	v_lshlrev_b64 v[74:75], 2, v[0:1]
	v_mad_i64_i32 v[0:1], s[10:11], v2, s26, 0
	v_or_b32_e32 v123, 0x2000, v83
	v_add_u32_e32 v149, 0x2000, v82
	v_add_u32_e32 v150, 0x2400, v83
	v_or_b32_e32 v151, 0x1000, v83
	s_add_i32 s23, s22, -8
	v_lshl_add_u64 v[66:67], v[56:57], 2, s[16:17]
	s_lshl_b64 s[16:17], s[26:27], 5
	v_lshl_add_u64 v[72:73], v[58:59], 2, s[18:19]
	s_lshl_b64 s[18:19], s[28:29], 5
	v_lshlrev_b64 v[76:77], 2, v[0:1]
	s_mov_b32 s28, 0
	s_branch .LBB19_31
.LBB19_30:                              ;   in Loop: Header=BB19_31 Depth=1
	s_or_b64 exec, exec, s[10:11]
	v_pk_add_f32 v[78:79], v[28:29], v[60:61]
	s_add_i32 s28, s28, 8
	v_min3_f32 v148, v78, v79, v148
	v_pk_add_f32 v[78:79], v[24:25], v[60:61]
	v_lshl_add_u64 v[66:67], v[66:67], 0, s[16:17]
	v_min3_f32 v147, v78, v79, v147
	v_pk_add_f32 v[78:79], v[20:21], v[60:61]
	s_cmp_ge_i32 s28, s23
	v_min3_f32 v146, v78, v79, v146
	v_pk_add_f32 v[78:79], v[16:17], v[60:61]
	v_lshl_add_u64 v[72:73], v[72:73], 0, s[18:19]
	v_min3_f32 v145, v78, v79, v145
	v_pk_add_f32 v[78:79], v[12:13], v[60:61]
	s_nop 0
	v_min3_f32 v144, v78, v79, v144
	v_pk_add_f32 v[78:79], v[8:9], v[60:61]
	s_nop 0
	v_min3_f32 v143, v78, v79, v143
	v_pk_add_f32 v[78:79], v[4:5], v[60:61]
	v_pk_add_f32 v[60:61], v[0:1], v[60:61]
	v_min3_f32 v78, v78, v79, v142
	v_min3_f32 v79, v60, v61, v141
	v_pk_add_f32 v[60:61], v[28:29], v[56:57]
	s_nop 0
	v_min3_f32 v140, v60, v61, v140
	v_pk_add_f32 v[60:61], v[24:25], v[56:57]
	s_nop 0
	v_min3_f32 v139, v60, v61, v139
	v_pk_add_f32 v[60:61], v[20:21], v[56:57]
	s_nop 0
	v_min3_f32 v138, v60, v61, v138
	v_pk_add_f32 v[60:61], v[16:17], v[56:57]
	s_nop 0
	v_min3_f32 v137, v60, v61, v137
	v_pk_add_f32 v[60:61], v[12:13], v[56:57]
	s_nop 0
	v_min3_f32 v136, v60, v61, v136
	v_pk_add_f32 v[60:61], v[8:9], v[56:57]
	s_nop 0
	v_min3_f32 v134, v60, v61, v134
	v_pk_add_f32 v[60:61], v[4:5], v[56:57]
	v_pk_add_f32 v[56:57], v[0:1], v[56:57]
	v_min3_f32 v60, v60, v61, v132
	v_min3_f32 v61, v56, v57, v135
	v_pk_add_f32 v[56:57], v[28:29], v[52:53]
	s_nop 0
	v_min3_f32 v132, v56, v57, v133
	v_pk_add_f32 v[56:57], v[24:25], v[52:53]
	s_nop 0
	v_min3_f32 v131, v56, v57, v131
	v_pk_add_f32 v[56:57], v[20:21], v[52:53]
	s_nop 0
	v_min3_f32 v130, v56, v57, v130
	v_pk_add_f32 v[56:57], v[16:17], v[52:53]
	s_nop 0
	;; [unrolled: 22-line block ×5, first 2 shown]
	v_min3_f32 v104, v44, v45, v104
	v_pk_add_f32 v[44:45], v[12:13], v[40:41]
	s_nop 0
	v_min3_f32 v103, v44, v45, v103
	v_pk_add_f32 v[44:45], v[8:9], v[40:41]
	s_nop 0
	v_min3_f32 v102, v44, v45, v102
	v_pk_add_f32 v[44:45], v[4:5], v[40:41]
	v_pk_add_f32 v[40:41], v[0:1], v[40:41]
	v_min3_f32 v44, v44, v45, v101
	v_min3_f32 v45, v40, v41, v100
	v_pk_add_f32 v[40:41], v[28:29], v[36:37]
	v_pk_add_f32 v[28:29], v[28:29], v[32:33]
	v_min3_f32 v99, v40, v41, v99
	v_pk_add_f32 v[40:41], v[24:25], v[36:37]
	v_pk_add_f32 v[24:25], v[24:25], v[32:33]
	;; [unrolled: 3-line block ×7, first 2 shown]
	v_pk_add_f32 v[4:5], v[4:5], v[32:33]
	v_pk_add_f32 v[0:1], v[0:1], v[32:33]
	v_min3_f32 v4, v4, v5, v84
	v_min3_f32 v5, v0, v1, v88
	v_pk_add_f32 v[0:1], v[30:31], v[62:63]
	v_min3_f32 v8, v8, v9, v85
	v_min3_f32 v84, v0, v1, v148
	;; [unrolled: 3-line block ×9, first 2 shown]
	v_pk_add_f32 v[0:1], v[30:31], v[58:59]
	s_nop 0
	v_min3_f32 v92, v0, v1, v140
	v_pk_add_f32 v[0:1], v[26:27], v[58:59]
	s_nop 0
	v_min3_f32 v93, v0, v1, v139
	;; [unrolled: 3-line block ×56, first 2 shown]
	ds_read_b128 v[0:3], v149
	ds_read_b128 v[4:7], v149 offset:128
	ds_read_b128 v[8:11], v149 offset:256
	;; [unrolled: 1-line block ×7, first 2 shown]
	ds_read_b128 v[36:39], v81
	ds_read_b128 v[40:43], v81 offset:512
	ds_read_b128 v[44:47], v81 offset:1024
	;; [unrolled: 1-line block ×7, first 2 shown]
	s_waitcnt lgkmcnt(0)
	v_pk_add_f32 v[78:79], v[0:1], v[36:37]
	s_waitcnt vmcnt(0)
	ds_write_b32 v150, v154
	ds_write2st64_b32 v151, v156, v155 offset1:4
	ds_write2st64_b32 v151, v158, v157 offset0:8 offset1:12
	v_min3_f32 v84, v78, v79, v84
	v_pk_add_f32 v[78:79], v[4:5], v[36:37]
	s_waitcnt lgkmcnt(0)
	v_min3_f32 v85, v78, v79, v85
	v_pk_add_f32 v[78:79], v[8:9], v[36:37]
	s_barrier
	v_min3_f32 v86, v78, v79, v86
	v_pk_add_f32 v[78:79], v[12:13], v[36:37]
	s_nop 0
	v_min3_f32 v87, v78, v79, v87
	v_pk_add_f32 v[78:79], v[16:17], v[36:37]
	s_nop 0
	;; [unrolled: 3-line block ×3, first 2 shown]
	v_min3_f32 v89, v78, v79, v89
	v_pk_add_f32 v[78:79], v[24:25], v[36:37]
	v_pk_add_f32 v[36:37], v[28:29], v[36:37]
	v_min3_f32 v78, v78, v79, v90
	v_min3_f32 v79, v36, v37, v91
	v_pk_add_f32 v[36:37], v[0:1], v[40:41]
	s_nop 0
	v_min3_f32 v90, v36, v37, v92
	v_pk_add_f32 v[36:37], v[4:5], v[40:41]
	s_nop 0
	;; [unrolled: 3-line block ×40, first 2 shown]
	v_min3_f32 v56, v36, v37, v138
	v_pk_add_f32 v[36:37], v[0:1], v[60:61]
	v_pk_add_f32 v[0:1], v[0:1], v[32:33]
	v_min3_f32 v57, v36, v37, v99
	v_pk_add_f32 v[36:37], v[4:5], v[60:61]
	s_nop 0
	v_min3_f32 v98, v36, v37, v98
	v_pk_add_f32 v[36:37], v[8:9], v[60:61]
	s_nop 0
	;; [unrolled: 3-line block ×7, first 2 shown]
	v_min3_f32 v36, v36, v37, v140
	v_min3_f32 v37, v0, v1, v141
	v_pk_add_f32 v[0:1], v[4:5], v[32:33]
	s_nop 0
	v_min3_f32 v4, v0, v1, v142
	v_pk_add_f32 v[0:1], v[8:9], v[32:33]
	s_nop 0
	v_min3_f32 v5, v0, v1, v143
	v_pk_add_f32 v[0:1], v[12:13], v[32:33]
	s_nop 0
	v_min3_f32 v8, v0, v1, v144
	v_pk_add_f32 v[0:1], v[16:17], v[32:33]
	s_nop 0
	v_min3_f32 v9, v0, v1, v145
	v_pk_add_f32 v[0:1], v[20:21], v[32:33]
	s_nop 0
	v_min3_f32 v12, v0, v1, v146
	v_pk_add_f32 v[0:1], v[24:25], v[32:33]
	s_nop 0
	v_min3_f32 v13, v0, v1, v147
	v_pk_add_f32 v[0:1], v[28:29], v[32:33]
	s_nop 0
	v_min3_f32 v16, v0, v1, v148
	v_pk_add_f32 v[0:1], v[2:3], v[38:39]
	s_nop 0
	v_min3_f32 v148, v0, v1, v84
	v_pk_add_f32 v[0:1], v[6:7], v[38:39]
	s_nop 0
	v_min3_f32 v147, v0, v1, v85
	v_pk_add_f32 v[0:1], v[10:11], v[38:39]
	s_nop 0
	v_min3_f32 v146, v0, v1, v86
	v_pk_add_f32 v[0:1], v[14:15], v[38:39]
	s_nop 0
	v_min3_f32 v145, v0, v1, v87
	v_pk_add_f32 v[0:1], v[18:19], v[38:39]
	s_nop 0
	v_min3_f32 v144, v0, v1, v88
	v_pk_add_f32 v[0:1], v[22:23], v[38:39]
	s_nop 0
	v_min3_f32 v143, v0, v1, v89
	v_pk_add_f32 v[0:1], v[26:27], v[38:39]
	s_nop 0
	v_min3_f32 v142, v0, v1, v78
	v_pk_add_f32 v[0:1], v[30:31], v[38:39]
	s_nop 0
	v_min3_f32 v141, v0, v1, v79
	v_pk_add_f32 v[0:1], v[2:3], v[42:43]
	s_nop 0
	v_min3_f32 v140, v0, v1, v90
	v_pk_add_f32 v[0:1], v[6:7], v[42:43]
	s_nop 0
	v_min3_f32 v139, v0, v1, v91
	v_pk_add_f32 v[0:1], v[10:11], v[42:43]
	s_nop 0
	v_min3_f32 v138, v0, v1, v92
	v_pk_add_f32 v[0:1], v[14:15], v[42:43]
	s_nop 0
	v_min3_f32 v137, v0, v1, v93
	v_pk_add_f32 v[0:1], v[18:19], v[42:43]
	s_nop 0
	v_min3_f32 v136, v0, v1, v100
	v_pk_add_f32 v[0:1], v[22:23], v[42:43]
	s_nop 0
	v_min3_f32 v134, v0, v1, v101
	v_pk_add_f32 v[0:1], v[26:27], v[42:43]
	s_nop 0
	v_min3_f32 v132, v0, v1, v108
	v_pk_add_f32 v[0:1], v[30:31], v[42:43]
	s_nop 0
	v_min3_f32 v135, v0, v1, v40
	v_pk_add_f32 v[0:1], v[2:3], v[46:47]
	s_nop 0
	v_min3_f32 v133, v0, v1, v41
	v_pk_add_f32 v[0:1], v[6:7], v[46:47]
	s_nop 0
	v_min3_f32 v131, v0, v1, v109
	v_pk_add_f32 v[0:1], v[10:11], v[46:47]
	s_nop 0
	v_min3_f32 v130, v0, v1, v116
	v_pk_add_f32 v[0:1], v[14:15], v[46:47]
	s_nop 0
	v_min3_f32 v129, v0, v1, v117
	v_pk_add_f32 v[0:1], v[18:19], v[46:47]
	s_nop 0
	v_min3_f32 v128, v0, v1, v125
	v_pk_add_f32 v[0:1], v[22:23], v[46:47]
	s_nop 0
	v_min3_f32 v127, v0, v1, v126
	v_pk_add_f32 v[0:1], v[26:27], v[46:47]
	s_nop 0
	v_min3_f32 v126, v0, v1, v159
	v_pk_add_f32 v[0:1], v[30:31], v[46:47]
	s_nop 0
	v_min3_f32 v125, v0, v1, v44
	v_pk_add_f32 v[0:1], v[2:3], v[50:51]
	s_nop 0
	v_min3_f32 v124, v0, v1, v45
	v_pk_add_f32 v[0:1], v[6:7], v[50:51]
	s_nop 0
	v_min3_f32 v122, v0, v1, v122
	v_pk_add_f32 v[0:1], v[10:11], v[50:51]
	s_nop 0
	v_min3_f32 v121, v0, v1, v121
	v_pk_add_f32 v[0:1], v[14:15], v[50:51]
	s_nop 0
	v_min3_f32 v120, v0, v1, v120
	v_pk_add_f32 v[0:1], v[18:19], v[50:51]
	s_nop 0
	v_min3_f32 v119, v0, v1, v119
	v_pk_add_f32 v[0:1], v[22:23], v[50:51]
	s_nop 0
	v_min3_f32 v118, v0, v1, v118
	v_pk_add_f32 v[0:1], v[26:27], v[50:51]
	s_nop 0
	v_min3_f32 v117, v0, v1, v160
	v_pk_add_f32 v[0:1], v[30:31], v[50:51]
	s_nop 0
	v_min3_f32 v116, v0, v1, v48
	v_pk_add_f32 v[0:1], v[2:3], v[54:55]
	s_nop 0
	v_min3_f32 v115, v0, v1, v49
	v_pk_add_f32 v[0:1], v[6:7], v[54:55]
	s_nop 0
	v_min3_f32 v114, v0, v1, v114
	v_pk_add_f32 v[0:1], v[10:11], v[54:55]
	s_nop 0
	v_min3_f32 v113, v0, v1, v113
	v_pk_add_f32 v[0:1], v[14:15], v[54:55]
	s_nop 0
	v_min3_f32 v112, v0, v1, v112
	v_pk_add_f32 v[0:1], v[18:19], v[54:55]
	s_nop 0
	v_min3_f32 v111, v0, v1, v111
	v_pk_add_f32 v[0:1], v[22:23], v[54:55]
	s_nop 0
	v_min3_f32 v110, v0, v1, v110
	v_pk_add_f32 v[0:1], v[26:27], v[54:55]
	s_nop 0
	v_min3_f32 v109, v0, v1, v161
	v_pk_add_f32 v[0:1], v[30:31], v[54:55]
	s_nop 0
	v_min3_f32 v108, v0, v1, v52
	v_pk_add_f32 v[0:1], v[2:3], v[58:59]
	s_nop 0
	v_min3_f32 v107, v0, v1, v53
	v_pk_add_f32 v[0:1], v[6:7], v[58:59]
	s_nop 0
	v_min3_f32 v106, v0, v1, v106
	v_pk_add_f32 v[0:1], v[10:11], v[58:59]
	s_nop 0
	v_min3_f32 v105, v0, v1, v105
	v_pk_add_f32 v[0:1], v[14:15], v[58:59]
	s_nop 0
	v_min3_f32 v104, v0, v1, v104
	v_pk_add_f32 v[0:1], v[18:19], v[58:59]
	s_nop 0
	v_min3_f32 v103, v0, v1, v103
	v_pk_add_f32 v[0:1], v[22:23], v[58:59]
	s_nop 0
	v_min3_f32 v102, v0, v1, v102
	v_pk_add_f32 v[0:1], v[26:27], v[58:59]
	s_nop 0
	v_min3_f32 v101, v0, v1, v162
	v_pk_add_f32 v[0:1], v[30:31], v[58:59]
	s_nop 0
	v_min3_f32 v100, v0, v1, v56
	v_pk_add_f32 v[0:1], v[2:3], v[62:63]
	s_nop 0
	v_min3_f32 v99, v0, v1, v57
	v_pk_add_f32 v[0:1], v[6:7], v[62:63]
	s_nop 0
	v_min3_f32 v98, v0, v1, v98
	v_pk_add_f32 v[0:1], v[10:11], v[62:63]
	s_nop 0
	v_min3_f32 v97, v0, v1, v97
	v_pk_add_f32 v[0:1], v[14:15], v[62:63]
	s_nop 0
	v_min3_f32 v96, v0, v1, v96
	v_pk_add_f32 v[0:1], v[18:19], v[62:63]
	s_nop 0
	v_min3_f32 v95, v0, v1, v95
	v_pk_add_f32 v[0:1], v[22:23], v[62:63]
	s_nop 0
	v_min3_f32 v94, v0, v1, v94
	v_pk_add_f32 v[0:1], v[26:27], v[62:63]
	s_nop 0
	v_min3_f32 v93, v0, v1, v163
	v_pk_add_f32 v[0:1], v[30:31], v[62:63]
	s_nop 0
	v_min3_f32 v92, v0, v1, v36
	v_pk_add_f32 v[0:1], v[2:3], v[34:35]
	s_nop 0
	v_min3_f32 v91, v0, v1, v37
	v_pk_add_f32 v[0:1], v[6:7], v[34:35]
	s_nop 0
	v_min3_f32 v90, v0, v1, v4
	v_pk_add_f32 v[0:1], v[10:11], v[34:35]
	s_nop 0
	v_min3_f32 v89, v0, v1, v5
	v_pk_add_f32 v[0:1], v[14:15], v[34:35]
	s_nop 0
	v_min3_f32 v87, v0, v1, v8
	v_pk_add_f32 v[0:1], v[18:19], v[34:35]
	s_nop 0
	v_min3_f32 v86, v0, v1, v9
	v_pk_add_f32 v[0:1], v[22:23], v[34:35]
	s_nop 0
	v_min3_f32 v85, v0, v1, v12
	v_pk_add_f32 v[0:1], v[26:27], v[34:35]
	s_nop 0
	v_min3_f32 v84, v0, v1, v13
	v_pk_add_f32 v[0:1], v[30:31], v[34:35]
	s_nop 0
	v_min3_f32 v88, v0, v1, v16
	s_cbranch_scc1 .LBB19_51
.LBB19_31:                              ; =>This Inner Loop Header: Depth=1
	v_add_u32_e32 v78, s28, v64
	v_add_u32_e32 v0, 8, v78
	v_cmp_le_i32_e64 s[10:11], s22, v0
	s_nor_b64 s[30:31], vcc, s[10:11]
	v_mov_b32_e32 v79, 0x7f7fffff
	v_mov_b32_e32 v155, 0x7f7fffff
	s_and_saveexec_b64 s[26:27], s[30:31]
	s_cbranch_execz .LBB19_33
; %bb.32:                               ;   in Loop: Header=BB19_31 Depth=1
	v_lshl_add_u64 v[0:1], v[66:67], 0, v[68:69]
	flat_load_dword v155, v[0:1]
.LBB19_33:                              ;   in Loop: Header=BB19_31 Depth=1
	s_or_b64 exec, exec, s[26:27]
	s_nor_b64 s[30:31], s[2:3], s[10:11]
	v_lshl_add_u64 v[0:1], v[72:73], 0, v[70:71]
	s_and_saveexec_b64 s[26:27], s[30:31]
	s_cbranch_execz .LBB19_35
; %bb.34:                               ;   in Loop: Header=BB19_31 Depth=1
	flat_load_dword v79, v[0:1]
.LBB19_35:                              ;   in Loop: Header=BB19_31 Depth=1
	s_or_b64 exec, exec, s[26:27]
	s_nor_b64 s[30:31], s[4:5], s[10:11]
	v_mov_b32_e32 v156, 0x7f7fffff
	v_mov_b32_e32 v157, 0x7f7fffff
	s_and_saveexec_b64 s[26:27], s[30:31]
	s_cbranch_execz .LBB19_37
; %bb.36:                               ;   in Loop: Header=BB19_31 Depth=1
	flat_load_dword v157, v[0:1] offset:256
.LBB19_37:                              ;   in Loop: Header=BB19_31 Depth=1
	s_or_b64 exec, exec, s[26:27]
	s_nor_b64 s[30:31], s[6:7], s[10:11]
	s_and_saveexec_b64 s[26:27], s[30:31]
	s_cbranch_execz .LBB19_39
; %bb.38:                               ;   in Loop: Header=BB19_31 Depth=1
	flat_load_dword v156, v[0:1] offset:512
.LBB19_39:                              ;   in Loop: Header=BB19_31 Depth=1
	s_or_b64 exec, exec, s[26:27]
	s_nor_b64 s[26:27], s[8:9], s[10:11]
	v_mov_b32_e32 v154, 0x7f7fffff
	v_mov_b32_e32 v158, 0x7f7fffff
	s_and_saveexec_b64 s[10:11], s[26:27]
	s_cbranch_execz .LBB19_41
; %bb.40:                               ;   in Loop: Header=BB19_31 Depth=1
	flat_load_dword v158, v[0:1] offset:768
.LBB19_41:                              ;   in Loop: Header=BB19_31 Depth=1
	s_or_b64 exec, exec, s[10:11]
	ds_read_b128 v[28:31], v152
	ds_read_b128 v[24:27], v152 offset:128
	ds_read_b128 v[20:23], v152 offset:256
	;; [unrolled: 1-line block ×7, first 2 shown]
	ds_read_b128 v[60:63], v153
	ds_read_b128 v[56:59], v153 offset:512
	ds_read_b128 v[52:55], v153 offset:1024
	;; [unrolled: 1-line block ×7, first 2 shown]
	v_add_u32_e32 v78, 12, v78
	v_cmp_le_i32_e64 s[10:11], s22, v78
	s_nor_b64 s[30:31], vcc, s[10:11]
	s_waitcnt vmcnt(0) lgkmcnt(0)
	ds_write_b32 v123, v155
	ds_write2st64_b32 v83, v79, v157 offset1:4
	ds_write2st64_b32 v83, v156, v158 offset0:8 offset1:12
	s_waitcnt lgkmcnt(0)
	s_barrier
	s_and_saveexec_b64 s[26:27], s[30:31]
	s_cbranch_execz .LBB19_43
; %bb.42:                               ;   in Loop: Header=BB19_31 Depth=1
	v_lshl_add_u64 v[78:79], v[66:67], 0, v[76:77]
	flat_load_dword v154, v[78:79]
.LBB19_43:                              ;   in Loop: Header=BB19_31 Depth=1
	s_or_b64 exec, exec, s[26:27]
	s_nor_b64 s[30:31], s[2:3], s[10:11]
	v_mov_b32_e32 v155, 0x7f7fffff
	v_lshl_add_u64 v[78:79], v[72:73], 0, v[74:75]
	v_mov_b32_e32 v156, 0x7f7fffff
	s_and_saveexec_b64 s[26:27], s[30:31]
	s_cbranch_execz .LBB19_45
; %bb.44:                               ;   in Loop: Header=BB19_31 Depth=1
	flat_load_dword v156, v[78:79]
.LBB19_45:                              ;   in Loop: Header=BB19_31 Depth=1
	s_or_b64 exec, exec, s[26:27]
	s_nor_b64 s[30:31], s[4:5], s[10:11]
	s_and_saveexec_b64 s[26:27], s[30:31]
	s_cbranch_execz .LBB19_47
; %bb.46:                               ;   in Loop: Header=BB19_31 Depth=1
	flat_load_dword v155, v[78:79] offset:256
.LBB19_47:                              ;   in Loop: Header=BB19_31 Depth=1
	s_or_b64 exec, exec, s[26:27]
	s_nor_b64 s[30:31], s[6:7], s[10:11]
	v_mov_b32_e32 v157, 0x7f7fffff
	v_mov_b32_e32 v158, 0x7f7fffff
	s_and_saveexec_b64 s[26:27], s[30:31]
	s_cbranch_execz .LBB19_49
; %bb.48:                               ;   in Loop: Header=BB19_31 Depth=1
	flat_load_dword v158, v[78:79] offset:512
.LBB19_49:                              ;   in Loop: Header=BB19_31 Depth=1
	s_or_b64 exec, exec, s[26:27]
	s_nor_b64 s[26:27], s[8:9], s[10:11]
	s_and_saveexec_b64 s[10:11], s[26:27]
	s_cbranch_execz .LBB19_30
; %bb.50:                               ;   in Loop: Header=BB19_31 Depth=1
	flat_load_dword v157, v[78:79] offset:768
	s_branch .LBB19_30
.LBB19_51:
	s_load_dwordx2 s[2:3], s[0:1], 0x70
	s_load_dword s29, s[0:1], 0x50
	s_load_dword s28, s[0:1], 0x68
	ds_read_b128 v[32:35], v82 offset:9216
	ds_read_b128 v[28:31], v82 offset:9344
	;; [unrolled: 1-line block ×16, first 2 shown]
	s_waitcnt lgkmcnt(0)
	s_lshl_b64 s[0:1], s[2:3], 2
	s_add_u32 s22, s14, s0
	v_add_u32_e32 v123, s35, v80
	s_addc_u32 s23, s15, s1
	v_mad_i64_i32 v[66:67], s[0:1], v123, s29, 0
	v_add_u32_e32 v64, s34, v65
	v_lshl_add_u64 v[82:83], v[66:67], 2, s[24:25]
	v_mad_i64_i32 v[66:67], s[0:1], v123, s28, 0
	v_cmp_gt_i32_e64 s[18:19], s21, v123
	v_lshl_add_u64 v[80:81], v[66:67], 2, s[22:23]
	v_cmp_gt_i32_e64 s[2:3], s20, v64
	v_cndmask_b32_e64 v66, 0, 1, s[12:13]
	s_and_b64 s[6:7], s[2:3], s[18:19]
	v_ashrrev_i32_e32 v65, 31, v64
	v_cmp_ne_u32_e64 s[0:1], 1, v66
	s_and_saveexec_b64 s[4:5], s[6:7]
	s_cbranch_execz .LBB19_56
; %bb.52:
	s_and_b64 vcc, exec, s[0:1]
	s_cbranch_vccnz .LBB19_54
; %bb.53:
	v_lshl_add_u64 v[66:67], v[64:65], 2, v[82:83]
	flat_load_dword v66, v[66:67]
	s_waitcnt vmcnt(0) lgkmcnt(0)
	v_mul_f32_e32 v66, s33, v66
	s_branch .LBB19_55
.LBB19_54:
	v_mov_b32_e32 v66, 0
.LBB19_55:
	v_pk_add_f32 v[68:69], v[32:33], v[60:61]
	s_nop 0
	v_min3_f32 v67, v68, v69, v148
	v_pk_add_f32 v[68:69], v[34:35], v[62:63]
	s_nop 0
	v_min_f32_e32 v68, v68, v69
	v_min3_f32 v68, v66, v68, v67
	v_lshl_add_u64 v[66:67], v[64:65], 2, v[80:81]
	flat_store_dword v[66:67], v68
.LBB19_56:
	s_or_b64 exec, exec, s[4:5]
	v_add_u32_e32 v66, 8, v64
	v_cmp_gt_i32_e64 s[4:5], s20, v66
	s_and_b64 s[8:9], s[4:5], s[18:19]
	v_ashrrev_i32_e32 v67, 31, v66
	s_and_saveexec_b64 s[6:7], s[8:9]
	s_cbranch_execz .LBB19_61
; %bb.57:
	s_and_b64 vcc, exec, s[0:1]
	s_cbranch_vccnz .LBB19_59
; %bb.58:
	v_lshl_add_u64 v[68:69], v[66:67], 2, v[82:83]
	flat_load_dword v68, v[68:69]
	s_waitcnt vmcnt(0) lgkmcnt(0)
	v_mul_f32_e32 v68, s33, v68
	s_branch .LBB19_60
.LBB19_59:
	v_mov_b32_e32 v68, 0
.LBB19_60:
	v_pk_add_f32 v[70:71], v[28:29], v[60:61]
	s_nop 0
	v_min3_f32 v69, v70, v71, v147
	v_pk_add_f32 v[70:71], v[30:31], v[62:63]
	s_nop 0
	v_min_f32_e32 v70, v70, v71
	v_min3_f32 v70, v68, v70, v69
	v_lshl_add_u64 v[68:69], v[66:67], 2, v[80:81]
	flat_store_dword v[68:69], v70
.LBB19_61:
	s_or_b64 exec, exec, s[6:7]
	v_add_u32_e32 v68, 16, v64
	v_cmp_gt_i32_e64 s[6:7], s20, v68
	s_and_b64 s[10:11], s[6:7], s[18:19]
	v_ashrrev_i32_e32 v69, 31, v68
	;; [unrolled: 29-line block ×7, first 2 shown]
	s_and_saveexec_b64 s[18:19], s[26:27]
	s_cbranch_execz .LBB19_91
; %bb.87:
	s_and_b64 vcc, exec, s[0:1]
	s_cbranch_vccnz .LBB19_89
; %bb.88:
	v_lshl_add_u64 v[82:83], v[78:79], 2, v[82:83]
	flat_load_dword v82, v[82:83]
	s_waitcnt vmcnt(0) lgkmcnt(0)
	v_mul_f32_e32 v82, s33, v82
	s_branch .LBB19_90
.LBB19_89:
	v_mov_b32_e32 v82, 0
.LBB19_90:
	v_pk_add_f32 v[60:61], v[0:1], v[60:61]
	s_nop 0
	v_min3_f32 v83, v60, v61, v141
	v_pk_add_f32 v[60:61], v[2:3], v[62:63]
	s_nop 0
	v_min_f32_e32 v60, v60, v61
	v_min3_f32 v62, v82, v60, v83
	v_lshl_add_u64 v[60:61], v[78:79], 2, v[80:81]
	flat_store_dword v[60:61], v62
.LBB19_91:
	s_or_b64 exec, exec, s[18:19]
	v_add_u32_e32 v80, 32, v123
	v_mad_i64_i32 v[60:61], s[26:27], v80, s29, 0
	v_cmp_gt_i32_e64 s[18:19], s21, v80
	v_lshl_add_u64 v[62:63], v[60:61], 2, s[24:25]
	v_mad_i64_i32 v[60:61], s[26:27], v80, s28, 0
	v_lshl_add_u64 v[60:61], v[60:61], 2, s[22:23]
	s_and_b64 s[30:31], s[2:3], s[18:19]
	s_and_saveexec_b64 s[26:27], s[30:31]
	s_cbranch_execnz .LBB19_99
; %bb.92:
	s_or_b64 exec, exec, s[26:27]
	s_and_b64 s[30:31], s[4:5], s[18:19]
	s_and_saveexec_b64 s[26:27], s[30:31]
	s_cbranch_execnz .LBB19_103
.LBB19_93:
	s_or_b64 exec, exec, s[26:27]
	s_and_b64 s[30:31], s[6:7], s[18:19]
	s_and_saveexec_b64 s[26:27], s[30:31]
	s_cbranch_execnz .LBB19_107
.LBB19_94:
	s_or_b64 exec, exec, s[26:27]
	s_and_b64 s[30:31], s[8:9], s[18:19]
	s_and_saveexec_b64 s[26:27], s[30:31]
	s_cbranch_execnz .LBB19_111
.LBB19_95:
	s_or_b64 exec, exec, s[26:27]
	s_and_b64 s[30:31], s[10:11], s[18:19]
	s_and_saveexec_b64 s[26:27], s[30:31]
	s_cbranch_execnz .LBB19_115
.LBB19_96:
	s_or_b64 exec, exec, s[26:27]
	s_and_b64 s[30:31], s[12:13], s[18:19]
	s_and_saveexec_b64 s[26:27], s[30:31]
	s_cbranch_execnz .LBB19_119
.LBB19_97:
	s_or_b64 exec, exec, s[26:27]
	s_and_b64 s[30:31], s[14:15], s[18:19]
	s_and_saveexec_b64 s[26:27], s[30:31]
	s_cbranch_execnz .LBB19_123
.LBB19_98:
	s_or_b64 exec, exec, s[26:27]
	s_and_b64 s[26:27], s[16:17], s[18:19]
	s_and_saveexec_b64 s[18:19], s[26:27]
	s_cbranch_execnz .LBB19_127
	s_branch .LBB19_131
.LBB19_99:
	s_and_b64 vcc, exec, s[0:1]
	s_cbranch_vccnz .LBB19_101
; %bb.100:
	v_lshl_add_u64 v[80:81], v[64:65], 2, v[62:63]
	flat_load_dword v80, v[80:81]
	s_waitcnt vmcnt(0) lgkmcnt(0)
	v_mul_f32_e32 v80, s33, v80
	s_branch .LBB19_102
.LBB19_101:
	v_mov_b32_e32 v80, 0
.LBB19_102:
	v_pk_add_f32 v[82:83], v[32:33], v[56:57]
	s_nop 0
	v_min3_f32 v81, v82, v83, v140
	v_pk_add_f32 v[82:83], v[34:35], v[58:59]
	s_nop 0
	v_min_f32_e32 v82, v82, v83
	v_min3_f32 v82, v80, v82, v81
	v_lshl_add_u64 v[80:81], v[64:65], 2, v[60:61]
	flat_store_dword v[80:81], v82
	s_or_b64 exec, exec, s[26:27]
	s_and_b64 s[30:31], s[4:5], s[18:19]
	s_and_saveexec_b64 s[26:27], s[30:31]
	s_cbranch_execz .LBB19_93
.LBB19_103:
	s_and_b64 vcc, exec, s[0:1]
	s_cbranch_vccnz .LBB19_105
; %bb.104:
	v_lshl_add_u64 v[80:81], v[66:67], 2, v[62:63]
	flat_load_dword v80, v[80:81]
	s_waitcnt vmcnt(0) lgkmcnt(0)
	v_mul_f32_e32 v80, s33, v80
	s_branch .LBB19_106
.LBB19_105:
	v_mov_b32_e32 v80, 0
.LBB19_106:
	v_pk_add_f32 v[82:83], v[28:29], v[56:57]
	s_nop 0
	v_min3_f32 v81, v82, v83, v139
	v_pk_add_f32 v[82:83], v[30:31], v[58:59]
	s_nop 0
	v_min_f32_e32 v82, v82, v83
	v_min3_f32 v82, v80, v82, v81
	v_lshl_add_u64 v[80:81], v[66:67], 2, v[60:61]
	flat_store_dword v[80:81], v82
	s_or_b64 exec, exec, s[26:27]
	s_and_b64 s[30:31], s[6:7], s[18:19]
	s_and_saveexec_b64 s[26:27], s[30:31]
	s_cbranch_execz .LBB19_94
.LBB19_107:
	s_and_b64 vcc, exec, s[0:1]
	s_cbranch_vccnz .LBB19_109
; %bb.108:
	v_lshl_add_u64 v[80:81], v[68:69], 2, v[62:63]
	flat_load_dword v80, v[80:81]
	s_waitcnt vmcnt(0) lgkmcnt(0)
	v_mul_f32_e32 v80, s33, v80
	s_branch .LBB19_110
.LBB19_109:
	v_mov_b32_e32 v80, 0
.LBB19_110:
	v_pk_add_f32 v[82:83], v[24:25], v[56:57]
	s_nop 0
	v_min3_f32 v81, v82, v83, v138
	v_pk_add_f32 v[82:83], v[26:27], v[58:59]
	s_nop 0
	v_min_f32_e32 v82, v82, v83
	v_min3_f32 v82, v80, v82, v81
	v_lshl_add_u64 v[80:81], v[68:69], 2, v[60:61]
	flat_store_dword v[80:81], v82
	s_or_b64 exec, exec, s[26:27]
	s_and_b64 s[30:31], s[8:9], s[18:19]
	s_and_saveexec_b64 s[26:27], s[30:31]
	s_cbranch_execz .LBB19_95
.LBB19_111:
	s_and_b64 vcc, exec, s[0:1]
	s_cbranch_vccnz .LBB19_113
; %bb.112:
	v_lshl_add_u64 v[80:81], v[70:71], 2, v[62:63]
	flat_load_dword v80, v[80:81]
	s_waitcnt vmcnt(0) lgkmcnt(0)
	v_mul_f32_e32 v80, s33, v80
	s_branch .LBB19_114
.LBB19_113:
	v_mov_b32_e32 v80, 0
.LBB19_114:
	v_pk_add_f32 v[82:83], v[20:21], v[56:57]
	s_nop 0
	v_min3_f32 v81, v82, v83, v137
	v_pk_add_f32 v[82:83], v[22:23], v[58:59]
	s_nop 0
	v_min_f32_e32 v82, v82, v83
	v_min3_f32 v82, v80, v82, v81
	v_lshl_add_u64 v[80:81], v[70:71], 2, v[60:61]
	flat_store_dword v[80:81], v82
	s_or_b64 exec, exec, s[26:27]
	s_and_b64 s[30:31], s[10:11], s[18:19]
	s_and_saveexec_b64 s[26:27], s[30:31]
	s_cbranch_execz .LBB19_96
.LBB19_115:
	s_and_b64 vcc, exec, s[0:1]
	s_cbranch_vccnz .LBB19_117
; %bb.116:
	v_lshl_add_u64 v[80:81], v[72:73], 2, v[62:63]
	flat_load_dword v80, v[80:81]
	s_waitcnt vmcnt(0) lgkmcnt(0)
	v_mul_f32_e32 v80, s33, v80
	s_branch .LBB19_118
.LBB19_117:
	v_mov_b32_e32 v80, 0
.LBB19_118:
	v_pk_add_f32 v[82:83], v[16:17], v[56:57]
	s_nop 0
	v_min3_f32 v81, v82, v83, v136
	v_pk_add_f32 v[82:83], v[18:19], v[58:59]
	s_nop 0
	v_min_f32_e32 v82, v82, v83
	v_min3_f32 v82, v80, v82, v81
	v_lshl_add_u64 v[80:81], v[72:73], 2, v[60:61]
	flat_store_dword v[80:81], v82
	s_or_b64 exec, exec, s[26:27]
	s_and_b64 s[30:31], s[12:13], s[18:19]
	s_and_saveexec_b64 s[26:27], s[30:31]
	s_cbranch_execz .LBB19_97
.LBB19_119:
	s_and_b64 vcc, exec, s[0:1]
	s_cbranch_vccnz .LBB19_121
; %bb.120:
	v_lshl_add_u64 v[80:81], v[74:75], 2, v[62:63]
	flat_load_dword v80, v[80:81]
	s_waitcnt vmcnt(0) lgkmcnt(0)
	v_mul_f32_e32 v80, s33, v80
	s_branch .LBB19_122
.LBB19_121:
	v_mov_b32_e32 v80, 0
.LBB19_122:
	v_pk_add_f32 v[82:83], v[12:13], v[56:57]
	s_nop 0
	v_min3_f32 v81, v82, v83, v134
	v_pk_add_f32 v[82:83], v[14:15], v[58:59]
	s_nop 0
	v_min_f32_e32 v82, v82, v83
	v_min3_f32 v82, v80, v82, v81
	v_lshl_add_u64 v[80:81], v[74:75], 2, v[60:61]
	flat_store_dword v[80:81], v82
	s_or_b64 exec, exec, s[26:27]
	s_and_b64 s[30:31], s[14:15], s[18:19]
	s_and_saveexec_b64 s[26:27], s[30:31]
	s_cbranch_execz .LBB19_98
.LBB19_123:
	s_and_b64 vcc, exec, s[0:1]
	s_cbranch_vccnz .LBB19_125
; %bb.124:
	v_lshl_add_u64 v[80:81], v[76:77], 2, v[62:63]
	flat_load_dword v80, v[80:81]
	s_waitcnt vmcnt(0) lgkmcnt(0)
	v_mul_f32_e32 v80, s33, v80
	s_branch .LBB19_126
.LBB19_125:
	v_mov_b32_e32 v80, 0
.LBB19_126:
	v_pk_add_f32 v[82:83], v[8:9], v[56:57]
	s_nop 0
	v_min3_f32 v81, v82, v83, v132
	v_pk_add_f32 v[82:83], v[10:11], v[58:59]
	s_nop 0
	v_min_f32_e32 v82, v82, v83
	v_min3_f32 v82, v80, v82, v81
	v_lshl_add_u64 v[80:81], v[76:77], 2, v[60:61]
	flat_store_dword v[80:81], v82
	s_or_b64 exec, exec, s[26:27]
	s_and_b64 s[26:27], s[16:17], s[18:19]
	s_and_saveexec_b64 s[18:19], s[26:27]
	s_cbranch_execz .LBB19_131
.LBB19_127:
	s_and_b64 vcc, exec, s[0:1]
	s_cbranch_vccnz .LBB19_129
; %bb.128:
	v_lshl_add_u64 v[62:63], v[78:79], 2, v[62:63]
	flat_load_dword v62, v[62:63]
	s_waitcnt vmcnt(0) lgkmcnt(0)
	v_mul_f32_e32 v62, s33, v62
	s_branch .LBB19_130
.LBB19_129:
	v_mov_b32_e32 v62, 0
.LBB19_130:
	v_pk_add_f32 v[56:57], v[0:1], v[56:57]
	s_nop 0
	v_min3_f32 v63, v56, v57, v135
	v_pk_add_f32 v[56:57], v[2:3], v[58:59]
	s_nop 0
	v_min_f32_e32 v56, v56, v57
	v_min3_f32 v58, v62, v56, v63
	v_lshl_add_u64 v[56:57], v[78:79], 2, v[60:61]
	flat_store_dword v[56:57], v58
.LBB19_131:
	s_or_b64 exec, exec, s[18:19]
	v_add_u32_e32 v60, 64, v123
	v_mad_i64_i32 v[56:57], s[26:27], v60, s29, 0
	v_cmp_gt_i32_e64 s[18:19], s21, v60
	v_lshl_add_u64 v[58:59], v[56:57], 2, s[24:25]
	v_mad_i64_i32 v[56:57], s[26:27], v60, s28, 0
	v_lshl_add_u64 v[56:57], v[56:57], 2, s[22:23]
	s_and_b64 s[30:31], s[2:3], s[18:19]
	s_and_saveexec_b64 s[26:27], s[30:31]
	s_cbranch_execnz .LBB19_139
; %bb.132:
	s_or_b64 exec, exec, s[26:27]
	s_and_b64 s[30:31], s[4:5], s[18:19]
	s_and_saveexec_b64 s[26:27], s[30:31]
	s_cbranch_execnz .LBB19_143
.LBB19_133:
	s_or_b64 exec, exec, s[26:27]
	s_and_b64 s[30:31], s[6:7], s[18:19]
	s_and_saveexec_b64 s[26:27], s[30:31]
	s_cbranch_execnz .LBB19_147
.LBB19_134:
	s_or_b64 exec, exec, s[26:27]
	s_and_b64 s[30:31], s[8:9], s[18:19]
	s_and_saveexec_b64 s[26:27], s[30:31]
	s_cbranch_execnz .LBB19_151
.LBB19_135:
	s_or_b64 exec, exec, s[26:27]
	s_and_b64 s[30:31], s[10:11], s[18:19]
	s_and_saveexec_b64 s[26:27], s[30:31]
	s_cbranch_execnz .LBB19_155
.LBB19_136:
	s_or_b64 exec, exec, s[26:27]
	s_and_b64 s[30:31], s[12:13], s[18:19]
	s_and_saveexec_b64 s[26:27], s[30:31]
	s_cbranch_execnz .LBB19_159
.LBB19_137:
	s_or_b64 exec, exec, s[26:27]
	s_and_b64 s[30:31], s[14:15], s[18:19]
	s_and_saveexec_b64 s[26:27], s[30:31]
	s_cbranch_execnz .LBB19_163
.LBB19_138:
	s_or_b64 exec, exec, s[26:27]
	s_and_b64 s[26:27], s[16:17], s[18:19]
	s_and_saveexec_b64 s[18:19], s[26:27]
	s_cbranch_execnz .LBB19_167
	s_branch .LBB19_171
.LBB19_139:
	s_and_b64 vcc, exec, s[0:1]
	s_cbranch_vccnz .LBB19_141
; %bb.140:
	v_lshl_add_u64 v[60:61], v[64:65], 2, v[58:59]
	flat_load_dword v60, v[60:61]
	s_waitcnt vmcnt(0) lgkmcnt(0)
	v_mul_f32_e32 v60, s33, v60
	s_branch .LBB19_142
.LBB19_141:
	v_mov_b32_e32 v60, 0
.LBB19_142:
	v_pk_add_f32 v[62:63], v[32:33], v[52:53]
	s_nop 0
	v_min3_f32 v61, v62, v63, v133
	v_pk_add_f32 v[62:63], v[34:35], v[54:55]
	s_nop 0
	v_min_f32_e32 v62, v62, v63
	v_min3_f32 v62, v60, v62, v61
	v_lshl_add_u64 v[60:61], v[64:65], 2, v[56:57]
	flat_store_dword v[60:61], v62
	s_or_b64 exec, exec, s[26:27]
	s_and_b64 s[30:31], s[4:5], s[18:19]
	s_and_saveexec_b64 s[26:27], s[30:31]
	s_cbranch_execz .LBB19_133
.LBB19_143:
	s_and_b64 vcc, exec, s[0:1]
	s_cbranch_vccnz .LBB19_145
; %bb.144:
	v_lshl_add_u64 v[60:61], v[66:67], 2, v[58:59]
	flat_load_dword v60, v[60:61]
	s_waitcnt vmcnt(0) lgkmcnt(0)
	v_mul_f32_e32 v60, s33, v60
	s_branch .LBB19_146
.LBB19_145:
	v_mov_b32_e32 v60, 0
.LBB19_146:
	v_pk_add_f32 v[62:63], v[28:29], v[52:53]
	s_nop 0
	v_min3_f32 v61, v62, v63, v131
	v_pk_add_f32 v[62:63], v[30:31], v[54:55]
	s_nop 0
	v_min_f32_e32 v62, v62, v63
	v_min3_f32 v62, v60, v62, v61
	v_lshl_add_u64 v[60:61], v[66:67], 2, v[56:57]
	flat_store_dword v[60:61], v62
	s_or_b64 exec, exec, s[26:27]
	s_and_b64 s[30:31], s[6:7], s[18:19]
	s_and_saveexec_b64 s[26:27], s[30:31]
	s_cbranch_execz .LBB19_134
.LBB19_147:
	s_and_b64 vcc, exec, s[0:1]
	s_cbranch_vccnz .LBB19_149
; %bb.148:
	v_lshl_add_u64 v[60:61], v[68:69], 2, v[58:59]
	flat_load_dword v60, v[60:61]
	s_waitcnt vmcnt(0) lgkmcnt(0)
	v_mul_f32_e32 v60, s33, v60
	s_branch .LBB19_150
.LBB19_149:
	v_mov_b32_e32 v60, 0
.LBB19_150:
	v_pk_add_f32 v[62:63], v[24:25], v[52:53]
	s_nop 0
	v_min3_f32 v61, v62, v63, v130
	v_pk_add_f32 v[62:63], v[26:27], v[54:55]
	s_nop 0
	v_min_f32_e32 v62, v62, v63
	v_min3_f32 v62, v60, v62, v61
	v_lshl_add_u64 v[60:61], v[68:69], 2, v[56:57]
	flat_store_dword v[60:61], v62
	s_or_b64 exec, exec, s[26:27]
	s_and_b64 s[30:31], s[8:9], s[18:19]
	s_and_saveexec_b64 s[26:27], s[30:31]
	s_cbranch_execz .LBB19_135
.LBB19_151:
	s_and_b64 vcc, exec, s[0:1]
	s_cbranch_vccnz .LBB19_153
; %bb.152:
	v_lshl_add_u64 v[60:61], v[70:71], 2, v[58:59]
	flat_load_dword v60, v[60:61]
	s_waitcnt vmcnt(0) lgkmcnt(0)
	v_mul_f32_e32 v60, s33, v60
	s_branch .LBB19_154
.LBB19_153:
	v_mov_b32_e32 v60, 0
.LBB19_154:
	v_pk_add_f32 v[62:63], v[20:21], v[52:53]
	s_nop 0
	v_min3_f32 v61, v62, v63, v129
	v_pk_add_f32 v[62:63], v[22:23], v[54:55]
	s_nop 0
	v_min_f32_e32 v62, v62, v63
	v_min3_f32 v62, v60, v62, v61
	v_lshl_add_u64 v[60:61], v[70:71], 2, v[56:57]
	flat_store_dword v[60:61], v62
	s_or_b64 exec, exec, s[26:27]
	s_and_b64 s[30:31], s[10:11], s[18:19]
	s_and_saveexec_b64 s[26:27], s[30:31]
	s_cbranch_execz .LBB19_136
.LBB19_155:
	s_and_b64 vcc, exec, s[0:1]
	s_cbranch_vccnz .LBB19_157
; %bb.156:
	v_lshl_add_u64 v[60:61], v[72:73], 2, v[58:59]
	flat_load_dword v60, v[60:61]
	s_waitcnt vmcnt(0) lgkmcnt(0)
	v_mul_f32_e32 v60, s33, v60
	s_branch .LBB19_158
.LBB19_157:
	v_mov_b32_e32 v60, 0
.LBB19_158:
	v_pk_add_f32 v[62:63], v[16:17], v[52:53]
	s_nop 0
	v_min3_f32 v61, v62, v63, v128
	v_pk_add_f32 v[62:63], v[18:19], v[54:55]
	s_nop 0
	v_min_f32_e32 v62, v62, v63
	v_min3_f32 v62, v60, v62, v61
	v_lshl_add_u64 v[60:61], v[72:73], 2, v[56:57]
	flat_store_dword v[60:61], v62
	s_or_b64 exec, exec, s[26:27]
	s_and_b64 s[30:31], s[12:13], s[18:19]
	s_and_saveexec_b64 s[26:27], s[30:31]
	s_cbranch_execz .LBB19_137
.LBB19_159:
	s_and_b64 vcc, exec, s[0:1]
	s_cbranch_vccnz .LBB19_161
; %bb.160:
	v_lshl_add_u64 v[60:61], v[74:75], 2, v[58:59]
	flat_load_dword v60, v[60:61]
	s_waitcnt vmcnt(0) lgkmcnt(0)
	v_mul_f32_e32 v60, s33, v60
	s_branch .LBB19_162
.LBB19_161:
	v_mov_b32_e32 v60, 0
.LBB19_162:
	v_pk_add_f32 v[62:63], v[12:13], v[52:53]
	s_nop 0
	v_min3_f32 v61, v62, v63, v127
	v_pk_add_f32 v[62:63], v[14:15], v[54:55]
	s_nop 0
	v_min_f32_e32 v62, v62, v63
	v_min3_f32 v62, v60, v62, v61
	v_lshl_add_u64 v[60:61], v[74:75], 2, v[56:57]
	flat_store_dword v[60:61], v62
	s_or_b64 exec, exec, s[26:27]
	s_and_b64 s[30:31], s[14:15], s[18:19]
	s_and_saveexec_b64 s[26:27], s[30:31]
	s_cbranch_execz .LBB19_138
.LBB19_163:
	s_and_b64 vcc, exec, s[0:1]
	s_cbranch_vccnz .LBB19_165
; %bb.164:
	v_lshl_add_u64 v[60:61], v[76:77], 2, v[58:59]
	flat_load_dword v60, v[60:61]
	s_waitcnt vmcnt(0) lgkmcnt(0)
	v_mul_f32_e32 v60, s33, v60
	s_branch .LBB19_166
.LBB19_165:
	v_mov_b32_e32 v60, 0
.LBB19_166:
	v_pk_add_f32 v[62:63], v[8:9], v[52:53]
	s_nop 0
	v_min3_f32 v61, v62, v63, v126
	v_pk_add_f32 v[62:63], v[10:11], v[54:55]
	s_nop 0
	v_min_f32_e32 v62, v62, v63
	v_min3_f32 v62, v60, v62, v61
	v_lshl_add_u64 v[60:61], v[76:77], 2, v[56:57]
	flat_store_dword v[60:61], v62
	s_or_b64 exec, exec, s[26:27]
	s_and_b64 s[26:27], s[16:17], s[18:19]
	s_and_saveexec_b64 s[18:19], s[26:27]
	s_cbranch_execz .LBB19_171
.LBB19_167:
	s_and_b64 vcc, exec, s[0:1]
	s_cbranch_vccnz .LBB19_169
; %bb.168:
	v_lshl_add_u64 v[58:59], v[78:79], 2, v[58:59]
	flat_load_dword v58, v[58:59]
	s_waitcnt vmcnt(0) lgkmcnt(0)
	v_mul_f32_e32 v58, s33, v58
	s_branch .LBB19_170
.LBB19_169:
	v_mov_b32_e32 v58, 0
.LBB19_170:
	v_pk_add_f32 v[52:53], v[0:1], v[52:53]
	s_nop 0
	v_min3_f32 v59, v52, v53, v125
	v_pk_add_f32 v[52:53], v[2:3], v[54:55]
	s_nop 0
	v_min_f32_e32 v52, v52, v53
	v_min3_f32 v54, v58, v52, v59
	v_lshl_add_u64 v[52:53], v[78:79], 2, v[56:57]
	flat_store_dword v[52:53], v54
.LBB19_171:
	s_or_b64 exec, exec, s[18:19]
	v_add_u32_e32 v56, 0x60, v123
	v_mad_i64_i32 v[52:53], s[26:27], v56, s29, 0
	v_cmp_gt_i32_e64 s[18:19], s21, v56
	v_lshl_add_u64 v[54:55], v[52:53], 2, s[24:25]
	v_mad_i64_i32 v[52:53], s[26:27], v56, s28, 0
	v_lshl_add_u64 v[52:53], v[52:53], 2, s[22:23]
	s_and_b64 s[30:31], s[2:3], s[18:19]
	s_and_saveexec_b64 s[26:27], s[30:31]
	s_cbranch_execnz .LBB19_179
; %bb.172:
	s_or_b64 exec, exec, s[26:27]
	s_and_b64 s[30:31], s[4:5], s[18:19]
	s_and_saveexec_b64 s[26:27], s[30:31]
	s_cbranch_execnz .LBB19_183
.LBB19_173:
	s_or_b64 exec, exec, s[26:27]
	s_and_b64 s[30:31], s[6:7], s[18:19]
	s_and_saveexec_b64 s[26:27], s[30:31]
	s_cbranch_execnz .LBB19_187
.LBB19_174:
	s_or_b64 exec, exec, s[26:27]
	s_and_b64 s[30:31], s[8:9], s[18:19]
	s_and_saveexec_b64 s[26:27], s[30:31]
	s_cbranch_execnz .LBB19_191
.LBB19_175:
	s_or_b64 exec, exec, s[26:27]
	s_and_b64 s[30:31], s[10:11], s[18:19]
	s_and_saveexec_b64 s[26:27], s[30:31]
	s_cbranch_execnz .LBB19_195
.LBB19_176:
	s_or_b64 exec, exec, s[26:27]
	s_and_b64 s[30:31], s[12:13], s[18:19]
	s_and_saveexec_b64 s[26:27], s[30:31]
	s_cbranch_execnz .LBB19_199
.LBB19_177:
	s_or_b64 exec, exec, s[26:27]
	s_and_b64 s[30:31], s[14:15], s[18:19]
	s_and_saveexec_b64 s[26:27], s[30:31]
	s_cbranch_execnz .LBB19_203
.LBB19_178:
	s_or_b64 exec, exec, s[26:27]
	s_and_b64 s[26:27], s[16:17], s[18:19]
	s_and_saveexec_b64 s[18:19], s[26:27]
	s_cbranch_execnz .LBB19_207
	s_branch .LBB19_211
.LBB19_179:
	s_and_b64 vcc, exec, s[0:1]
	s_cbranch_vccnz .LBB19_181
; %bb.180:
	v_lshl_add_u64 v[56:57], v[64:65], 2, v[54:55]
	flat_load_dword v56, v[56:57]
	s_waitcnt vmcnt(0) lgkmcnt(0)
	v_mul_f32_e32 v56, s33, v56
	s_branch .LBB19_182
.LBB19_181:
	v_mov_b32_e32 v56, 0
.LBB19_182:
	v_pk_add_f32 v[58:59], v[32:33], v[48:49]
	s_nop 0
	v_min3_f32 v57, v58, v59, v124
	v_pk_add_f32 v[58:59], v[34:35], v[50:51]
	s_nop 0
	v_min_f32_e32 v58, v58, v59
	v_min3_f32 v58, v56, v58, v57
	v_lshl_add_u64 v[56:57], v[64:65], 2, v[52:53]
	flat_store_dword v[56:57], v58
	s_or_b64 exec, exec, s[26:27]
	s_and_b64 s[30:31], s[4:5], s[18:19]
	s_and_saveexec_b64 s[26:27], s[30:31]
	s_cbranch_execz .LBB19_173
.LBB19_183:
	s_and_b64 vcc, exec, s[0:1]
	s_cbranch_vccnz .LBB19_185
; %bb.184:
	v_lshl_add_u64 v[56:57], v[66:67], 2, v[54:55]
	flat_load_dword v56, v[56:57]
	s_waitcnt vmcnt(0) lgkmcnt(0)
	v_mul_f32_e32 v56, s33, v56
	s_branch .LBB19_186
.LBB19_185:
	v_mov_b32_e32 v56, 0
.LBB19_186:
	v_pk_add_f32 v[58:59], v[28:29], v[48:49]
	s_nop 0
	v_min3_f32 v57, v58, v59, v122
	v_pk_add_f32 v[58:59], v[30:31], v[50:51]
	s_nop 0
	v_min_f32_e32 v58, v58, v59
	v_min3_f32 v58, v56, v58, v57
	v_lshl_add_u64 v[56:57], v[66:67], 2, v[52:53]
	flat_store_dword v[56:57], v58
	s_or_b64 exec, exec, s[26:27]
	s_and_b64 s[30:31], s[6:7], s[18:19]
	s_and_saveexec_b64 s[26:27], s[30:31]
	s_cbranch_execz .LBB19_174
.LBB19_187:
	s_and_b64 vcc, exec, s[0:1]
	s_cbranch_vccnz .LBB19_189
; %bb.188:
	v_lshl_add_u64 v[56:57], v[68:69], 2, v[54:55]
	flat_load_dword v56, v[56:57]
	s_waitcnt vmcnt(0) lgkmcnt(0)
	v_mul_f32_e32 v56, s33, v56
	s_branch .LBB19_190
.LBB19_189:
	v_mov_b32_e32 v56, 0
.LBB19_190:
	v_pk_add_f32 v[58:59], v[24:25], v[48:49]
	s_nop 0
	v_min3_f32 v57, v58, v59, v121
	v_pk_add_f32 v[58:59], v[26:27], v[50:51]
	s_nop 0
	v_min_f32_e32 v58, v58, v59
	v_min3_f32 v58, v56, v58, v57
	v_lshl_add_u64 v[56:57], v[68:69], 2, v[52:53]
	flat_store_dword v[56:57], v58
	s_or_b64 exec, exec, s[26:27]
	s_and_b64 s[30:31], s[8:9], s[18:19]
	s_and_saveexec_b64 s[26:27], s[30:31]
	s_cbranch_execz .LBB19_175
.LBB19_191:
	s_and_b64 vcc, exec, s[0:1]
	s_cbranch_vccnz .LBB19_193
; %bb.192:
	v_lshl_add_u64 v[56:57], v[70:71], 2, v[54:55]
	flat_load_dword v56, v[56:57]
	s_waitcnt vmcnt(0) lgkmcnt(0)
	v_mul_f32_e32 v56, s33, v56
	s_branch .LBB19_194
.LBB19_193:
	v_mov_b32_e32 v56, 0
.LBB19_194:
	v_pk_add_f32 v[58:59], v[20:21], v[48:49]
	s_nop 0
	v_min3_f32 v57, v58, v59, v120
	v_pk_add_f32 v[58:59], v[22:23], v[50:51]
	s_nop 0
	v_min_f32_e32 v58, v58, v59
	v_min3_f32 v58, v56, v58, v57
	v_lshl_add_u64 v[56:57], v[70:71], 2, v[52:53]
	flat_store_dword v[56:57], v58
	s_or_b64 exec, exec, s[26:27]
	s_and_b64 s[30:31], s[10:11], s[18:19]
	s_and_saveexec_b64 s[26:27], s[30:31]
	s_cbranch_execz .LBB19_176
.LBB19_195:
	s_and_b64 vcc, exec, s[0:1]
	s_cbranch_vccnz .LBB19_197
; %bb.196:
	v_lshl_add_u64 v[56:57], v[72:73], 2, v[54:55]
	flat_load_dword v56, v[56:57]
	s_waitcnt vmcnt(0) lgkmcnt(0)
	v_mul_f32_e32 v56, s33, v56
	s_branch .LBB19_198
.LBB19_197:
	v_mov_b32_e32 v56, 0
.LBB19_198:
	v_pk_add_f32 v[58:59], v[16:17], v[48:49]
	s_nop 0
	v_min3_f32 v57, v58, v59, v119
	v_pk_add_f32 v[58:59], v[18:19], v[50:51]
	s_nop 0
	v_min_f32_e32 v58, v58, v59
	v_min3_f32 v58, v56, v58, v57
	v_lshl_add_u64 v[56:57], v[72:73], 2, v[52:53]
	flat_store_dword v[56:57], v58
	s_or_b64 exec, exec, s[26:27]
	s_and_b64 s[30:31], s[12:13], s[18:19]
	s_and_saveexec_b64 s[26:27], s[30:31]
	s_cbranch_execz .LBB19_177
.LBB19_199:
	s_and_b64 vcc, exec, s[0:1]
	s_cbranch_vccnz .LBB19_201
; %bb.200:
	v_lshl_add_u64 v[56:57], v[74:75], 2, v[54:55]
	flat_load_dword v56, v[56:57]
	s_waitcnt vmcnt(0) lgkmcnt(0)
	v_mul_f32_e32 v56, s33, v56
	s_branch .LBB19_202
.LBB19_201:
	v_mov_b32_e32 v56, 0
.LBB19_202:
	v_pk_add_f32 v[58:59], v[12:13], v[48:49]
	s_nop 0
	v_min3_f32 v57, v58, v59, v118
	v_pk_add_f32 v[58:59], v[14:15], v[50:51]
	s_nop 0
	v_min_f32_e32 v58, v58, v59
	v_min3_f32 v58, v56, v58, v57
	v_lshl_add_u64 v[56:57], v[74:75], 2, v[52:53]
	flat_store_dword v[56:57], v58
	s_or_b64 exec, exec, s[26:27]
	s_and_b64 s[30:31], s[14:15], s[18:19]
	s_and_saveexec_b64 s[26:27], s[30:31]
	s_cbranch_execz .LBB19_178
.LBB19_203:
	s_and_b64 vcc, exec, s[0:1]
	s_cbranch_vccnz .LBB19_205
; %bb.204:
	v_lshl_add_u64 v[56:57], v[76:77], 2, v[54:55]
	flat_load_dword v56, v[56:57]
	s_waitcnt vmcnt(0) lgkmcnt(0)
	v_mul_f32_e32 v56, s33, v56
	s_branch .LBB19_206
.LBB19_205:
	v_mov_b32_e32 v56, 0
.LBB19_206:
	v_pk_add_f32 v[58:59], v[8:9], v[48:49]
	s_nop 0
	v_min3_f32 v57, v58, v59, v117
	v_pk_add_f32 v[58:59], v[10:11], v[50:51]
	s_nop 0
	v_min_f32_e32 v58, v58, v59
	v_min3_f32 v58, v56, v58, v57
	v_lshl_add_u64 v[56:57], v[76:77], 2, v[52:53]
	flat_store_dword v[56:57], v58
	s_or_b64 exec, exec, s[26:27]
	s_and_b64 s[26:27], s[16:17], s[18:19]
	s_and_saveexec_b64 s[18:19], s[26:27]
	s_cbranch_execz .LBB19_211
.LBB19_207:
	s_and_b64 vcc, exec, s[0:1]
	s_cbranch_vccnz .LBB19_209
; %bb.208:
	v_lshl_add_u64 v[54:55], v[78:79], 2, v[54:55]
	flat_load_dword v54, v[54:55]
	s_waitcnt vmcnt(0) lgkmcnt(0)
	v_mul_f32_e32 v54, s33, v54
	s_branch .LBB19_210
.LBB19_209:
	v_mov_b32_e32 v54, 0
.LBB19_210:
	v_pk_add_f32 v[48:49], v[0:1], v[48:49]
	s_nop 0
	v_min3_f32 v55, v48, v49, v116
	v_pk_add_f32 v[48:49], v[2:3], v[50:51]
	s_nop 0
	v_min_f32_e32 v48, v48, v49
	v_min3_f32 v50, v54, v48, v55
	v_lshl_add_u64 v[48:49], v[78:79], 2, v[52:53]
	flat_store_dword v[48:49], v50
.LBB19_211:
	s_or_b64 exec, exec, s[18:19]
	v_add_u32_e32 v52, 0x80, v123
	v_mad_i64_i32 v[48:49], s[26:27], v52, s29, 0
	v_cmp_gt_i32_e64 s[18:19], s21, v52
	v_lshl_add_u64 v[50:51], v[48:49], 2, s[24:25]
	v_mad_i64_i32 v[48:49], s[26:27], v52, s28, 0
	v_lshl_add_u64 v[48:49], v[48:49], 2, s[22:23]
	s_and_b64 s[30:31], s[2:3], s[18:19]
	s_and_saveexec_b64 s[26:27], s[30:31]
	s_cbranch_execnz .LBB19_219
; %bb.212:
	s_or_b64 exec, exec, s[26:27]
	s_and_b64 s[30:31], s[4:5], s[18:19]
	s_and_saveexec_b64 s[26:27], s[30:31]
	s_cbranch_execnz .LBB19_223
.LBB19_213:
	s_or_b64 exec, exec, s[26:27]
	s_and_b64 s[30:31], s[6:7], s[18:19]
	s_and_saveexec_b64 s[26:27], s[30:31]
	s_cbranch_execnz .LBB19_227
.LBB19_214:
	s_or_b64 exec, exec, s[26:27]
	s_and_b64 s[30:31], s[8:9], s[18:19]
	s_and_saveexec_b64 s[26:27], s[30:31]
	s_cbranch_execnz .LBB19_231
.LBB19_215:
	s_or_b64 exec, exec, s[26:27]
	s_and_b64 s[30:31], s[10:11], s[18:19]
	s_and_saveexec_b64 s[26:27], s[30:31]
	s_cbranch_execnz .LBB19_235
.LBB19_216:
	s_or_b64 exec, exec, s[26:27]
	s_and_b64 s[30:31], s[12:13], s[18:19]
	s_and_saveexec_b64 s[26:27], s[30:31]
	s_cbranch_execnz .LBB19_239
.LBB19_217:
	s_or_b64 exec, exec, s[26:27]
	s_and_b64 s[30:31], s[14:15], s[18:19]
	s_and_saveexec_b64 s[26:27], s[30:31]
	s_cbranch_execnz .LBB19_243
.LBB19_218:
	s_or_b64 exec, exec, s[26:27]
	s_and_b64 s[26:27], s[16:17], s[18:19]
	s_and_saveexec_b64 s[18:19], s[26:27]
	s_cbranch_execnz .LBB19_247
	s_branch .LBB19_251
.LBB19_219:
	s_and_b64 vcc, exec, s[0:1]
	s_cbranch_vccnz .LBB19_221
; %bb.220:
	v_lshl_add_u64 v[52:53], v[64:65], 2, v[50:51]
	flat_load_dword v52, v[52:53]
	s_waitcnt vmcnt(0) lgkmcnt(0)
	v_mul_f32_e32 v52, s33, v52
	s_branch .LBB19_222
.LBB19_221:
	v_mov_b32_e32 v52, 0
.LBB19_222:
	v_pk_add_f32 v[54:55], v[32:33], v[44:45]
	s_nop 0
	v_min3_f32 v53, v54, v55, v115
	v_pk_add_f32 v[54:55], v[34:35], v[46:47]
	s_nop 0
	v_min_f32_e32 v54, v54, v55
	v_min3_f32 v54, v52, v54, v53
	v_lshl_add_u64 v[52:53], v[64:65], 2, v[48:49]
	flat_store_dword v[52:53], v54
	s_or_b64 exec, exec, s[26:27]
	s_and_b64 s[30:31], s[4:5], s[18:19]
	s_and_saveexec_b64 s[26:27], s[30:31]
	s_cbranch_execz .LBB19_213
.LBB19_223:
	s_and_b64 vcc, exec, s[0:1]
	s_cbranch_vccnz .LBB19_225
; %bb.224:
	v_lshl_add_u64 v[52:53], v[66:67], 2, v[50:51]
	flat_load_dword v52, v[52:53]
	s_waitcnt vmcnt(0) lgkmcnt(0)
	v_mul_f32_e32 v52, s33, v52
	s_branch .LBB19_226
.LBB19_225:
	v_mov_b32_e32 v52, 0
.LBB19_226:
	v_pk_add_f32 v[54:55], v[28:29], v[44:45]
	s_nop 0
	v_min3_f32 v53, v54, v55, v114
	v_pk_add_f32 v[54:55], v[30:31], v[46:47]
	s_nop 0
	v_min_f32_e32 v54, v54, v55
	v_min3_f32 v54, v52, v54, v53
	v_lshl_add_u64 v[52:53], v[66:67], 2, v[48:49]
	flat_store_dword v[52:53], v54
	s_or_b64 exec, exec, s[26:27]
	s_and_b64 s[30:31], s[6:7], s[18:19]
	s_and_saveexec_b64 s[26:27], s[30:31]
	s_cbranch_execz .LBB19_214
.LBB19_227:
	s_and_b64 vcc, exec, s[0:1]
	s_cbranch_vccnz .LBB19_229
; %bb.228:
	v_lshl_add_u64 v[52:53], v[68:69], 2, v[50:51]
	flat_load_dword v52, v[52:53]
	s_waitcnt vmcnt(0) lgkmcnt(0)
	v_mul_f32_e32 v52, s33, v52
	s_branch .LBB19_230
.LBB19_229:
	v_mov_b32_e32 v52, 0
.LBB19_230:
	v_pk_add_f32 v[54:55], v[24:25], v[44:45]
	s_nop 0
	v_min3_f32 v53, v54, v55, v113
	v_pk_add_f32 v[54:55], v[26:27], v[46:47]
	s_nop 0
	v_min_f32_e32 v54, v54, v55
	v_min3_f32 v54, v52, v54, v53
	v_lshl_add_u64 v[52:53], v[68:69], 2, v[48:49]
	flat_store_dword v[52:53], v54
	s_or_b64 exec, exec, s[26:27]
	s_and_b64 s[30:31], s[8:9], s[18:19]
	s_and_saveexec_b64 s[26:27], s[30:31]
	s_cbranch_execz .LBB19_215
.LBB19_231:
	s_and_b64 vcc, exec, s[0:1]
	s_cbranch_vccnz .LBB19_233
; %bb.232:
	v_lshl_add_u64 v[52:53], v[70:71], 2, v[50:51]
	flat_load_dword v52, v[52:53]
	s_waitcnt vmcnt(0) lgkmcnt(0)
	v_mul_f32_e32 v52, s33, v52
	s_branch .LBB19_234
.LBB19_233:
	v_mov_b32_e32 v52, 0
.LBB19_234:
	v_pk_add_f32 v[54:55], v[20:21], v[44:45]
	s_nop 0
	v_min3_f32 v53, v54, v55, v112
	v_pk_add_f32 v[54:55], v[22:23], v[46:47]
	s_nop 0
	v_min_f32_e32 v54, v54, v55
	v_min3_f32 v54, v52, v54, v53
	v_lshl_add_u64 v[52:53], v[70:71], 2, v[48:49]
	flat_store_dword v[52:53], v54
	s_or_b64 exec, exec, s[26:27]
	s_and_b64 s[30:31], s[10:11], s[18:19]
	s_and_saveexec_b64 s[26:27], s[30:31]
	s_cbranch_execz .LBB19_216
.LBB19_235:
	s_and_b64 vcc, exec, s[0:1]
	s_cbranch_vccnz .LBB19_237
; %bb.236:
	v_lshl_add_u64 v[52:53], v[72:73], 2, v[50:51]
	flat_load_dword v52, v[52:53]
	s_waitcnt vmcnt(0) lgkmcnt(0)
	v_mul_f32_e32 v52, s33, v52
	s_branch .LBB19_238
.LBB19_237:
	v_mov_b32_e32 v52, 0
.LBB19_238:
	v_pk_add_f32 v[54:55], v[16:17], v[44:45]
	s_nop 0
	v_min3_f32 v53, v54, v55, v111
	v_pk_add_f32 v[54:55], v[18:19], v[46:47]
	s_nop 0
	v_min_f32_e32 v54, v54, v55
	v_min3_f32 v54, v52, v54, v53
	v_lshl_add_u64 v[52:53], v[72:73], 2, v[48:49]
	flat_store_dword v[52:53], v54
	s_or_b64 exec, exec, s[26:27]
	s_and_b64 s[30:31], s[12:13], s[18:19]
	s_and_saveexec_b64 s[26:27], s[30:31]
	s_cbranch_execz .LBB19_217
.LBB19_239:
	s_and_b64 vcc, exec, s[0:1]
	s_cbranch_vccnz .LBB19_241
; %bb.240:
	v_lshl_add_u64 v[52:53], v[74:75], 2, v[50:51]
	flat_load_dword v52, v[52:53]
	s_waitcnt vmcnt(0) lgkmcnt(0)
	v_mul_f32_e32 v52, s33, v52
	s_branch .LBB19_242
.LBB19_241:
	v_mov_b32_e32 v52, 0
.LBB19_242:
	v_pk_add_f32 v[54:55], v[12:13], v[44:45]
	s_nop 0
	v_min3_f32 v53, v54, v55, v110
	v_pk_add_f32 v[54:55], v[14:15], v[46:47]
	s_nop 0
	v_min_f32_e32 v54, v54, v55
	v_min3_f32 v54, v52, v54, v53
	v_lshl_add_u64 v[52:53], v[74:75], 2, v[48:49]
	flat_store_dword v[52:53], v54
	s_or_b64 exec, exec, s[26:27]
	s_and_b64 s[30:31], s[14:15], s[18:19]
	s_and_saveexec_b64 s[26:27], s[30:31]
	s_cbranch_execz .LBB19_218
.LBB19_243:
	s_and_b64 vcc, exec, s[0:1]
	s_cbranch_vccnz .LBB19_245
; %bb.244:
	v_lshl_add_u64 v[52:53], v[76:77], 2, v[50:51]
	flat_load_dword v52, v[52:53]
	s_waitcnt vmcnt(0) lgkmcnt(0)
	v_mul_f32_e32 v52, s33, v52
	s_branch .LBB19_246
.LBB19_245:
	v_mov_b32_e32 v52, 0
.LBB19_246:
	v_pk_add_f32 v[54:55], v[8:9], v[44:45]
	s_nop 0
	v_min3_f32 v53, v54, v55, v109
	v_pk_add_f32 v[54:55], v[10:11], v[46:47]
	s_nop 0
	v_min_f32_e32 v54, v54, v55
	v_min3_f32 v54, v52, v54, v53
	v_lshl_add_u64 v[52:53], v[76:77], 2, v[48:49]
	flat_store_dword v[52:53], v54
	s_or_b64 exec, exec, s[26:27]
	s_and_b64 s[26:27], s[16:17], s[18:19]
	s_and_saveexec_b64 s[18:19], s[26:27]
	s_cbranch_execz .LBB19_251
.LBB19_247:
	s_and_b64 vcc, exec, s[0:1]
	s_cbranch_vccnz .LBB19_249
; %bb.248:
	v_lshl_add_u64 v[50:51], v[78:79], 2, v[50:51]
	flat_load_dword v50, v[50:51]
	s_waitcnt vmcnt(0) lgkmcnt(0)
	v_mul_f32_e32 v50, s33, v50
	s_branch .LBB19_250
.LBB19_249:
	v_mov_b32_e32 v50, 0
.LBB19_250:
	v_pk_add_f32 v[44:45], v[0:1], v[44:45]
	s_nop 0
	v_min3_f32 v51, v44, v45, v108
	v_pk_add_f32 v[44:45], v[2:3], v[46:47]
	s_nop 0
	v_min_f32_e32 v44, v44, v45
	v_min3_f32 v46, v50, v44, v51
	v_lshl_add_u64 v[44:45], v[78:79], 2, v[48:49]
	flat_store_dword v[44:45], v46
.LBB19_251:
	s_or_b64 exec, exec, s[18:19]
	v_add_u32_e32 v48, 0xa0, v123
	v_mad_i64_i32 v[44:45], s[26:27], v48, s29, 0
	v_cmp_gt_i32_e64 s[18:19], s21, v48
	v_lshl_add_u64 v[46:47], v[44:45], 2, s[24:25]
	v_mad_i64_i32 v[44:45], s[26:27], v48, s28, 0
	v_lshl_add_u64 v[44:45], v[44:45], 2, s[22:23]
	s_and_b64 s[30:31], s[2:3], s[18:19]
	s_and_saveexec_b64 s[26:27], s[30:31]
	s_cbranch_execnz .LBB19_259
; %bb.252:
	s_or_b64 exec, exec, s[26:27]
	s_and_b64 s[30:31], s[4:5], s[18:19]
	s_and_saveexec_b64 s[26:27], s[30:31]
	s_cbranch_execnz .LBB19_263
.LBB19_253:
	s_or_b64 exec, exec, s[26:27]
	s_and_b64 s[30:31], s[6:7], s[18:19]
	s_and_saveexec_b64 s[26:27], s[30:31]
	s_cbranch_execnz .LBB19_267
.LBB19_254:
	s_or_b64 exec, exec, s[26:27]
	s_and_b64 s[30:31], s[8:9], s[18:19]
	s_and_saveexec_b64 s[26:27], s[30:31]
	s_cbranch_execnz .LBB19_271
.LBB19_255:
	s_or_b64 exec, exec, s[26:27]
	s_and_b64 s[30:31], s[10:11], s[18:19]
	s_and_saveexec_b64 s[26:27], s[30:31]
	s_cbranch_execnz .LBB19_275
.LBB19_256:
	s_or_b64 exec, exec, s[26:27]
	s_and_b64 s[30:31], s[12:13], s[18:19]
	s_and_saveexec_b64 s[26:27], s[30:31]
	s_cbranch_execnz .LBB19_279
.LBB19_257:
	s_or_b64 exec, exec, s[26:27]
	s_and_b64 s[30:31], s[14:15], s[18:19]
	s_and_saveexec_b64 s[26:27], s[30:31]
	s_cbranch_execnz .LBB19_283
.LBB19_258:
	s_or_b64 exec, exec, s[26:27]
	s_and_b64 s[26:27], s[16:17], s[18:19]
	s_and_saveexec_b64 s[18:19], s[26:27]
	s_cbranch_execnz .LBB19_287
	s_branch .LBB19_291
.LBB19_259:
	s_and_b64 vcc, exec, s[0:1]
	s_cbranch_vccnz .LBB19_261
; %bb.260:
	v_lshl_add_u64 v[48:49], v[64:65], 2, v[46:47]
	flat_load_dword v48, v[48:49]
	s_waitcnt vmcnt(0) lgkmcnt(0)
	v_mul_f32_e32 v48, s33, v48
	s_branch .LBB19_262
.LBB19_261:
	v_mov_b32_e32 v48, 0
.LBB19_262:
	v_pk_add_f32 v[50:51], v[32:33], v[40:41]
	s_nop 0
	v_min3_f32 v49, v50, v51, v107
	v_pk_add_f32 v[50:51], v[34:35], v[42:43]
	s_nop 0
	v_min_f32_e32 v50, v50, v51
	v_min3_f32 v50, v48, v50, v49
	v_lshl_add_u64 v[48:49], v[64:65], 2, v[44:45]
	flat_store_dword v[48:49], v50
	s_or_b64 exec, exec, s[26:27]
	s_and_b64 s[30:31], s[4:5], s[18:19]
	s_and_saveexec_b64 s[26:27], s[30:31]
	s_cbranch_execz .LBB19_253
.LBB19_263:
	s_and_b64 vcc, exec, s[0:1]
	s_cbranch_vccnz .LBB19_265
; %bb.264:
	v_lshl_add_u64 v[48:49], v[66:67], 2, v[46:47]
	flat_load_dword v48, v[48:49]
	s_waitcnt vmcnt(0) lgkmcnt(0)
	v_mul_f32_e32 v48, s33, v48
	s_branch .LBB19_266
.LBB19_265:
	v_mov_b32_e32 v48, 0
.LBB19_266:
	v_pk_add_f32 v[50:51], v[28:29], v[40:41]
	s_nop 0
	v_min3_f32 v49, v50, v51, v106
	v_pk_add_f32 v[50:51], v[30:31], v[42:43]
	s_nop 0
	v_min_f32_e32 v50, v50, v51
	v_min3_f32 v50, v48, v50, v49
	v_lshl_add_u64 v[48:49], v[66:67], 2, v[44:45]
	flat_store_dword v[48:49], v50
	s_or_b64 exec, exec, s[26:27]
	s_and_b64 s[30:31], s[6:7], s[18:19]
	s_and_saveexec_b64 s[26:27], s[30:31]
	s_cbranch_execz .LBB19_254
.LBB19_267:
	s_and_b64 vcc, exec, s[0:1]
	s_cbranch_vccnz .LBB19_269
; %bb.268:
	v_lshl_add_u64 v[48:49], v[68:69], 2, v[46:47]
	flat_load_dword v48, v[48:49]
	s_waitcnt vmcnt(0) lgkmcnt(0)
	v_mul_f32_e32 v48, s33, v48
	s_branch .LBB19_270
.LBB19_269:
	v_mov_b32_e32 v48, 0
.LBB19_270:
	v_pk_add_f32 v[50:51], v[24:25], v[40:41]
	s_nop 0
	v_min3_f32 v49, v50, v51, v105
	v_pk_add_f32 v[50:51], v[26:27], v[42:43]
	s_nop 0
	v_min_f32_e32 v50, v50, v51
	v_min3_f32 v50, v48, v50, v49
	v_lshl_add_u64 v[48:49], v[68:69], 2, v[44:45]
	flat_store_dword v[48:49], v50
	s_or_b64 exec, exec, s[26:27]
	s_and_b64 s[30:31], s[8:9], s[18:19]
	s_and_saveexec_b64 s[26:27], s[30:31]
	s_cbranch_execz .LBB19_255
.LBB19_271:
	s_and_b64 vcc, exec, s[0:1]
	s_cbranch_vccnz .LBB19_273
; %bb.272:
	v_lshl_add_u64 v[48:49], v[70:71], 2, v[46:47]
	flat_load_dword v48, v[48:49]
	s_waitcnt vmcnt(0) lgkmcnt(0)
	v_mul_f32_e32 v48, s33, v48
	s_branch .LBB19_274
.LBB19_273:
	v_mov_b32_e32 v48, 0
.LBB19_274:
	v_pk_add_f32 v[50:51], v[20:21], v[40:41]
	s_nop 0
	v_min3_f32 v49, v50, v51, v104
	v_pk_add_f32 v[50:51], v[22:23], v[42:43]
	s_nop 0
	v_min_f32_e32 v50, v50, v51
	v_min3_f32 v50, v48, v50, v49
	v_lshl_add_u64 v[48:49], v[70:71], 2, v[44:45]
	flat_store_dword v[48:49], v50
	s_or_b64 exec, exec, s[26:27]
	s_and_b64 s[30:31], s[10:11], s[18:19]
	s_and_saveexec_b64 s[26:27], s[30:31]
	s_cbranch_execz .LBB19_256
.LBB19_275:
	s_and_b64 vcc, exec, s[0:1]
	s_cbranch_vccnz .LBB19_277
; %bb.276:
	v_lshl_add_u64 v[48:49], v[72:73], 2, v[46:47]
	flat_load_dword v48, v[48:49]
	s_waitcnt vmcnt(0) lgkmcnt(0)
	v_mul_f32_e32 v48, s33, v48
	s_branch .LBB19_278
.LBB19_277:
	v_mov_b32_e32 v48, 0
.LBB19_278:
	v_pk_add_f32 v[50:51], v[16:17], v[40:41]
	s_nop 0
	v_min3_f32 v49, v50, v51, v103
	v_pk_add_f32 v[50:51], v[18:19], v[42:43]
	s_nop 0
	v_min_f32_e32 v50, v50, v51
	v_min3_f32 v50, v48, v50, v49
	v_lshl_add_u64 v[48:49], v[72:73], 2, v[44:45]
	flat_store_dword v[48:49], v50
	s_or_b64 exec, exec, s[26:27]
	s_and_b64 s[30:31], s[12:13], s[18:19]
	s_and_saveexec_b64 s[26:27], s[30:31]
	s_cbranch_execz .LBB19_257
.LBB19_279:
	s_and_b64 vcc, exec, s[0:1]
	s_cbranch_vccnz .LBB19_281
; %bb.280:
	v_lshl_add_u64 v[48:49], v[74:75], 2, v[46:47]
	flat_load_dword v48, v[48:49]
	s_waitcnt vmcnt(0) lgkmcnt(0)
	v_mul_f32_e32 v48, s33, v48
	s_branch .LBB19_282
.LBB19_281:
	v_mov_b32_e32 v48, 0
.LBB19_282:
	v_pk_add_f32 v[50:51], v[12:13], v[40:41]
	s_nop 0
	v_min3_f32 v49, v50, v51, v102
	v_pk_add_f32 v[50:51], v[14:15], v[42:43]
	s_nop 0
	v_min_f32_e32 v50, v50, v51
	v_min3_f32 v50, v48, v50, v49
	v_lshl_add_u64 v[48:49], v[74:75], 2, v[44:45]
	flat_store_dword v[48:49], v50
	s_or_b64 exec, exec, s[26:27]
	s_and_b64 s[30:31], s[14:15], s[18:19]
	s_and_saveexec_b64 s[26:27], s[30:31]
	s_cbranch_execz .LBB19_258
.LBB19_283:
	s_and_b64 vcc, exec, s[0:1]
	s_cbranch_vccnz .LBB19_285
; %bb.284:
	v_lshl_add_u64 v[48:49], v[76:77], 2, v[46:47]
	flat_load_dword v48, v[48:49]
	s_waitcnt vmcnt(0) lgkmcnt(0)
	v_mul_f32_e32 v48, s33, v48
	s_branch .LBB19_286
.LBB19_285:
	v_mov_b32_e32 v48, 0
.LBB19_286:
	v_pk_add_f32 v[50:51], v[8:9], v[40:41]
	s_nop 0
	v_min3_f32 v49, v50, v51, v101
	v_pk_add_f32 v[50:51], v[10:11], v[42:43]
	s_nop 0
	v_min_f32_e32 v50, v50, v51
	v_min3_f32 v50, v48, v50, v49
	v_lshl_add_u64 v[48:49], v[76:77], 2, v[44:45]
	flat_store_dword v[48:49], v50
	s_or_b64 exec, exec, s[26:27]
	s_and_b64 s[26:27], s[16:17], s[18:19]
	s_and_saveexec_b64 s[18:19], s[26:27]
	s_cbranch_execz .LBB19_291
.LBB19_287:
	s_and_b64 vcc, exec, s[0:1]
	s_cbranch_vccnz .LBB19_289
; %bb.288:
	v_lshl_add_u64 v[46:47], v[78:79], 2, v[46:47]
	flat_load_dword v46, v[46:47]
	s_waitcnt vmcnt(0) lgkmcnt(0)
	v_mul_f32_e32 v46, s33, v46
	s_branch .LBB19_290
.LBB19_289:
	v_mov_b32_e32 v46, 0
.LBB19_290:
	v_pk_add_f32 v[40:41], v[0:1], v[40:41]
	s_nop 0
	v_min3_f32 v47, v40, v41, v100
	v_pk_add_f32 v[40:41], v[2:3], v[42:43]
	s_nop 0
	v_min_f32_e32 v40, v40, v41
	v_min3_f32 v42, v46, v40, v47
	v_lshl_add_u64 v[40:41], v[78:79], 2, v[44:45]
	flat_store_dword v[40:41], v42
.LBB19_291:
	s_or_b64 exec, exec, s[18:19]
	v_add_u32_e32 v44, 0xc0, v123
	v_mad_i64_i32 v[40:41], s[26:27], v44, s29, 0
	v_cmp_gt_i32_e64 s[18:19], s21, v44
	v_lshl_add_u64 v[42:43], v[40:41], 2, s[24:25]
	v_mad_i64_i32 v[40:41], s[26:27], v44, s28, 0
	v_lshl_add_u64 v[40:41], v[40:41], 2, s[22:23]
	s_and_b64 s[30:31], s[2:3], s[18:19]
	s_and_saveexec_b64 s[26:27], s[30:31]
	s_cbranch_execnz .LBB19_299
; %bb.292:
	s_or_b64 exec, exec, s[26:27]
	s_and_b64 s[30:31], s[4:5], s[18:19]
	s_and_saveexec_b64 s[26:27], s[30:31]
	s_cbranch_execnz .LBB19_303
.LBB19_293:
	s_or_b64 exec, exec, s[26:27]
	s_and_b64 s[30:31], s[6:7], s[18:19]
	s_and_saveexec_b64 s[26:27], s[30:31]
	s_cbranch_execnz .LBB19_307
.LBB19_294:
	s_or_b64 exec, exec, s[26:27]
	s_and_b64 s[30:31], s[8:9], s[18:19]
	s_and_saveexec_b64 s[26:27], s[30:31]
	s_cbranch_execnz .LBB19_311
.LBB19_295:
	s_or_b64 exec, exec, s[26:27]
	s_and_b64 s[30:31], s[10:11], s[18:19]
	s_and_saveexec_b64 s[26:27], s[30:31]
	s_cbranch_execnz .LBB19_315
.LBB19_296:
	s_or_b64 exec, exec, s[26:27]
	s_and_b64 s[30:31], s[12:13], s[18:19]
	s_and_saveexec_b64 s[26:27], s[30:31]
	s_cbranch_execnz .LBB19_319
.LBB19_297:
	s_or_b64 exec, exec, s[26:27]
	s_and_b64 s[30:31], s[14:15], s[18:19]
	s_and_saveexec_b64 s[26:27], s[30:31]
	s_cbranch_execnz .LBB19_323
.LBB19_298:
	s_or_b64 exec, exec, s[26:27]
	s_and_b64 s[26:27], s[16:17], s[18:19]
	s_and_saveexec_b64 s[18:19], s[26:27]
	s_cbranch_execnz .LBB19_327
	s_branch .LBB19_331
.LBB19_299:
	s_and_b64 vcc, exec, s[0:1]
	s_cbranch_vccnz .LBB19_301
; %bb.300:
	v_lshl_add_u64 v[44:45], v[64:65], 2, v[42:43]
	flat_load_dword v44, v[44:45]
	s_waitcnt vmcnt(0) lgkmcnt(0)
	v_mul_f32_e32 v44, s33, v44
	s_branch .LBB19_302
.LBB19_301:
	v_mov_b32_e32 v44, 0
.LBB19_302:
	v_pk_add_f32 v[46:47], v[32:33], v[36:37]
	s_nop 0
	v_min3_f32 v45, v46, v47, v99
	v_pk_add_f32 v[46:47], v[34:35], v[38:39]
	s_nop 0
	v_min_f32_e32 v46, v46, v47
	v_min3_f32 v46, v44, v46, v45
	v_lshl_add_u64 v[44:45], v[64:65], 2, v[40:41]
	flat_store_dword v[44:45], v46
	s_or_b64 exec, exec, s[26:27]
	s_and_b64 s[30:31], s[4:5], s[18:19]
	s_and_saveexec_b64 s[26:27], s[30:31]
	s_cbranch_execz .LBB19_293
.LBB19_303:
	s_and_b64 vcc, exec, s[0:1]
	s_cbranch_vccnz .LBB19_305
; %bb.304:
	v_lshl_add_u64 v[44:45], v[66:67], 2, v[42:43]
	flat_load_dword v44, v[44:45]
	s_waitcnt vmcnt(0) lgkmcnt(0)
	v_mul_f32_e32 v44, s33, v44
	s_branch .LBB19_306
.LBB19_305:
	v_mov_b32_e32 v44, 0
.LBB19_306:
	v_pk_add_f32 v[46:47], v[28:29], v[36:37]
	s_nop 0
	v_min3_f32 v45, v46, v47, v98
	v_pk_add_f32 v[46:47], v[30:31], v[38:39]
	s_nop 0
	v_min_f32_e32 v46, v46, v47
	v_min3_f32 v46, v44, v46, v45
	v_lshl_add_u64 v[44:45], v[66:67], 2, v[40:41]
	flat_store_dword v[44:45], v46
	s_or_b64 exec, exec, s[26:27]
	s_and_b64 s[30:31], s[6:7], s[18:19]
	s_and_saveexec_b64 s[26:27], s[30:31]
	s_cbranch_execz .LBB19_294
.LBB19_307:
	s_and_b64 vcc, exec, s[0:1]
	s_cbranch_vccnz .LBB19_309
; %bb.308:
	v_lshl_add_u64 v[44:45], v[68:69], 2, v[42:43]
	flat_load_dword v44, v[44:45]
	s_waitcnt vmcnt(0) lgkmcnt(0)
	v_mul_f32_e32 v44, s33, v44
	s_branch .LBB19_310
.LBB19_309:
	v_mov_b32_e32 v44, 0
.LBB19_310:
	v_pk_add_f32 v[46:47], v[24:25], v[36:37]
	s_nop 0
	v_min3_f32 v45, v46, v47, v97
	v_pk_add_f32 v[46:47], v[26:27], v[38:39]
	s_nop 0
	v_min_f32_e32 v46, v46, v47
	v_min3_f32 v46, v44, v46, v45
	v_lshl_add_u64 v[44:45], v[68:69], 2, v[40:41]
	flat_store_dword v[44:45], v46
	s_or_b64 exec, exec, s[26:27]
	s_and_b64 s[30:31], s[8:9], s[18:19]
	s_and_saveexec_b64 s[26:27], s[30:31]
	s_cbranch_execz .LBB19_295
.LBB19_311:
	s_and_b64 vcc, exec, s[0:1]
	s_cbranch_vccnz .LBB19_313
; %bb.312:
	v_lshl_add_u64 v[44:45], v[70:71], 2, v[42:43]
	flat_load_dword v44, v[44:45]
	s_waitcnt vmcnt(0) lgkmcnt(0)
	v_mul_f32_e32 v44, s33, v44
	s_branch .LBB19_314
.LBB19_313:
	v_mov_b32_e32 v44, 0
.LBB19_314:
	v_pk_add_f32 v[46:47], v[20:21], v[36:37]
	s_nop 0
	v_min3_f32 v45, v46, v47, v96
	v_pk_add_f32 v[46:47], v[22:23], v[38:39]
	s_nop 0
	v_min_f32_e32 v46, v46, v47
	v_min3_f32 v46, v44, v46, v45
	v_lshl_add_u64 v[44:45], v[70:71], 2, v[40:41]
	flat_store_dword v[44:45], v46
	s_or_b64 exec, exec, s[26:27]
	s_and_b64 s[30:31], s[10:11], s[18:19]
	s_and_saveexec_b64 s[26:27], s[30:31]
	s_cbranch_execz .LBB19_296
.LBB19_315:
	s_and_b64 vcc, exec, s[0:1]
	s_cbranch_vccnz .LBB19_317
; %bb.316:
	v_lshl_add_u64 v[44:45], v[72:73], 2, v[42:43]
	flat_load_dword v44, v[44:45]
	s_waitcnt vmcnt(0) lgkmcnt(0)
	v_mul_f32_e32 v44, s33, v44
	s_branch .LBB19_318
.LBB19_317:
	v_mov_b32_e32 v44, 0
.LBB19_318:
	v_pk_add_f32 v[46:47], v[16:17], v[36:37]
	s_nop 0
	v_min3_f32 v45, v46, v47, v95
	v_pk_add_f32 v[46:47], v[18:19], v[38:39]
	s_nop 0
	v_min_f32_e32 v46, v46, v47
	v_min3_f32 v46, v44, v46, v45
	v_lshl_add_u64 v[44:45], v[72:73], 2, v[40:41]
	flat_store_dword v[44:45], v46
	s_or_b64 exec, exec, s[26:27]
	s_and_b64 s[30:31], s[12:13], s[18:19]
	s_and_saveexec_b64 s[26:27], s[30:31]
	s_cbranch_execz .LBB19_297
.LBB19_319:
	s_and_b64 vcc, exec, s[0:1]
	s_cbranch_vccnz .LBB19_321
; %bb.320:
	v_lshl_add_u64 v[44:45], v[74:75], 2, v[42:43]
	flat_load_dword v44, v[44:45]
	s_waitcnt vmcnt(0) lgkmcnt(0)
	v_mul_f32_e32 v44, s33, v44
	s_branch .LBB19_322
.LBB19_321:
	v_mov_b32_e32 v44, 0
.LBB19_322:
	v_pk_add_f32 v[46:47], v[12:13], v[36:37]
	s_nop 0
	v_min3_f32 v45, v46, v47, v94
	v_pk_add_f32 v[46:47], v[14:15], v[38:39]
	s_nop 0
	v_min_f32_e32 v46, v46, v47
	v_min3_f32 v46, v44, v46, v45
	v_lshl_add_u64 v[44:45], v[74:75], 2, v[40:41]
	flat_store_dword v[44:45], v46
	s_or_b64 exec, exec, s[26:27]
	s_and_b64 s[30:31], s[14:15], s[18:19]
	s_and_saveexec_b64 s[26:27], s[30:31]
	s_cbranch_execz .LBB19_298
.LBB19_323:
	s_and_b64 vcc, exec, s[0:1]
	s_cbranch_vccnz .LBB19_325
; %bb.324:
	v_lshl_add_u64 v[44:45], v[76:77], 2, v[42:43]
	flat_load_dword v44, v[44:45]
	s_waitcnt vmcnt(0) lgkmcnt(0)
	v_mul_f32_e32 v44, s33, v44
	s_branch .LBB19_326
.LBB19_325:
	v_mov_b32_e32 v44, 0
.LBB19_326:
	v_pk_add_f32 v[46:47], v[8:9], v[36:37]
	s_nop 0
	v_min3_f32 v45, v46, v47, v93
	v_pk_add_f32 v[46:47], v[10:11], v[38:39]
	s_nop 0
	v_min_f32_e32 v46, v46, v47
	v_min3_f32 v46, v44, v46, v45
	v_lshl_add_u64 v[44:45], v[76:77], 2, v[40:41]
	flat_store_dword v[44:45], v46
	s_or_b64 exec, exec, s[26:27]
	s_and_b64 s[26:27], s[16:17], s[18:19]
	s_and_saveexec_b64 s[18:19], s[26:27]
	s_cbranch_execz .LBB19_331
.LBB19_327:
	s_and_b64 vcc, exec, s[0:1]
	s_cbranch_vccnz .LBB19_329
; %bb.328:
	v_lshl_add_u64 v[42:43], v[78:79], 2, v[42:43]
	flat_load_dword v42, v[42:43]
	s_waitcnt vmcnt(0) lgkmcnt(0)
	v_mul_f32_e32 v42, s33, v42
	s_branch .LBB19_330
.LBB19_329:
	v_mov_b32_e32 v42, 0
.LBB19_330:
	v_pk_add_f32 v[36:37], v[0:1], v[36:37]
	s_nop 0
	v_min3_f32 v43, v36, v37, v92
	v_pk_add_f32 v[36:37], v[2:3], v[38:39]
	s_nop 0
	v_min_f32_e32 v36, v36, v37
	v_min3_f32 v38, v42, v36, v43
	v_lshl_add_u64 v[36:37], v[78:79], 2, v[40:41]
	flat_store_dword v[36:37], v38
.LBB19_331:
	s_or_b64 exec, exec, s[18:19]
	v_add_u32_e32 v40, 0xe0, v123
	v_cmp_gt_i32_e64 s[18:19], s21, v40
	v_mad_i64_i32 v[36:37], s[20:21], v40, s29, 0
	v_lshl_add_u64 v[38:39], v[36:37], 2, s[24:25]
	v_mad_i64_i32 v[36:37], s[20:21], v40, s28, 0
	v_lshl_add_u64 v[36:37], v[36:37], 2, s[22:23]
	s_and_b64 s[20:21], s[2:3], s[18:19]
	s_and_saveexec_b64 s[2:3], s[20:21]
	s_cbranch_execnz .LBB19_340
; %bb.332:
	s_or_b64 exec, exec, s[2:3]
	s_and_b64 s[4:5], s[4:5], s[18:19]
	s_and_saveexec_b64 s[2:3], s[4:5]
	s_cbranch_execnz .LBB19_344
.LBB19_333:
	s_or_b64 exec, exec, s[2:3]
	s_and_b64 s[4:5], s[6:7], s[18:19]
	s_and_saveexec_b64 s[2:3], s[4:5]
	s_cbranch_execnz .LBB19_348
.LBB19_334:
	s_or_b64 exec, exec, s[2:3]
	s_and_b64 s[4:5], s[8:9], s[18:19]
	s_and_saveexec_b64 s[2:3], s[4:5]
	s_cbranch_execnz .LBB19_352
.LBB19_335:
	s_or_b64 exec, exec, s[2:3]
	s_and_b64 s[4:5], s[10:11], s[18:19]
	s_and_saveexec_b64 s[2:3], s[4:5]
	s_cbranch_execnz .LBB19_356
.LBB19_336:
	s_or_b64 exec, exec, s[2:3]
	s_and_b64 s[4:5], s[12:13], s[18:19]
	s_and_saveexec_b64 s[2:3], s[4:5]
	s_cbranch_execnz .LBB19_360
.LBB19_337:
	s_or_b64 exec, exec, s[2:3]
	s_and_b64 s[4:5], s[14:15], s[18:19]
	s_and_saveexec_b64 s[2:3], s[4:5]
	s_cbranch_execnz .LBB19_364
.LBB19_338:
	s_or_b64 exec, exec, s[2:3]
	s_and_b64 s[2:3], s[16:17], s[18:19]
	s_and_saveexec_b64 s[4:5], s[2:3]
	s_cbranch_execnz .LBB19_368
.LBB19_339:
	s_endpgm
.LBB19_340:
	s_and_b64 vcc, exec, s[0:1]
	s_cbranch_vccnz .LBB19_342
; %bb.341:
	v_lshl_add_u64 v[40:41], v[64:65], 2, v[38:39]
	flat_load_dword v40, v[40:41]
	s_waitcnt vmcnt(0) lgkmcnt(0)
	v_mul_f32_e32 v40, s33, v40
	s_branch .LBB19_343
.LBB19_342:
	v_mov_b32_e32 v40, 0
.LBB19_343:
	v_pk_add_f32 v[32:33], v[32:33], v[4:5]
	s_nop 0
	v_min3_f32 v41, v32, v33, v91
	v_pk_add_f32 v[32:33], v[34:35], v[6:7]
	s_nop 0
	v_min_f32_e32 v32, v32, v33
	v_min3_f32 v34, v40, v32, v41
	v_lshl_add_u64 v[32:33], v[64:65], 2, v[36:37]
	flat_store_dword v[32:33], v34
	s_or_b64 exec, exec, s[2:3]
	s_and_b64 s[4:5], s[4:5], s[18:19]
	s_and_saveexec_b64 s[2:3], s[4:5]
	s_cbranch_execz .LBB19_333
.LBB19_344:
	s_and_b64 vcc, exec, s[0:1]
	s_cbranch_vccnz .LBB19_346
; %bb.345:
	v_lshl_add_u64 v[32:33], v[66:67], 2, v[38:39]
	flat_load_dword v32, v[32:33]
	s_waitcnt vmcnt(0) lgkmcnt(0)
	v_mul_f32_e32 v32, s33, v32
	s_branch .LBB19_347
.LBB19_346:
	v_mov_b32_e32 v32, 0
.LBB19_347:
	v_pk_add_f32 v[28:29], v[28:29], v[4:5]
	s_nop 0
	v_min3_f32 v33, v28, v29, v90
	v_pk_add_f32 v[28:29], v[30:31], v[6:7]
	s_nop 0
	v_min_f32_e32 v28, v28, v29
	v_min3_f32 v30, v32, v28, v33
	v_lshl_add_u64 v[28:29], v[66:67], 2, v[36:37]
	flat_store_dword v[28:29], v30
	s_or_b64 exec, exec, s[2:3]
	s_and_b64 s[4:5], s[6:7], s[18:19]
	s_and_saveexec_b64 s[2:3], s[4:5]
	s_cbranch_execz .LBB19_334
.LBB19_348:
	s_and_b64 vcc, exec, s[0:1]
	s_cbranch_vccnz .LBB19_350
; %bb.349:
	v_lshl_add_u64 v[28:29], v[68:69], 2, v[38:39]
	flat_load_dword v28, v[28:29]
	s_waitcnt vmcnt(0) lgkmcnt(0)
	v_mul_f32_e32 v28, s33, v28
	s_branch .LBB19_351
.LBB19_350:
	v_mov_b32_e32 v28, 0
.LBB19_351:
	v_pk_add_f32 v[24:25], v[24:25], v[4:5]
	s_nop 0
	v_min3_f32 v29, v24, v25, v89
	v_pk_add_f32 v[24:25], v[26:27], v[6:7]
	s_nop 0
	v_min_f32_e32 v24, v24, v25
	v_min3_f32 v26, v28, v24, v29
	v_lshl_add_u64 v[24:25], v[68:69], 2, v[36:37]
	flat_store_dword v[24:25], v26
	s_or_b64 exec, exec, s[2:3]
	s_and_b64 s[4:5], s[8:9], s[18:19]
	s_and_saveexec_b64 s[2:3], s[4:5]
	s_cbranch_execz .LBB19_335
.LBB19_352:
	s_and_b64 vcc, exec, s[0:1]
	s_cbranch_vccnz .LBB19_354
; %bb.353:
	v_lshl_add_u64 v[24:25], v[70:71], 2, v[38:39]
	flat_load_dword v24, v[24:25]
	s_waitcnt vmcnt(0) lgkmcnt(0)
	v_mul_f32_e32 v24, s33, v24
	s_branch .LBB19_355
.LBB19_354:
	v_mov_b32_e32 v24, 0
.LBB19_355:
	v_pk_add_f32 v[20:21], v[20:21], v[4:5]
	s_nop 0
	v_min3_f32 v25, v20, v21, v87
	v_pk_add_f32 v[20:21], v[22:23], v[6:7]
	s_nop 0
	v_min_f32_e32 v20, v20, v21
	v_min3_f32 v22, v24, v20, v25
	v_lshl_add_u64 v[20:21], v[70:71], 2, v[36:37]
	flat_store_dword v[20:21], v22
	s_or_b64 exec, exec, s[2:3]
	s_and_b64 s[4:5], s[10:11], s[18:19]
	s_and_saveexec_b64 s[2:3], s[4:5]
	s_cbranch_execz .LBB19_336
.LBB19_356:
	s_and_b64 vcc, exec, s[0:1]
	s_cbranch_vccnz .LBB19_358
; %bb.357:
	v_lshl_add_u64 v[20:21], v[72:73], 2, v[38:39]
	flat_load_dword v20, v[20:21]
	s_waitcnt vmcnt(0) lgkmcnt(0)
	v_mul_f32_e32 v20, s33, v20
	s_branch .LBB19_359
.LBB19_358:
	v_mov_b32_e32 v20, 0
.LBB19_359:
	v_pk_add_f32 v[16:17], v[16:17], v[4:5]
	s_nop 0
	v_min3_f32 v21, v16, v17, v86
	v_pk_add_f32 v[16:17], v[18:19], v[6:7]
	s_nop 0
	v_min_f32_e32 v16, v16, v17
	v_min3_f32 v18, v20, v16, v21
	v_lshl_add_u64 v[16:17], v[72:73], 2, v[36:37]
	flat_store_dword v[16:17], v18
	s_or_b64 exec, exec, s[2:3]
	s_and_b64 s[4:5], s[12:13], s[18:19]
	s_and_saveexec_b64 s[2:3], s[4:5]
	s_cbranch_execz .LBB19_337
.LBB19_360:
	s_and_b64 vcc, exec, s[0:1]
	s_cbranch_vccnz .LBB19_362
; %bb.361:
	v_lshl_add_u64 v[16:17], v[74:75], 2, v[38:39]
	flat_load_dword v16, v[16:17]
	s_waitcnt vmcnt(0) lgkmcnt(0)
	v_mul_f32_e32 v16, s33, v16
	s_branch .LBB19_363
.LBB19_362:
	v_mov_b32_e32 v16, 0
.LBB19_363:
	v_pk_add_f32 v[12:13], v[12:13], v[4:5]
	s_nop 0
	v_min3_f32 v17, v12, v13, v85
	v_pk_add_f32 v[12:13], v[14:15], v[6:7]
	s_nop 0
	v_min_f32_e32 v12, v12, v13
	v_min3_f32 v14, v16, v12, v17
	v_lshl_add_u64 v[12:13], v[74:75], 2, v[36:37]
	flat_store_dword v[12:13], v14
	s_or_b64 exec, exec, s[2:3]
	s_and_b64 s[4:5], s[14:15], s[18:19]
	s_and_saveexec_b64 s[2:3], s[4:5]
	s_cbranch_execz .LBB19_338
.LBB19_364:
	s_and_b64 vcc, exec, s[0:1]
	s_cbranch_vccnz .LBB19_366
; %bb.365:
	v_lshl_add_u64 v[12:13], v[76:77], 2, v[38:39]
	flat_load_dword v12, v[12:13]
	s_waitcnt vmcnt(0) lgkmcnt(0)
	v_mul_f32_e32 v12, s33, v12
	s_branch .LBB19_367
.LBB19_366:
	v_mov_b32_e32 v12, 0
.LBB19_367:
	v_pk_add_f32 v[8:9], v[8:9], v[4:5]
	s_nop 0
	v_min3_f32 v13, v8, v9, v84
	v_pk_add_f32 v[8:9], v[10:11], v[6:7]
	s_nop 0
	v_min_f32_e32 v8, v8, v9
	v_min3_f32 v10, v12, v8, v13
	v_lshl_add_u64 v[8:9], v[76:77], 2, v[36:37]
	flat_store_dword v[8:9], v10
	s_or_b64 exec, exec, s[2:3]
	s_and_b64 s[2:3], s[16:17], s[18:19]
	s_and_saveexec_b64 s[4:5], s[2:3]
	s_cbranch_execz .LBB19_339
.LBB19_368:
	s_and_b64 vcc, exec, s[0:1]
	s_cbranch_vccnz .LBB19_370
; %bb.369:
	v_lshl_add_u64 v[8:9], v[78:79], 2, v[38:39]
	flat_load_dword v8, v[8:9]
	s_waitcnt vmcnt(0) lgkmcnt(0)
	v_mul_f32_e32 v8, s33, v8
	s_branch .LBB19_371
.LBB19_370:
	v_mov_b32_e32 v8, 0
.LBB19_371:
	v_pk_add_f32 v[0:1], v[0:1], v[4:5]
	s_nop 0
	v_min3_f32 v4, v0, v1, v88
	v_pk_add_f32 v[0:1], v[2:3], v[6:7]
	s_nop 0
	v_min_f32_e32 v0, v0, v1
	v_min3_f32 v2, v8, v0, v4
	v_lshl_add_u64 v[0:1], v[78:79], 2, v[36:37]
	flat_store_dword v[0:1], v2
	s_endpgm
	.section	.rodata,"a",@progbits
	.p2align	6, 0x0
	.amdhsa_kernel _ZN12_GLOBAL__N_120geam_min_plus_kernelIf15HIP_vector_typeIfLj2EEfLi8ELi32ELi64ELi256ELi4ELi64ELi4ELi64ELi4ELc78ELc84ELb1ELb1ELb1EfKPKfKPfEEviiiT16_PT17_ilSA_ilS8_SA_ilPT18_ili26rocblas_geam_ex_operation_
		.amdhsa_group_segment_fixed_size 10240
		.amdhsa_private_segment_fixed_size 0
		.amdhsa_kernarg_size 128
		.amdhsa_user_sgpr_count 2
		.amdhsa_user_sgpr_dispatch_ptr 0
		.amdhsa_user_sgpr_queue_ptr 0
		.amdhsa_user_sgpr_kernarg_segment_ptr 1
		.amdhsa_user_sgpr_dispatch_id 0
		.amdhsa_user_sgpr_kernarg_preload_length 0
		.amdhsa_user_sgpr_kernarg_preload_offset 0
		.amdhsa_user_sgpr_private_segment_size 0
		.amdhsa_uses_dynamic_stack 0
		.amdhsa_enable_private_segment 0
		.amdhsa_system_sgpr_workgroup_id_x 1
		.amdhsa_system_sgpr_workgroup_id_y 0
		.amdhsa_system_sgpr_workgroup_id_z 1
		.amdhsa_system_sgpr_workgroup_info 0
		.amdhsa_system_vgpr_workitem_id 1
		.amdhsa_next_free_vgpr 164
		.amdhsa_next_free_sgpr 38
		.amdhsa_accum_offset 164
		.amdhsa_reserve_vcc 1
		.amdhsa_float_round_mode_32 0
		.amdhsa_float_round_mode_16_64 0
		.amdhsa_float_denorm_mode_32 3
		.amdhsa_float_denorm_mode_16_64 3
		.amdhsa_dx10_clamp 1
		.amdhsa_ieee_mode 1
		.amdhsa_fp16_overflow 0
		.amdhsa_tg_split 0
		.amdhsa_exception_fp_ieee_invalid_op 0
		.amdhsa_exception_fp_denorm_src 0
		.amdhsa_exception_fp_ieee_div_zero 0
		.amdhsa_exception_fp_ieee_overflow 0
		.amdhsa_exception_fp_ieee_underflow 0
		.amdhsa_exception_fp_ieee_inexact 0
		.amdhsa_exception_int_div_zero 0
	.end_amdhsa_kernel
	.section	.text._ZN12_GLOBAL__N_120geam_min_plus_kernelIf15HIP_vector_typeIfLj2EEfLi8ELi32ELi64ELi256ELi4ELi64ELi4ELi64ELi4ELc78ELc84ELb1ELb1ELb1EfKPKfKPfEEviiiT16_PT17_ilSA_ilS8_SA_ilPT18_ili26rocblas_geam_ex_operation_,"axG",@progbits,_ZN12_GLOBAL__N_120geam_min_plus_kernelIf15HIP_vector_typeIfLj2EEfLi8ELi32ELi64ELi256ELi4ELi64ELi4ELi64ELi4ELc78ELc84ELb1ELb1ELb1EfKPKfKPfEEviiiT16_PT17_ilSA_ilS8_SA_ilPT18_ili26rocblas_geam_ex_operation_,comdat
.Lfunc_end19:
	.size	_ZN12_GLOBAL__N_120geam_min_plus_kernelIf15HIP_vector_typeIfLj2EEfLi8ELi32ELi64ELi256ELi4ELi64ELi4ELi64ELi4ELc78ELc84ELb1ELb1ELb1EfKPKfKPfEEviiiT16_PT17_ilSA_ilS8_SA_ilPT18_ili26rocblas_geam_ex_operation_, .Lfunc_end19-_ZN12_GLOBAL__N_120geam_min_plus_kernelIf15HIP_vector_typeIfLj2EEfLi8ELi32ELi64ELi256ELi4ELi64ELi4ELi64ELi4ELc78ELc84ELb1ELb1ELb1EfKPKfKPfEEviiiT16_PT17_ilSA_ilS8_SA_ilPT18_ili26rocblas_geam_ex_operation_
                                        ; -- End function
	.set _ZN12_GLOBAL__N_120geam_min_plus_kernelIf15HIP_vector_typeIfLj2EEfLi8ELi32ELi64ELi256ELi4ELi64ELi4ELi64ELi4ELc78ELc84ELb1ELb1ELb1EfKPKfKPfEEviiiT16_PT17_ilSA_ilS8_SA_ilPT18_ili26rocblas_geam_ex_operation_.num_vgpr, 164
	.set _ZN12_GLOBAL__N_120geam_min_plus_kernelIf15HIP_vector_typeIfLj2EEfLi8ELi32ELi64ELi256ELi4ELi64ELi4ELi64ELi4ELc78ELc84ELb1ELb1ELb1EfKPKfKPfEEviiiT16_PT17_ilSA_ilS8_SA_ilPT18_ili26rocblas_geam_ex_operation_.num_agpr, 0
	.set _ZN12_GLOBAL__N_120geam_min_plus_kernelIf15HIP_vector_typeIfLj2EEfLi8ELi32ELi64ELi256ELi4ELi64ELi4ELi64ELi4ELc78ELc84ELb1ELb1ELb1EfKPKfKPfEEviiiT16_PT17_ilSA_ilS8_SA_ilPT18_ili26rocblas_geam_ex_operation_.numbered_sgpr, 38
	.set _ZN12_GLOBAL__N_120geam_min_plus_kernelIf15HIP_vector_typeIfLj2EEfLi8ELi32ELi64ELi256ELi4ELi64ELi4ELi64ELi4ELc78ELc84ELb1ELb1ELb1EfKPKfKPfEEviiiT16_PT17_ilSA_ilS8_SA_ilPT18_ili26rocblas_geam_ex_operation_.num_named_barrier, 0
	.set _ZN12_GLOBAL__N_120geam_min_plus_kernelIf15HIP_vector_typeIfLj2EEfLi8ELi32ELi64ELi256ELi4ELi64ELi4ELi64ELi4ELc78ELc84ELb1ELb1ELb1EfKPKfKPfEEviiiT16_PT17_ilSA_ilS8_SA_ilPT18_ili26rocblas_geam_ex_operation_.private_seg_size, 0
	.set _ZN12_GLOBAL__N_120geam_min_plus_kernelIf15HIP_vector_typeIfLj2EEfLi8ELi32ELi64ELi256ELi4ELi64ELi4ELi64ELi4ELc78ELc84ELb1ELb1ELb1EfKPKfKPfEEviiiT16_PT17_ilSA_ilS8_SA_ilPT18_ili26rocblas_geam_ex_operation_.uses_vcc, 1
	.set _ZN12_GLOBAL__N_120geam_min_plus_kernelIf15HIP_vector_typeIfLj2EEfLi8ELi32ELi64ELi256ELi4ELi64ELi4ELi64ELi4ELc78ELc84ELb1ELb1ELb1EfKPKfKPfEEviiiT16_PT17_ilSA_ilS8_SA_ilPT18_ili26rocblas_geam_ex_operation_.uses_flat_scratch, 0
	.set _ZN12_GLOBAL__N_120geam_min_plus_kernelIf15HIP_vector_typeIfLj2EEfLi8ELi32ELi64ELi256ELi4ELi64ELi4ELi64ELi4ELc78ELc84ELb1ELb1ELb1EfKPKfKPfEEviiiT16_PT17_ilSA_ilS8_SA_ilPT18_ili26rocblas_geam_ex_operation_.has_dyn_sized_stack, 0
	.set _ZN12_GLOBAL__N_120geam_min_plus_kernelIf15HIP_vector_typeIfLj2EEfLi8ELi32ELi64ELi256ELi4ELi64ELi4ELi64ELi4ELc78ELc84ELb1ELb1ELb1EfKPKfKPfEEviiiT16_PT17_ilSA_ilS8_SA_ilPT18_ili26rocblas_geam_ex_operation_.has_recursion, 0
	.set _ZN12_GLOBAL__N_120geam_min_plus_kernelIf15HIP_vector_typeIfLj2EEfLi8ELi32ELi64ELi256ELi4ELi64ELi4ELi64ELi4ELc78ELc84ELb1ELb1ELb1EfKPKfKPfEEviiiT16_PT17_ilSA_ilS8_SA_ilPT18_ili26rocblas_geam_ex_operation_.has_indirect_call, 0
	.section	.AMDGPU.csdata,"",@progbits
; Kernel info:
; codeLenInByte = 18324
; TotalNumSgprs: 44
; NumVgprs: 164
; NumAgprs: 0
; TotalNumVgprs: 164
; ScratchSize: 0
; MemoryBound: 0
; FloatMode: 240
; IeeeMode: 1
; LDSByteSize: 10240 bytes/workgroup (compile time only)
; SGPRBlocks: 5
; VGPRBlocks: 20
; NumSGPRsForWavesPerEU: 44
; NumVGPRsForWavesPerEU: 164
; AccumOffset: 164
; Occupancy: 3
; WaveLimiterHint : 1
; COMPUTE_PGM_RSRC2:SCRATCH_EN: 0
; COMPUTE_PGM_RSRC2:USER_SGPR: 2
; COMPUTE_PGM_RSRC2:TRAP_HANDLER: 0
; COMPUTE_PGM_RSRC2:TGID_X_EN: 1
; COMPUTE_PGM_RSRC2:TGID_Y_EN: 0
; COMPUTE_PGM_RSRC2:TGID_Z_EN: 1
; COMPUTE_PGM_RSRC2:TIDIG_COMP_CNT: 1
; COMPUTE_PGM_RSRC3_GFX90A:ACCUM_OFFSET: 40
; COMPUTE_PGM_RSRC3_GFX90A:TG_SPLIT: 0
	.section	.text._ZN12_GLOBAL__N_120geam_min_plus_kernelIf15HIP_vector_typeIfLj2EEfLi8ELi32ELi64ELi256ELi4ELi64ELi4ELi64ELi4ELc78ELc84ELb0ELb1ELb1EfKPKfKPfEEviiiT16_PT17_ilSA_ilS8_SA_ilPT18_ili26rocblas_geam_ex_operation_,"axG",@progbits,_ZN12_GLOBAL__N_120geam_min_plus_kernelIf15HIP_vector_typeIfLj2EEfLi8ELi32ELi64ELi256ELi4ELi64ELi4ELi64ELi4ELc78ELc84ELb0ELb1ELb1EfKPKfKPfEEviiiT16_PT17_ilSA_ilS8_SA_ilPT18_ili26rocblas_geam_ex_operation_,comdat
	.globl	_ZN12_GLOBAL__N_120geam_min_plus_kernelIf15HIP_vector_typeIfLj2EEfLi8ELi32ELi64ELi256ELi4ELi64ELi4ELi64ELi4ELc78ELc84ELb0ELb1ELb1EfKPKfKPfEEviiiT16_PT17_ilSA_ilS8_SA_ilPT18_ili26rocblas_geam_ex_operation_ ; -- Begin function _ZN12_GLOBAL__N_120geam_min_plus_kernelIf15HIP_vector_typeIfLj2EEfLi8ELi32ELi64ELi256ELi4ELi64ELi4ELi64ELi4ELc78ELc84ELb0ELb1ELb1EfKPKfKPfEEviiiT16_PT17_ilSA_ilS8_SA_ilPT18_ili26rocblas_geam_ex_operation_
	.p2align	8
	.type	_ZN12_GLOBAL__N_120geam_min_plus_kernelIf15HIP_vector_typeIfLj2EEfLi8ELi32ELi64ELi256ELi4ELi64ELi4ELi64ELi4ELc78ELc84ELb0ELb1ELb1EfKPKfKPfEEviiiT16_PT17_ilSA_ilS8_SA_ilPT18_ili26rocblas_geam_ex_operation_,@function
_ZN12_GLOBAL__N_120geam_min_plus_kernelIf15HIP_vector_typeIfLj2EEfLi8ELi32ELi64ELi256ELi4ELi64ELi4ELi64ELi4ELc78ELc84ELb0ELb1ELb1EfKPKfKPfEEviiiT16_PT17_ilSA_ilS8_SA_ilPT18_ili26rocblas_geam_ex_operation_: ; @_ZN12_GLOBAL__N_120geam_min_plus_kernelIf15HIP_vector_typeIfLj2EEfLi8ELi32ELi64ELi256ELi4ELi64ELi4ELi64ELi4ELc78ELc84ELb0ELb1ELb1EfKPKfKPfEEviiiT16_PT17_ilSA_ilS8_SA_ilPT18_ili26rocblas_geam_ex_operation_
; %bb.0:
	s_load_dwordx4 s[20:23], s[0:1], 0x0
	s_load_dwordx4 s[4:7], s[0:1], 0x20
	s_mov_b32 s8, s3
	s_mov_b32 s9, 0
	s_waitcnt lgkmcnt(0)
	v_cmp_eq_f32_e64 s[10:11], s23, 0
	s_and_b64 vcc, exec, s[10:11]
	s_cbranch_vccnz .LBB20_3
; %bb.1:
	s_load_dwordx2 s[12:13], s[0:1], 0x10
	s_lshl_b64 s[14:15], s[8:9], 3
	s_waitcnt lgkmcnt(0)
	s_add_u32 s12, s12, s14
	s_addc_u32 s13, s13, s15
	s_load_dwordx2 s[12:13], s[12:13], 0x0
	s_lshl_b64 s[4:5], s[4:5], 2
	s_waitcnt lgkmcnt(0)
	s_add_u32 s28, s12, s4
	s_addc_u32 s29, s13, s5
	s_andn2_b64 vcc, exec, s[10:11]
	s_cbranch_vccnz .LBB20_4
.LBB20_2:
	s_mov_b32 s11, 0
	s_mov_b32 s10, s8
	s_mov_b64 s[24:25], 0
	s_mov_b64 s[16:17], 0
	s_cbranch_execz .LBB20_5
	s_branch .LBB20_6
.LBB20_3:
	s_mov_b64 s[28:29], 0
	s_andn2_b64 vcc, exec, s[10:11]
	s_cbranch_vccz .LBB20_2
.LBB20_4:
	s_mov_b64 s[10:11], s[8:9]
	s_mov_b64 s[24:25], 0
	;; [unrolled: 1-line block ×3, first 2 shown]
.LBB20_5:
	s_lshl_b64 s[8:9], s[8:9], 3
	s_add_u32 s6, s6, s8
	s_load_dwordx2 s[4:5], s[0:1], 0x38
	s_addc_u32 s7, s7, s9
	s_load_dwordx2 s[6:7], s[6:7], 0x0
	s_waitcnt lgkmcnt(0)
	s_lshl_b64 s[4:5], s[4:5], 2
	s_add_u32 s16, s6, s4
	s_addc_u32 s17, s7, s5
.LBB20_6:
	s_load_dword s33, s[0:1], 0x40
	s_load_dwordx4 s[4:7], s[0:1], 0x58
	s_waitcnt lgkmcnt(0)
	v_cmp_eq_f32_e64 s[8:9], s33, 0
	v_cmp_neq_f32_e64 s[14:15], s33, 0
	s_and_b64 vcc, exec, s[8:9]
	s_cbranch_vccnz .LBB20_8
; %bb.7:
	s_load_dwordx2 s[8:9], s[0:1], 0x48
	s_lshl_b64 s[12:13], s[10:11], 3
	s_waitcnt lgkmcnt(0)
	s_add_u32 s8, s8, s12
	s_addc_u32 s9, s9, s13
	s_load_dwordx2 s[8:9], s[8:9], 0x0
	s_lshl_b64 s[4:5], s[4:5], 2
	s_waitcnt lgkmcnt(0)
	s_add_u32 s24, s8, s4
	s_addc_u32 s25, s9, s5
.LBB20_8:
	s_load_dword s30, s[0:1], 0x18
	s_lshl_b64 s[4:5], s[10:11], 3
	v_and_b32_e32 v74, 0x3ff, v0
	v_bfe_u32 v75, v0, 10, 10
	v_cmp_eq_f32_e64 s[18:19], s23, 0
	s_waitcnt lgkmcnt(0)
	s_ashr_i32 s31, s30, 31
	s_add_u32 s26, s6, s4
	s_addc_u32 s27, s7, s5
	s_add_i32 s3, s20, -1
	s_ashr_i32 s4, s3, 31
	s_lshr_b32 s4, s4, 26
	s_add_i32 s3, s3, s4
	s_ashr_i32 s3, s3, 6
	s_add_i32 s4, s3, 1
	v_cvt_f32_u32_e32 v1, s4
	s_not_b32 s3, s3
                                        ; implicit-def: $vgpr3
	v_rcp_iflag_f32_e32 v0, v1
	v_lshl_add_u32 v1, v75, 3, v74
	v_and_b32_e32 v2, 63, v1
	v_lshrrev_b32_e32 v76, 6, v1
	v_mul_f32_e32 v0, 0x4f7ffffe, v0
	v_cvt_u32_f32_e32 v0, v0
	v_cmp_le_i32_e64 s[10:11], s22, v76
	v_readfirstlane_b32 s5, v0
	s_mul_i32 s3, s3, s5
	s_mul_hi_u32 s3, s5, s3
	s_add_i32 s5, s5, s3
	s_mul_hi_u32 s3, s2, s5
	s_mul_i32 s5, s3, s4
	s_sub_i32 s5, s2, s5
	s_add_i32 s6, s3, 1
	s_sub_i32 s7, s5, s4
	s_cmp_ge_u32 s5, s4
	s_cselect_b32 s3, s6, s3
	s_cselect_b32 s5, s7, s5
	s_add_i32 s6, s3, 1
	s_cmp_ge_u32 s5, s4
	s_cselect_b32 s6, s6, s3
	s_mul_i32 s3, s6, s4
	s_sub_i32 s2, s2, s3
	s_lshl_b32 s36, s2, 6
	v_or_b32_e32 v56, s36, v2
	v_cmp_le_i32_e32 vcc, s20, v56
	s_or_b64 s[2:3], vcc, s[10:11]
	s_nor_b64 s[4:5], s[18:19], s[2:3]
	v_ashrrev_i32_e32 v57, 31, v56
                                        ; implicit-def: $sgpr7
	s_and_saveexec_b64 s[8:9], s[4:5]
	s_xor_b64 s[4:5], exec, s[8:9]
	s_cbranch_execz .LBB20_10
; %bb.9:
	s_add_i32 s7, s22, -1
	v_min_u32_e32 v0, s7, v76
	v_mad_i64_i32 v[0:1], s[8:9], s30, v0, 0
	v_lshl_add_u64 v[0:1], v[0:1], 2, s[28:29]
	v_lshl_add_u64 v[0:1], v[56:57], 2, v[0:1]
	flat_load_dword v0, v[0:1]
	s_waitcnt vmcnt(0) lgkmcnt(0)
	v_mul_f32_e32 v3, s23, v0
.LBB20_10:
	s_or_saveexec_b64 s[4:5], s[4:5]
	v_mov_b32_e32 v0, s7
	s_xor_b64 exec, exec, s[4:5]
; %bb.11:
	v_mov_b32_e32 v0, 0x7f7fffff
	v_cndmask_b32_e64 v3, 0, v0, s[2:3]
	s_add_i32 s2, s22, -1
	v_mov_b32_e32 v0, s2
; %bb.12:
	s_or_b64 exec, exec, s[4:5]
	s_load_dword s38, s[0:1], 0x30
	s_lshl_b32 s37, s6, 8
	v_min_i32_e32 v0, v76, v0
	v_or_b32_e32 v64, s37, v2
	v_mov_b32_e32 v5, 0x7f7fffff
	s_waitcnt lgkmcnt(0)
	v_mad_i64_i32 v[0:1], s[2:3], v0, s38, 0
	v_cmp_le_i32_e64 s[2:3], s21, v64
	s_or_b64 s[4:5], s[2:3], s[10:11]
	v_lshl_add_u64 v[0:1], v[0:1], 2, s[16:17]
	v_cndmask_b32_e64 v4, 0, v5, s[4:5]
	s_nor_b64 s[6:7], s[18:19], s[4:5]
	v_ashrrev_i32_e32 v65, 31, v64
	s_and_saveexec_b64 s[4:5], s[6:7]
	s_cbranch_execz .LBB20_14
; %bb.13:
	v_lshl_add_u64 v[6:7], v[64:65], 2, v[0:1]
	flat_load_dword v4, v[6:7]
	s_waitcnt vmcnt(0) lgkmcnt(0)
	v_mul_f32_e32 v4, s23, v4
.LBB20_14:
	s_or_b64 exec, exec, s[4:5]
	v_or_b32_e32 v6, 64, v64
	v_cmp_le_i32_e64 s[4:5], s21, v6
	s_or_b64 s[6:7], s[4:5], s[10:11]
	v_cndmask_b32_e64 v5, 0, v5, s[6:7]
	s_nor_b64 s[8:9], s[18:19], s[6:7]
	s_and_saveexec_b64 s[6:7], s[8:9]
	s_cbranch_execz .LBB20_16
; %bb.15:
	v_lshl_add_u64 v[6:7], v[64:65], 2, v[0:1]
	flat_load_dword v5, v[6:7] offset:256
	s_waitcnt vmcnt(0) lgkmcnt(0)
	v_mul_f32_e32 v5, s23, v5
.LBB20_16:
	s_or_b64 exec, exec, s[6:7]
	v_or_b32_e32 v6, 0x80, v64
	v_cmp_le_i32_e64 s[6:7], s21, v6
	v_mov_b32_e32 v7, 0x7f7fffff
	s_or_b64 s[8:9], s[6:7], s[10:11]
	v_cndmask_b32_e64 v6, 0, v7, s[8:9]
	s_nor_b64 s[12:13], s[18:19], s[8:9]
	s_and_saveexec_b64 s[8:9], s[12:13]
	s_cbranch_execz .LBB20_18
; %bb.17:
	v_lshl_add_u64 v[8:9], v[64:65], 2, v[0:1]
	flat_load_dword v6, v[8:9] offset:512
	s_waitcnt vmcnt(0) lgkmcnt(0)
	v_mul_f32_e32 v6, s23, v6
.LBB20_18:
	s_or_b64 exec, exec, s[8:9]
	v_or_b32_e32 v8, 0xc0, v64
	v_cmp_le_i32_e64 s[8:9], s21, v8
	s_or_b64 s[10:11], s[8:9], s[10:11]
	v_cndmask_b32_e64 v7, 0, v7, s[10:11]
	s_nor_b64 s[12:13], s[18:19], s[10:11]
	s_and_saveexec_b64 s[10:11], s[12:13]
	s_cbranch_execz .LBB20_20
; %bb.19:
	v_lshl_add_u64 v[0:1], v[64:65], 2, v[0:1]
	flat_load_dword v0, v[0:1] offset:768
	s_waitcnt vmcnt(0) lgkmcnt(0)
	v_mul_f32_e32 v7, s23, v0
.LBB20_20:
	s_or_b64 exec, exec, s[10:11]
	v_add_u32_e32 v0, 4, v76
	v_cmp_le_i32_e64 s[10:11], s22, v0
	s_or_b64 s[12:13], vcc, s[10:11]
	s_nor_b64 s[34:35], s[18:19], s[12:13]
                                        ; implicit-def: $vgpr58
                                        ; implicit-def: $sgpr39
	s_and_saveexec_b64 s[40:41], s[34:35]
	s_xor_b64 s[34:35], exec, s[40:41]
	s_cbranch_execz .LBB20_22
; %bb.21:
	s_add_i32 s39, s22, -1
	v_min_u32_e32 v1, s39, v0
	v_mad_u64_u32 v[8:9], s[40:41], s30, v1, 0
	v_mov_b32_e32 v10, v9
	v_mad_u64_u32 v[10:11], s[40:41], s31, v1, v[10:11]
	v_mov_b32_e32 v9, v10
	v_lshl_add_u64 v[8:9], v[8:9], 2, s[28:29]
	v_lshl_add_u64 v[8:9], v[56:57], 2, v[8:9]
	flat_load_dword v1, v[8:9]
	s_waitcnt vmcnt(0) lgkmcnt(0)
	v_mul_f32_e32 v58, s23, v1
.LBB20_22:
	s_or_saveexec_b64 s[34:35], s[34:35]
	v_mov_b32_e32 v1, s39
	s_xor_b64 exec, exec, s[34:35]
; %bb.23:
	v_mov_b32_e32 v1, 0x7f7fffff
	v_cndmask_b32_e64 v58, 0, v1, s[12:13]
	s_add_i32 s12, s22, -1
	v_mov_b32_e32 v1, s12
; %bb.24:
	s_or_b64 exec, exec, s[34:35]
	v_min_i32_e32 v0, v0, v1
	v_mad_i64_i32 v[0:1], s[12:13], v0, s38, 0
	v_mov_b32_e32 v8, 0x7f7fffff
	s_or_b64 s[12:13], s[2:3], s[10:11]
	v_lshl_add_u64 v[0:1], v[0:1], 2, s[16:17]
	v_cndmask_b32_e64 v59, 0, v8, s[12:13]
	s_nor_b64 s[34:35], s[18:19], s[12:13]
	s_and_saveexec_b64 s[12:13], s[34:35]
	s_cbranch_execz .LBB20_26
; %bb.25:
	v_lshl_add_u64 v[10:11], v[64:65], 2, v[0:1]
	flat_load_dword v9, v[10:11]
	s_waitcnt vmcnt(0) lgkmcnt(0)
	v_mul_f32_e32 v59, s23, v9
.LBB20_26:
	s_or_b64 exec, exec, s[12:13]
	s_or_b64 s[12:13], s[4:5], s[10:11]
	v_cndmask_b32_e64 v60, 0, v8, s[12:13]
	s_nor_b64 s[34:35], s[18:19], s[12:13]
	s_and_saveexec_b64 s[12:13], s[34:35]
	s_cbranch_execz .LBB20_28
; %bb.27:
	v_lshl_add_u64 v[8:9], v[64:65], 2, v[0:1]
	flat_load_dword v8, v[8:9] offset:256
	s_waitcnt vmcnt(0) lgkmcnt(0)
	v_mul_f32_e32 v60, s23, v8
.LBB20_28:
	s_or_b64 exec, exec, s[12:13]
	v_mov_b32_e32 v8, 0x7f7fffff
	s_or_b64 s[12:13], s[6:7], s[10:11]
	v_cndmask_b32_e64 v61, 0, v8, s[12:13]
	s_nor_b64 s[34:35], s[18:19], s[12:13]
	s_and_saveexec_b64 s[12:13], s[34:35]
	s_cbranch_execz .LBB20_30
; %bb.29:
	v_lshl_add_u64 v[10:11], v[64:65], 2, v[0:1]
	flat_load_dword v9, v[10:11] offset:512
	s_waitcnt vmcnt(0) lgkmcnt(0)
	v_mul_f32_e32 v61, s23, v9
.LBB20_30:
	s_or_b64 exec, exec, s[12:13]
	s_or_b64 s[10:11], s[8:9], s[10:11]
	v_cndmask_b32_e64 v62, 0, v8, s[10:11]
	s_nor_b64 s[34:35], s[18:19], s[10:11]
	s_mov_b32 s12, 0x7f7fffff
	s_and_saveexec_b64 s[10:11], s[34:35]
	s_cbranch_execz .LBB20_32
; %bb.31:
	v_lshl_add_u64 v[0:1], v[64:65], 2, v[0:1]
	flat_load_dword v0, v[0:1] offset:768
	s_waitcnt vmcnt(0) lgkmcnt(0)
	v_mul_f32_e32 v62, s23, v0
.LBB20_32:
	s_or_b64 exec, exec, s[10:11]
	v_lshlrev_b32_e32 v0, 4, v2
	v_lshl_add_u32 v79, v76, 2, v0
	v_lshlrev_b32_e32 v78, 4, v74
	s_load_dwordx2 s[26:27], s[26:27], 0x0
	ds_write_b32 v79, v3 offset:8192
	ds_write2st64_b32 v79, v4, v5 offset1:4
	ds_write2st64_b32 v79, v6, v7 offset0:8 offset1:12
	s_waitcnt lgkmcnt(0)
	s_barrier
	v_lshlrev_b32_e32 v77, 4, v75
	ds_read_b128 v[28:31], v78 offset:8192
	ds_read_b128 v[24:27], v78 offset:8320
	;; [unrolled: 1-line block ×8, first 2 shown]
	ds_read_b128 v[52:55], v77
	ds_read_b128 v[48:51], v77 offset:512
	ds_read_b128 v[44:47], v77 offset:1024
	;; [unrolled: 1-line block ×5, first 2 shown]
	s_waitcnt lgkmcnt(5)
	v_pk_add_f32 v[66:67], v[28:29], v[52:53]
	s_cmp_lt_i32 s22, 9
	v_min3_f32 v63, v66, v67, s12
	v_pk_add_f32 v[66:67], v[24:25], v[52:53]
	s_nop 0
	v_min3_f32 v68, v66, v67, s12
	v_pk_add_f32 v[66:67], v[20:21], v[52:53]
	s_nop 0
	v_min3_f32 v69, v66, v67, s12
	v_pk_add_f32 v[66:67], v[16:17], v[52:53]
	s_nop 0
	v_min3_f32 v70, v66, v67, s12
	v_pk_add_f32 v[66:67], v[12:13], v[52:53]
	s_nop 0
	v_min3_f32 v71, v66, v67, s12
	v_pk_add_f32 v[66:67], v[8:9], v[52:53]
	s_nop 0
	v_min3_f32 v72, v66, v67, s12
	v_pk_add_f32 v[66:67], v[4:5], v[52:53]
	v_pk_add_f32 v[52:53], v[0:1], v[52:53]
	v_min3_f32 v66, v66, v67, s12
	v_min3_f32 v67, v52, v53, s12
	s_waitcnt lgkmcnt(4)
	v_pk_add_f32 v[52:53], v[28:29], v[48:49]
	s_nop 0
	v_min3_f32 v73, v52, v53, s12
	v_pk_add_f32 v[52:53], v[24:25], v[48:49]
	s_nop 0
	v_min3_f32 v80, v52, v53, s12
	v_pk_add_f32 v[52:53], v[20:21], v[48:49]
	s_nop 0
	v_min3_f32 v81, v52, v53, s12
	v_pk_add_f32 v[52:53], v[16:17], v[48:49]
	s_nop 0
	v_min3_f32 v82, v52, v53, s12
	v_pk_add_f32 v[52:53], v[12:13], v[48:49]
	s_nop 0
	v_min3_f32 v83, v52, v53, s12
	v_pk_add_f32 v[52:53], v[8:9], v[48:49]
	s_nop 0
	v_min3_f32 v84, v52, v53, s12
	v_pk_add_f32 v[52:53], v[4:5], v[48:49]
	v_pk_add_f32 v[48:49], v[0:1], v[48:49]
	v_min3_f32 v85, v52, v53, s12
	v_min3_f32 v86, v48, v49, s12
	s_waitcnt lgkmcnt(3)
	v_pk_add_f32 v[48:49], v[28:29], v[44:45]
	s_nop 0
	;; [unrolled: 23-line block ×5, first 2 shown]
	v_min3_f32 v105, v36, v37, s12
	v_pk_add_f32 v[36:37], v[24:25], v[32:33]
	s_nop 0
	v_min3_f32 v106, v36, v37, s12
	v_pk_add_f32 v[36:37], v[20:21], v[32:33]
	s_nop 0
	;; [unrolled: 3-line block ×5, first 2 shown]
	v_min3_f32 v151, v36, v37, s12
	v_pk_add_f32 v[36:37], v[4:5], v[32:33]
	v_pk_add_f32 v[32:33], v[0:1], v[32:33]
	v_min3_f32 v152, v36, v37, s12
	v_min3_f32 v153, v32, v33, s12
	v_pk_add_f32 v[32:33], v[30:31], v[54:55]
	s_nop 0
	v_min3_f32 v148, v32, v33, v63
	v_pk_add_f32 v[32:33], v[26:27], v[54:55]
	s_nop 0
	;; [unrolled: 3-line block ×7, first 2 shown]
	v_min3_f32 v142, v32, v33, v66
	v_pk_add_f32 v[32:33], v[2:3], v[54:55]
	ds_read_b128 v[52:55], v77 offset:3072
	v_min3_f32 v141, v32, v33, v67
	v_pk_add_f32 v[32:33], v[30:31], v[50:51]
	ds_read_b128 v[66:69], v77 offset:3584
	v_min3_f32 v140, v32, v33, v73
	v_pk_add_f32 v[32:33], v[26:27], v[50:51]
	s_waitcnt lgkmcnt(1)
	v_pk_add_f32 v[36:37], v[20:21], v[52:53]
	v_min3_f32 v139, v32, v33, v80
	v_pk_add_f32 v[32:33], v[22:23], v[50:51]
	s_waitcnt lgkmcnt(0)
	v_pk_add_f32 v[20:21], v[20:21], v[66:67]
	v_min3_f32 v138, v32, v33, v81
	v_pk_add_f32 v[32:33], v[18:19], v[50:51]
	v_min3_f32 v20, v20, v21, s12
	v_min3_f32 v137, v32, v33, v82
	v_pk_add_f32 v[32:33], v[14:15], v[50:51]
	ds_write_b32 v79, v58 offset:9216
	ds_write2st64_b32 v79, v59, v60 offset0:16 offset1:20
	ds_write2st64_b32 v79, v61, v62 offset0:24 offset1:28
	v_min3_f32 v136, v32, v33, v83
	v_pk_add_f32 v[32:33], v[10:11], v[50:51]
	s_waitcnt lgkmcnt(0)
	v_min3_f32 v134, v32, v33, v84
	v_pk_add_f32 v[32:33], v[6:7], v[50:51]
	s_barrier
	v_min3_f32 v132, v32, v33, v85
	v_pk_add_f32 v[32:33], v[28:29], v[52:53]
	v_pk_add_f32 v[28:29], v[28:29], v[66:67]
	v_min3_f32 v63, v32, v33, s12
	v_pk_add_f32 v[32:33], v[24:25], v[52:53]
	v_min3_f32 v28, v28, v29, s12
	v_min3_f32 v70, v32, v33, s12
	v_pk_add_f32 v[32:33], v[2:3], v[50:51]
	v_min3_f32 v50, v36, v37, s12
	v_min3_f32 v135, v32, v33, v86
	v_pk_add_f32 v[32:33], v[30:31], v[46:47]
	v_pk_add_f32 v[36:37], v[16:17], v[52:53]
	v_min3_f32 v133, v32, v33, v87
	v_pk_add_f32 v[32:33], v[26:27], v[46:47]
	v_min3_f32 v51, v36, v37, s12
	v_min3_f32 v131, v32, v33, v88
	v_pk_add_f32 v[32:33], v[22:23], v[46:47]
	v_pk_add_f32 v[36:37], v[4:5], v[52:53]
	v_min3_f32 v130, v32, v33, v89
	v_pk_add_f32 v[32:33], v[18:19], v[46:47]
	v_pk_add_f32 v[4:5], v[4:5], v[66:67]
	v_min3_f32 v129, v32, v33, v90
	v_pk_add_f32 v[32:33], v[14:15], v[46:47]
	v_min3_f32 v4, v4, v5, s12
	v_min3_f32 v128, v32, v33, v91
	v_pk_add_f32 v[32:33], v[10:11], v[46:47]
	v_pk_add_f32 v[24:25], v[24:25], v[66:67]
	v_min3_f32 v127, v32, v33, v92
	v_pk_add_f32 v[32:33], v[6:7], v[46:47]
	v_pk_add_f32 v[16:17], v[16:17], v[66:67]
	v_min3_f32 v126, v32, v33, v48
	v_pk_add_f32 v[32:33], v[12:13], v[52:53]
	v_min3_f32 v29, v24, v25, s12
	v_min3_f32 v48, v32, v33, s12
	v_pk_add_f32 v[32:33], v[8:9], v[52:53]
	v_min3_f32 v21, v16, v17, s12
	;; [unrolled: 3-line block ×3, first 2 shown]
	v_min3_f32 v125, v32, v33, v49
	v_pk_add_f32 v[32:33], v[30:31], v[42:43]
	v_pk_add_f32 v[36:37], v[0:1], v[52:53]
	v_min3_f32 v123, v32, v33, v93
	v_pk_add_f32 v[32:33], v[26:27], v[42:43]
	v_pk_add_f32 v[0:1], v[0:1], v[66:67]
	v_min3_f32 v122, v32, v33, v94
	v_pk_add_f32 v[32:33], v[22:23], v[42:43]
	v_min3_f32 v5, v0, v1, s12
	v_min3_f32 v121, v32, v33, v95
	v_pk_add_f32 v[32:33], v[18:19], v[42:43]
	v_pk_add_f32 v[0:1], v[30:31], v[54:55]
	v_min3_f32 v120, v32, v33, v96
	v_pk_add_f32 v[32:33], v[14:15], v[42:43]
	v_min3_f32 v36, v36, v37, s12
	;; [unrolled: 6-line block ×4, first 2 shown]
	v_min3_f32 v115, v32, v33, v99
	v_min3_f32 v99, v0, v1, v63
	v_pk_add_f32 v[0:1], v[26:27], v[54:55]
	v_pk_add_f32 v[32:33], v[26:27], v[38:39]
	v_min3_f32 v98, v0, v1, v70
	v_pk_add_f32 v[0:1], v[22:23], v[54:55]
	v_min3_f32 v114, v32, v33, v100
	v_min3_f32 v97, v0, v1, v50
	v_pk_add_f32 v[0:1], v[18:19], v[54:55]
	v_pk_add_f32 v[32:33], v[22:23], v[38:39]
	v_min3_f32 v96, v0, v1, v51
	v_pk_add_f32 v[0:1], v[14:15], v[54:55]
	;; [unrolled: 6-line block ×4, first 2 shown]
	v_pk_add_f32 v[16:17], v[22:23], v[34:35]
	v_min3_f32 v91, v0, v1, v28
	v_pk_add_f32 v[0:1], v[26:27], v[68:69]
	v_pk_add_f32 v[12:13], v[12:13], v[66:67]
	v_min3_f32 v90, v0, v1, v29
	v_pk_add_f32 v[0:1], v[22:23], v[68:69]
	v_min3_f32 v111, v32, v33, v103
	v_min3_f32 v89, v0, v1, v20
	v_pk_add_f32 v[0:1], v[18:19], v[68:69]
	v_pk_add_f32 v[32:33], v[10:11], v[38:39]
	v_min3_f32 v105, v16, v17, v124
	v_pk_add_f32 v[16:17], v[18:19], v[34:35]
	v_min3_f32 v12, v12, v13, s12
	;; [unrolled: 2-line block ×4, first 2 shown]
	v_min3_f32 v104, v16, v17, v149
	v_pk_add_f32 v[16:17], v[14:15], v[34:35]
	v_min3_f32 v13, v8, v9, s12
	v_min3_f32 v86, v0, v1, v12
	v_pk_add_f32 v[0:1], v[10:11], v[68:69]
	v_min3_f32 v103, v16, v17, v150
	v_pk_add_f32 v[16:17], v[10:11], v[34:35]
	;; [unrolled: 2-line block ×3, first 2 shown]
	v_pk_add_f32 v[32:33], v[6:7], v[38:39]
	v_pk_add_f32 v[24:25], v[2:3], v[38:39]
	v_min3_f32 v102, v16, v17, v151
	v_pk_add_f32 v[16:17], v[6:7], v[34:35]
	v_pk_add_f32 v[8:9], v[2:3], v[34:35]
	v_min3_f32 v84, v0, v1, v4
	v_pk_add_f32 v[0:1], v[2:3], v[68:69]
	v_min3_f32 v109, v32, v33, v40
	v_min3_f32 v108, v24, v25, v41
	v_min3_f32 v101, v16, v17, v152
	v_min3_f32 v100, v8, v9, v153
	v_min3_f32 v88, v0, v1, v5
	s_cbranch_scc1 .LBB20_59
; %bb.33:
	v_mov_b32_e32 v0, 0x2400
	v_lshl_add_u32 v124, v74, 4, v0
	v_mov_b32_e32 v0, 0x1000
	v_lshl_add_u32 v149, v75, 4, v0
	v_add_u32_e32 v0, 12, v76
	v_mad_i64_i32 v[0:1], s[10:11], v0, s30, 0
	v_lshlrev_b64 v[68:69], 2, v[0:1]
	v_add_u32_e32 v0, 8, v76
	v_mad_i64_i32 v[0:1], s[10:11], v0, s30, 0
	v_or_b32_e32 v80, 0x2000, v79
	v_add_u32_e32 v81, 0x2000, v78
	v_add_u32_e32 v82, 0x2400, v79
	v_or_b32_e32 v83, 0x1000, v79
	s_add_i32 s34, s22, -8
	v_lshl_add_u64 v[66:67], v[56:57], 2, s[28:29]
	s_add_i32 s35, s22, -1
	s_lshl_b64 s[28:29], s[30:31], 5
	v_lshlrev_b64 v[70:71], 2, v[0:1]
	s_mov_b32 s39, 0
	v_mov_b32_e32 v150, 0x7f7fffff
	s_branch .LBB20_35
.LBB20_34:                              ;   in Loop: Header=BB20_35 Depth=1
	s_or_b64 exec, exec, s[10:11]
	v_pk_add_f32 v[72:73], v[28:29], v[60:61]
	s_add_i32 s39, s39, 8
	v_min3_f32 v148, v72, v73, v148
	v_pk_add_f32 v[72:73], v[24:25], v[60:61]
	s_cmp_ge_i32 s39, s34
	v_min3_f32 v147, v72, v73, v147
	v_pk_add_f32 v[72:73], v[20:21], v[60:61]
	v_lshl_add_u64 v[66:67], v[66:67], 0, s[28:29]
	v_min3_f32 v146, v72, v73, v146
	v_pk_add_f32 v[72:73], v[16:17], v[60:61]
	s_nop 0
	v_min3_f32 v145, v72, v73, v145
	v_pk_add_f32 v[72:73], v[12:13], v[60:61]
	s_nop 0
	v_min3_f32 v144, v72, v73, v144
	v_pk_add_f32 v[72:73], v[8:9], v[60:61]
	s_nop 0
	v_min3_f32 v143, v72, v73, v143
	v_pk_add_f32 v[72:73], v[4:5], v[60:61]
	v_pk_add_f32 v[60:61], v[0:1], v[60:61]
	v_min3_f32 v72, v72, v73, v142
	v_min3_f32 v73, v60, v61, v141
	v_pk_add_f32 v[60:61], v[28:29], v[56:57]
	s_nop 0
	v_min3_f32 v140, v60, v61, v140
	v_pk_add_f32 v[60:61], v[24:25], v[56:57]
	s_nop 0
	v_min3_f32 v139, v60, v61, v139
	v_pk_add_f32 v[60:61], v[20:21], v[56:57]
	s_nop 0
	v_min3_f32 v138, v60, v61, v138
	v_pk_add_f32 v[60:61], v[16:17], v[56:57]
	s_nop 0
	v_min3_f32 v137, v60, v61, v137
	v_pk_add_f32 v[60:61], v[12:13], v[56:57]
	s_nop 0
	v_min3_f32 v136, v60, v61, v136
	v_pk_add_f32 v[60:61], v[8:9], v[56:57]
	s_nop 0
	v_min3_f32 v134, v60, v61, v134
	v_pk_add_f32 v[60:61], v[4:5], v[56:57]
	v_pk_add_f32 v[56:57], v[0:1], v[56:57]
	v_min3_f32 v60, v60, v61, v132
	v_min3_f32 v61, v56, v57, v135
	v_pk_add_f32 v[56:57], v[28:29], v[52:53]
	s_nop 0
	v_min3_f32 v132, v56, v57, v133
	v_pk_add_f32 v[56:57], v[24:25], v[52:53]
	s_nop 0
	v_min3_f32 v131, v56, v57, v131
	v_pk_add_f32 v[56:57], v[20:21], v[52:53]
	s_nop 0
	;; [unrolled: 22-line block ×5, first 2 shown]
	v_min3_f32 v105, v44, v45, v105
	v_pk_add_f32 v[44:45], v[16:17], v[40:41]
	s_nop 0
	v_min3_f32 v104, v44, v45, v104
	v_pk_add_f32 v[44:45], v[12:13], v[40:41]
	s_nop 0
	;; [unrolled: 3-line block ×3, first 2 shown]
	v_min3_f32 v102, v44, v45, v102
	v_pk_add_f32 v[44:45], v[4:5], v[40:41]
	v_pk_add_f32 v[40:41], v[0:1], v[40:41]
	v_min3_f32 v44, v44, v45, v101
	v_min3_f32 v45, v40, v41, v100
	v_pk_add_f32 v[40:41], v[28:29], v[36:37]
	v_pk_add_f32 v[28:29], v[28:29], v[32:33]
	v_min3_f32 v99, v40, v41, v99
	v_pk_add_f32 v[40:41], v[24:25], v[36:37]
	v_pk_add_f32 v[24:25], v[24:25], v[32:33]
	;; [unrolled: 3-line block ×7, first 2 shown]
	v_pk_add_f32 v[4:5], v[4:5], v[32:33]
	v_pk_add_f32 v[0:1], v[0:1], v[32:33]
	v_min3_f32 v4, v4, v5, v84
	v_min3_f32 v5, v0, v1, v88
	v_pk_add_f32 v[0:1], v[30:31], v[62:63]
	v_min3_f32 v8, v8, v9, v85
	v_min3_f32 v84, v0, v1, v148
	;; [unrolled: 3-line block ×9, first 2 shown]
	v_pk_add_f32 v[0:1], v[30:31], v[58:59]
	s_nop 0
	v_min3_f32 v92, v0, v1, v140
	v_pk_add_f32 v[0:1], v[26:27], v[58:59]
	s_nop 0
	v_min3_f32 v93, v0, v1, v139
	;; [unrolled: 3-line block ×56, first 2 shown]
	ds_read_b128 v[0:3], v81
	ds_read_b128 v[4:7], v81 offset:128
	ds_read_b128 v[8:11], v81 offset:256
	;; [unrolled: 1-line block ×7, first 2 shown]
	ds_read_b128 v[36:39], v77
	ds_read_b128 v[40:43], v77 offset:512
	ds_read_b128 v[44:47], v77 offset:1024
	;; [unrolled: 1-line block ×7, first 2 shown]
	s_waitcnt lgkmcnt(7)
	v_pk_add_f32 v[72:73], v[0:1], v[36:37]
	ds_write_b32 v82, v151
	ds_write2st64_b32 v83, v152, v153 offset1:4
	ds_write2st64_b32 v83, v154, v155 offset0:8 offset1:12
	v_min3_f32 v84, v72, v73, v84
	v_pk_add_f32 v[72:73], v[4:5], v[36:37]
	s_waitcnt lgkmcnt(0)
	v_min3_f32 v85, v72, v73, v85
	v_pk_add_f32 v[72:73], v[8:9], v[36:37]
	s_barrier
	v_min3_f32 v86, v72, v73, v86
	v_pk_add_f32 v[72:73], v[12:13], v[36:37]
	s_nop 0
	v_min3_f32 v87, v72, v73, v87
	v_pk_add_f32 v[72:73], v[16:17], v[36:37]
	s_nop 0
	;; [unrolled: 3-line block ×3, first 2 shown]
	v_min3_f32 v89, v72, v73, v89
	v_pk_add_f32 v[72:73], v[24:25], v[36:37]
	v_pk_add_f32 v[36:37], v[28:29], v[36:37]
	v_min3_f32 v72, v72, v73, v90
	v_min3_f32 v73, v36, v37, v91
	v_pk_add_f32 v[36:37], v[0:1], v[40:41]
	s_nop 0
	v_min3_f32 v90, v36, v37, v92
	v_pk_add_f32 v[36:37], v[4:5], v[40:41]
	s_nop 0
	;; [unrolled: 3-line block ×40, first 2 shown]
	v_min3_f32 v56, v36, v37, v138
	v_pk_add_f32 v[36:37], v[0:1], v[60:61]
	v_pk_add_f32 v[0:1], v[0:1], v[32:33]
	v_min3_f32 v57, v36, v37, v99
	v_pk_add_f32 v[36:37], v[4:5], v[60:61]
	s_nop 0
	v_min3_f32 v98, v36, v37, v98
	v_pk_add_f32 v[36:37], v[8:9], v[60:61]
	s_nop 0
	;; [unrolled: 3-line block ×7, first 2 shown]
	v_min3_f32 v36, v36, v37, v140
	v_min3_f32 v37, v0, v1, v141
	v_pk_add_f32 v[0:1], v[4:5], v[32:33]
	s_nop 0
	v_min3_f32 v4, v0, v1, v142
	v_pk_add_f32 v[0:1], v[8:9], v[32:33]
	s_nop 0
	;; [unrolled: 3-line block ×71, first 2 shown]
	v_min3_f32 v88, v0, v1, v16
	s_cbranch_scc1 .LBB20_59
.LBB20_35:                              ; =>This Inner Loop Header: Depth=1
	v_add_u32_e32 v72, s39, v76
	v_add_u32_e32 v0, 8, v72
	v_cmp_le_i32_e64 s[10:11], s22, v0
	s_or_b64 s[12:13], vcc, s[10:11]
	s_nor_b64 s[30:31], s[18:19], s[12:13]
                                        ; implicit-def: $vgpr73
	s_and_saveexec_b64 s[40:41], s[30:31]
	s_xor_b64 s[30:31], exec, s[40:41]
	s_cbranch_execz .LBB20_37
; %bb.36:                               ;   in Loop: Header=BB20_35 Depth=1
	v_lshl_add_u64 v[2:3], v[66:67], 0, v[70:71]
	flat_load_dword v1, v[2:3]
	s_waitcnt vmcnt(0) lgkmcnt(0)
	v_mul_f32_e32 v73, s23, v1
.LBB20_37:                              ;   in Loop: Header=BB20_35 Depth=1
	s_andn2_saveexec_b64 s[30:31], s[30:31]
; %bb.38:                               ;   in Loop: Header=BB20_35 Depth=1
	v_cndmask_b32_e64 v73, 0, v150, s[12:13]
; %bb.39:                               ;   in Loop: Header=BB20_35 Depth=1
	s_or_b64 exec, exec, s[30:31]
	v_min_i32_e32 v0, s35, v0
	v_mad_i64_i32 v[0:1], s[12:13], v0, s38, 0
	v_lshl_add_u64 v[0:1], v[0:1], 2, s[16:17]
	s_or_b64 s[12:13], s[2:3], s[10:11]
	v_cndmask_b32_e64 v151, 0, v150, s[12:13]
	s_nor_b64 s[30:31], s[18:19], s[12:13]
	v_lshl_add_u64 v[0:1], v[64:65], 2, v[0:1]
	s_and_saveexec_b64 s[12:13], s[30:31]
	s_cbranch_execz .LBB20_41
; %bb.40:                               ;   in Loop: Header=BB20_35 Depth=1
	flat_load_dword v2, v[0:1]
	s_waitcnt vmcnt(0) lgkmcnt(0)
	v_mul_f32_e32 v151, s23, v2
.LBB20_41:                              ;   in Loop: Header=BB20_35 Depth=1
	s_or_b64 exec, exec, s[12:13]
	s_or_b64 s[12:13], s[4:5], s[10:11]
	v_cndmask_b32_e64 v152, 0, v150, s[12:13]
	s_nor_b64 s[30:31], s[18:19], s[12:13]
	s_and_saveexec_b64 s[12:13], s[30:31]
	s_cbranch_execz .LBB20_43
; %bb.42:                               ;   in Loop: Header=BB20_35 Depth=1
	flat_load_dword v2, v[0:1] offset:256
	s_waitcnt vmcnt(0) lgkmcnt(0)
	v_mul_f32_e32 v152, s23, v2
.LBB20_43:                              ;   in Loop: Header=BB20_35 Depth=1
	s_or_b64 exec, exec, s[12:13]
	s_or_b64 s[12:13], s[6:7], s[10:11]
	v_cndmask_b32_e64 v153, 0, v150, s[12:13]
	s_nor_b64 s[30:31], s[18:19], s[12:13]
	s_and_saveexec_b64 s[12:13], s[30:31]
	s_cbranch_execz .LBB20_45
; %bb.44:                               ;   in Loop: Header=BB20_35 Depth=1
	flat_load_dword v2, v[0:1] offset:512
	s_waitcnt vmcnt(0) lgkmcnt(0)
	v_mul_f32_e32 v153, s23, v2
.LBB20_45:                              ;   in Loop: Header=BB20_35 Depth=1
	;; [unrolled: 11-line block ×3, first 2 shown]
	s_or_b64 exec, exec, s[10:11]
	ds_read_b128 v[28:31], v124
	ds_read_b128 v[24:27], v124 offset:128
	ds_read_b128 v[20:23], v124 offset:256
	;; [unrolled: 1-line block ×7, first 2 shown]
	ds_read_b128 v[60:63], v149
	ds_read_b128 v[56:59], v149 offset:512
	ds_read_b128 v[52:55], v149 offset:1024
	;; [unrolled: 1-line block ×7, first 2 shown]
	v_add_u32_e32 v72, 12, v72
	v_cmp_le_i32_e64 s[10:11], s22, v72
	s_or_b64 s[12:13], vcc, s[10:11]
	s_nor_b64 s[30:31], s[18:19], s[12:13]
	ds_write_b32 v80, v73
	ds_write2st64_b32 v79, v151, v152 offset1:4
	ds_write2st64_b32 v79, v153, v154 offset0:8 offset1:12
	s_waitcnt lgkmcnt(0)
	s_barrier
                                        ; implicit-def: $vgpr151
	s_and_saveexec_b64 s[40:41], s[30:31]
	s_xor_b64 s[30:31], exec, s[40:41]
	s_cbranch_execz .LBB20_49
; %bb.48:                               ;   in Loop: Header=BB20_35 Depth=1
	v_lshl_add_u64 v[152:153], v[66:67], 0, v[68:69]
	flat_load_dword v73, v[152:153]
	s_waitcnt vmcnt(0) lgkmcnt(0)
	v_mul_f32_e32 v151, s23, v73
.LBB20_49:                              ;   in Loop: Header=BB20_35 Depth=1
	s_andn2_saveexec_b64 s[30:31], s[30:31]
; %bb.50:                               ;   in Loop: Header=BB20_35 Depth=1
	v_cndmask_b32_e64 v151, 0, v150, s[12:13]
; %bb.51:                               ;   in Loop: Header=BB20_35 Depth=1
	s_or_b64 exec, exec, s[30:31]
	v_min_i32_e32 v72, s35, v72
	v_mad_i64_i32 v[72:73], s[12:13], v72, s38, 0
	v_lshl_add_u64 v[72:73], v[72:73], 2, s[16:17]
	s_or_b64 s[12:13], s[2:3], s[10:11]
	v_cndmask_b32_e64 v152, 0, v150, s[12:13]
	s_nor_b64 s[30:31], s[18:19], s[12:13]
	v_lshl_add_u64 v[72:73], v[64:65], 2, v[72:73]
	s_and_saveexec_b64 s[12:13], s[30:31]
	s_cbranch_execz .LBB20_53
; %bb.52:                               ;   in Loop: Header=BB20_35 Depth=1
	flat_load_dword v152, v[72:73]
	s_waitcnt vmcnt(0) lgkmcnt(0)
	v_mul_f32_e32 v152, s23, v152
.LBB20_53:                              ;   in Loop: Header=BB20_35 Depth=1
	s_or_b64 exec, exec, s[12:13]
	s_or_b64 s[12:13], s[4:5], s[10:11]
	v_cndmask_b32_e64 v153, 0, v150, s[12:13]
	s_nor_b64 s[30:31], s[18:19], s[12:13]
	s_and_saveexec_b64 s[12:13], s[30:31]
	s_cbranch_execz .LBB20_55
; %bb.54:                               ;   in Loop: Header=BB20_35 Depth=1
	flat_load_dword v153, v[72:73] offset:256
	s_waitcnt vmcnt(0) lgkmcnt(0)
	v_mul_f32_e32 v153, s23, v153
.LBB20_55:                              ;   in Loop: Header=BB20_35 Depth=1
	s_or_b64 exec, exec, s[12:13]
	s_or_b64 s[12:13], s[6:7], s[10:11]
	v_cndmask_b32_e64 v154, 0, v150, s[12:13]
	s_nor_b64 s[30:31], s[18:19], s[12:13]
	s_and_saveexec_b64 s[12:13], s[30:31]
	s_cbranch_execz .LBB20_57
; %bb.56:                               ;   in Loop: Header=BB20_35 Depth=1
	flat_load_dword v154, v[72:73] offset:512
	s_waitcnt vmcnt(0) lgkmcnt(0)
	v_mul_f32_e32 v154, s23, v154
.LBB20_57:                              ;   in Loop: Header=BB20_35 Depth=1
	s_or_b64 exec, exec, s[12:13]
	s_or_b64 s[10:11], s[8:9], s[10:11]
	v_cndmask_b32_e64 v155, 0, v150, s[10:11]
	s_nor_b64 s[12:13], s[18:19], s[10:11]
	s_and_saveexec_b64 s[10:11], s[12:13]
	s_cbranch_execz .LBB20_34
; %bb.58:                               ;   in Loop: Header=BB20_35 Depth=1
	flat_load_dword v72, v[72:73] offset:768
	s_waitcnt vmcnt(0) lgkmcnt(0)
	v_mul_f32_e32 v155, s23, v72
	s_branch .LBB20_34
.LBB20_59:
	s_load_dwordx2 s[2:3], s[0:1], 0x70
	s_load_dword s29, s[0:1], 0x50
	s_load_dword s28, s[0:1], 0x68
	ds_read_b128 v[32:35], v78 offset:9216
	ds_read_b128 v[28:31], v78 offset:9344
	;; [unrolled: 1-line block ×16, first 2 shown]
	s_waitcnt lgkmcnt(0)
	s_lshl_b64 s[0:1], s[2:3], 2
	s_add_u32 s22, s26, s0
	v_add_u32_e32 v124, s37, v75
	s_addc_u32 s23, s27, s1
	v_mad_i64_i32 v[66:67], s[0:1], v124, s29, 0
	v_add_u32_e32 v64, s36, v74
	v_lshl_add_u64 v[82:83], v[66:67], 2, s[24:25]
	v_mad_i64_i32 v[66:67], s[0:1], v124, s28, 0
	v_cmp_gt_i32_e64 s[18:19], s21, v124
	v_lshl_add_u64 v[80:81], v[66:67], 2, s[22:23]
	v_cmp_gt_i32_e64 s[2:3], s20, v64
	v_cndmask_b32_e64 v66, 0, 1, s[14:15]
	s_and_b64 s[6:7], s[2:3], s[18:19]
	v_ashrrev_i32_e32 v65, 31, v64
	v_cmp_ne_u32_e64 s[0:1], 1, v66
	s_and_saveexec_b64 s[4:5], s[6:7]
	s_cbranch_execz .LBB20_64
; %bb.60:
	s_and_b64 vcc, exec, s[0:1]
	s_cbranch_vccnz .LBB20_62
; %bb.61:
	v_lshl_add_u64 v[66:67], v[64:65], 2, v[82:83]
	flat_load_dword v66, v[66:67]
	s_waitcnt vmcnt(0) lgkmcnt(0)
	v_mul_f32_e32 v66, s33, v66
	s_branch .LBB20_63
.LBB20_62:
	v_mov_b32_e32 v66, 0
.LBB20_63:
	v_pk_add_f32 v[68:69], v[32:33], v[60:61]
	s_nop 0
	v_min3_f32 v67, v68, v69, v148
	v_pk_add_f32 v[68:69], v[34:35], v[62:63]
	s_nop 0
	v_min_f32_e32 v68, v68, v69
	v_min3_f32 v68, v66, v68, v67
	v_lshl_add_u64 v[66:67], v[64:65], 2, v[80:81]
	flat_store_dword v[66:67], v68
.LBB20_64:
	s_or_b64 exec, exec, s[4:5]
	v_add_u32_e32 v66, 8, v64
	v_cmp_gt_i32_e64 s[4:5], s20, v66
	s_and_b64 s[8:9], s[4:5], s[18:19]
	v_ashrrev_i32_e32 v67, 31, v66
	s_and_saveexec_b64 s[6:7], s[8:9]
	s_cbranch_execz .LBB20_69
; %bb.65:
	s_and_b64 vcc, exec, s[0:1]
	s_cbranch_vccnz .LBB20_67
; %bb.66:
	v_lshl_add_u64 v[68:69], v[66:67], 2, v[82:83]
	flat_load_dword v68, v[68:69]
	s_waitcnt vmcnt(0) lgkmcnt(0)
	v_mul_f32_e32 v68, s33, v68
	s_branch .LBB20_68
.LBB20_67:
	v_mov_b32_e32 v68, 0
.LBB20_68:
	v_pk_add_f32 v[70:71], v[28:29], v[60:61]
	s_nop 0
	v_min3_f32 v69, v70, v71, v147
	v_pk_add_f32 v[70:71], v[30:31], v[62:63]
	s_nop 0
	v_min_f32_e32 v70, v70, v71
	v_min3_f32 v70, v68, v70, v69
	v_lshl_add_u64 v[68:69], v[66:67], 2, v[80:81]
	flat_store_dword v[68:69], v70
.LBB20_69:
	s_or_b64 exec, exec, s[6:7]
	v_add_u32_e32 v68, 16, v64
	v_cmp_gt_i32_e64 s[6:7], s20, v68
	s_and_b64 s[10:11], s[6:7], s[18:19]
	v_ashrrev_i32_e32 v69, 31, v68
	s_and_saveexec_b64 s[8:9], s[10:11]
	s_cbranch_execz .LBB20_74
; %bb.70:
	s_and_b64 vcc, exec, s[0:1]
	s_cbranch_vccnz .LBB20_72
; %bb.71:
	v_lshl_add_u64 v[70:71], v[68:69], 2, v[82:83]
	flat_load_dword v70, v[70:71]
	s_waitcnt vmcnt(0) lgkmcnt(0)
	v_mul_f32_e32 v70, s33, v70
	s_branch .LBB20_73
.LBB20_72:
	v_mov_b32_e32 v70, 0
.LBB20_73:
	v_pk_add_f32 v[72:73], v[24:25], v[60:61]
	s_nop 0
	v_min3_f32 v71, v72, v73, v146
	v_pk_add_f32 v[72:73], v[26:27], v[62:63]
	s_nop 0
	v_min_f32_e32 v72, v72, v73
	v_min3_f32 v72, v70, v72, v71
	v_lshl_add_u64 v[70:71], v[68:69], 2, v[80:81]
	flat_store_dword v[70:71], v72
.LBB20_74:
	s_or_b64 exec, exec, s[8:9]
	v_add_u32_e32 v70, 24, v64
	v_cmp_gt_i32_e64 s[8:9], s20, v70
	s_and_b64 s[12:13], s[8:9], s[18:19]
	v_ashrrev_i32_e32 v71, 31, v70
	s_and_saveexec_b64 s[10:11], s[12:13]
	s_cbranch_execz .LBB20_79
; %bb.75:
	s_and_b64 vcc, exec, s[0:1]
	s_cbranch_vccnz .LBB20_77
; %bb.76:
	v_lshl_add_u64 v[72:73], v[70:71], 2, v[82:83]
	flat_load_dword v72, v[72:73]
	s_waitcnt vmcnt(0) lgkmcnt(0)
	v_mul_f32_e32 v72, s33, v72
	s_branch .LBB20_78
.LBB20_77:
	v_mov_b32_e32 v72, 0
.LBB20_78:
	v_pk_add_f32 v[74:75], v[20:21], v[60:61]
	s_nop 0
	v_min3_f32 v73, v74, v75, v145
	v_pk_add_f32 v[74:75], v[22:23], v[62:63]
	s_nop 0
	v_min_f32_e32 v74, v74, v75
	v_min3_f32 v74, v72, v74, v73
	v_lshl_add_u64 v[72:73], v[70:71], 2, v[80:81]
	flat_store_dword v[72:73], v74
.LBB20_79:
	s_or_b64 exec, exec, s[10:11]
	v_add_u32_e32 v72, 32, v64
	v_cmp_gt_i32_e64 s[10:11], s20, v72
	s_and_b64 s[14:15], s[10:11], s[18:19]
	v_ashrrev_i32_e32 v73, 31, v72
	s_and_saveexec_b64 s[12:13], s[14:15]
	s_cbranch_execz .LBB20_84
; %bb.80:
	s_and_b64 vcc, exec, s[0:1]
	s_cbranch_vccnz .LBB20_82
; %bb.81:
	v_lshl_add_u64 v[74:75], v[72:73], 2, v[82:83]
	flat_load_dword v74, v[74:75]
	s_waitcnt vmcnt(0) lgkmcnt(0)
	v_mul_f32_e32 v74, s33, v74
	s_branch .LBB20_83
.LBB20_82:
	v_mov_b32_e32 v74, 0
.LBB20_83:
	v_pk_add_f32 v[76:77], v[16:17], v[60:61]
	s_nop 0
	v_min3_f32 v75, v76, v77, v144
	v_pk_add_f32 v[76:77], v[18:19], v[62:63]
	s_nop 0
	v_min_f32_e32 v76, v76, v77
	v_min3_f32 v76, v74, v76, v75
	v_lshl_add_u64 v[74:75], v[72:73], 2, v[80:81]
	flat_store_dword v[74:75], v76
.LBB20_84:
	s_or_b64 exec, exec, s[12:13]
	v_add_u32_e32 v74, 40, v64
	v_cmp_gt_i32_e64 s[12:13], s20, v74
	s_and_b64 s[16:17], s[12:13], s[18:19]
	v_ashrrev_i32_e32 v75, 31, v74
	s_and_saveexec_b64 s[14:15], s[16:17]
	s_cbranch_execz .LBB20_89
; %bb.85:
	s_and_b64 vcc, exec, s[0:1]
	s_cbranch_vccnz .LBB20_87
; %bb.86:
	v_lshl_add_u64 v[76:77], v[74:75], 2, v[82:83]
	flat_load_dword v76, v[76:77]
	s_waitcnt vmcnt(0) lgkmcnt(0)
	v_mul_f32_e32 v76, s33, v76
	s_branch .LBB20_88
.LBB20_87:
	v_mov_b32_e32 v76, 0
.LBB20_88:
	v_pk_add_f32 v[78:79], v[12:13], v[60:61]
	s_nop 0
	v_min3_f32 v77, v78, v79, v143
	v_pk_add_f32 v[78:79], v[14:15], v[62:63]
	s_nop 0
	v_min_f32_e32 v78, v78, v79
	v_min3_f32 v78, v76, v78, v77
	v_lshl_add_u64 v[76:77], v[74:75], 2, v[80:81]
	flat_store_dword v[76:77], v78
.LBB20_89:
	s_or_b64 exec, exec, s[14:15]
	v_add_u32_e32 v76, 48, v64
	v_cmp_gt_i32_e64 s[14:15], s20, v76
	s_and_b64 s[26:27], s[14:15], s[18:19]
	v_ashrrev_i32_e32 v77, 31, v76
	s_and_saveexec_b64 s[16:17], s[26:27]
	s_cbranch_execz .LBB20_94
; %bb.90:
	s_and_b64 vcc, exec, s[0:1]
	s_cbranch_vccnz .LBB20_92
; %bb.91:
	v_lshl_add_u64 v[78:79], v[76:77], 2, v[82:83]
	flat_load_dword v78, v[78:79]
	s_waitcnt vmcnt(0) lgkmcnt(0)
	v_mul_f32_e32 v78, s33, v78
	s_branch .LBB20_93
.LBB20_92:
	v_mov_b32_e32 v78, 0
.LBB20_93:
	v_pk_add_f32 v[144:145], v[8:9], v[60:61]
	s_nop 0
	v_min3_f32 v79, v144, v145, v142
	v_pk_add_f32 v[142:143], v[10:11], v[62:63]
	s_nop 0
	v_min_f32_e32 v142, v142, v143
	v_min3_f32 v142, v78, v142, v79
	v_lshl_add_u64 v[78:79], v[76:77], 2, v[80:81]
	flat_store_dword v[78:79], v142
.LBB20_94:
	s_or_b64 exec, exec, s[16:17]
	v_add_u32_e32 v78, 56, v64
	v_cmp_gt_i32_e64 s[16:17], s20, v78
	s_and_b64 s[26:27], s[16:17], s[18:19]
	v_ashrrev_i32_e32 v79, 31, v78
	s_and_saveexec_b64 s[18:19], s[26:27]
	s_cbranch_execz .LBB20_99
; %bb.95:
	s_and_b64 vcc, exec, s[0:1]
	s_cbranch_vccnz .LBB20_97
; %bb.96:
	v_lshl_add_u64 v[82:83], v[78:79], 2, v[82:83]
	flat_load_dword v82, v[82:83]
	s_waitcnt vmcnt(0) lgkmcnt(0)
	v_mul_f32_e32 v82, s33, v82
	s_branch .LBB20_98
.LBB20_97:
	v_mov_b32_e32 v82, 0
.LBB20_98:
	v_pk_add_f32 v[60:61], v[0:1], v[60:61]
	s_nop 0
	v_min3_f32 v83, v60, v61, v141
	v_pk_add_f32 v[60:61], v[2:3], v[62:63]
	s_nop 0
	v_min_f32_e32 v60, v60, v61
	v_min3_f32 v62, v82, v60, v83
	v_lshl_add_u64 v[60:61], v[78:79], 2, v[80:81]
	flat_store_dword v[60:61], v62
.LBB20_99:
	s_or_b64 exec, exec, s[18:19]
	v_add_u32_e32 v80, 32, v124
	v_mad_i64_i32 v[60:61], s[26:27], v80, s29, 0
	v_cmp_gt_i32_e64 s[18:19], s21, v80
	v_lshl_add_u64 v[62:63], v[60:61], 2, s[24:25]
	v_mad_i64_i32 v[60:61], s[26:27], v80, s28, 0
	v_lshl_add_u64 v[60:61], v[60:61], 2, s[22:23]
	s_and_b64 s[30:31], s[2:3], s[18:19]
	s_and_saveexec_b64 s[26:27], s[30:31]
	s_cbranch_execnz .LBB20_107
; %bb.100:
	s_or_b64 exec, exec, s[26:27]
	s_and_b64 s[30:31], s[4:5], s[18:19]
	s_and_saveexec_b64 s[26:27], s[30:31]
	s_cbranch_execnz .LBB20_111
.LBB20_101:
	s_or_b64 exec, exec, s[26:27]
	s_and_b64 s[30:31], s[6:7], s[18:19]
	s_and_saveexec_b64 s[26:27], s[30:31]
	s_cbranch_execnz .LBB20_115
.LBB20_102:
	s_or_b64 exec, exec, s[26:27]
	s_and_b64 s[30:31], s[8:9], s[18:19]
	s_and_saveexec_b64 s[26:27], s[30:31]
	s_cbranch_execnz .LBB20_119
.LBB20_103:
	s_or_b64 exec, exec, s[26:27]
	s_and_b64 s[30:31], s[10:11], s[18:19]
	s_and_saveexec_b64 s[26:27], s[30:31]
	s_cbranch_execnz .LBB20_123
.LBB20_104:
	s_or_b64 exec, exec, s[26:27]
	s_and_b64 s[30:31], s[12:13], s[18:19]
	s_and_saveexec_b64 s[26:27], s[30:31]
	s_cbranch_execnz .LBB20_127
.LBB20_105:
	s_or_b64 exec, exec, s[26:27]
	s_and_b64 s[30:31], s[14:15], s[18:19]
	s_and_saveexec_b64 s[26:27], s[30:31]
	s_cbranch_execnz .LBB20_131
.LBB20_106:
	s_or_b64 exec, exec, s[26:27]
	s_and_b64 s[26:27], s[16:17], s[18:19]
	s_and_saveexec_b64 s[18:19], s[26:27]
	s_cbranch_execnz .LBB20_135
	s_branch .LBB20_139
.LBB20_107:
	s_and_b64 vcc, exec, s[0:1]
	s_cbranch_vccnz .LBB20_109
; %bb.108:
	v_lshl_add_u64 v[80:81], v[64:65], 2, v[62:63]
	flat_load_dword v80, v[80:81]
	s_waitcnt vmcnt(0) lgkmcnt(0)
	v_mul_f32_e32 v80, s33, v80
	s_branch .LBB20_110
.LBB20_109:
	v_mov_b32_e32 v80, 0
.LBB20_110:
	v_pk_add_f32 v[82:83], v[32:33], v[56:57]
	s_nop 0
	v_min3_f32 v81, v82, v83, v140
	v_pk_add_f32 v[82:83], v[34:35], v[58:59]
	s_nop 0
	v_min_f32_e32 v82, v82, v83
	v_min3_f32 v82, v80, v82, v81
	v_lshl_add_u64 v[80:81], v[64:65], 2, v[60:61]
	flat_store_dword v[80:81], v82
	s_or_b64 exec, exec, s[26:27]
	s_and_b64 s[30:31], s[4:5], s[18:19]
	s_and_saveexec_b64 s[26:27], s[30:31]
	s_cbranch_execz .LBB20_101
.LBB20_111:
	s_and_b64 vcc, exec, s[0:1]
	s_cbranch_vccnz .LBB20_113
; %bb.112:
	v_lshl_add_u64 v[80:81], v[66:67], 2, v[62:63]
	flat_load_dword v80, v[80:81]
	s_waitcnt vmcnt(0) lgkmcnt(0)
	v_mul_f32_e32 v80, s33, v80
	s_branch .LBB20_114
.LBB20_113:
	v_mov_b32_e32 v80, 0
.LBB20_114:
	v_pk_add_f32 v[82:83], v[28:29], v[56:57]
	s_nop 0
	v_min3_f32 v81, v82, v83, v139
	v_pk_add_f32 v[82:83], v[30:31], v[58:59]
	s_nop 0
	v_min_f32_e32 v82, v82, v83
	v_min3_f32 v82, v80, v82, v81
	v_lshl_add_u64 v[80:81], v[66:67], 2, v[60:61]
	flat_store_dword v[80:81], v82
	s_or_b64 exec, exec, s[26:27]
	s_and_b64 s[30:31], s[6:7], s[18:19]
	s_and_saveexec_b64 s[26:27], s[30:31]
	s_cbranch_execz .LBB20_102
.LBB20_115:
	s_and_b64 vcc, exec, s[0:1]
	s_cbranch_vccnz .LBB20_117
; %bb.116:
	v_lshl_add_u64 v[80:81], v[68:69], 2, v[62:63]
	flat_load_dword v80, v[80:81]
	s_waitcnt vmcnt(0) lgkmcnt(0)
	v_mul_f32_e32 v80, s33, v80
	s_branch .LBB20_118
.LBB20_117:
	v_mov_b32_e32 v80, 0
.LBB20_118:
	v_pk_add_f32 v[82:83], v[24:25], v[56:57]
	s_nop 0
	v_min3_f32 v81, v82, v83, v138
	v_pk_add_f32 v[82:83], v[26:27], v[58:59]
	s_nop 0
	v_min_f32_e32 v82, v82, v83
	v_min3_f32 v82, v80, v82, v81
	v_lshl_add_u64 v[80:81], v[68:69], 2, v[60:61]
	flat_store_dword v[80:81], v82
	s_or_b64 exec, exec, s[26:27]
	s_and_b64 s[30:31], s[8:9], s[18:19]
	s_and_saveexec_b64 s[26:27], s[30:31]
	s_cbranch_execz .LBB20_103
.LBB20_119:
	s_and_b64 vcc, exec, s[0:1]
	s_cbranch_vccnz .LBB20_121
; %bb.120:
	v_lshl_add_u64 v[80:81], v[70:71], 2, v[62:63]
	flat_load_dword v80, v[80:81]
	s_waitcnt vmcnt(0) lgkmcnt(0)
	v_mul_f32_e32 v80, s33, v80
	s_branch .LBB20_122
.LBB20_121:
	v_mov_b32_e32 v80, 0
.LBB20_122:
	v_pk_add_f32 v[82:83], v[20:21], v[56:57]
	s_nop 0
	v_min3_f32 v81, v82, v83, v137
	v_pk_add_f32 v[82:83], v[22:23], v[58:59]
	s_nop 0
	v_min_f32_e32 v82, v82, v83
	v_min3_f32 v82, v80, v82, v81
	v_lshl_add_u64 v[80:81], v[70:71], 2, v[60:61]
	flat_store_dword v[80:81], v82
	s_or_b64 exec, exec, s[26:27]
	s_and_b64 s[30:31], s[10:11], s[18:19]
	s_and_saveexec_b64 s[26:27], s[30:31]
	s_cbranch_execz .LBB20_104
.LBB20_123:
	s_and_b64 vcc, exec, s[0:1]
	s_cbranch_vccnz .LBB20_125
; %bb.124:
	v_lshl_add_u64 v[80:81], v[72:73], 2, v[62:63]
	flat_load_dword v80, v[80:81]
	s_waitcnt vmcnt(0) lgkmcnt(0)
	v_mul_f32_e32 v80, s33, v80
	s_branch .LBB20_126
.LBB20_125:
	v_mov_b32_e32 v80, 0
.LBB20_126:
	v_pk_add_f32 v[82:83], v[16:17], v[56:57]
	s_nop 0
	v_min3_f32 v81, v82, v83, v136
	v_pk_add_f32 v[82:83], v[18:19], v[58:59]
	s_nop 0
	v_min_f32_e32 v82, v82, v83
	v_min3_f32 v82, v80, v82, v81
	v_lshl_add_u64 v[80:81], v[72:73], 2, v[60:61]
	flat_store_dword v[80:81], v82
	s_or_b64 exec, exec, s[26:27]
	s_and_b64 s[30:31], s[12:13], s[18:19]
	s_and_saveexec_b64 s[26:27], s[30:31]
	s_cbranch_execz .LBB20_105
.LBB20_127:
	s_and_b64 vcc, exec, s[0:1]
	s_cbranch_vccnz .LBB20_129
; %bb.128:
	v_lshl_add_u64 v[80:81], v[74:75], 2, v[62:63]
	flat_load_dword v80, v[80:81]
	s_waitcnt vmcnt(0) lgkmcnt(0)
	v_mul_f32_e32 v80, s33, v80
	s_branch .LBB20_130
.LBB20_129:
	v_mov_b32_e32 v80, 0
.LBB20_130:
	v_pk_add_f32 v[82:83], v[12:13], v[56:57]
	s_nop 0
	v_min3_f32 v81, v82, v83, v134
	v_pk_add_f32 v[82:83], v[14:15], v[58:59]
	s_nop 0
	v_min_f32_e32 v82, v82, v83
	v_min3_f32 v82, v80, v82, v81
	v_lshl_add_u64 v[80:81], v[74:75], 2, v[60:61]
	flat_store_dword v[80:81], v82
	s_or_b64 exec, exec, s[26:27]
	s_and_b64 s[30:31], s[14:15], s[18:19]
	s_and_saveexec_b64 s[26:27], s[30:31]
	s_cbranch_execz .LBB20_106
.LBB20_131:
	s_and_b64 vcc, exec, s[0:1]
	s_cbranch_vccnz .LBB20_133
; %bb.132:
	v_lshl_add_u64 v[80:81], v[76:77], 2, v[62:63]
	flat_load_dword v80, v[80:81]
	s_waitcnt vmcnt(0) lgkmcnt(0)
	v_mul_f32_e32 v80, s33, v80
	s_branch .LBB20_134
.LBB20_133:
	v_mov_b32_e32 v80, 0
.LBB20_134:
	v_pk_add_f32 v[82:83], v[8:9], v[56:57]
	s_nop 0
	v_min3_f32 v81, v82, v83, v132
	v_pk_add_f32 v[82:83], v[10:11], v[58:59]
	s_nop 0
	v_min_f32_e32 v82, v82, v83
	v_min3_f32 v82, v80, v82, v81
	v_lshl_add_u64 v[80:81], v[76:77], 2, v[60:61]
	flat_store_dword v[80:81], v82
	s_or_b64 exec, exec, s[26:27]
	s_and_b64 s[26:27], s[16:17], s[18:19]
	s_and_saveexec_b64 s[18:19], s[26:27]
	s_cbranch_execz .LBB20_139
.LBB20_135:
	s_and_b64 vcc, exec, s[0:1]
	s_cbranch_vccnz .LBB20_137
; %bb.136:
	v_lshl_add_u64 v[62:63], v[78:79], 2, v[62:63]
	flat_load_dword v62, v[62:63]
	s_waitcnt vmcnt(0) lgkmcnt(0)
	v_mul_f32_e32 v62, s33, v62
	s_branch .LBB20_138
.LBB20_137:
	v_mov_b32_e32 v62, 0
.LBB20_138:
	v_pk_add_f32 v[56:57], v[0:1], v[56:57]
	s_nop 0
	v_min3_f32 v63, v56, v57, v135
	v_pk_add_f32 v[56:57], v[2:3], v[58:59]
	s_nop 0
	v_min_f32_e32 v56, v56, v57
	v_min3_f32 v58, v62, v56, v63
	v_lshl_add_u64 v[56:57], v[78:79], 2, v[60:61]
	flat_store_dword v[56:57], v58
.LBB20_139:
	s_or_b64 exec, exec, s[18:19]
	v_add_u32_e32 v60, 64, v124
	v_mad_i64_i32 v[56:57], s[26:27], v60, s29, 0
	v_cmp_gt_i32_e64 s[18:19], s21, v60
	v_lshl_add_u64 v[58:59], v[56:57], 2, s[24:25]
	v_mad_i64_i32 v[56:57], s[26:27], v60, s28, 0
	v_lshl_add_u64 v[56:57], v[56:57], 2, s[22:23]
	s_and_b64 s[30:31], s[2:3], s[18:19]
	s_and_saveexec_b64 s[26:27], s[30:31]
	s_cbranch_execnz .LBB20_147
; %bb.140:
	s_or_b64 exec, exec, s[26:27]
	s_and_b64 s[30:31], s[4:5], s[18:19]
	s_and_saveexec_b64 s[26:27], s[30:31]
	s_cbranch_execnz .LBB20_151
.LBB20_141:
	s_or_b64 exec, exec, s[26:27]
	s_and_b64 s[30:31], s[6:7], s[18:19]
	s_and_saveexec_b64 s[26:27], s[30:31]
	s_cbranch_execnz .LBB20_155
.LBB20_142:
	s_or_b64 exec, exec, s[26:27]
	s_and_b64 s[30:31], s[8:9], s[18:19]
	s_and_saveexec_b64 s[26:27], s[30:31]
	s_cbranch_execnz .LBB20_159
.LBB20_143:
	s_or_b64 exec, exec, s[26:27]
	s_and_b64 s[30:31], s[10:11], s[18:19]
	s_and_saveexec_b64 s[26:27], s[30:31]
	s_cbranch_execnz .LBB20_163
.LBB20_144:
	s_or_b64 exec, exec, s[26:27]
	s_and_b64 s[30:31], s[12:13], s[18:19]
	s_and_saveexec_b64 s[26:27], s[30:31]
	s_cbranch_execnz .LBB20_167
.LBB20_145:
	s_or_b64 exec, exec, s[26:27]
	s_and_b64 s[30:31], s[14:15], s[18:19]
	s_and_saveexec_b64 s[26:27], s[30:31]
	s_cbranch_execnz .LBB20_171
.LBB20_146:
	s_or_b64 exec, exec, s[26:27]
	s_and_b64 s[26:27], s[16:17], s[18:19]
	s_and_saveexec_b64 s[18:19], s[26:27]
	s_cbranch_execnz .LBB20_175
	s_branch .LBB20_179
.LBB20_147:
	s_and_b64 vcc, exec, s[0:1]
	s_cbranch_vccnz .LBB20_149
; %bb.148:
	v_lshl_add_u64 v[60:61], v[64:65], 2, v[58:59]
	flat_load_dword v60, v[60:61]
	s_waitcnt vmcnt(0) lgkmcnt(0)
	v_mul_f32_e32 v60, s33, v60
	s_branch .LBB20_150
.LBB20_149:
	v_mov_b32_e32 v60, 0
.LBB20_150:
	v_pk_add_f32 v[62:63], v[32:33], v[52:53]
	s_nop 0
	v_min3_f32 v61, v62, v63, v133
	v_pk_add_f32 v[62:63], v[34:35], v[54:55]
	s_nop 0
	v_min_f32_e32 v62, v62, v63
	v_min3_f32 v62, v60, v62, v61
	v_lshl_add_u64 v[60:61], v[64:65], 2, v[56:57]
	flat_store_dword v[60:61], v62
	s_or_b64 exec, exec, s[26:27]
	s_and_b64 s[30:31], s[4:5], s[18:19]
	s_and_saveexec_b64 s[26:27], s[30:31]
	s_cbranch_execz .LBB20_141
.LBB20_151:
	s_and_b64 vcc, exec, s[0:1]
	s_cbranch_vccnz .LBB20_153
; %bb.152:
	v_lshl_add_u64 v[60:61], v[66:67], 2, v[58:59]
	flat_load_dword v60, v[60:61]
	s_waitcnt vmcnt(0) lgkmcnt(0)
	v_mul_f32_e32 v60, s33, v60
	s_branch .LBB20_154
.LBB20_153:
	v_mov_b32_e32 v60, 0
.LBB20_154:
	v_pk_add_f32 v[62:63], v[28:29], v[52:53]
	s_nop 0
	v_min3_f32 v61, v62, v63, v131
	v_pk_add_f32 v[62:63], v[30:31], v[54:55]
	s_nop 0
	v_min_f32_e32 v62, v62, v63
	v_min3_f32 v62, v60, v62, v61
	v_lshl_add_u64 v[60:61], v[66:67], 2, v[56:57]
	flat_store_dword v[60:61], v62
	s_or_b64 exec, exec, s[26:27]
	s_and_b64 s[30:31], s[6:7], s[18:19]
	s_and_saveexec_b64 s[26:27], s[30:31]
	s_cbranch_execz .LBB20_142
.LBB20_155:
	s_and_b64 vcc, exec, s[0:1]
	s_cbranch_vccnz .LBB20_157
; %bb.156:
	v_lshl_add_u64 v[60:61], v[68:69], 2, v[58:59]
	flat_load_dword v60, v[60:61]
	s_waitcnt vmcnt(0) lgkmcnt(0)
	v_mul_f32_e32 v60, s33, v60
	s_branch .LBB20_158
.LBB20_157:
	v_mov_b32_e32 v60, 0
.LBB20_158:
	v_pk_add_f32 v[62:63], v[24:25], v[52:53]
	s_nop 0
	v_min3_f32 v61, v62, v63, v130
	v_pk_add_f32 v[62:63], v[26:27], v[54:55]
	s_nop 0
	v_min_f32_e32 v62, v62, v63
	v_min3_f32 v62, v60, v62, v61
	v_lshl_add_u64 v[60:61], v[68:69], 2, v[56:57]
	flat_store_dword v[60:61], v62
	s_or_b64 exec, exec, s[26:27]
	s_and_b64 s[30:31], s[8:9], s[18:19]
	s_and_saveexec_b64 s[26:27], s[30:31]
	s_cbranch_execz .LBB20_143
.LBB20_159:
	s_and_b64 vcc, exec, s[0:1]
	s_cbranch_vccnz .LBB20_161
; %bb.160:
	v_lshl_add_u64 v[60:61], v[70:71], 2, v[58:59]
	flat_load_dword v60, v[60:61]
	s_waitcnt vmcnt(0) lgkmcnt(0)
	v_mul_f32_e32 v60, s33, v60
	s_branch .LBB20_162
.LBB20_161:
	v_mov_b32_e32 v60, 0
.LBB20_162:
	v_pk_add_f32 v[62:63], v[20:21], v[52:53]
	s_nop 0
	v_min3_f32 v61, v62, v63, v129
	v_pk_add_f32 v[62:63], v[22:23], v[54:55]
	s_nop 0
	v_min_f32_e32 v62, v62, v63
	v_min3_f32 v62, v60, v62, v61
	v_lshl_add_u64 v[60:61], v[70:71], 2, v[56:57]
	flat_store_dword v[60:61], v62
	s_or_b64 exec, exec, s[26:27]
	s_and_b64 s[30:31], s[10:11], s[18:19]
	s_and_saveexec_b64 s[26:27], s[30:31]
	s_cbranch_execz .LBB20_144
.LBB20_163:
	s_and_b64 vcc, exec, s[0:1]
	s_cbranch_vccnz .LBB20_165
; %bb.164:
	v_lshl_add_u64 v[60:61], v[72:73], 2, v[58:59]
	flat_load_dword v60, v[60:61]
	s_waitcnt vmcnt(0) lgkmcnt(0)
	v_mul_f32_e32 v60, s33, v60
	s_branch .LBB20_166
.LBB20_165:
	v_mov_b32_e32 v60, 0
.LBB20_166:
	v_pk_add_f32 v[62:63], v[16:17], v[52:53]
	s_nop 0
	v_min3_f32 v61, v62, v63, v128
	v_pk_add_f32 v[62:63], v[18:19], v[54:55]
	s_nop 0
	v_min_f32_e32 v62, v62, v63
	v_min3_f32 v62, v60, v62, v61
	v_lshl_add_u64 v[60:61], v[72:73], 2, v[56:57]
	flat_store_dword v[60:61], v62
	s_or_b64 exec, exec, s[26:27]
	s_and_b64 s[30:31], s[12:13], s[18:19]
	s_and_saveexec_b64 s[26:27], s[30:31]
	s_cbranch_execz .LBB20_145
.LBB20_167:
	s_and_b64 vcc, exec, s[0:1]
	s_cbranch_vccnz .LBB20_169
; %bb.168:
	v_lshl_add_u64 v[60:61], v[74:75], 2, v[58:59]
	flat_load_dword v60, v[60:61]
	s_waitcnt vmcnt(0) lgkmcnt(0)
	v_mul_f32_e32 v60, s33, v60
	s_branch .LBB20_170
.LBB20_169:
	v_mov_b32_e32 v60, 0
.LBB20_170:
	v_pk_add_f32 v[62:63], v[12:13], v[52:53]
	s_nop 0
	v_min3_f32 v61, v62, v63, v127
	v_pk_add_f32 v[62:63], v[14:15], v[54:55]
	s_nop 0
	v_min_f32_e32 v62, v62, v63
	v_min3_f32 v62, v60, v62, v61
	v_lshl_add_u64 v[60:61], v[74:75], 2, v[56:57]
	flat_store_dword v[60:61], v62
	s_or_b64 exec, exec, s[26:27]
	s_and_b64 s[30:31], s[14:15], s[18:19]
	s_and_saveexec_b64 s[26:27], s[30:31]
	s_cbranch_execz .LBB20_146
.LBB20_171:
	s_and_b64 vcc, exec, s[0:1]
	s_cbranch_vccnz .LBB20_173
; %bb.172:
	v_lshl_add_u64 v[60:61], v[76:77], 2, v[58:59]
	flat_load_dword v60, v[60:61]
	s_waitcnt vmcnt(0) lgkmcnt(0)
	v_mul_f32_e32 v60, s33, v60
	s_branch .LBB20_174
.LBB20_173:
	v_mov_b32_e32 v60, 0
.LBB20_174:
	v_pk_add_f32 v[62:63], v[8:9], v[52:53]
	s_nop 0
	v_min3_f32 v61, v62, v63, v126
	v_pk_add_f32 v[62:63], v[10:11], v[54:55]
	s_nop 0
	v_min_f32_e32 v62, v62, v63
	v_min3_f32 v62, v60, v62, v61
	v_lshl_add_u64 v[60:61], v[76:77], 2, v[56:57]
	flat_store_dword v[60:61], v62
	s_or_b64 exec, exec, s[26:27]
	s_and_b64 s[26:27], s[16:17], s[18:19]
	s_and_saveexec_b64 s[18:19], s[26:27]
	s_cbranch_execz .LBB20_179
.LBB20_175:
	s_and_b64 vcc, exec, s[0:1]
	s_cbranch_vccnz .LBB20_177
; %bb.176:
	v_lshl_add_u64 v[58:59], v[78:79], 2, v[58:59]
	flat_load_dword v58, v[58:59]
	s_waitcnt vmcnt(0) lgkmcnt(0)
	v_mul_f32_e32 v58, s33, v58
	s_branch .LBB20_178
.LBB20_177:
	v_mov_b32_e32 v58, 0
.LBB20_178:
	v_pk_add_f32 v[52:53], v[0:1], v[52:53]
	s_nop 0
	v_min3_f32 v59, v52, v53, v125
	v_pk_add_f32 v[52:53], v[2:3], v[54:55]
	s_nop 0
	v_min_f32_e32 v52, v52, v53
	v_min3_f32 v54, v58, v52, v59
	v_lshl_add_u64 v[52:53], v[78:79], 2, v[56:57]
	flat_store_dword v[52:53], v54
.LBB20_179:
	s_or_b64 exec, exec, s[18:19]
	v_add_u32_e32 v56, 0x60, v124
	v_mad_i64_i32 v[52:53], s[26:27], v56, s29, 0
	v_cmp_gt_i32_e64 s[18:19], s21, v56
	v_lshl_add_u64 v[54:55], v[52:53], 2, s[24:25]
	v_mad_i64_i32 v[52:53], s[26:27], v56, s28, 0
	v_lshl_add_u64 v[52:53], v[52:53], 2, s[22:23]
	s_and_b64 s[30:31], s[2:3], s[18:19]
	s_and_saveexec_b64 s[26:27], s[30:31]
	s_cbranch_execnz .LBB20_187
; %bb.180:
	s_or_b64 exec, exec, s[26:27]
	s_and_b64 s[30:31], s[4:5], s[18:19]
	s_and_saveexec_b64 s[26:27], s[30:31]
	s_cbranch_execnz .LBB20_191
.LBB20_181:
	s_or_b64 exec, exec, s[26:27]
	s_and_b64 s[30:31], s[6:7], s[18:19]
	s_and_saveexec_b64 s[26:27], s[30:31]
	s_cbranch_execnz .LBB20_195
.LBB20_182:
	s_or_b64 exec, exec, s[26:27]
	s_and_b64 s[30:31], s[8:9], s[18:19]
	s_and_saveexec_b64 s[26:27], s[30:31]
	s_cbranch_execnz .LBB20_199
.LBB20_183:
	s_or_b64 exec, exec, s[26:27]
	s_and_b64 s[30:31], s[10:11], s[18:19]
	s_and_saveexec_b64 s[26:27], s[30:31]
	s_cbranch_execnz .LBB20_203
.LBB20_184:
	s_or_b64 exec, exec, s[26:27]
	s_and_b64 s[30:31], s[12:13], s[18:19]
	s_and_saveexec_b64 s[26:27], s[30:31]
	s_cbranch_execnz .LBB20_207
.LBB20_185:
	s_or_b64 exec, exec, s[26:27]
	s_and_b64 s[30:31], s[14:15], s[18:19]
	s_and_saveexec_b64 s[26:27], s[30:31]
	s_cbranch_execnz .LBB20_211
.LBB20_186:
	s_or_b64 exec, exec, s[26:27]
	s_and_b64 s[26:27], s[16:17], s[18:19]
	s_and_saveexec_b64 s[18:19], s[26:27]
	s_cbranch_execnz .LBB20_215
	s_branch .LBB20_219
.LBB20_187:
	s_and_b64 vcc, exec, s[0:1]
	s_cbranch_vccnz .LBB20_189
; %bb.188:
	v_lshl_add_u64 v[56:57], v[64:65], 2, v[54:55]
	flat_load_dword v56, v[56:57]
	s_waitcnt vmcnt(0) lgkmcnt(0)
	v_mul_f32_e32 v56, s33, v56
	s_branch .LBB20_190
.LBB20_189:
	v_mov_b32_e32 v56, 0
.LBB20_190:
	v_pk_add_f32 v[58:59], v[32:33], v[48:49]
	s_nop 0
	v_min3_f32 v57, v58, v59, v123
	v_pk_add_f32 v[58:59], v[34:35], v[50:51]
	s_nop 0
	v_min_f32_e32 v58, v58, v59
	v_min3_f32 v58, v56, v58, v57
	v_lshl_add_u64 v[56:57], v[64:65], 2, v[52:53]
	flat_store_dword v[56:57], v58
	s_or_b64 exec, exec, s[26:27]
	s_and_b64 s[30:31], s[4:5], s[18:19]
	s_and_saveexec_b64 s[26:27], s[30:31]
	s_cbranch_execz .LBB20_181
.LBB20_191:
	s_and_b64 vcc, exec, s[0:1]
	s_cbranch_vccnz .LBB20_193
; %bb.192:
	v_lshl_add_u64 v[56:57], v[66:67], 2, v[54:55]
	flat_load_dword v56, v[56:57]
	s_waitcnt vmcnt(0) lgkmcnt(0)
	v_mul_f32_e32 v56, s33, v56
	s_branch .LBB20_194
.LBB20_193:
	v_mov_b32_e32 v56, 0
.LBB20_194:
	v_pk_add_f32 v[58:59], v[28:29], v[48:49]
	s_nop 0
	v_min3_f32 v57, v58, v59, v122
	v_pk_add_f32 v[58:59], v[30:31], v[50:51]
	s_nop 0
	v_min_f32_e32 v58, v58, v59
	v_min3_f32 v58, v56, v58, v57
	v_lshl_add_u64 v[56:57], v[66:67], 2, v[52:53]
	flat_store_dword v[56:57], v58
	s_or_b64 exec, exec, s[26:27]
	s_and_b64 s[30:31], s[6:7], s[18:19]
	s_and_saveexec_b64 s[26:27], s[30:31]
	s_cbranch_execz .LBB20_182
.LBB20_195:
	s_and_b64 vcc, exec, s[0:1]
	s_cbranch_vccnz .LBB20_197
; %bb.196:
	v_lshl_add_u64 v[56:57], v[68:69], 2, v[54:55]
	flat_load_dword v56, v[56:57]
	s_waitcnt vmcnt(0) lgkmcnt(0)
	v_mul_f32_e32 v56, s33, v56
	s_branch .LBB20_198
.LBB20_197:
	v_mov_b32_e32 v56, 0
.LBB20_198:
	v_pk_add_f32 v[58:59], v[24:25], v[48:49]
	s_nop 0
	v_min3_f32 v57, v58, v59, v121
	v_pk_add_f32 v[58:59], v[26:27], v[50:51]
	s_nop 0
	v_min_f32_e32 v58, v58, v59
	v_min3_f32 v58, v56, v58, v57
	v_lshl_add_u64 v[56:57], v[68:69], 2, v[52:53]
	flat_store_dword v[56:57], v58
	s_or_b64 exec, exec, s[26:27]
	s_and_b64 s[30:31], s[8:9], s[18:19]
	s_and_saveexec_b64 s[26:27], s[30:31]
	s_cbranch_execz .LBB20_183
.LBB20_199:
	s_and_b64 vcc, exec, s[0:1]
	s_cbranch_vccnz .LBB20_201
; %bb.200:
	v_lshl_add_u64 v[56:57], v[70:71], 2, v[54:55]
	flat_load_dword v56, v[56:57]
	s_waitcnt vmcnt(0) lgkmcnt(0)
	v_mul_f32_e32 v56, s33, v56
	s_branch .LBB20_202
.LBB20_201:
	v_mov_b32_e32 v56, 0
.LBB20_202:
	v_pk_add_f32 v[58:59], v[20:21], v[48:49]
	s_nop 0
	v_min3_f32 v57, v58, v59, v120
	v_pk_add_f32 v[58:59], v[22:23], v[50:51]
	s_nop 0
	v_min_f32_e32 v58, v58, v59
	v_min3_f32 v58, v56, v58, v57
	v_lshl_add_u64 v[56:57], v[70:71], 2, v[52:53]
	flat_store_dword v[56:57], v58
	s_or_b64 exec, exec, s[26:27]
	s_and_b64 s[30:31], s[10:11], s[18:19]
	s_and_saveexec_b64 s[26:27], s[30:31]
	s_cbranch_execz .LBB20_184
.LBB20_203:
	s_and_b64 vcc, exec, s[0:1]
	s_cbranch_vccnz .LBB20_205
; %bb.204:
	v_lshl_add_u64 v[56:57], v[72:73], 2, v[54:55]
	flat_load_dword v56, v[56:57]
	s_waitcnt vmcnt(0) lgkmcnt(0)
	v_mul_f32_e32 v56, s33, v56
	s_branch .LBB20_206
.LBB20_205:
	v_mov_b32_e32 v56, 0
.LBB20_206:
	v_pk_add_f32 v[58:59], v[16:17], v[48:49]
	s_nop 0
	v_min3_f32 v57, v58, v59, v119
	v_pk_add_f32 v[58:59], v[18:19], v[50:51]
	s_nop 0
	v_min_f32_e32 v58, v58, v59
	v_min3_f32 v58, v56, v58, v57
	v_lshl_add_u64 v[56:57], v[72:73], 2, v[52:53]
	flat_store_dword v[56:57], v58
	s_or_b64 exec, exec, s[26:27]
	s_and_b64 s[30:31], s[12:13], s[18:19]
	s_and_saveexec_b64 s[26:27], s[30:31]
	s_cbranch_execz .LBB20_185
.LBB20_207:
	s_and_b64 vcc, exec, s[0:1]
	s_cbranch_vccnz .LBB20_209
; %bb.208:
	v_lshl_add_u64 v[56:57], v[74:75], 2, v[54:55]
	flat_load_dword v56, v[56:57]
	s_waitcnt vmcnt(0) lgkmcnt(0)
	v_mul_f32_e32 v56, s33, v56
	s_branch .LBB20_210
.LBB20_209:
	v_mov_b32_e32 v56, 0
.LBB20_210:
	v_pk_add_f32 v[58:59], v[12:13], v[48:49]
	s_nop 0
	v_min3_f32 v57, v58, v59, v118
	v_pk_add_f32 v[58:59], v[14:15], v[50:51]
	s_nop 0
	v_min_f32_e32 v58, v58, v59
	v_min3_f32 v58, v56, v58, v57
	v_lshl_add_u64 v[56:57], v[74:75], 2, v[52:53]
	flat_store_dword v[56:57], v58
	s_or_b64 exec, exec, s[26:27]
	s_and_b64 s[30:31], s[14:15], s[18:19]
	s_and_saveexec_b64 s[26:27], s[30:31]
	s_cbranch_execz .LBB20_186
.LBB20_211:
	s_and_b64 vcc, exec, s[0:1]
	s_cbranch_vccnz .LBB20_213
; %bb.212:
	v_lshl_add_u64 v[56:57], v[76:77], 2, v[54:55]
	flat_load_dword v56, v[56:57]
	s_waitcnt vmcnt(0) lgkmcnt(0)
	v_mul_f32_e32 v56, s33, v56
	s_branch .LBB20_214
.LBB20_213:
	v_mov_b32_e32 v56, 0
.LBB20_214:
	v_pk_add_f32 v[58:59], v[8:9], v[48:49]
	s_nop 0
	v_min3_f32 v57, v58, v59, v117
	v_pk_add_f32 v[58:59], v[10:11], v[50:51]
	s_nop 0
	v_min_f32_e32 v58, v58, v59
	v_min3_f32 v58, v56, v58, v57
	v_lshl_add_u64 v[56:57], v[76:77], 2, v[52:53]
	flat_store_dword v[56:57], v58
	s_or_b64 exec, exec, s[26:27]
	s_and_b64 s[26:27], s[16:17], s[18:19]
	s_and_saveexec_b64 s[18:19], s[26:27]
	s_cbranch_execz .LBB20_219
.LBB20_215:
	s_and_b64 vcc, exec, s[0:1]
	s_cbranch_vccnz .LBB20_217
; %bb.216:
	v_lshl_add_u64 v[54:55], v[78:79], 2, v[54:55]
	flat_load_dword v54, v[54:55]
	s_waitcnt vmcnt(0) lgkmcnt(0)
	v_mul_f32_e32 v54, s33, v54
	s_branch .LBB20_218
.LBB20_217:
	v_mov_b32_e32 v54, 0
.LBB20_218:
	v_pk_add_f32 v[48:49], v[0:1], v[48:49]
	s_nop 0
	v_min3_f32 v55, v48, v49, v116
	v_pk_add_f32 v[48:49], v[2:3], v[50:51]
	s_nop 0
	v_min_f32_e32 v48, v48, v49
	v_min3_f32 v50, v54, v48, v55
	v_lshl_add_u64 v[48:49], v[78:79], 2, v[52:53]
	flat_store_dword v[48:49], v50
.LBB20_219:
	s_or_b64 exec, exec, s[18:19]
	v_add_u32_e32 v52, 0x80, v124
	v_mad_i64_i32 v[48:49], s[26:27], v52, s29, 0
	v_cmp_gt_i32_e64 s[18:19], s21, v52
	v_lshl_add_u64 v[50:51], v[48:49], 2, s[24:25]
	v_mad_i64_i32 v[48:49], s[26:27], v52, s28, 0
	v_lshl_add_u64 v[48:49], v[48:49], 2, s[22:23]
	s_and_b64 s[30:31], s[2:3], s[18:19]
	s_and_saveexec_b64 s[26:27], s[30:31]
	s_cbranch_execnz .LBB20_227
; %bb.220:
	s_or_b64 exec, exec, s[26:27]
	s_and_b64 s[30:31], s[4:5], s[18:19]
	s_and_saveexec_b64 s[26:27], s[30:31]
	s_cbranch_execnz .LBB20_231
.LBB20_221:
	s_or_b64 exec, exec, s[26:27]
	s_and_b64 s[30:31], s[6:7], s[18:19]
	s_and_saveexec_b64 s[26:27], s[30:31]
	s_cbranch_execnz .LBB20_235
.LBB20_222:
	s_or_b64 exec, exec, s[26:27]
	s_and_b64 s[30:31], s[8:9], s[18:19]
	s_and_saveexec_b64 s[26:27], s[30:31]
	s_cbranch_execnz .LBB20_239
.LBB20_223:
	s_or_b64 exec, exec, s[26:27]
	s_and_b64 s[30:31], s[10:11], s[18:19]
	s_and_saveexec_b64 s[26:27], s[30:31]
	s_cbranch_execnz .LBB20_243
.LBB20_224:
	s_or_b64 exec, exec, s[26:27]
	s_and_b64 s[30:31], s[12:13], s[18:19]
	s_and_saveexec_b64 s[26:27], s[30:31]
	s_cbranch_execnz .LBB20_247
.LBB20_225:
	s_or_b64 exec, exec, s[26:27]
	s_and_b64 s[30:31], s[14:15], s[18:19]
	s_and_saveexec_b64 s[26:27], s[30:31]
	s_cbranch_execnz .LBB20_251
.LBB20_226:
	s_or_b64 exec, exec, s[26:27]
	s_and_b64 s[26:27], s[16:17], s[18:19]
	s_and_saveexec_b64 s[18:19], s[26:27]
	s_cbranch_execnz .LBB20_255
	s_branch .LBB20_259
.LBB20_227:
	s_and_b64 vcc, exec, s[0:1]
	s_cbranch_vccnz .LBB20_229
; %bb.228:
	v_lshl_add_u64 v[52:53], v[64:65], 2, v[50:51]
	flat_load_dword v52, v[52:53]
	s_waitcnt vmcnt(0) lgkmcnt(0)
	v_mul_f32_e32 v52, s33, v52
	s_branch .LBB20_230
.LBB20_229:
	v_mov_b32_e32 v52, 0
.LBB20_230:
	v_pk_add_f32 v[54:55], v[32:33], v[44:45]
	s_nop 0
	v_min3_f32 v53, v54, v55, v115
	v_pk_add_f32 v[54:55], v[34:35], v[46:47]
	s_nop 0
	v_min_f32_e32 v54, v54, v55
	v_min3_f32 v54, v52, v54, v53
	v_lshl_add_u64 v[52:53], v[64:65], 2, v[48:49]
	flat_store_dword v[52:53], v54
	s_or_b64 exec, exec, s[26:27]
	s_and_b64 s[30:31], s[4:5], s[18:19]
	s_and_saveexec_b64 s[26:27], s[30:31]
	s_cbranch_execz .LBB20_221
.LBB20_231:
	s_and_b64 vcc, exec, s[0:1]
	s_cbranch_vccnz .LBB20_233
; %bb.232:
	v_lshl_add_u64 v[52:53], v[66:67], 2, v[50:51]
	flat_load_dword v52, v[52:53]
	s_waitcnt vmcnt(0) lgkmcnt(0)
	v_mul_f32_e32 v52, s33, v52
	s_branch .LBB20_234
.LBB20_233:
	v_mov_b32_e32 v52, 0
.LBB20_234:
	v_pk_add_f32 v[54:55], v[28:29], v[44:45]
	s_nop 0
	v_min3_f32 v53, v54, v55, v114
	v_pk_add_f32 v[54:55], v[30:31], v[46:47]
	s_nop 0
	v_min_f32_e32 v54, v54, v55
	v_min3_f32 v54, v52, v54, v53
	v_lshl_add_u64 v[52:53], v[66:67], 2, v[48:49]
	flat_store_dword v[52:53], v54
	s_or_b64 exec, exec, s[26:27]
	s_and_b64 s[30:31], s[6:7], s[18:19]
	s_and_saveexec_b64 s[26:27], s[30:31]
	s_cbranch_execz .LBB20_222
.LBB20_235:
	s_and_b64 vcc, exec, s[0:1]
	s_cbranch_vccnz .LBB20_237
; %bb.236:
	v_lshl_add_u64 v[52:53], v[68:69], 2, v[50:51]
	flat_load_dword v52, v[52:53]
	s_waitcnt vmcnt(0) lgkmcnt(0)
	v_mul_f32_e32 v52, s33, v52
	s_branch .LBB20_238
.LBB20_237:
	v_mov_b32_e32 v52, 0
.LBB20_238:
	v_pk_add_f32 v[54:55], v[24:25], v[44:45]
	s_nop 0
	v_min3_f32 v53, v54, v55, v113
	v_pk_add_f32 v[54:55], v[26:27], v[46:47]
	s_nop 0
	v_min_f32_e32 v54, v54, v55
	v_min3_f32 v54, v52, v54, v53
	v_lshl_add_u64 v[52:53], v[68:69], 2, v[48:49]
	flat_store_dword v[52:53], v54
	s_or_b64 exec, exec, s[26:27]
	s_and_b64 s[30:31], s[8:9], s[18:19]
	s_and_saveexec_b64 s[26:27], s[30:31]
	s_cbranch_execz .LBB20_223
.LBB20_239:
	s_and_b64 vcc, exec, s[0:1]
	s_cbranch_vccnz .LBB20_241
; %bb.240:
	v_lshl_add_u64 v[52:53], v[70:71], 2, v[50:51]
	flat_load_dword v52, v[52:53]
	s_waitcnt vmcnt(0) lgkmcnt(0)
	v_mul_f32_e32 v52, s33, v52
	s_branch .LBB20_242
.LBB20_241:
	v_mov_b32_e32 v52, 0
.LBB20_242:
	v_pk_add_f32 v[54:55], v[20:21], v[44:45]
	s_nop 0
	v_min3_f32 v53, v54, v55, v112
	v_pk_add_f32 v[54:55], v[22:23], v[46:47]
	s_nop 0
	v_min_f32_e32 v54, v54, v55
	v_min3_f32 v54, v52, v54, v53
	v_lshl_add_u64 v[52:53], v[70:71], 2, v[48:49]
	flat_store_dword v[52:53], v54
	s_or_b64 exec, exec, s[26:27]
	s_and_b64 s[30:31], s[10:11], s[18:19]
	s_and_saveexec_b64 s[26:27], s[30:31]
	s_cbranch_execz .LBB20_224
.LBB20_243:
	s_and_b64 vcc, exec, s[0:1]
	s_cbranch_vccnz .LBB20_245
; %bb.244:
	v_lshl_add_u64 v[52:53], v[72:73], 2, v[50:51]
	flat_load_dword v52, v[52:53]
	s_waitcnt vmcnt(0) lgkmcnt(0)
	v_mul_f32_e32 v52, s33, v52
	s_branch .LBB20_246
.LBB20_245:
	v_mov_b32_e32 v52, 0
.LBB20_246:
	v_pk_add_f32 v[54:55], v[16:17], v[44:45]
	s_nop 0
	v_min3_f32 v53, v54, v55, v111
	v_pk_add_f32 v[54:55], v[18:19], v[46:47]
	s_nop 0
	v_min_f32_e32 v54, v54, v55
	v_min3_f32 v54, v52, v54, v53
	v_lshl_add_u64 v[52:53], v[72:73], 2, v[48:49]
	flat_store_dword v[52:53], v54
	s_or_b64 exec, exec, s[26:27]
	s_and_b64 s[30:31], s[12:13], s[18:19]
	s_and_saveexec_b64 s[26:27], s[30:31]
	s_cbranch_execz .LBB20_225
.LBB20_247:
	s_and_b64 vcc, exec, s[0:1]
	s_cbranch_vccnz .LBB20_249
; %bb.248:
	v_lshl_add_u64 v[52:53], v[74:75], 2, v[50:51]
	flat_load_dword v52, v[52:53]
	s_waitcnt vmcnt(0) lgkmcnt(0)
	v_mul_f32_e32 v52, s33, v52
	s_branch .LBB20_250
.LBB20_249:
	v_mov_b32_e32 v52, 0
.LBB20_250:
	v_pk_add_f32 v[54:55], v[12:13], v[44:45]
	s_nop 0
	v_min3_f32 v53, v54, v55, v110
	v_pk_add_f32 v[54:55], v[14:15], v[46:47]
	s_nop 0
	v_min_f32_e32 v54, v54, v55
	v_min3_f32 v54, v52, v54, v53
	v_lshl_add_u64 v[52:53], v[74:75], 2, v[48:49]
	flat_store_dword v[52:53], v54
	s_or_b64 exec, exec, s[26:27]
	s_and_b64 s[30:31], s[14:15], s[18:19]
	s_and_saveexec_b64 s[26:27], s[30:31]
	s_cbranch_execz .LBB20_226
.LBB20_251:
	s_and_b64 vcc, exec, s[0:1]
	s_cbranch_vccnz .LBB20_253
; %bb.252:
	v_lshl_add_u64 v[52:53], v[76:77], 2, v[50:51]
	flat_load_dword v52, v[52:53]
	s_waitcnt vmcnt(0) lgkmcnt(0)
	v_mul_f32_e32 v52, s33, v52
	s_branch .LBB20_254
.LBB20_253:
	v_mov_b32_e32 v52, 0
.LBB20_254:
	v_pk_add_f32 v[54:55], v[8:9], v[44:45]
	s_nop 0
	v_min3_f32 v53, v54, v55, v109
	v_pk_add_f32 v[54:55], v[10:11], v[46:47]
	s_nop 0
	v_min_f32_e32 v54, v54, v55
	v_min3_f32 v54, v52, v54, v53
	v_lshl_add_u64 v[52:53], v[76:77], 2, v[48:49]
	flat_store_dword v[52:53], v54
	s_or_b64 exec, exec, s[26:27]
	s_and_b64 s[26:27], s[16:17], s[18:19]
	s_and_saveexec_b64 s[18:19], s[26:27]
	s_cbranch_execz .LBB20_259
.LBB20_255:
	s_and_b64 vcc, exec, s[0:1]
	s_cbranch_vccnz .LBB20_257
; %bb.256:
	v_lshl_add_u64 v[50:51], v[78:79], 2, v[50:51]
	flat_load_dword v50, v[50:51]
	s_waitcnt vmcnt(0) lgkmcnt(0)
	v_mul_f32_e32 v50, s33, v50
	s_branch .LBB20_258
.LBB20_257:
	v_mov_b32_e32 v50, 0
.LBB20_258:
	v_pk_add_f32 v[44:45], v[0:1], v[44:45]
	s_nop 0
	v_min3_f32 v51, v44, v45, v108
	v_pk_add_f32 v[44:45], v[2:3], v[46:47]
	s_nop 0
	v_min_f32_e32 v44, v44, v45
	v_min3_f32 v46, v50, v44, v51
	v_lshl_add_u64 v[44:45], v[78:79], 2, v[48:49]
	flat_store_dword v[44:45], v46
.LBB20_259:
	s_or_b64 exec, exec, s[18:19]
	v_add_u32_e32 v48, 0xa0, v124
	v_mad_i64_i32 v[44:45], s[26:27], v48, s29, 0
	v_cmp_gt_i32_e64 s[18:19], s21, v48
	v_lshl_add_u64 v[46:47], v[44:45], 2, s[24:25]
	v_mad_i64_i32 v[44:45], s[26:27], v48, s28, 0
	v_lshl_add_u64 v[44:45], v[44:45], 2, s[22:23]
	s_and_b64 s[30:31], s[2:3], s[18:19]
	s_and_saveexec_b64 s[26:27], s[30:31]
	s_cbranch_execnz .LBB20_267
; %bb.260:
	s_or_b64 exec, exec, s[26:27]
	s_and_b64 s[30:31], s[4:5], s[18:19]
	s_and_saveexec_b64 s[26:27], s[30:31]
	s_cbranch_execnz .LBB20_271
.LBB20_261:
	s_or_b64 exec, exec, s[26:27]
	s_and_b64 s[30:31], s[6:7], s[18:19]
	s_and_saveexec_b64 s[26:27], s[30:31]
	s_cbranch_execnz .LBB20_275
.LBB20_262:
	s_or_b64 exec, exec, s[26:27]
	s_and_b64 s[30:31], s[8:9], s[18:19]
	s_and_saveexec_b64 s[26:27], s[30:31]
	s_cbranch_execnz .LBB20_279
.LBB20_263:
	s_or_b64 exec, exec, s[26:27]
	s_and_b64 s[30:31], s[10:11], s[18:19]
	s_and_saveexec_b64 s[26:27], s[30:31]
	s_cbranch_execnz .LBB20_283
.LBB20_264:
	s_or_b64 exec, exec, s[26:27]
	s_and_b64 s[30:31], s[12:13], s[18:19]
	s_and_saveexec_b64 s[26:27], s[30:31]
	s_cbranch_execnz .LBB20_287
.LBB20_265:
	s_or_b64 exec, exec, s[26:27]
	s_and_b64 s[30:31], s[14:15], s[18:19]
	s_and_saveexec_b64 s[26:27], s[30:31]
	s_cbranch_execnz .LBB20_291
.LBB20_266:
	s_or_b64 exec, exec, s[26:27]
	s_and_b64 s[26:27], s[16:17], s[18:19]
	s_and_saveexec_b64 s[18:19], s[26:27]
	s_cbranch_execnz .LBB20_295
	s_branch .LBB20_299
.LBB20_267:
	s_and_b64 vcc, exec, s[0:1]
	s_cbranch_vccnz .LBB20_269
; %bb.268:
	v_lshl_add_u64 v[48:49], v[64:65], 2, v[46:47]
	flat_load_dword v48, v[48:49]
	s_waitcnt vmcnt(0) lgkmcnt(0)
	v_mul_f32_e32 v48, s33, v48
	s_branch .LBB20_270
.LBB20_269:
	v_mov_b32_e32 v48, 0
.LBB20_270:
	v_pk_add_f32 v[50:51], v[32:33], v[40:41]
	s_nop 0
	v_min3_f32 v49, v50, v51, v107
	v_pk_add_f32 v[50:51], v[34:35], v[42:43]
	s_nop 0
	v_min_f32_e32 v50, v50, v51
	v_min3_f32 v50, v48, v50, v49
	v_lshl_add_u64 v[48:49], v[64:65], 2, v[44:45]
	flat_store_dword v[48:49], v50
	s_or_b64 exec, exec, s[26:27]
	s_and_b64 s[30:31], s[4:5], s[18:19]
	s_and_saveexec_b64 s[26:27], s[30:31]
	s_cbranch_execz .LBB20_261
.LBB20_271:
	s_and_b64 vcc, exec, s[0:1]
	s_cbranch_vccnz .LBB20_273
; %bb.272:
	v_lshl_add_u64 v[48:49], v[66:67], 2, v[46:47]
	flat_load_dword v48, v[48:49]
	s_waitcnt vmcnt(0) lgkmcnt(0)
	v_mul_f32_e32 v48, s33, v48
	s_branch .LBB20_274
.LBB20_273:
	v_mov_b32_e32 v48, 0
.LBB20_274:
	v_pk_add_f32 v[50:51], v[28:29], v[40:41]
	s_nop 0
	v_min3_f32 v49, v50, v51, v106
	v_pk_add_f32 v[50:51], v[30:31], v[42:43]
	s_nop 0
	v_min_f32_e32 v50, v50, v51
	v_min3_f32 v50, v48, v50, v49
	v_lshl_add_u64 v[48:49], v[66:67], 2, v[44:45]
	flat_store_dword v[48:49], v50
	s_or_b64 exec, exec, s[26:27]
	s_and_b64 s[30:31], s[6:7], s[18:19]
	s_and_saveexec_b64 s[26:27], s[30:31]
	s_cbranch_execz .LBB20_262
.LBB20_275:
	s_and_b64 vcc, exec, s[0:1]
	s_cbranch_vccnz .LBB20_277
; %bb.276:
	v_lshl_add_u64 v[48:49], v[68:69], 2, v[46:47]
	flat_load_dword v48, v[48:49]
	s_waitcnt vmcnt(0) lgkmcnt(0)
	v_mul_f32_e32 v48, s33, v48
	s_branch .LBB20_278
.LBB20_277:
	v_mov_b32_e32 v48, 0
.LBB20_278:
	v_pk_add_f32 v[50:51], v[24:25], v[40:41]
	s_nop 0
	v_min3_f32 v49, v50, v51, v105
	v_pk_add_f32 v[50:51], v[26:27], v[42:43]
	s_nop 0
	v_min_f32_e32 v50, v50, v51
	v_min3_f32 v50, v48, v50, v49
	v_lshl_add_u64 v[48:49], v[68:69], 2, v[44:45]
	flat_store_dword v[48:49], v50
	s_or_b64 exec, exec, s[26:27]
	s_and_b64 s[30:31], s[8:9], s[18:19]
	s_and_saveexec_b64 s[26:27], s[30:31]
	s_cbranch_execz .LBB20_263
.LBB20_279:
	s_and_b64 vcc, exec, s[0:1]
	s_cbranch_vccnz .LBB20_281
; %bb.280:
	v_lshl_add_u64 v[48:49], v[70:71], 2, v[46:47]
	flat_load_dword v48, v[48:49]
	s_waitcnt vmcnt(0) lgkmcnt(0)
	v_mul_f32_e32 v48, s33, v48
	s_branch .LBB20_282
.LBB20_281:
	v_mov_b32_e32 v48, 0
.LBB20_282:
	v_pk_add_f32 v[50:51], v[20:21], v[40:41]
	s_nop 0
	v_min3_f32 v49, v50, v51, v104
	v_pk_add_f32 v[50:51], v[22:23], v[42:43]
	s_nop 0
	v_min_f32_e32 v50, v50, v51
	v_min3_f32 v50, v48, v50, v49
	v_lshl_add_u64 v[48:49], v[70:71], 2, v[44:45]
	flat_store_dword v[48:49], v50
	s_or_b64 exec, exec, s[26:27]
	s_and_b64 s[30:31], s[10:11], s[18:19]
	s_and_saveexec_b64 s[26:27], s[30:31]
	s_cbranch_execz .LBB20_264
.LBB20_283:
	s_and_b64 vcc, exec, s[0:1]
	s_cbranch_vccnz .LBB20_285
; %bb.284:
	v_lshl_add_u64 v[48:49], v[72:73], 2, v[46:47]
	flat_load_dword v48, v[48:49]
	s_waitcnt vmcnt(0) lgkmcnt(0)
	v_mul_f32_e32 v48, s33, v48
	s_branch .LBB20_286
.LBB20_285:
	v_mov_b32_e32 v48, 0
.LBB20_286:
	v_pk_add_f32 v[50:51], v[16:17], v[40:41]
	s_nop 0
	v_min3_f32 v49, v50, v51, v103
	v_pk_add_f32 v[50:51], v[18:19], v[42:43]
	s_nop 0
	v_min_f32_e32 v50, v50, v51
	v_min3_f32 v50, v48, v50, v49
	v_lshl_add_u64 v[48:49], v[72:73], 2, v[44:45]
	flat_store_dword v[48:49], v50
	s_or_b64 exec, exec, s[26:27]
	s_and_b64 s[30:31], s[12:13], s[18:19]
	s_and_saveexec_b64 s[26:27], s[30:31]
	s_cbranch_execz .LBB20_265
.LBB20_287:
	s_and_b64 vcc, exec, s[0:1]
	s_cbranch_vccnz .LBB20_289
; %bb.288:
	v_lshl_add_u64 v[48:49], v[74:75], 2, v[46:47]
	flat_load_dword v48, v[48:49]
	s_waitcnt vmcnt(0) lgkmcnt(0)
	v_mul_f32_e32 v48, s33, v48
	s_branch .LBB20_290
.LBB20_289:
	v_mov_b32_e32 v48, 0
.LBB20_290:
	v_pk_add_f32 v[50:51], v[12:13], v[40:41]
	s_nop 0
	v_min3_f32 v49, v50, v51, v102
	v_pk_add_f32 v[50:51], v[14:15], v[42:43]
	s_nop 0
	v_min_f32_e32 v50, v50, v51
	v_min3_f32 v50, v48, v50, v49
	v_lshl_add_u64 v[48:49], v[74:75], 2, v[44:45]
	flat_store_dword v[48:49], v50
	s_or_b64 exec, exec, s[26:27]
	s_and_b64 s[30:31], s[14:15], s[18:19]
	s_and_saveexec_b64 s[26:27], s[30:31]
	s_cbranch_execz .LBB20_266
.LBB20_291:
	s_and_b64 vcc, exec, s[0:1]
	s_cbranch_vccnz .LBB20_293
; %bb.292:
	v_lshl_add_u64 v[48:49], v[76:77], 2, v[46:47]
	flat_load_dword v48, v[48:49]
	s_waitcnt vmcnt(0) lgkmcnt(0)
	v_mul_f32_e32 v48, s33, v48
	s_branch .LBB20_294
.LBB20_293:
	v_mov_b32_e32 v48, 0
.LBB20_294:
	v_pk_add_f32 v[50:51], v[8:9], v[40:41]
	s_nop 0
	v_min3_f32 v49, v50, v51, v101
	v_pk_add_f32 v[50:51], v[10:11], v[42:43]
	s_nop 0
	v_min_f32_e32 v50, v50, v51
	v_min3_f32 v50, v48, v50, v49
	v_lshl_add_u64 v[48:49], v[76:77], 2, v[44:45]
	flat_store_dword v[48:49], v50
	s_or_b64 exec, exec, s[26:27]
	s_and_b64 s[26:27], s[16:17], s[18:19]
	s_and_saveexec_b64 s[18:19], s[26:27]
	s_cbranch_execz .LBB20_299
.LBB20_295:
	s_and_b64 vcc, exec, s[0:1]
	s_cbranch_vccnz .LBB20_297
; %bb.296:
	v_lshl_add_u64 v[46:47], v[78:79], 2, v[46:47]
	flat_load_dword v46, v[46:47]
	s_waitcnt vmcnt(0) lgkmcnt(0)
	v_mul_f32_e32 v46, s33, v46
	s_branch .LBB20_298
.LBB20_297:
	v_mov_b32_e32 v46, 0
.LBB20_298:
	v_pk_add_f32 v[40:41], v[0:1], v[40:41]
	s_nop 0
	v_min3_f32 v47, v40, v41, v100
	v_pk_add_f32 v[40:41], v[2:3], v[42:43]
	s_nop 0
	v_min_f32_e32 v40, v40, v41
	v_min3_f32 v42, v46, v40, v47
	v_lshl_add_u64 v[40:41], v[78:79], 2, v[44:45]
	flat_store_dword v[40:41], v42
.LBB20_299:
	s_or_b64 exec, exec, s[18:19]
	v_add_u32_e32 v44, 0xc0, v124
	v_mad_i64_i32 v[40:41], s[26:27], v44, s29, 0
	v_cmp_gt_i32_e64 s[18:19], s21, v44
	v_lshl_add_u64 v[42:43], v[40:41], 2, s[24:25]
	v_mad_i64_i32 v[40:41], s[26:27], v44, s28, 0
	v_lshl_add_u64 v[40:41], v[40:41], 2, s[22:23]
	s_and_b64 s[30:31], s[2:3], s[18:19]
	s_and_saveexec_b64 s[26:27], s[30:31]
	s_cbranch_execnz .LBB20_307
; %bb.300:
	s_or_b64 exec, exec, s[26:27]
	s_and_b64 s[30:31], s[4:5], s[18:19]
	s_and_saveexec_b64 s[26:27], s[30:31]
	s_cbranch_execnz .LBB20_311
.LBB20_301:
	s_or_b64 exec, exec, s[26:27]
	s_and_b64 s[30:31], s[6:7], s[18:19]
	s_and_saveexec_b64 s[26:27], s[30:31]
	s_cbranch_execnz .LBB20_315
.LBB20_302:
	s_or_b64 exec, exec, s[26:27]
	s_and_b64 s[30:31], s[8:9], s[18:19]
	s_and_saveexec_b64 s[26:27], s[30:31]
	s_cbranch_execnz .LBB20_319
.LBB20_303:
	s_or_b64 exec, exec, s[26:27]
	s_and_b64 s[30:31], s[10:11], s[18:19]
	s_and_saveexec_b64 s[26:27], s[30:31]
	s_cbranch_execnz .LBB20_323
.LBB20_304:
	s_or_b64 exec, exec, s[26:27]
	s_and_b64 s[30:31], s[12:13], s[18:19]
	s_and_saveexec_b64 s[26:27], s[30:31]
	s_cbranch_execnz .LBB20_327
.LBB20_305:
	s_or_b64 exec, exec, s[26:27]
	s_and_b64 s[30:31], s[14:15], s[18:19]
	s_and_saveexec_b64 s[26:27], s[30:31]
	s_cbranch_execnz .LBB20_331
.LBB20_306:
	s_or_b64 exec, exec, s[26:27]
	s_and_b64 s[26:27], s[16:17], s[18:19]
	s_and_saveexec_b64 s[18:19], s[26:27]
	s_cbranch_execnz .LBB20_335
	s_branch .LBB20_339
.LBB20_307:
	s_and_b64 vcc, exec, s[0:1]
	s_cbranch_vccnz .LBB20_309
; %bb.308:
	v_lshl_add_u64 v[44:45], v[64:65], 2, v[42:43]
	flat_load_dword v44, v[44:45]
	s_waitcnt vmcnt(0) lgkmcnt(0)
	v_mul_f32_e32 v44, s33, v44
	s_branch .LBB20_310
.LBB20_309:
	v_mov_b32_e32 v44, 0
.LBB20_310:
	v_pk_add_f32 v[46:47], v[32:33], v[36:37]
	s_nop 0
	v_min3_f32 v45, v46, v47, v99
	v_pk_add_f32 v[46:47], v[34:35], v[38:39]
	s_nop 0
	v_min_f32_e32 v46, v46, v47
	v_min3_f32 v46, v44, v46, v45
	v_lshl_add_u64 v[44:45], v[64:65], 2, v[40:41]
	flat_store_dword v[44:45], v46
	s_or_b64 exec, exec, s[26:27]
	s_and_b64 s[30:31], s[4:5], s[18:19]
	s_and_saveexec_b64 s[26:27], s[30:31]
	s_cbranch_execz .LBB20_301
.LBB20_311:
	s_and_b64 vcc, exec, s[0:1]
	s_cbranch_vccnz .LBB20_313
; %bb.312:
	v_lshl_add_u64 v[44:45], v[66:67], 2, v[42:43]
	flat_load_dword v44, v[44:45]
	s_waitcnt vmcnt(0) lgkmcnt(0)
	v_mul_f32_e32 v44, s33, v44
	s_branch .LBB20_314
.LBB20_313:
	v_mov_b32_e32 v44, 0
.LBB20_314:
	v_pk_add_f32 v[46:47], v[28:29], v[36:37]
	s_nop 0
	v_min3_f32 v45, v46, v47, v98
	v_pk_add_f32 v[46:47], v[30:31], v[38:39]
	s_nop 0
	v_min_f32_e32 v46, v46, v47
	v_min3_f32 v46, v44, v46, v45
	v_lshl_add_u64 v[44:45], v[66:67], 2, v[40:41]
	flat_store_dword v[44:45], v46
	s_or_b64 exec, exec, s[26:27]
	s_and_b64 s[30:31], s[6:7], s[18:19]
	s_and_saveexec_b64 s[26:27], s[30:31]
	s_cbranch_execz .LBB20_302
.LBB20_315:
	s_and_b64 vcc, exec, s[0:1]
	s_cbranch_vccnz .LBB20_317
; %bb.316:
	v_lshl_add_u64 v[44:45], v[68:69], 2, v[42:43]
	flat_load_dword v44, v[44:45]
	s_waitcnt vmcnt(0) lgkmcnt(0)
	v_mul_f32_e32 v44, s33, v44
	s_branch .LBB20_318
.LBB20_317:
	v_mov_b32_e32 v44, 0
.LBB20_318:
	v_pk_add_f32 v[46:47], v[24:25], v[36:37]
	s_nop 0
	v_min3_f32 v45, v46, v47, v97
	v_pk_add_f32 v[46:47], v[26:27], v[38:39]
	s_nop 0
	v_min_f32_e32 v46, v46, v47
	v_min3_f32 v46, v44, v46, v45
	v_lshl_add_u64 v[44:45], v[68:69], 2, v[40:41]
	flat_store_dword v[44:45], v46
	s_or_b64 exec, exec, s[26:27]
	s_and_b64 s[30:31], s[8:9], s[18:19]
	s_and_saveexec_b64 s[26:27], s[30:31]
	s_cbranch_execz .LBB20_303
.LBB20_319:
	s_and_b64 vcc, exec, s[0:1]
	s_cbranch_vccnz .LBB20_321
; %bb.320:
	v_lshl_add_u64 v[44:45], v[70:71], 2, v[42:43]
	flat_load_dword v44, v[44:45]
	s_waitcnt vmcnt(0) lgkmcnt(0)
	v_mul_f32_e32 v44, s33, v44
	s_branch .LBB20_322
.LBB20_321:
	v_mov_b32_e32 v44, 0
.LBB20_322:
	v_pk_add_f32 v[46:47], v[20:21], v[36:37]
	s_nop 0
	v_min3_f32 v45, v46, v47, v96
	v_pk_add_f32 v[46:47], v[22:23], v[38:39]
	s_nop 0
	v_min_f32_e32 v46, v46, v47
	v_min3_f32 v46, v44, v46, v45
	v_lshl_add_u64 v[44:45], v[70:71], 2, v[40:41]
	flat_store_dword v[44:45], v46
	s_or_b64 exec, exec, s[26:27]
	s_and_b64 s[30:31], s[10:11], s[18:19]
	s_and_saveexec_b64 s[26:27], s[30:31]
	s_cbranch_execz .LBB20_304
.LBB20_323:
	s_and_b64 vcc, exec, s[0:1]
	s_cbranch_vccnz .LBB20_325
; %bb.324:
	v_lshl_add_u64 v[44:45], v[72:73], 2, v[42:43]
	flat_load_dword v44, v[44:45]
	s_waitcnt vmcnt(0) lgkmcnt(0)
	v_mul_f32_e32 v44, s33, v44
	s_branch .LBB20_326
.LBB20_325:
	v_mov_b32_e32 v44, 0
.LBB20_326:
	v_pk_add_f32 v[46:47], v[16:17], v[36:37]
	s_nop 0
	v_min3_f32 v45, v46, v47, v95
	v_pk_add_f32 v[46:47], v[18:19], v[38:39]
	s_nop 0
	v_min_f32_e32 v46, v46, v47
	v_min3_f32 v46, v44, v46, v45
	v_lshl_add_u64 v[44:45], v[72:73], 2, v[40:41]
	flat_store_dword v[44:45], v46
	s_or_b64 exec, exec, s[26:27]
	s_and_b64 s[30:31], s[12:13], s[18:19]
	s_and_saveexec_b64 s[26:27], s[30:31]
	s_cbranch_execz .LBB20_305
.LBB20_327:
	s_and_b64 vcc, exec, s[0:1]
	s_cbranch_vccnz .LBB20_329
; %bb.328:
	v_lshl_add_u64 v[44:45], v[74:75], 2, v[42:43]
	flat_load_dword v44, v[44:45]
	s_waitcnt vmcnt(0) lgkmcnt(0)
	v_mul_f32_e32 v44, s33, v44
	s_branch .LBB20_330
.LBB20_329:
	v_mov_b32_e32 v44, 0
.LBB20_330:
	v_pk_add_f32 v[46:47], v[12:13], v[36:37]
	s_nop 0
	v_min3_f32 v45, v46, v47, v94
	v_pk_add_f32 v[46:47], v[14:15], v[38:39]
	s_nop 0
	v_min_f32_e32 v46, v46, v47
	v_min3_f32 v46, v44, v46, v45
	v_lshl_add_u64 v[44:45], v[74:75], 2, v[40:41]
	flat_store_dword v[44:45], v46
	s_or_b64 exec, exec, s[26:27]
	s_and_b64 s[30:31], s[14:15], s[18:19]
	s_and_saveexec_b64 s[26:27], s[30:31]
	s_cbranch_execz .LBB20_306
.LBB20_331:
	s_and_b64 vcc, exec, s[0:1]
	s_cbranch_vccnz .LBB20_333
; %bb.332:
	v_lshl_add_u64 v[44:45], v[76:77], 2, v[42:43]
	flat_load_dword v44, v[44:45]
	s_waitcnt vmcnt(0) lgkmcnt(0)
	v_mul_f32_e32 v44, s33, v44
	s_branch .LBB20_334
.LBB20_333:
	v_mov_b32_e32 v44, 0
.LBB20_334:
	v_pk_add_f32 v[46:47], v[8:9], v[36:37]
	s_nop 0
	v_min3_f32 v45, v46, v47, v93
	v_pk_add_f32 v[46:47], v[10:11], v[38:39]
	s_nop 0
	v_min_f32_e32 v46, v46, v47
	v_min3_f32 v46, v44, v46, v45
	v_lshl_add_u64 v[44:45], v[76:77], 2, v[40:41]
	flat_store_dword v[44:45], v46
	s_or_b64 exec, exec, s[26:27]
	s_and_b64 s[26:27], s[16:17], s[18:19]
	s_and_saveexec_b64 s[18:19], s[26:27]
	s_cbranch_execz .LBB20_339
.LBB20_335:
	s_and_b64 vcc, exec, s[0:1]
	s_cbranch_vccnz .LBB20_337
; %bb.336:
	v_lshl_add_u64 v[42:43], v[78:79], 2, v[42:43]
	flat_load_dword v42, v[42:43]
	s_waitcnt vmcnt(0) lgkmcnt(0)
	v_mul_f32_e32 v42, s33, v42
	s_branch .LBB20_338
.LBB20_337:
	v_mov_b32_e32 v42, 0
.LBB20_338:
	v_pk_add_f32 v[36:37], v[0:1], v[36:37]
	s_nop 0
	v_min3_f32 v43, v36, v37, v92
	v_pk_add_f32 v[36:37], v[2:3], v[38:39]
	s_nop 0
	v_min_f32_e32 v36, v36, v37
	v_min3_f32 v38, v42, v36, v43
	v_lshl_add_u64 v[36:37], v[78:79], 2, v[40:41]
	flat_store_dword v[36:37], v38
.LBB20_339:
	s_or_b64 exec, exec, s[18:19]
	v_add_u32_e32 v40, 0xe0, v124
	v_cmp_gt_i32_e64 s[18:19], s21, v40
	v_mad_i64_i32 v[36:37], s[20:21], v40, s29, 0
	v_lshl_add_u64 v[38:39], v[36:37], 2, s[24:25]
	v_mad_i64_i32 v[36:37], s[20:21], v40, s28, 0
	v_lshl_add_u64 v[36:37], v[36:37], 2, s[22:23]
	s_and_b64 s[20:21], s[2:3], s[18:19]
	s_and_saveexec_b64 s[2:3], s[20:21]
	s_cbranch_execnz .LBB20_348
; %bb.340:
	s_or_b64 exec, exec, s[2:3]
	s_and_b64 s[4:5], s[4:5], s[18:19]
	s_and_saveexec_b64 s[2:3], s[4:5]
	s_cbranch_execnz .LBB20_352
.LBB20_341:
	s_or_b64 exec, exec, s[2:3]
	s_and_b64 s[4:5], s[6:7], s[18:19]
	s_and_saveexec_b64 s[2:3], s[4:5]
	s_cbranch_execnz .LBB20_356
.LBB20_342:
	s_or_b64 exec, exec, s[2:3]
	s_and_b64 s[4:5], s[8:9], s[18:19]
	s_and_saveexec_b64 s[2:3], s[4:5]
	s_cbranch_execnz .LBB20_360
.LBB20_343:
	s_or_b64 exec, exec, s[2:3]
	s_and_b64 s[4:5], s[10:11], s[18:19]
	s_and_saveexec_b64 s[2:3], s[4:5]
	s_cbranch_execnz .LBB20_364
.LBB20_344:
	s_or_b64 exec, exec, s[2:3]
	s_and_b64 s[4:5], s[12:13], s[18:19]
	s_and_saveexec_b64 s[2:3], s[4:5]
	s_cbranch_execnz .LBB20_368
.LBB20_345:
	s_or_b64 exec, exec, s[2:3]
	s_and_b64 s[4:5], s[14:15], s[18:19]
	s_and_saveexec_b64 s[2:3], s[4:5]
	s_cbranch_execnz .LBB20_372
.LBB20_346:
	s_or_b64 exec, exec, s[2:3]
	s_and_b64 s[2:3], s[16:17], s[18:19]
	s_and_saveexec_b64 s[4:5], s[2:3]
	s_cbranch_execnz .LBB20_376
.LBB20_347:
	s_endpgm
.LBB20_348:
	s_and_b64 vcc, exec, s[0:1]
	s_cbranch_vccnz .LBB20_350
; %bb.349:
	v_lshl_add_u64 v[40:41], v[64:65], 2, v[38:39]
	flat_load_dword v40, v[40:41]
	s_waitcnt vmcnt(0) lgkmcnt(0)
	v_mul_f32_e32 v40, s33, v40
	s_branch .LBB20_351
.LBB20_350:
	v_mov_b32_e32 v40, 0
.LBB20_351:
	v_pk_add_f32 v[32:33], v[32:33], v[4:5]
	s_nop 0
	v_min3_f32 v41, v32, v33, v91
	v_pk_add_f32 v[32:33], v[34:35], v[6:7]
	s_nop 0
	v_min_f32_e32 v32, v32, v33
	v_min3_f32 v34, v40, v32, v41
	v_lshl_add_u64 v[32:33], v[64:65], 2, v[36:37]
	flat_store_dword v[32:33], v34
	s_or_b64 exec, exec, s[2:3]
	s_and_b64 s[4:5], s[4:5], s[18:19]
	s_and_saveexec_b64 s[2:3], s[4:5]
	s_cbranch_execz .LBB20_341
.LBB20_352:
	s_and_b64 vcc, exec, s[0:1]
	s_cbranch_vccnz .LBB20_354
; %bb.353:
	v_lshl_add_u64 v[32:33], v[66:67], 2, v[38:39]
	flat_load_dword v32, v[32:33]
	s_waitcnt vmcnt(0) lgkmcnt(0)
	v_mul_f32_e32 v32, s33, v32
	s_branch .LBB20_355
.LBB20_354:
	v_mov_b32_e32 v32, 0
.LBB20_355:
	v_pk_add_f32 v[28:29], v[28:29], v[4:5]
	s_nop 0
	v_min3_f32 v33, v28, v29, v90
	v_pk_add_f32 v[28:29], v[30:31], v[6:7]
	s_nop 0
	v_min_f32_e32 v28, v28, v29
	v_min3_f32 v30, v32, v28, v33
	v_lshl_add_u64 v[28:29], v[66:67], 2, v[36:37]
	flat_store_dword v[28:29], v30
	s_or_b64 exec, exec, s[2:3]
	s_and_b64 s[4:5], s[6:7], s[18:19]
	s_and_saveexec_b64 s[2:3], s[4:5]
	s_cbranch_execz .LBB20_342
.LBB20_356:
	s_and_b64 vcc, exec, s[0:1]
	s_cbranch_vccnz .LBB20_358
; %bb.357:
	v_lshl_add_u64 v[28:29], v[68:69], 2, v[38:39]
	flat_load_dword v28, v[28:29]
	s_waitcnt vmcnt(0) lgkmcnt(0)
	v_mul_f32_e32 v28, s33, v28
	s_branch .LBB20_359
.LBB20_358:
	v_mov_b32_e32 v28, 0
.LBB20_359:
	v_pk_add_f32 v[24:25], v[24:25], v[4:5]
	s_nop 0
	v_min3_f32 v29, v24, v25, v89
	v_pk_add_f32 v[24:25], v[26:27], v[6:7]
	s_nop 0
	v_min_f32_e32 v24, v24, v25
	v_min3_f32 v26, v28, v24, v29
	v_lshl_add_u64 v[24:25], v[68:69], 2, v[36:37]
	flat_store_dword v[24:25], v26
	s_or_b64 exec, exec, s[2:3]
	s_and_b64 s[4:5], s[8:9], s[18:19]
	s_and_saveexec_b64 s[2:3], s[4:5]
	s_cbranch_execz .LBB20_343
.LBB20_360:
	s_and_b64 vcc, exec, s[0:1]
	s_cbranch_vccnz .LBB20_362
; %bb.361:
	v_lshl_add_u64 v[24:25], v[70:71], 2, v[38:39]
	flat_load_dword v24, v[24:25]
	s_waitcnt vmcnt(0) lgkmcnt(0)
	v_mul_f32_e32 v24, s33, v24
	s_branch .LBB20_363
.LBB20_362:
	v_mov_b32_e32 v24, 0
.LBB20_363:
	v_pk_add_f32 v[20:21], v[20:21], v[4:5]
	s_nop 0
	v_min3_f32 v25, v20, v21, v87
	v_pk_add_f32 v[20:21], v[22:23], v[6:7]
	s_nop 0
	v_min_f32_e32 v20, v20, v21
	v_min3_f32 v22, v24, v20, v25
	v_lshl_add_u64 v[20:21], v[70:71], 2, v[36:37]
	flat_store_dword v[20:21], v22
	s_or_b64 exec, exec, s[2:3]
	s_and_b64 s[4:5], s[10:11], s[18:19]
	s_and_saveexec_b64 s[2:3], s[4:5]
	s_cbranch_execz .LBB20_344
.LBB20_364:
	s_and_b64 vcc, exec, s[0:1]
	s_cbranch_vccnz .LBB20_366
; %bb.365:
	v_lshl_add_u64 v[20:21], v[72:73], 2, v[38:39]
	flat_load_dword v20, v[20:21]
	s_waitcnt vmcnt(0) lgkmcnt(0)
	v_mul_f32_e32 v20, s33, v20
	s_branch .LBB20_367
.LBB20_366:
	v_mov_b32_e32 v20, 0
.LBB20_367:
	v_pk_add_f32 v[16:17], v[16:17], v[4:5]
	s_nop 0
	v_min3_f32 v21, v16, v17, v86
	v_pk_add_f32 v[16:17], v[18:19], v[6:7]
	s_nop 0
	v_min_f32_e32 v16, v16, v17
	v_min3_f32 v18, v20, v16, v21
	v_lshl_add_u64 v[16:17], v[72:73], 2, v[36:37]
	flat_store_dword v[16:17], v18
	s_or_b64 exec, exec, s[2:3]
	s_and_b64 s[4:5], s[12:13], s[18:19]
	s_and_saveexec_b64 s[2:3], s[4:5]
	s_cbranch_execz .LBB20_345
.LBB20_368:
	s_and_b64 vcc, exec, s[0:1]
	s_cbranch_vccnz .LBB20_370
; %bb.369:
	v_lshl_add_u64 v[16:17], v[74:75], 2, v[38:39]
	flat_load_dword v16, v[16:17]
	s_waitcnt vmcnt(0) lgkmcnt(0)
	v_mul_f32_e32 v16, s33, v16
	s_branch .LBB20_371
.LBB20_370:
	v_mov_b32_e32 v16, 0
.LBB20_371:
	v_pk_add_f32 v[12:13], v[12:13], v[4:5]
	s_nop 0
	v_min3_f32 v17, v12, v13, v85
	v_pk_add_f32 v[12:13], v[14:15], v[6:7]
	s_nop 0
	v_min_f32_e32 v12, v12, v13
	v_min3_f32 v14, v16, v12, v17
	v_lshl_add_u64 v[12:13], v[74:75], 2, v[36:37]
	flat_store_dword v[12:13], v14
	s_or_b64 exec, exec, s[2:3]
	s_and_b64 s[4:5], s[14:15], s[18:19]
	s_and_saveexec_b64 s[2:3], s[4:5]
	s_cbranch_execz .LBB20_346
.LBB20_372:
	s_and_b64 vcc, exec, s[0:1]
	s_cbranch_vccnz .LBB20_374
; %bb.373:
	v_lshl_add_u64 v[12:13], v[76:77], 2, v[38:39]
	flat_load_dword v12, v[12:13]
	s_waitcnt vmcnt(0) lgkmcnt(0)
	v_mul_f32_e32 v12, s33, v12
	s_branch .LBB20_375
.LBB20_374:
	v_mov_b32_e32 v12, 0
.LBB20_375:
	v_pk_add_f32 v[8:9], v[8:9], v[4:5]
	s_nop 0
	v_min3_f32 v13, v8, v9, v84
	v_pk_add_f32 v[8:9], v[10:11], v[6:7]
	s_nop 0
	v_min_f32_e32 v8, v8, v9
	v_min3_f32 v10, v12, v8, v13
	v_lshl_add_u64 v[8:9], v[76:77], 2, v[36:37]
	flat_store_dword v[8:9], v10
	s_or_b64 exec, exec, s[2:3]
	s_and_b64 s[2:3], s[16:17], s[18:19]
	s_and_saveexec_b64 s[4:5], s[2:3]
	s_cbranch_execz .LBB20_347
.LBB20_376:
	s_and_b64 vcc, exec, s[0:1]
	s_cbranch_vccnz .LBB20_378
; %bb.377:
	v_lshl_add_u64 v[8:9], v[78:79], 2, v[38:39]
	flat_load_dword v8, v[8:9]
	s_waitcnt vmcnt(0) lgkmcnt(0)
	v_mul_f32_e32 v8, s33, v8
	s_branch .LBB20_379
.LBB20_378:
	v_mov_b32_e32 v8, 0
.LBB20_379:
	v_pk_add_f32 v[0:1], v[0:1], v[4:5]
	s_nop 0
	v_min3_f32 v4, v0, v1, v88
	v_pk_add_f32 v[0:1], v[2:3], v[6:7]
	s_nop 0
	v_min_f32_e32 v0, v0, v1
	v_min3_f32 v2, v8, v0, v4
	v_lshl_add_u64 v[0:1], v[78:79], 2, v[36:37]
	flat_store_dword v[0:1], v2
	s_endpgm
	.section	.rodata,"a",@progbits
	.p2align	6, 0x0
	.amdhsa_kernel _ZN12_GLOBAL__N_120geam_min_plus_kernelIf15HIP_vector_typeIfLj2EEfLi8ELi32ELi64ELi256ELi4ELi64ELi4ELi64ELi4ELc78ELc84ELb0ELb1ELb1EfKPKfKPfEEviiiT16_PT17_ilSA_ilS8_SA_ilPT18_ili26rocblas_geam_ex_operation_
		.amdhsa_group_segment_fixed_size 10240
		.amdhsa_private_segment_fixed_size 0
		.amdhsa_kernarg_size 128
		.amdhsa_user_sgpr_count 2
		.amdhsa_user_sgpr_dispatch_ptr 0
		.amdhsa_user_sgpr_queue_ptr 0
		.amdhsa_user_sgpr_kernarg_segment_ptr 1
		.amdhsa_user_sgpr_dispatch_id 0
		.amdhsa_user_sgpr_kernarg_preload_length 0
		.amdhsa_user_sgpr_kernarg_preload_offset 0
		.amdhsa_user_sgpr_private_segment_size 0
		.amdhsa_uses_dynamic_stack 0
		.amdhsa_enable_private_segment 0
		.amdhsa_system_sgpr_workgroup_id_x 1
		.amdhsa_system_sgpr_workgroup_id_y 0
		.amdhsa_system_sgpr_workgroup_id_z 1
		.amdhsa_system_sgpr_workgroup_info 0
		.amdhsa_system_vgpr_workitem_id 1
		.amdhsa_next_free_vgpr 161
		.amdhsa_next_free_sgpr 42
		.amdhsa_accum_offset 164
		.amdhsa_reserve_vcc 1
		.amdhsa_float_round_mode_32 0
		.amdhsa_float_round_mode_16_64 0
		.amdhsa_float_denorm_mode_32 3
		.amdhsa_float_denorm_mode_16_64 3
		.amdhsa_dx10_clamp 1
		.amdhsa_ieee_mode 1
		.amdhsa_fp16_overflow 0
		.amdhsa_tg_split 0
		.amdhsa_exception_fp_ieee_invalid_op 0
		.amdhsa_exception_fp_denorm_src 0
		.amdhsa_exception_fp_ieee_div_zero 0
		.amdhsa_exception_fp_ieee_overflow 0
		.amdhsa_exception_fp_ieee_underflow 0
		.amdhsa_exception_fp_ieee_inexact 0
		.amdhsa_exception_int_div_zero 0
	.end_amdhsa_kernel
	.section	.text._ZN12_GLOBAL__N_120geam_min_plus_kernelIf15HIP_vector_typeIfLj2EEfLi8ELi32ELi64ELi256ELi4ELi64ELi4ELi64ELi4ELc78ELc84ELb0ELb1ELb1EfKPKfKPfEEviiiT16_PT17_ilSA_ilS8_SA_ilPT18_ili26rocblas_geam_ex_operation_,"axG",@progbits,_ZN12_GLOBAL__N_120geam_min_plus_kernelIf15HIP_vector_typeIfLj2EEfLi8ELi32ELi64ELi256ELi4ELi64ELi4ELi64ELi4ELc78ELc84ELb0ELb1ELb1EfKPKfKPfEEviiiT16_PT17_ilSA_ilS8_SA_ilPT18_ili26rocblas_geam_ex_operation_,comdat
.Lfunc_end20:
	.size	_ZN12_GLOBAL__N_120geam_min_plus_kernelIf15HIP_vector_typeIfLj2EEfLi8ELi32ELi64ELi256ELi4ELi64ELi4ELi64ELi4ELc78ELc84ELb0ELb1ELb1EfKPKfKPfEEviiiT16_PT17_ilSA_ilS8_SA_ilPT18_ili26rocblas_geam_ex_operation_, .Lfunc_end20-_ZN12_GLOBAL__N_120geam_min_plus_kernelIf15HIP_vector_typeIfLj2EEfLi8ELi32ELi64ELi256ELi4ELi64ELi4ELi64ELi4ELc78ELc84ELb0ELb1ELb1EfKPKfKPfEEviiiT16_PT17_ilSA_ilS8_SA_ilPT18_ili26rocblas_geam_ex_operation_
                                        ; -- End function
	.set _ZN12_GLOBAL__N_120geam_min_plus_kernelIf15HIP_vector_typeIfLj2EEfLi8ELi32ELi64ELi256ELi4ELi64ELi4ELi64ELi4ELc78ELc84ELb0ELb1ELb1EfKPKfKPfEEviiiT16_PT17_ilSA_ilS8_SA_ilPT18_ili26rocblas_geam_ex_operation_.num_vgpr, 161
	.set _ZN12_GLOBAL__N_120geam_min_plus_kernelIf15HIP_vector_typeIfLj2EEfLi8ELi32ELi64ELi256ELi4ELi64ELi4ELi64ELi4ELc78ELc84ELb0ELb1ELb1EfKPKfKPfEEviiiT16_PT17_ilSA_ilS8_SA_ilPT18_ili26rocblas_geam_ex_operation_.num_agpr, 0
	.set _ZN12_GLOBAL__N_120geam_min_plus_kernelIf15HIP_vector_typeIfLj2EEfLi8ELi32ELi64ELi256ELi4ELi64ELi4ELi64ELi4ELc78ELc84ELb0ELb1ELb1EfKPKfKPfEEviiiT16_PT17_ilSA_ilS8_SA_ilPT18_ili26rocblas_geam_ex_operation_.numbered_sgpr, 42
	.set _ZN12_GLOBAL__N_120geam_min_plus_kernelIf15HIP_vector_typeIfLj2EEfLi8ELi32ELi64ELi256ELi4ELi64ELi4ELi64ELi4ELc78ELc84ELb0ELb1ELb1EfKPKfKPfEEviiiT16_PT17_ilSA_ilS8_SA_ilPT18_ili26rocblas_geam_ex_operation_.num_named_barrier, 0
	.set _ZN12_GLOBAL__N_120geam_min_plus_kernelIf15HIP_vector_typeIfLj2EEfLi8ELi32ELi64ELi256ELi4ELi64ELi4ELi64ELi4ELc78ELc84ELb0ELb1ELb1EfKPKfKPfEEviiiT16_PT17_ilSA_ilS8_SA_ilPT18_ili26rocblas_geam_ex_operation_.private_seg_size, 0
	.set _ZN12_GLOBAL__N_120geam_min_plus_kernelIf15HIP_vector_typeIfLj2EEfLi8ELi32ELi64ELi256ELi4ELi64ELi4ELi64ELi4ELc78ELc84ELb0ELb1ELb1EfKPKfKPfEEviiiT16_PT17_ilSA_ilS8_SA_ilPT18_ili26rocblas_geam_ex_operation_.uses_vcc, 1
	.set _ZN12_GLOBAL__N_120geam_min_plus_kernelIf15HIP_vector_typeIfLj2EEfLi8ELi32ELi64ELi256ELi4ELi64ELi4ELi64ELi4ELc78ELc84ELb0ELb1ELb1EfKPKfKPfEEviiiT16_PT17_ilSA_ilS8_SA_ilPT18_ili26rocblas_geam_ex_operation_.uses_flat_scratch, 0
	.set _ZN12_GLOBAL__N_120geam_min_plus_kernelIf15HIP_vector_typeIfLj2EEfLi8ELi32ELi64ELi256ELi4ELi64ELi4ELi64ELi4ELc78ELc84ELb0ELb1ELb1EfKPKfKPfEEviiiT16_PT17_ilSA_ilS8_SA_ilPT18_ili26rocblas_geam_ex_operation_.has_dyn_sized_stack, 0
	.set _ZN12_GLOBAL__N_120geam_min_plus_kernelIf15HIP_vector_typeIfLj2EEfLi8ELi32ELi64ELi256ELi4ELi64ELi4ELi64ELi4ELc78ELc84ELb0ELb1ELb1EfKPKfKPfEEviiiT16_PT17_ilSA_ilS8_SA_ilPT18_ili26rocblas_geam_ex_operation_.has_recursion, 0
	.set _ZN12_GLOBAL__N_120geam_min_plus_kernelIf15HIP_vector_typeIfLj2EEfLi8ELi32ELi64ELi256ELi4ELi64ELi4ELi64ELi4ELc78ELc84ELb0ELb1ELb1EfKPKfKPfEEviiiT16_PT17_ilSA_ilS8_SA_ilPT18_ili26rocblas_geam_ex_operation_.has_indirect_call, 0
	.section	.AMDGPU.csdata,"",@progbits
; Kernel info:
; codeLenInByte = 18684
; TotalNumSgprs: 48
; NumVgprs: 161
; NumAgprs: 0
; TotalNumVgprs: 161
; ScratchSize: 0
; MemoryBound: 0
; FloatMode: 240
; IeeeMode: 1
; LDSByteSize: 10240 bytes/workgroup (compile time only)
; SGPRBlocks: 5
; VGPRBlocks: 20
; NumSGPRsForWavesPerEU: 48
; NumVGPRsForWavesPerEU: 161
; AccumOffset: 164
; Occupancy: 3
; WaveLimiterHint : 1
; COMPUTE_PGM_RSRC2:SCRATCH_EN: 0
; COMPUTE_PGM_RSRC2:USER_SGPR: 2
; COMPUTE_PGM_RSRC2:TRAP_HANDLER: 0
; COMPUTE_PGM_RSRC2:TGID_X_EN: 1
; COMPUTE_PGM_RSRC2:TGID_Y_EN: 0
; COMPUTE_PGM_RSRC2:TGID_Z_EN: 1
; COMPUTE_PGM_RSRC2:TIDIG_COMP_CNT: 1
; COMPUTE_PGM_RSRC3_GFX90A:ACCUM_OFFSET: 40
; COMPUTE_PGM_RSRC3_GFX90A:TG_SPLIT: 0
	.section	.text._ZN12_GLOBAL__N_120geam_min_plus_kernelIf15HIP_vector_typeIfLj2EEfLi8ELi32ELi64ELi256ELi4ELi4ELi64ELi64ELi4ELc84ELc84ELb0ELb0ELb1EPKfKS4_KPfEEviiiT16_PT17_ilSA_ilS8_SA_ilPT18_ili26rocblas_geam_ex_operation_,"axG",@progbits,_ZN12_GLOBAL__N_120geam_min_plus_kernelIf15HIP_vector_typeIfLj2EEfLi8ELi32ELi64ELi256ELi4ELi4ELi64ELi64ELi4ELc84ELc84ELb0ELb0ELb1EPKfKS4_KPfEEviiiT16_PT17_ilSA_ilS8_SA_ilPT18_ili26rocblas_geam_ex_operation_,comdat
	.globl	_ZN12_GLOBAL__N_120geam_min_plus_kernelIf15HIP_vector_typeIfLj2EEfLi8ELi32ELi64ELi256ELi4ELi4ELi64ELi64ELi4ELc84ELc84ELb0ELb0ELb1EPKfKS4_KPfEEviiiT16_PT17_ilSA_ilS8_SA_ilPT18_ili26rocblas_geam_ex_operation_ ; -- Begin function _ZN12_GLOBAL__N_120geam_min_plus_kernelIf15HIP_vector_typeIfLj2EEfLi8ELi32ELi64ELi256ELi4ELi4ELi64ELi64ELi4ELc84ELc84ELb0ELb0ELb1EPKfKS4_KPfEEviiiT16_PT17_ilSA_ilS8_SA_ilPT18_ili26rocblas_geam_ex_operation_
	.p2align	8
	.type	_ZN12_GLOBAL__N_120geam_min_plus_kernelIf15HIP_vector_typeIfLj2EEfLi8ELi32ELi64ELi256ELi4ELi4ELi64ELi64ELi4ELc84ELc84ELb0ELb0ELb1EPKfKS4_KPfEEviiiT16_PT17_ilSA_ilS8_SA_ilPT18_ili26rocblas_geam_ex_operation_,@function
_ZN12_GLOBAL__N_120geam_min_plus_kernelIf15HIP_vector_typeIfLj2EEfLi8ELi32ELi64ELi256ELi4ELi4ELi64ELi64ELi4ELc84ELc84ELb0ELb0ELb1EPKfKS4_KPfEEviiiT16_PT17_ilSA_ilS8_SA_ilPT18_ili26rocblas_geam_ex_operation_: ; @_ZN12_GLOBAL__N_120geam_min_plus_kernelIf15HIP_vector_typeIfLj2EEfLi8ELi32ELi64ELi256ELi4ELi4ELi64ELi64ELi4ELc84ELc84ELb0ELb0ELb1EPKfKS4_KPfEEviiiT16_PT17_ilSA_ilS8_SA_ilPT18_ili26rocblas_geam_ex_operation_
; %bb.0:
	s_load_dwordx4 s[4:7], s[0:1], 0x10
	s_load_dwordx4 s[12:15], s[0:1], 0x28
	s_load_dwordx4 s[8:11], s[0:1], 0x40
	s_mov_b32 s20, s3
	s_mov_b32 s21, 0
	s_lshl_b64 s[16:17], s[20:21], 2
	s_waitcnt lgkmcnt(0)
	s_add_u32 s4, s4, s16
	s_addc_u32 s5, s5, s17
	s_load_dword s27, s[4:5], 0x0
	s_load_dwordx2 s[22:23], s[0:1], 0x50
	s_add_u32 s10, s10, s16
	s_addc_u32 s11, s11, s17
	s_mov_b64 s[16:17], 0
	s_waitcnt lgkmcnt(0)
	v_cmp_eq_f32_e64 s[4:5], s27, 0
	s_and_b64 s[4:5], exec, s[4:5]
	v_cmp_neq_f32_e64 s[24:25], s27, 0
	s_mov_b64 s[18:19], 0
	s_mov_b64 vcc, s[4:5]
	s_cbranch_vccnz .LBB21_2
; %bb.1:
	s_lshl_b64 s[18:19], s[20:21], 3
	s_add_u32 s6, s6, s18
	s_addc_u32 s7, s7, s19
	s_load_dwordx2 s[6:7], s[6:7], 0x0
	s_lshl_b64 s[12:13], s[12:13], 2
	s_waitcnt lgkmcnt(0)
	s_add_u32 s18, s6, s12
	s_addc_u32 s19, s7, s13
.LBB21_2:
	s_load_dword s26, s[10:11], 0x0
	v_cndmask_b32_e64 v1, 0, 1, s[24:25]
	v_cmp_ne_u32_e64 s[6:7], 1, v1
	s_andn2_b64 vcc, exec, s[24:25]
	s_cbranch_vccnz .LBB21_4
; %bb.3:
	s_lshl_b64 s[10:11], s[20:21], 3
	s_add_u32 s10, s14, s10
	s_addc_u32 s11, s15, s11
	s_load_dwordx2 s[10:11], s[10:11], 0x0
	s_lshl_b64 s[8:9], s[8:9], 2
	s_waitcnt lgkmcnt(0)
	s_add_u32 s16, s10, s8
	s_addc_u32 s17, s11, s9
.LBB21_4:
	s_load_dwordx4 s[12:15], s[0:1], 0x60
	s_waitcnt lgkmcnt(0)
	v_cmp_eq_f32_e64 s[8:9], s26, 0
	s_and_b64 s[8:9], exec, s[8:9]
	s_mov_b64 vcc, s[8:9]
	s_cbranch_vccnz .LBB21_6
; %bb.5:
	s_lshl_b64 s[10:11], s[20:21], 3
	s_add_u32 s10, s22, s10
	s_addc_u32 s11, s23, s11
	s_load_dwordx2 s[10:11], s[10:11], 0x0
	s_lshl_b64 s[12:13], s[12:13], 2
	s_waitcnt lgkmcnt(0)
	s_add_u32 s10, s10, s12
	s_addc_u32 s11, s11, s13
	s_branch .LBB21_7
.LBB21_6:
	s_mov_b64 s[10:11], 0
.LBB21_7:
	s_load_dword s22, s[0:1], 0x0
	s_load_dword s3, s[0:1], 0x20
	s_lshl_b64 s[12:13], s[20:21], 3
	s_add_u32 s12, s14, s12
	s_addc_u32 s13, s15, s13
	s_waitcnt lgkmcnt(0)
	s_add_i32 s14, s22, -1
	s_ashr_i32 s15, s14, 31
	s_lshr_b32 s15, s15, 26
	s_add_i32 s14, s14, s15
	s_ashr_i32 s14, s14, 6
	s_add_i32 s20, s14, 1
	v_cvt_f32_u32_e32 v1, s20
	v_and_b32_e32 v78, 0x3ff, v0
	v_bfe_u32 v79, v0, 10, 10
	v_and_b32_e32 v4, 3, v0
	v_rcp_iflag_f32_e32 v1, v1
	s_not_b32 s14, s14
	v_mov_b32_e32 v3, 0
	v_lshlrev_b32_e32 v8, 2, v4
	v_mul_f32_e32 v0, 0x4f7ffffe, v1
	v_cvt_u32_f32_e32 v1, v0
	v_lshl_add_u32 v0, v79, 3, v78
	v_lshrrev_b32_e32 v44, 2, v0
	v_mov_b32_e32 v5, 0
	v_readfirstlane_b32 s15, v1
	s_mul_i32 s14, s14, s15
	s_mul_hi_u32 s14, s15, s14
	s_add_i32 s15, s15, s14
	s_mul_hi_u32 s14, s2, s15
	s_mul_i32 s15, s14, s20
	s_sub_i32 s15, s2, s15
	s_add_i32 s21, s14, 1
	s_sub_i32 s22, s15, s20
	s_cmp_ge_u32 s15, s20
	s_cselect_b32 s14, s21, s14
	s_cselect_b32 s15, s22, s15
	s_add_i32 s21, s14, 1
	s_cmp_ge_u32 s15, s20
	s_cselect_b32 s15, s21, s14
	s_mul_i32 s24, s15, s20
	s_sub_i32 s14, s2, s24
	s_lshl_b32 s22, s14, 6
	s_and_b64 vcc, exec, s[6:7]
	v_add_u32_e32 v2, s22, v44
	s_cbranch_vccnz .LBB21_9
; %bb.8:
	v_mad_i64_i32 v[4:5], s[20:21], v2, s3, 0
	v_lshl_add_u64 v[4:5], v[4:5], 2, s[18:19]
	v_mov_b32_e32 v9, 0
	v_lshl_add_u64 v[4:5], v[4:5], 0, v[8:9]
	flat_load_dword v1, v[4:5]
	s_waitcnt vmcnt(0) lgkmcnt(0)
	v_mul_f32_e32 v5, s27, v1
.LBB21_9:
	s_load_dword s14, s[0:1], 0x38
	v_and_b32_e32 v46, 63, v0
	v_lshrrev_b32_e32 v45, 6, v0
	s_lshl_b32 s23, s15, 8
	v_or_b32_e32 v10, s23, v46
	s_waitcnt lgkmcnt(0)
	v_mad_i64_i32 v[0:1], s[20:21], s14, v45, 0
	v_lshl_add_u64 v[0:1], v[0:1], 2, s[16:17]
	s_and_b64 vcc, exec, s[6:7]
	v_ashrrev_i32_e32 v11, 31, v10
	v_mov_b32_e32 v4, 0
	s_cbranch_vccnz .LBB21_11
; %bb.10:
	v_lshl_add_u64 v[6:7], v[10:11], 2, v[0:1]
	flat_load_dword v3, v[6:7]
	flat_load_dword v9, v[6:7] offset:256
	s_waitcnt vmcnt(0) lgkmcnt(0)
	v_mul_f32_e32 v4, s27, v3
	v_mul_f32_e32 v3, s27, v9
.LBB21_11:
	s_ashr_i32 s15, s14, 31
	v_mov_b32_e32 v7, 0
	s_mov_b64 vcc, s[4:5]
	s_cbranch_vccz .LBB21_13
; %bb.12:
	s_mov_b32 s20, 0
	v_mov_b32_e32 v6, s20
	s_cbranch_execz .LBB21_14
	s_branch .LBB21_15
.LBB21_13:
                                        ; implicit-def: $vgpr6
.LBB21_14:
	v_lshl_add_u64 v[0:1], v[10:11], 2, v[0:1]
	flat_load_dword v6, v[0:1] offset:512
	flat_load_dword v7, v[0:1] offset:768
	s_waitcnt vmcnt(0) lgkmcnt(0)
	v_mul_f32_e32 v6, s27, v6
	v_mul_f32_e32 v7, s27, v7
.LBB21_15:
	v_mov_b32_e32 v1, 0
	s_and_b64 vcc, exec, s[6:7]
	v_mov_b32_e32 v49, 0
	s_cbranch_vccnz .LBB21_17
; %bb.16:
	v_mad_i64_i32 v[12:13], s[20:21], v2, s3, 0
	v_lshl_add_u64 v[12:13], v[12:13], 2, s[18:19]
	v_mov_b32_e32 v9, 0
	v_lshl_add_u64 v[12:13], v[12:13], 0, v[8:9]
	flat_load_dword v0, v[12:13] offset:16
	s_waitcnt vmcnt(0) lgkmcnt(0)
	v_mul_f32_e32 v49, s27, v0
.LBB21_17:
	v_add_u32_e32 v0, 4, v45
	v_mad_i64_i32 v[12:13], s[20:21], s14, v0, 0
	v_lshl_add_u64 v[12:13], v[12:13], 2, s[16:17]
	s_and_b64 vcc, exec, s[6:7]
	v_mov_b32_e32 v0, 0
	s_cbranch_vccnz .LBB21_19
; %bb.18:
	v_lshl_add_u64 v[0:1], v[10:11], 2, v[12:13]
	flat_load_dword v2, v[0:1]
	flat_load_dword v9, v[0:1] offset:256
	s_waitcnt vmcnt(0) lgkmcnt(0)
	v_mul_f32_e32 v0, s27, v2
	v_mul_f32_e32 v1, s27, v9
.LBB21_19:
	v_mov_b32_e32 v48, 0
	s_mov_b64 vcc, s[4:5]
	s_cbranch_vccz .LBB21_21
; %bb.20:
	s_mov_b32 s20, 0
	v_mov_b32_e32 v2, s20
	s_cbranch_execz .LBB21_22
	s_branch .LBB21_23
.LBB21_21:
                                        ; implicit-def: $vgpr2
.LBB21_22:
	v_lshl_add_u64 v[10:11], v[10:11], 2, v[12:13]
	flat_load_dword v2, v[10:11] offset:512
	flat_load_dword v9, v[10:11] offset:768
	s_waitcnt vmcnt(0) lgkmcnt(0)
	v_mul_f32_e32 v2, s27, v2
	v_mul_f32_e32 v48, s27, v9
.LBB21_23:
	v_lshl_or_b32 v47, v44, 4, v8
	ds_write_b32 v47, v5 offset:8192
	v_lshlrev_b32_e32 v5, 4, v46
	v_lshl_add_u32 v82, v45, 2, v5
	v_lshlrev_b32_e32 v81, 4, v78
	s_load_dwordx2 s[12:13], s[12:13], 0x0
	ds_write2st64_b32 v82, v4, v3 offset1:4
	ds_write2st64_b32 v82, v6, v7 offset0:8 offset1:12
	s_waitcnt lgkmcnt(0)
	s_barrier
	v_lshlrev_b32_e32 v80, 4, v79
	ds_read_b128 v[32:35], v81 offset:8192
	ds_read_b128 v[28:31], v81 offset:8320
	;; [unrolled: 1-line block ×8, first 2 shown]
	ds_read_b128 v[50:53], v80
	ds_read_b128 v[54:57], v80 offset:512
	ds_read_b128 v[58:61], v80 offset:1024
	;; [unrolled: 1-line block ×4, first 2 shown]
	s_waitcnt lgkmcnt(4)
	v_pk_add_f32 v[62:63], v[32:33], v[50:51]
	s_mov_b32 s20, 0x7f7fffff
	v_min3_f32 v3, v62, v63, s20
	v_pk_add_f32 v[62:63], v[28:29], v[50:51]
	s_nop 0
	v_min3_f32 v66, v62, v63, s20
	v_pk_add_f32 v[62:63], v[24:25], v[50:51]
	s_nop 0
	;; [unrolled: 3-line block ×5, first 2 shown]
	v_min3_f32 v70, v62, v63, s20
	v_pk_add_f32 v[62:63], v[8:9], v[50:51]
	v_pk_add_f32 v[50:51], v[4:5], v[50:51]
	v_min3_f32 v71, v62, v63, s20
	v_min3_f32 v72, v50, v51, s20
	s_waitcnt lgkmcnt(3)
	v_pk_add_f32 v[50:51], v[32:33], v[54:55]
	ds_read_b128 v[62:65], v80 offset:2560
	v_min3_f32 v73, v50, v51, s20
	v_pk_add_f32 v[50:51], v[28:29], v[54:55]
	s_nop 0
	v_min3_f32 v74, v50, v51, s20
	v_pk_add_f32 v[50:51], v[24:25], v[54:55]
	s_nop 0
	;; [unrolled: 3-line block ×7, first 2 shown]
	v_min3_f32 v54, v50, v51, s20
	s_waitcnt lgkmcnt(3)
	v_pk_add_f32 v[50:51], v[32:33], v[58:59]
	s_nop 0
	v_min3_f32 v55, v50, v51, s20
	v_pk_add_f32 v[50:51], v[28:29], v[58:59]
	s_nop 0
	v_min3_f32 v91, v50, v51, s20
	;; [unrolled: 3-line block ×8, first 2 shown]
	s_waitcnt lgkmcnt(2)
	v_pk_add_f32 v[50:51], v[32:33], v[40:41]
	s_nop 0
	v_min3_f32 v59, v50, v51, s20
	v_pk_add_f32 v[50:51], v[28:29], v[40:41]
	s_nop 0
	v_min3_f32 v97, v50, v51, s20
	;; [unrolled: 3-line block ×6, first 2 shown]
	v_pk_add_f32 v[50:51], v[8:9], v[40:41]
	v_pk_add_f32 v[40:41], v[4:5], v[40:41]
	v_min3_f32 v50, v50, v51, s20
	v_min3_f32 v51, v40, v41, s20
	s_waitcnt lgkmcnt(1)
	v_pk_add_f32 v[40:41], v[32:33], v[36:37]
	s_nop 0
	v_min3_f32 v102, v40, v41, s20
	v_pk_add_f32 v[40:41], v[28:29], v[36:37]
	s_nop 0
	v_min3_f32 v103, v40, v41, s20
	;; [unrolled: 3-line block ×6, first 2 shown]
	v_pk_add_f32 v[40:41], v[8:9], v[36:37]
	v_pk_add_f32 v[36:37], v[4:5], v[36:37]
	v_min3_f32 v108, v40, v41, s20
	v_min3_f32 v109, v36, v37, s20
	v_pk_add_f32 v[36:37], v[34:35], v[52:53]
	s_waitcnt lgkmcnt(0)
	v_pk_add_f32 v[40:41], v[24:25], v[62:63]
	v_min3_f32 v88, v36, v37, v3
	v_pk_add_f32 v[36:37], v[30:31], v[52:53]
	s_nop 0
	v_min3_f32 v149, v36, v37, v66
	v_pk_add_f32 v[36:37], v[26:27], v[52:53]
	s_nop 0
	;; [unrolled: 3-line block ×16, first 2 shown]
	v_min3_f32 v66, v36, v37, s20
	v_pk_add_f32 v[36:37], v[6:7], v[56:57]
	v_min3_f32 v56, v40, v41, s20
	v_min3_f32 v140, v36, v37, v54
	v_pk_add_f32 v[36:37], v[34:35], v[60:61]
	v_pk_add_f32 v[40:41], v[20:21], v[62:63]
	v_min3_f32 v139, v36, v37, v55
	v_pk_add_f32 v[36:37], v[30:31], v[60:61]
	v_min3_f32 v57, v40, v41, s20
	v_min3_f32 v138, v36, v37, v91
	v_pk_add_f32 v[36:37], v[26:27], v[60:61]
	v_pk_add_f32 v[40:41], v[8:9], v[62:63]
	v_min3_f32 v137, v36, v37, v92
	v_pk_add_f32 v[36:37], v[22:23], v[60:61]
	s_nop 0
	v_min3_f32 v136, v36, v37, v93
	v_pk_add_f32 v[36:37], v[18:19], v[60:61]
	s_nop 0
	;; [unrolled: 3-line block ×6, first 2 shown]
	v_min3_f32 v55, v36, v37, s20
	v_pk_add_f32 v[36:37], v[6:7], v[60:61]
	v_min3_f32 v60, v40, v41, s20
	v_min3_f32 v132, v36, v37, v58
	v_pk_add_f32 v[36:37], v[34:35], v[42:43]
	v_pk_add_f32 v[40:41], v[4:5], v[62:63]
	v_min3_f32 v131, v36, v37, v59
	v_pk_add_f32 v[36:37], v[30:31], v[42:43]
	v_min3_f32 v61, v40, v41, s20
	v_min3_f32 v130, v36, v37, v97
	v_pk_add_f32 v[36:37], v[26:27], v[42:43]
	s_nop 0
	v_min3_f32 v129, v36, v37, v98
	v_pk_add_f32 v[36:37], v[22:23], v[42:43]
	s_nop 0
	;; [unrolled: 3-line block ×5, first 2 shown]
	v_min3_f32 v125, v36, v37, v50
	v_pk_add_f32 v[36:37], v[6:7], v[42:43]
	ds_read_b128 v[40:43], v80 offset:3072
	v_min3_f32 v124, v36, v37, v51
	v_pk_add_f32 v[36:37], v[34:35], v[38:39]
	ds_read_b128 v[50:53], v80 offset:3584
	v_min3_f32 v123, v36, v37, v102
	v_pk_add_f32 v[36:37], v[30:31], v[38:39]
	ds_write_b32 v47, v49 offset:9216
	ds_write2st64_b32 v82, v0, v1 offset0:16 offset1:20
	ds_write2st64_b32 v82, v2, v48 offset0:24 offset1:28
	v_min3_f32 v122, v36, v37, v103
	v_pk_add_f32 v[36:37], v[26:27], v[38:39]
	s_waitcnt lgkmcnt(0)
	v_min3_f32 v121, v36, v37, v104
	v_pk_add_f32 v[36:37], v[22:23], v[38:39]
	s_barrier
	v_min3_f32 v120, v36, v37, v105
	v_pk_add_f32 v[36:37], v[18:19], v[38:39]
	s_nop 0
	v_min3_f32 v119, v36, v37, v106
	v_pk_add_f32 v[36:37], v[14:15], v[38:39]
	s_nop 0
	;; [unrolled: 3-line block ×3, first 2 shown]
	v_min3_f32 v115, v36, v37, v108
	v_pk_add_f32 v[36:37], v[32:33], v[40:41]
	v_pk_add_f32 v[32:33], v[32:33], v[50:51]
	v_min3_f32 v58, v36, v37, s20
	v_pk_add_f32 v[36:37], v[28:29], v[40:41]
	v_pk_add_f32 v[28:29], v[28:29], v[50:51]
	;; [unrolled: 3-line block ×3, first 2 shown]
	v_min3_f32 v118, v36, v37, v109
	v_pk_add_f32 v[36:37], v[34:35], v[64:65]
	v_min3_f32 v62, v38, v39, s20
	v_min3_f32 v117, v36, v37, v3
	v_pk_add_f32 v[36:37], v[30:31], v[64:65]
	v_pk_add_f32 v[38:39], v[20:21], v[40:41]
	v_min3_f32 v114, v36, v37, v66
	v_pk_add_f32 v[36:37], v[26:27], v[64:65]
	v_min3_f32 v63, v38, v39, s20
	v_min3_f32 v113, v36, v37, v56
	v_pk_add_f32 v[36:37], v[22:23], v[64:65]
	v_pk_add_f32 v[38:39], v[8:9], v[40:41]
	v_min3_f32 v112, v36, v37, v57
	v_pk_add_f32 v[36:37], v[18:19], v[64:65]
	v_pk_add_f32 v[24:25], v[24:25], v[50:51]
	;; [unrolled: 3-line block ×3, first 2 shown]
	v_min3_f32 v110, v36, v37, v55
	v_pk_add_f32 v[36:37], v[10:11], v[64:65]
	v_min3_f32 v55, v38, v39, s20
	v_min3_f32 v109, v36, v37, v60
	v_pk_add_f32 v[36:37], v[16:17], v[40:41]
	v_pk_add_f32 v[38:39], v[4:5], v[40:41]
	v_min3_f32 v3, v36, v37, s20
	v_pk_add_f32 v[36:37], v[12:13], v[40:41]
	v_pk_add_f32 v[4:5], v[4:5], v[50:51]
	v_min3_f32 v54, v36, v37, s20
	v_pk_add_f32 v[36:37], v[6:7], v[64:65]
	v_min3_f32 v24, v24, v25, s20
	v_min3_f32 v108, v36, v37, v61
	v_pk_add_f32 v[36:37], v[34:35], v[42:43]
	v_pk_add_f32 v[20:21], v[20:21], v[50:51]
	v_min3_f32 v107, v36, v37, v58
	v_pk_add_f32 v[36:37], v[30:31], v[42:43]
	v_pk_add_f32 v[16:17], v[16:17], v[50:51]
	;; [unrolled: 3-line block ×3, first 2 shown]
	v_min3_f32 v105, v36, v37, v62
	v_pk_add_f32 v[36:37], v[22:23], v[42:43]
	v_min3_f32 v8, v8, v9, s20
	v_min3_f32 v104, v36, v37, v63
	v_pk_add_f32 v[36:37], v[18:19], v[42:43]
	v_min3_f32 v9, v4, v5, s20
	v_min3_f32 v103, v36, v37, v3
	;; [unrolled: 1-line block ×4, first 2 shown]
	v_pk_add_f32 v[28:29], v[34:35], v[52:53]
	v_pk_add_f32 v[4:5], v[26:27], v[52:53]
	v_min3_f32 v38, v38, v39, s20
	v_min3_f32 v20, v20, v21, s20
	v_min3_f32 v100, v28, v29, v3
	v_min3_f32 v3, v16, v17, s20
	v_min3_f32 v16, v12, v13, s20
	s_load_dword s20, s[0:1], 0x8
	v_min3_f32 v97, v4, v5, v24
	v_pk_add_f32 v[4:5], v[22:23], v[52:53]
	v_pk_add_f32 v[36:37], v[14:15], v[42:43]
	v_min3_f32 v96, v4, v5, v20
	v_pk_add_f32 v[4:5], v[18:19], v[52:53]
	v_min3_f32 v102, v36, v37, v54
	v_min3_f32 v95, v4, v5, v3
	v_pk_add_f32 v[4:5], v[14:15], v[52:53]
	v_pk_add_f32 v[36:37], v[10:11], v[42:43]
	v_min3_f32 v94, v4, v5, v16
	v_pk_add_f32 v[4:5], v[10:11], v[52:53]
	v_min3_f32 v101, v36, v37, v55
	v_pk_add_f32 v[36:37], v[6:7], v[42:43]
	v_pk_add_f32 v[12:13], v[30:31], v[52:53]
	v_min3_f32 v93, v4, v5, v8
	v_pk_add_f32 v[4:5], v[6:7], v[52:53]
	v_min3_f32 v99, v36, v37, v38
	v_min3_f32 v98, v12, v13, v32
	;; [unrolled: 1-line block ×3, first 2 shown]
	s_waitcnt lgkmcnt(0)
	s_cmp_lt_i32 s20, 9
	s_cbranch_scc1 .LBB21_46
; %bb.24:
	v_mov_b32_e32 v0, 0x2400
	v_lshl_add_u32 v151, v78, 4, v0
	v_mov_b32_e32 v0, 0x1000
	v_lshl_add_u32 v152, v79, 4, v0
	v_lshl_add_u32 v0, s2, 6, v44
	s_lshl_b32 s2, s24, 6
	v_subrev_u32_e32 v0, s2, v0
	v_and_b32_e32 v2, 3, v78
	v_mad_i64_i32 v[0:1], s[2:3], s3, v0, 0
	v_lshlrev_b32_e32 v2, 2, v2
	v_mov_b32_e32 v3, 0
	v_lshl_add_u64 v[0:1], v[0:1], 2, v[2:3]
	v_lshl_add_u64 v[0:1], s[18:19], 0, v[0:1]
	;; [unrolled: 1-line block ×3, first 2 shown]
	v_add_u32_e32 v0, 8, v45
	v_mad_i64_i32 v[0:1], s[2:3], v0, s14, 0
	v_lshlrev_b64 v[70:71], 2, v[0:1]
	v_add_u32_e32 v0, s23, v46
	v_ashrrev_i32_e32 v1, 31, v0
	v_lshl_add_u64 v[72:73], v[0:1], 2, s[16:17]
	v_add_u32_e32 v0, 12, v45
	s_lshl_b64 s[2:3], s[14:15], 5
	v_mad_i64_i32 v[0:1], s[14:15], v0, s14, 0
	v_add_u32_e32 v89, 0x2000, v47
	v_add_u32_e32 v90, 0x2000, v81
	;; [unrolled: 1-line block ×3, first 2 shown]
	v_or_b32_e32 v150, 0x1000, v82
	s_add_i32 s20, s20, -8
	v_lshlrev_b64 v[74:75], 2, v[0:1]
	s_mov_b32 s16, 0
	s_mov_b32 s17, 0
	s_branch .LBB21_26
.LBB21_25:                              ;   in Loop: Header=BB21_26 Depth=1
	v_pk_add_f32 v[76:77], v[32:33], v[64:65]
	s_add_i32 s17, s17, 8
	v_min3_f32 v88, v76, v77, v88
	v_pk_add_f32 v[76:77], v[28:29], v[64:65]
	v_lshl_add_u64 v[68:69], v[68:69], 0, 32
	v_min3_f32 v149, v76, v77, v149
	v_pk_add_f32 v[76:77], v[24:25], v[64:65]
	s_cmp_ge_i32 s17, s20
	v_min3_f32 v87, v76, v77, v87
	v_pk_add_f32 v[76:77], v[20:21], v[64:65]
	v_lshl_add_u64 v[72:73], v[72:73], 0, s[2:3]
	v_min3_f32 v86, v76, v77, v86
	v_pk_add_f32 v[76:77], v[16:17], v[64:65]
	s_nop 0
	v_min3_f32 v83, v76, v77, v83
	v_pk_add_f32 v[76:77], v[12:13], v[64:65]
	s_nop 0
	v_min3_f32 v85, v76, v77, v85
	v_pk_add_f32 v[76:77], v[8:9], v[64:65]
	v_pk_add_f32 v[64:65], v[4:5], v[64:65]
	v_min3_f32 v76, v76, v77, v84
	v_min3_f32 v77, v64, v65, v148
	v_pk_add_f32 v[64:65], v[32:33], v[60:61]
	s_nop 0
	v_min3_f32 v84, v64, v65, v147
	v_pk_add_f32 v[64:65], v[28:29], v[60:61]
	s_nop 0
	v_min3_f32 v146, v64, v65, v146
	v_pk_add_f32 v[64:65], v[24:25], v[60:61]
	s_nop 0
	v_min3_f32 v145, v64, v65, v145
	v_pk_add_f32 v[64:65], v[20:21], v[60:61]
	s_nop 0
	v_min3_f32 v144, v64, v65, v144
	v_pk_add_f32 v[64:65], v[16:17], v[60:61]
	s_nop 0
	v_min3_f32 v143, v64, v65, v143
	v_pk_add_f32 v[64:65], v[12:13], v[60:61]
	s_nop 0
	v_min3_f32 v142, v64, v65, v142
	v_pk_add_f32 v[64:65], v[8:9], v[60:61]
	v_pk_add_f32 v[60:61], v[4:5], v[60:61]
	v_min3_f32 v64, v64, v65, v141
	v_min3_f32 v65, v60, v61, v140
	v_pk_add_f32 v[60:61], v[32:33], v[56:57]
	s_nop 0
	v_min3_f32 v139, v60, v61, v139
	v_pk_add_f32 v[60:61], v[28:29], v[56:57]
	s_nop 0
	v_min3_f32 v138, v60, v61, v138
	v_pk_add_f32 v[60:61], v[24:25], v[56:57]
	s_nop 0
	v_min3_f32 v137, v60, v61, v137
	v_pk_add_f32 v[60:61], v[20:21], v[56:57]
	s_nop 0
	;; [unrolled: 22-line block ×5, first 2 shown]
	v_min3_f32 v112, v48, v49, v112
	v_pk_add_f32 v[48:49], v[16:17], v[44:45]
	s_nop 0
	v_min3_f32 v111, v48, v49, v111
	v_pk_add_f32 v[48:49], v[12:13], v[44:45]
	s_nop 0
	v_min3_f32 v110, v48, v49, v110
	v_pk_add_f32 v[48:49], v[8:9], v[44:45]
	v_pk_add_f32 v[44:45], v[4:5], v[44:45]
	v_min3_f32 v48, v48, v49, v109
	v_min3_f32 v49, v44, v45, v108
	v_pk_add_f32 v[44:45], v[32:33], v[40:41]
	v_pk_add_f32 v[32:33], v[32:33], v[36:37]
	v_min3_f32 v107, v44, v45, v107
	v_pk_add_f32 v[44:45], v[28:29], v[40:41]
	v_pk_add_f32 v[28:29], v[28:29], v[36:37]
	;; [unrolled: 3-line block ×7, first 2 shown]
	v_pk_add_f32 v[8:9], v[8:9], v[36:37]
	v_pk_add_f32 v[4:5], v[4:5], v[36:37]
	v_min3_f32 v8, v8, v9, v93
	v_min3_f32 v9, v4, v5, v92
	v_pk_add_f32 v[4:5], v[34:35], v[66:67]
	v_min3_f32 v12, v12, v13, v94
	v_min3_f32 v88, v4, v5, v88
	;; [unrolled: 3-line block ×9, first 2 shown]
	v_pk_add_f32 v[4:5], v[34:35], v[62:63]
	s_nop 0
	v_min3_f32 v84, v4, v5, v84
	v_pk_add_f32 v[4:5], v[30:31], v[62:63]
	s_nop 0
	v_min3_f32 v95, v4, v5, v146
	;; [unrolled: 3-line block ×56, first 2 shown]
	ds_read_b128 v[4:7], v90
	ds_read_b128 v[8:11], v90 offset:128
	ds_read_b128 v[12:15], v90 offset:256
	;; [unrolled: 1-line block ×7, first 2 shown]
	ds_read_b128 v[40:43], v80
	ds_read_b128 v[44:47], v80 offset:512
	ds_read_b128 v[48:51], v80 offset:1024
	;; [unrolled: 1-line block ×7, first 2 shown]
	s_waitcnt lgkmcnt(7)
	v_pk_add_f32 v[76:77], v[4:5], v[40:41]
	ds_write_b32 v91, v153
	ds_write2st64_b32 v150, v0, v1 offset1:4
	ds_write2st64_b32 v150, v2, v3 offset0:8 offset1:12
	v_min3_f32 v88, v76, v77, v88
	v_pk_add_f32 v[76:77], v[8:9], v[40:41]
	s_waitcnt lgkmcnt(0)
	v_min3_f32 v92, v76, v77, v92
	v_pk_add_f32 v[76:77], v[12:13], v[40:41]
	s_barrier
	v_min3_f32 v87, v76, v77, v87
	v_pk_add_f32 v[76:77], v[16:17], v[40:41]
	s_nop 0
	v_min3_f32 v86, v76, v77, v86
	v_pk_add_f32 v[76:77], v[20:21], v[40:41]
	s_nop 0
	;; [unrolled: 3-line block ×3, first 2 shown]
	v_min3_f32 v85, v76, v77, v85
	v_pk_add_f32 v[76:77], v[28:29], v[40:41]
	v_pk_add_f32 v[40:41], v[32:33], v[40:41]
	v_min3_f32 v76, v76, v77, v93
	v_min3_f32 v77, v40, v41, v94
	v_pk_add_f32 v[40:41], v[4:5], v[44:45]
	s_nop 0
	v_min3_f32 v93, v40, v41, v84
	v_pk_add_f32 v[40:41], v[8:9], v[44:45]
	s_nop 0
	;; [unrolled: 3-line block ×40, first 2 shown]
	v_min3_f32 v60, v40, v41, v139
	v_pk_add_f32 v[40:41], v[4:5], v[64:65]
	v_pk_add_f32 v[4:5], v[4:5], v[36:37]
	v_min3_f32 v61, v40, v41, v107
	v_pk_add_f32 v[40:41], v[8:9], v[64:65]
	s_nop 0
	v_min3_f32 v106, v40, v41, v106
	v_pk_add_f32 v[40:41], v[12:13], v[64:65]
	s_nop 0
	;; [unrolled: 3-line block ×7, first 2 shown]
	v_min3_f32 v40, v40, v41, v141
	v_min3_f32 v41, v4, v5, v142
	v_pk_add_f32 v[4:5], v[8:9], v[36:37]
	s_nop 0
	v_min3_f32 v8, v4, v5, v143
	v_pk_add_f32 v[4:5], v[12:13], v[36:37]
	s_nop 0
	;; [unrolled: 3-line block ×71, first 2 shown]
	v_min3_f32 v92, v4, v5, v20
	s_cbranch_scc1 .LBB21_46
.LBB21_26:                              ; =>This Inner Loop Header: Depth=1
	s_and_b64 vcc, exec, s[6:7]
	v_mov_b32_e32 v76, 0
	s_cbranch_vccnz .LBB21_28
; %bb.27:                               ;   in Loop: Header=BB21_26 Depth=1
	flat_load_dword v0, v[68:69]
	s_waitcnt vmcnt(0) lgkmcnt(0)
	v_mul_f32_e32 v76, s27, v0
.LBB21_28:                              ;   in Loop: Header=BB21_26 Depth=1
	s_mov_b64 s[14:15], -1
	s_mov_b64 vcc, s[4:5]
                                        ; implicit-def: $vgpr0_vgpr1_vgpr2_vgpr3
	s_cbranch_vccnz .LBB21_39
; %bb.29:                               ;   in Loop: Header=BB21_26 Depth=1
	v_mov_b32_e32 v1, 0
	s_andn2_b64 vcc, exec, s[14:15]
	v_lshl_add_u64 v[4:5], v[72:73], 0, v[70:71]
	s_cbranch_vccz .LBB21_40
.LBB21_30:                              ;   in Loop: Header=BB21_26 Depth=1
	s_mov_b64 s[14:15], -1
	s_mov_b64 vcc, s[4:5]
                                        ; implicit-def: $vgpr2
	s_cbranch_vccnz .LBB21_41
.LBB21_31:                              ;   in Loop: Header=BB21_26 Depth=1
	v_mov_b32_e32 v153, 0
	s_andn2_b64 vcc, exec, s[14:15]
	v_mov_b32_e32 v3, 0
	s_cbranch_vccnz .LBB21_33
.LBB21_32:                              ;   in Loop: Header=BB21_26 Depth=1
	flat_load_dword v2, v[4:5] offset:512
	flat_load_dword v3, v[4:5] offset:768
	s_waitcnt vmcnt(0) lgkmcnt(0)
	v_mul_f32_e32 v2, s27, v2
	v_mul_f32_e32 v3, s27, v3
.LBB21_33:                              ;   in Loop: Header=BB21_26 Depth=1
	ds_read_b128 v[32:35], v151
	ds_read_b128 v[28:31], v151 offset:128
	ds_read_b128 v[24:27], v151 offset:256
	;; [unrolled: 1-line block ×7, first 2 shown]
	ds_read_b128 v[64:67], v152
	ds_read_b128 v[60:63], v152 offset:512
	ds_read_b128 v[56:59], v152 offset:1024
	;; [unrolled: 1-line block ×7, first 2 shown]
	s_and_b64 vcc, exec, s[6:7]
	ds_write_b32 v89, v76
	ds_write2st64_b32 v82, v0, v1 offset1:4
	ds_write2st64_b32 v82, v2, v3 offset0:8 offset1:12
	s_waitcnt lgkmcnt(0)
	s_barrier
	s_cbranch_vccnz .LBB21_35
; %bb.34:                               ;   in Loop: Header=BB21_26 Depth=1
	flat_load_dword v0, v[68:69] offset:16
	s_waitcnt vmcnt(0) lgkmcnt(0)
	v_mul_f32_e32 v153, s27, v0
.LBB21_35:                              ;   in Loop: Header=BB21_26 Depth=1
	s_mov_b64 s[14:15], -1
	s_mov_b64 vcc, s[4:5]
                                        ; implicit-def: $vgpr0_vgpr1_vgpr2_vgpr3
	s_cbranch_vccnz .LBB21_42
; %bb.36:                               ;   in Loop: Header=BB21_26 Depth=1
	v_mov_b32_e32 v1, 0
	s_andn2_b64 vcc, exec, s[14:15]
	v_lshl_add_u64 v[76:77], v[72:73], 0, v[74:75]
	s_cbranch_vccz .LBB21_43
.LBB21_37:                              ;   in Loop: Header=BB21_26 Depth=1
	s_mov_b64 s[14:15], -1
	s_mov_b64 vcc, s[4:5]
                                        ; implicit-def: $vgpr2
	s_cbranch_vccnz .LBB21_44
.LBB21_38:                              ;   in Loop: Header=BB21_26 Depth=1
	s_andn2_b64 vcc, exec, s[14:15]
	v_mov_b32_e32 v3, 0
	s_cbranch_vccnz .LBB21_25
	s_branch .LBB21_45
.LBB21_39:                              ;   in Loop: Header=BB21_26 Depth=1
	v_mov_b32_e32 v0, s16
	v_mov_b32_e32 v1, 0
	v_lshl_add_u64 v[4:5], v[72:73], 0, v[70:71]
	s_cbranch_execnz .LBB21_30
.LBB21_40:                              ;   in Loop: Header=BB21_26 Depth=1
	flat_load_dword v0, v[4:5]
	flat_load_dword v1, v[4:5] offset:256
	s_waitcnt vmcnt(0) lgkmcnt(0)
	v_mul_f32_e32 v0, s27, v0
	v_mul_f32_e32 v1, s27, v1
	s_mov_b64 s[14:15], -1
	s_mov_b64 vcc, s[4:5]
                                        ; implicit-def: $vgpr2
	s_cbranch_vccz .LBB21_31
.LBB21_41:                              ;   in Loop: Header=BB21_26 Depth=1
	v_mov_b32_e32 v2, s16
	v_mov_b32_e32 v153, 0
	;; [unrolled: 1-line block ×3, first 2 shown]
	s_cbranch_execz .LBB21_32
	s_branch .LBB21_33
.LBB21_42:                              ;   in Loop: Header=BB21_26 Depth=1
	v_mov_b32_e32 v0, s16
	v_mov_b32_e32 v1, 0
	v_lshl_add_u64 v[76:77], v[72:73], 0, v[74:75]
	s_cbranch_execnz .LBB21_37
.LBB21_43:                              ;   in Loop: Header=BB21_26 Depth=1
	flat_load_dword v0, v[76:77]
	flat_load_dword v1, v[76:77] offset:256
	s_waitcnt vmcnt(0) lgkmcnt(0)
	v_mul_f32_e32 v0, s27, v0
	v_mul_f32_e32 v1, s27, v1
	s_mov_b64 s[14:15], -1
	s_mov_b64 vcc, s[4:5]
                                        ; implicit-def: $vgpr2
	s_cbranch_vccz .LBB21_38
.LBB21_44:                              ;   in Loop: Header=BB21_26 Depth=1
	v_mov_b32_e32 v2, s16
	v_mov_b32_e32 v3, 0
	s_cbranch_execnz .LBB21_25
.LBB21_45:                              ;   in Loop: Header=BB21_26 Depth=1
	flat_load_dword v2, v[76:77] offset:512
	flat_load_dword v3, v[76:77] offset:768
	s_waitcnt vmcnt(0) lgkmcnt(0)
	v_mul_f32_e32 v2, s27, v2
	v_mul_f32_e32 v3, s27, v3
	s_branch .LBB21_25
.LBB21_46:
	s_load_dwordx2 s[2:3], s[0:1], 0x78
	s_load_dword s4, s[0:1], 0x58
	s_load_dword s5, s[0:1], 0x70
	ds_read_b128 v[32:35], v81 offset:9216
	ds_read_b128 v[24:27], v81 offset:9344
	;; [unrolled: 1-line block ×16, first 2 shown]
	s_waitcnt lgkmcnt(0)
	s_lshl_b64 s[0:1], s[2:3], 2
	s_add_u32 s0, s12, s0
	v_pk_add_f32 v[64:65], v[32:33], v[60:61]
	v_add_u32_e32 v150, s23, v79
	v_min3_f32 v66, v64, v65, v88
	v_pk_add_f32 v[64:65], v[34:35], v[62:63]
	s_addc_u32 s1, s13, s1
	v_min3_f32 v68, v64, v65, v66
	v_add_u32_e32 v70, s22, v78
	v_mad_i64_i32 v[66:67], s[2:3], v150, s5, 0
	v_add_u32_e32 v64, 8, v70
	v_lshl_add_u64 v[88:89], v[66:67], 2, s[0:1]
	v_mad_i64_i32 v[66:67], s[2:3], v150, s4, 0
	v_ashrrev_i32_e32 v71, 31, v70
	v_ashrrev_i32_e32 v65, 31, v64
	s_mov_b64 s[2:3], -1
	v_max_f32_e32 v68, v68, v68
	s_mov_b64 vcc, s[8:9]
	s_cbranch_vccz .LBB21_48
; %bb.47:
	v_min_f32_e32 v69, 0, v68
	v_lshl_add_u64 v[72:73], v[70:71], 2, v[88:89]
	flat_store_dword v[72:73], v69
	s_mov_b64 s[2:3], 0
.LBB21_48:
	v_lshl_add_u64 v[90:91], v[66:67], 2, s[10:11]
	v_mov_b32_e32 v69, 0
	s_andn2_b64 vcc, exec, s[2:3]
	v_lshlrev_b64 v[76:77], 2, v[70:71]
	s_cbranch_vccnz .LBB21_50
; %bb.49:
	v_lshl_add_u64 v[66:67], v[90:91], 0, v[76:77]
	flat_load_dword v69, v[66:67]
	v_lshl_add_u64 v[66:67], v[88:89], 0, v[76:77]
	s_waitcnt vmcnt(0) lgkmcnt(0)
	v_mul_f32_e32 v69, s26, v69
	v_min_f32_e32 v68, v69, v68
	flat_store_dword v[66:67], v68
	v_lshl_add_u64 v[66:67], v[64:65], 2, v[90:91]
	flat_load_dword v66, v[66:67]
	s_waitcnt vmcnt(0) lgkmcnt(0)
	v_mul_f32_e32 v69, s26, v66
.LBB21_50:
	v_pk_add_f32 v[66:67], v[24:25], v[60:61]
	v_add_u32_e32 v74, 16, v70
	v_min3_f32 v68, v66, v67, v149
	v_pk_add_f32 v[66:67], v[28:29], v[60:61]
	v_ashrrev_i32_e32 v75, 31, v74
	v_min3_f32 v72, v66, v67, v87
	v_pk_add_f32 v[66:67], v[26:27], v[62:63]
	s_mov_b64 s[2:3], -1
	v_min_f32_e32 v73, v66, v67
	v_pk_add_f32 v[66:67], v[30:31], v[62:63]
	v_min3_f32 v73, v69, v73, v68
	v_min3_f32 v72, v66, v67, v72
	v_add_u32_e32 v66, 24, v70
	v_lshl_add_u64 v[68:69], v[64:65], 2, v[88:89]
	v_ashrrev_i32_e32 v67, 31, v66
	flat_store_dword v[68:69], v73
	v_max_f32_e32 v68, v72, v72
	s_mov_b64 vcc, s[8:9]
	s_cbranch_vccz .LBB21_52
; %bb.51:
	v_min_f32_e32 v69, 0, v68
	v_lshl_add_u64 v[72:73], v[74:75], 2, v[88:89]
	flat_store_dword v[72:73], v69
	s_mov_b64 s[2:3], 0
.LBB21_52:
	v_mov_b32_e32 v72, 0
	s_andn2_b64 vcc, exec, s[2:3]
	v_lshlrev_b64 v[80:81], 2, v[74:75]
	s_cbranch_vccnz .LBB21_54
; %bb.53:
	v_lshl_add_u64 v[72:73], v[90:91], 0, v[80:81]
	flat_load_dword v69, v[72:73]
	v_lshl_add_u64 v[72:73], v[88:89], 0, v[80:81]
	s_waitcnt vmcnt(0) lgkmcnt(0)
	v_mul_f32_e32 v69, s26, v69
	v_min_f32_e32 v68, v69, v68
	flat_store_dword v[72:73], v68
	v_lshl_add_u64 v[68:69], v[66:67], 2, v[90:91]
	flat_load_dword v68, v[68:69]
	s_waitcnt vmcnt(0) lgkmcnt(0)
	v_mul_f32_e32 v72, s26, v68
.LBB21_54:
	v_pk_add_f32 v[68:69], v[20:21], v[60:61]
	s_mov_b64 s[2:3], -1
	v_min3_f32 v73, v68, v69, v86
	v_pk_add_f32 v[68:69], v[16:17], v[60:61]
	s_mov_b64 vcc, s[8:9]
	v_min3_f32 v78, v68, v69, v83
	v_pk_add_f32 v[68:69], v[22:23], v[62:63]
	s_nop 0
	v_min_f32_e32 v82, v68, v69
	v_pk_add_f32 v[68:69], v[18:19], v[62:63]
	v_min3_f32 v82, v72, v82, v73
	v_min3_f32 v83, v68, v69, v78
	v_add_u32_e32 v78, 32, v70
	v_add_u32_e32 v68, 40, v70
	v_lshl_add_u64 v[72:73], v[66:67], 2, v[88:89]
	v_ashrrev_i32_e32 v79, 31, v78
	v_ashrrev_i32_e32 v69, 31, v68
	flat_store_dword v[72:73], v82
	v_max_f32_e32 v72, v83, v83
	s_cbranch_vccz .LBB21_56
; %bb.55:
	v_min_f32_e32 v73, 0, v72
	v_lshl_add_u64 v[82:83], v[78:79], 2, v[88:89]
	flat_store_dword v[82:83], v73
	s_mov_b64 s[2:3], 0
.LBB21_56:
	v_mov_b32_e32 v86, 0
	s_andn2_b64 vcc, exec, s[2:3]
	v_lshlrev_b64 v[82:83], 2, v[78:79]
	s_cbranch_vccnz .LBB21_58
; %bb.57:
	v_lshl_add_u64 v[86:87], v[90:91], 0, v[82:83]
	flat_load_dword v73, v[86:87]
	v_lshl_add_u64 v[86:87], v[88:89], 0, v[82:83]
	s_waitcnt vmcnt(0) lgkmcnt(0)
	v_mul_f32_e32 v73, s26, v73
	v_min_f32_e32 v72, v73, v72
	flat_store_dword v[86:87], v72
	v_lshl_add_u64 v[72:73], v[68:69], 2, v[90:91]
	flat_load_dword v72, v[72:73]
	s_waitcnt vmcnt(0) lgkmcnt(0)
	v_mul_f32_e32 v86, s26, v72
.LBB21_58:
	v_pk_add_f32 v[72:73], v[12:13], v[60:61]
	s_mov_b64 s[2:3], -1
	v_min3_f32 v87, v72, v73, v85
	v_pk_add_f32 v[72:73], v[8:9], v[60:61]
	s_mov_b64 vcc, s[8:9]
	v_min3_f32 v84, v72, v73, v84
	v_pk_add_f32 v[72:73], v[14:15], v[62:63]
	s_nop 0
	v_min_f32_e32 v149, v72, v73
	v_pk_add_f32 v[72:73], v[10:11], v[62:63]
	v_min3_f32 v149, v86, v149, v87
	v_min3_f32 v151, v72, v73, v84
	v_add_u32_e32 v84, 48, v70
	v_add_u32_e32 v72, 56, v70
	v_lshl_add_u64 v[86:87], v[68:69], 2, v[88:89]
	v_ashrrev_i32_e32 v85, 31, v84
	v_ashrrev_i32_e32 v73, 31, v72
	flat_store_dword v[86:87], v149
	v_max_f32_e32 v149, v151, v151
	s_cbranch_vccz .LBB21_60
; %bb.59:
	v_min_f32_e32 v151, 0, v149
	v_lshl_add_u64 v[86:87], v[84:85], 2, v[88:89]
	flat_store_dword v[86:87], v151
	s_mov_b64 s[2:3], 0
.LBB21_60:
	v_mov_b32_e32 v151, 0
	s_andn2_b64 vcc, exec, s[2:3]
	v_lshlrev_b64 v[86:87], 2, v[84:85]
	s_cbranch_vccnz .LBB21_62
; %bb.61:
	v_lshl_add_u64 v[152:153], v[90:91], 0, v[86:87]
	flat_load_dword v151, v[152:153]
	v_lshl_add_u64 v[152:153], v[88:89], 0, v[86:87]
	v_lshl_add_u64 v[90:91], v[72:73], 2, v[90:91]
	s_waitcnt vmcnt(0) lgkmcnt(0)
	v_mul_f32_e32 v151, s26, v151
	v_min_f32_e32 v149, v151, v149
	flat_store_dword v[152:153], v149
	flat_load_dword v90, v[90:91]
	s_waitcnt vmcnt(0) lgkmcnt(0)
	v_mul_f32_e32 v151, s26, v90
.LBB21_62:
	v_pk_add_f32 v[60:61], v[0:1], v[60:61]
	s_mov_b64 vcc, s[8:9]
	v_min3_f32 v90, v60, v61, v148
	v_pk_add_f32 v[60:61], v[32:33], v[56:57]
	s_nop 0
	v_min3_f32 v91, v60, v61, v147
	v_pk_add_f32 v[60:61], v[2:3], v[62:63]
	s_nop 0
	v_min_f32_e32 v62, v60, v61
	v_pk_add_f32 v[60:61], v[34:35], v[58:59]
	v_min3_f32 v62, v151, v62, v90
	v_min3_f32 v91, v60, v61, v91
	v_lshl_add_u64 v[60:61], v[72:73], 2, v[88:89]
	flat_store_dword v[60:61], v62
	v_add_u32_e32 v62, 32, v150
	v_mad_i64_i32 v[60:61], s[2:3], v62, s5, 0
	v_mad_i64_i32 v[62:63], s[2:3], v62, s4, 0
	v_lshl_add_u64 v[60:61], v[60:61], 2, s[0:1]
	s_mov_b64 s[2:3], -1
	v_max_f32_e32 v88, v91, v91
	s_cbranch_vccz .LBB21_64
; %bb.63:
	v_min_f32_e32 v89, 0, v88
	v_lshl_add_u64 v[90:91], v[70:71], 2, v[60:61]
	flat_store_dword v[90:91], v89
	s_mov_b64 s[2:3], 0
.LBB21_64:
	v_lshl_add_u64 v[62:63], v[62:63], 2, s[10:11]
	s_andn2_b64 vcc, exec, s[2:3]
	v_mov_b32_e32 v89, 0
	s_cbranch_vccnz .LBB21_66
; %bb.65:
	v_lshl_add_u64 v[90:91], v[62:63], 0, v[76:77]
	flat_load_dword v89, v[90:91]
	v_lshl_add_u64 v[90:91], v[60:61], 0, v[76:77]
	s_waitcnt vmcnt(0) lgkmcnt(0)
	v_mul_f32_e32 v89, s26, v89
	v_min_f32_e32 v88, v89, v88
	flat_store_dword v[90:91], v88
	v_lshl_add_u64 v[88:89], v[64:65], 2, v[62:63]
	flat_load_dword v88, v[88:89]
	s_waitcnt vmcnt(0) lgkmcnt(0)
	v_mul_f32_e32 v89, s26, v88
.LBB21_66:
	v_pk_add_f32 v[90:91], v[24:25], v[56:57]
	s_mov_b64 s[2:3], -1
	v_min3_f32 v88, v90, v91, v146
	v_pk_add_f32 v[90:91], v[28:29], v[56:57]
	s_mov_b64 vcc, s[8:9]
	v_min3_f32 v145, v90, v91, v145
	v_pk_add_f32 v[90:91], v[26:27], v[58:59]
	s_nop 0
	v_min_f32_e32 v146, v90, v91
	v_pk_add_f32 v[90:91], v[30:31], v[58:59]
	s_nop 0
	v_min3_f32 v90, v90, v91, v145
	v_min3_f32 v91, v89, v146, v88
	v_lshl_add_u64 v[88:89], v[64:65], 2, v[60:61]
	flat_store_dword v[88:89], v91
	v_max_f32_e32 v88, v90, v90
	s_cbranch_vccz .LBB21_68
; %bb.67:
	v_min_f32_e32 v89, 0, v88
	v_lshl_add_u64 v[90:91], v[74:75], 2, v[60:61]
	flat_store_dword v[90:91], v89
	s_mov_b64 s[2:3], 0
.LBB21_68:
	s_andn2_b64 vcc, exec, s[2:3]
	v_mov_b32_e32 v89, 0
	s_cbranch_vccnz .LBB21_70
; %bb.69:
	v_lshl_add_u64 v[90:91], v[62:63], 0, v[80:81]
	flat_load_dword v89, v[90:91]
	v_lshl_add_u64 v[90:91], v[60:61], 0, v[80:81]
	s_waitcnt vmcnt(0) lgkmcnt(0)
	v_mul_f32_e32 v89, s26, v89
	v_min_f32_e32 v88, v89, v88
	flat_store_dword v[90:91], v88
	v_lshl_add_u64 v[88:89], v[66:67], 2, v[62:63]
	flat_load_dword v88, v[88:89]
	s_waitcnt vmcnt(0) lgkmcnt(0)
	v_mul_f32_e32 v89, s26, v88
.LBB21_70:
	v_pk_add_f32 v[90:91], v[20:21], v[56:57]
	s_mov_b64 s[2:3], -1
	v_min3_f32 v88, v90, v91, v144
	v_pk_add_f32 v[90:91], v[16:17], v[56:57]
	s_mov_b64 vcc, s[8:9]
	v_min3_f32 v143, v90, v91, v143
	v_pk_add_f32 v[90:91], v[22:23], v[58:59]
	s_nop 0
	v_min_f32_e32 v144, v90, v91
	v_pk_add_f32 v[90:91], v[18:19], v[58:59]
	s_nop 0
	v_min3_f32 v90, v90, v91, v143
	v_min3_f32 v91, v89, v144, v88
	v_lshl_add_u64 v[88:89], v[66:67], 2, v[60:61]
	flat_store_dword v[88:89], v91
	v_max_f32_e32 v88, v90, v90
	s_cbranch_vccz .LBB21_72
; %bb.71:
	v_min_f32_e32 v89, 0, v88
	v_lshl_add_u64 v[90:91], v[78:79], 2, v[60:61]
	flat_store_dword v[90:91], v89
	s_mov_b64 s[2:3], 0
.LBB21_72:
	;; [unrolled: 39-line block ×3, first 2 shown]
	s_andn2_b64 vcc, exec, s[2:3]
	v_mov_b32_e32 v89, 0
	s_cbranch_vccnz .LBB21_78
; %bb.77:
	v_lshl_add_u64 v[90:91], v[62:63], 0, v[86:87]
	flat_load_dword v89, v[90:91]
	v_lshl_add_u64 v[90:91], v[60:61], 0, v[86:87]
	v_lshl_add_u64 v[62:63], v[72:73], 2, v[62:63]
	s_waitcnt vmcnt(0) lgkmcnt(0)
	v_mul_f32_e32 v89, s26, v89
	v_min_f32_e32 v88, v89, v88
	flat_store_dword v[90:91], v88
	flat_load_dword v62, v[62:63]
	s_waitcnt vmcnt(0) lgkmcnt(0)
	v_mul_f32_e32 v89, s26, v62
.LBB21_78:
	v_pk_add_f32 v[56:57], v[0:1], v[56:57]
	s_mov_b64 vcc, s[8:9]
	v_min3_f32 v62, v56, v57, v140
	v_pk_add_f32 v[56:57], v[32:33], v[52:53]
	s_nop 0
	v_min3_f32 v63, v56, v57, v139
	v_pk_add_f32 v[56:57], v[2:3], v[58:59]
	s_nop 0
	v_min_f32_e32 v58, v56, v57
	v_pk_add_f32 v[56:57], v[34:35], v[54:55]
	v_min3_f32 v58, v89, v58, v62
	v_min3_f32 v63, v56, v57, v63
	v_lshl_add_u64 v[56:57], v[72:73], 2, v[60:61]
	flat_store_dword v[56:57], v58
	v_add_u32_e32 v58, 64, v150
	v_mad_i64_i32 v[56:57], s[2:3], v58, s5, 0
	v_mad_i64_i32 v[58:59], s[2:3], v58, s4, 0
	v_lshl_add_u64 v[56:57], v[56:57], 2, s[0:1]
	s_mov_b64 s[2:3], -1
	v_max_f32_e32 v60, v63, v63
	s_cbranch_vccz .LBB21_80
; %bb.79:
	v_min_f32_e32 v61, 0, v60
	v_lshl_add_u64 v[62:63], v[70:71], 2, v[56:57]
	flat_store_dword v[62:63], v61
	s_mov_b64 s[2:3], 0
.LBB21_80:
	v_lshl_add_u64 v[58:59], v[58:59], 2, s[10:11]
	s_andn2_b64 vcc, exec, s[2:3]
	v_mov_b32_e32 v61, 0
	s_cbranch_vccnz .LBB21_82
; %bb.81:
	v_lshl_add_u64 v[62:63], v[58:59], 0, v[76:77]
	flat_load_dword v61, v[62:63]
	v_lshl_add_u64 v[62:63], v[56:57], 0, v[76:77]
	s_waitcnt vmcnt(0) lgkmcnt(0)
	v_mul_f32_e32 v61, s26, v61
	v_min_f32_e32 v60, v61, v60
	flat_store_dword v[62:63], v60
	v_lshl_add_u64 v[60:61], v[64:65], 2, v[58:59]
	flat_load_dword v60, v[60:61]
	s_waitcnt vmcnt(0) lgkmcnt(0)
	v_mul_f32_e32 v61, s26, v60
.LBB21_82:
	v_pk_add_f32 v[62:63], v[24:25], v[52:53]
	s_mov_b64 s[2:3], -1
	v_min3_f32 v60, v62, v63, v138
	v_pk_add_f32 v[62:63], v[28:29], v[52:53]
	s_mov_b64 vcc, s[8:9]
	v_min3_f32 v88, v62, v63, v137
	v_pk_add_f32 v[62:63], v[26:27], v[54:55]
	s_nop 0
	v_min_f32_e32 v89, v62, v63
	v_pk_add_f32 v[62:63], v[30:31], v[54:55]
	s_nop 0
	v_min3_f32 v62, v62, v63, v88
	v_min3_f32 v63, v61, v89, v60
	v_lshl_add_u64 v[60:61], v[64:65], 2, v[56:57]
	flat_store_dword v[60:61], v63
	v_max_f32_e32 v60, v62, v62
	s_cbranch_vccz .LBB21_84
; %bb.83:
	v_min_f32_e32 v61, 0, v60
	v_lshl_add_u64 v[62:63], v[74:75], 2, v[56:57]
	flat_store_dword v[62:63], v61
	s_mov_b64 s[2:3], 0
.LBB21_84:
	s_andn2_b64 vcc, exec, s[2:3]
	v_mov_b32_e32 v61, 0
	s_cbranch_vccnz .LBB21_86
; %bb.85:
	v_lshl_add_u64 v[62:63], v[58:59], 0, v[80:81]
	flat_load_dword v61, v[62:63]
	v_lshl_add_u64 v[62:63], v[56:57], 0, v[80:81]
	s_waitcnt vmcnt(0) lgkmcnt(0)
	v_mul_f32_e32 v61, s26, v61
	v_min_f32_e32 v60, v61, v60
	flat_store_dword v[62:63], v60
	v_lshl_add_u64 v[60:61], v[66:67], 2, v[58:59]
	flat_load_dword v60, v[60:61]
	s_waitcnt vmcnt(0) lgkmcnt(0)
	v_mul_f32_e32 v61, s26, v60
.LBB21_86:
	v_pk_add_f32 v[62:63], v[20:21], v[52:53]
	s_mov_b64 s[2:3], -1
	v_min3_f32 v60, v62, v63, v136
	v_pk_add_f32 v[62:63], v[16:17], v[52:53]
	s_mov_b64 vcc, s[8:9]
	v_min3_f32 v88, v62, v63, v135
	v_pk_add_f32 v[62:63], v[22:23], v[54:55]
	s_nop 0
	v_min_f32_e32 v89, v62, v63
	v_pk_add_f32 v[62:63], v[18:19], v[54:55]
	s_nop 0
	v_min3_f32 v62, v62, v63, v88
	v_min3_f32 v63, v61, v89, v60
	v_lshl_add_u64 v[60:61], v[66:67], 2, v[56:57]
	flat_store_dword v[60:61], v63
	v_max_f32_e32 v60, v62, v62
	s_cbranch_vccz .LBB21_88
; %bb.87:
	v_min_f32_e32 v61, 0, v60
	v_lshl_add_u64 v[62:63], v[78:79], 2, v[56:57]
	flat_store_dword v[62:63], v61
	s_mov_b64 s[2:3], 0
.LBB21_88:
	;; [unrolled: 39-line block ×3, first 2 shown]
	s_andn2_b64 vcc, exec, s[2:3]
	v_mov_b32_e32 v61, 0
	s_cbranch_vccnz .LBB21_94
; %bb.93:
	v_lshl_add_u64 v[62:63], v[58:59], 0, v[86:87]
	flat_load_dword v61, v[62:63]
	v_lshl_add_u64 v[62:63], v[56:57], 0, v[86:87]
	v_lshl_add_u64 v[58:59], v[72:73], 2, v[58:59]
	s_waitcnt vmcnt(0) lgkmcnt(0)
	v_mul_f32_e32 v61, s26, v61
	v_min_f32_e32 v60, v61, v60
	flat_store_dword v[62:63], v60
	flat_load_dword v58, v[58:59]
	s_waitcnt vmcnt(0) lgkmcnt(0)
	v_mul_f32_e32 v61, s26, v58
.LBB21_94:
	v_pk_add_f32 v[52:53], v[0:1], v[52:53]
	s_mov_b64 vcc, s[8:9]
	v_min3_f32 v58, v52, v53, v132
	v_pk_add_f32 v[52:53], v[32:33], v[48:49]
	s_nop 0
	v_min3_f32 v59, v52, v53, v131
	v_pk_add_f32 v[52:53], v[2:3], v[54:55]
	s_nop 0
	v_min_f32_e32 v54, v52, v53
	v_pk_add_f32 v[52:53], v[34:35], v[50:51]
	v_min3_f32 v54, v61, v54, v58
	v_min3_f32 v59, v52, v53, v59
	v_lshl_add_u64 v[52:53], v[72:73], 2, v[56:57]
	flat_store_dword v[52:53], v54
	v_add_u32_e32 v54, 0x60, v150
	v_mad_i64_i32 v[52:53], s[2:3], v54, s5, 0
	v_mad_i64_i32 v[54:55], s[2:3], v54, s4, 0
	v_lshl_add_u64 v[52:53], v[52:53], 2, s[0:1]
	s_mov_b64 s[2:3], -1
	v_max_f32_e32 v56, v59, v59
	s_cbranch_vccz .LBB21_96
; %bb.95:
	v_min_f32_e32 v57, 0, v56
	v_lshl_add_u64 v[58:59], v[70:71], 2, v[52:53]
	flat_store_dword v[58:59], v57
	s_mov_b64 s[2:3], 0
.LBB21_96:
	v_lshl_add_u64 v[54:55], v[54:55], 2, s[10:11]
	s_andn2_b64 vcc, exec, s[2:3]
	v_mov_b32_e32 v57, 0
	s_cbranch_vccnz .LBB21_98
; %bb.97:
	v_lshl_add_u64 v[58:59], v[54:55], 0, v[76:77]
	flat_load_dword v57, v[58:59]
	v_lshl_add_u64 v[58:59], v[52:53], 0, v[76:77]
	s_waitcnt vmcnt(0) lgkmcnt(0)
	v_mul_f32_e32 v57, s26, v57
	v_min_f32_e32 v56, v57, v56
	flat_store_dword v[58:59], v56
	v_lshl_add_u64 v[56:57], v[64:65], 2, v[54:55]
	flat_load_dword v56, v[56:57]
	s_waitcnt vmcnt(0) lgkmcnt(0)
	v_mul_f32_e32 v57, s26, v56
.LBB21_98:
	v_pk_add_f32 v[58:59], v[24:25], v[48:49]
	s_mov_b64 s[2:3], -1
	v_min3_f32 v56, v58, v59, v130
	v_pk_add_f32 v[58:59], v[28:29], v[48:49]
	s_mov_b64 vcc, s[8:9]
	v_min3_f32 v60, v58, v59, v129
	v_pk_add_f32 v[58:59], v[26:27], v[50:51]
	s_nop 0
	v_min_f32_e32 v61, v58, v59
	v_pk_add_f32 v[58:59], v[30:31], v[50:51]
	s_nop 0
	v_min3_f32 v58, v58, v59, v60
	v_min3_f32 v59, v57, v61, v56
	v_lshl_add_u64 v[56:57], v[64:65], 2, v[52:53]
	flat_store_dword v[56:57], v59
	v_max_f32_e32 v56, v58, v58
	s_cbranch_vccz .LBB21_100
; %bb.99:
	v_min_f32_e32 v57, 0, v56
	v_lshl_add_u64 v[58:59], v[74:75], 2, v[52:53]
	flat_store_dword v[58:59], v57
	s_mov_b64 s[2:3], 0
.LBB21_100:
	s_andn2_b64 vcc, exec, s[2:3]
	v_mov_b32_e32 v57, 0
	s_cbranch_vccnz .LBB21_102
; %bb.101:
	v_lshl_add_u64 v[58:59], v[54:55], 0, v[80:81]
	flat_load_dword v57, v[58:59]
	v_lshl_add_u64 v[58:59], v[52:53], 0, v[80:81]
	s_waitcnt vmcnt(0) lgkmcnt(0)
	v_mul_f32_e32 v57, s26, v57
	v_min_f32_e32 v56, v57, v56
	flat_store_dword v[58:59], v56
	v_lshl_add_u64 v[56:57], v[66:67], 2, v[54:55]
	flat_load_dword v56, v[56:57]
	s_waitcnt vmcnt(0) lgkmcnt(0)
	v_mul_f32_e32 v57, s26, v56
.LBB21_102:
	v_pk_add_f32 v[58:59], v[20:21], v[48:49]
	s_mov_b64 s[2:3], -1
	v_min3_f32 v56, v58, v59, v128
	v_pk_add_f32 v[58:59], v[16:17], v[48:49]
	s_mov_b64 vcc, s[8:9]
	v_min3_f32 v60, v58, v59, v127
	v_pk_add_f32 v[58:59], v[22:23], v[50:51]
	s_nop 0
	v_min_f32_e32 v61, v58, v59
	v_pk_add_f32 v[58:59], v[18:19], v[50:51]
	s_nop 0
	v_min3_f32 v58, v58, v59, v60
	v_min3_f32 v59, v57, v61, v56
	v_lshl_add_u64 v[56:57], v[66:67], 2, v[52:53]
	flat_store_dword v[56:57], v59
	v_max_f32_e32 v56, v58, v58
	s_cbranch_vccz .LBB21_104
; %bb.103:
	v_min_f32_e32 v57, 0, v56
	v_lshl_add_u64 v[58:59], v[78:79], 2, v[52:53]
	flat_store_dword v[58:59], v57
	s_mov_b64 s[2:3], 0
.LBB21_104:
	;; [unrolled: 39-line block ×3, first 2 shown]
	s_andn2_b64 vcc, exec, s[2:3]
	v_mov_b32_e32 v57, 0
	s_cbranch_vccnz .LBB21_110
; %bb.109:
	v_lshl_add_u64 v[58:59], v[54:55], 0, v[86:87]
	flat_load_dword v57, v[58:59]
	v_lshl_add_u64 v[58:59], v[52:53], 0, v[86:87]
	v_lshl_add_u64 v[54:55], v[72:73], 2, v[54:55]
	s_waitcnt vmcnt(0) lgkmcnt(0)
	v_mul_f32_e32 v57, s26, v57
	v_min_f32_e32 v56, v57, v56
	flat_store_dword v[58:59], v56
	flat_load_dword v54, v[54:55]
	s_waitcnt vmcnt(0) lgkmcnt(0)
	v_mul_f32_e32 v57, s26, v54
.LBB21_110:
	v_pk_add_f32 v[48:49], v[0:1], v[48:49]
	s_mov_b64 vcc, s[8:9]
	v_min3_f32 v54, v48, v49, v124
	v_pk_add_f32 v[48:49], v[32:33], v[44:45]
	s_nop 0
	v_min3_f32 v55, v48, v49, v123
	v_pk_add_f32 v[48:49], v[2:3], v[50:51]
	s_nop 0
	v_min_f32_e32 v50, v48, v49
	v_pk_add_f32 v[48:49], v[34:35], v[46:47]
	v_min3_f32 v50, v57, v50, v54
	v_min3_f32 v55, v48, v49, v55
	v_lshl_add_u64 v[48:49], v[72:73], 2, v[52:53]
	flat_store_dword v[48:49], v50
	v_add_u32_e32 v50, 0x80, v150
	v_mad_i64_i32 v[48:49], s[2:3], v50, s5, 0
	v_mad_i64_i32 v[50:51], s[2:3], v50, s4, 0
	v_lshl_add_u64 v[48:49], v[48:49], 2, s[0:1]
	s_mov_b64 s[2:3], -1
	v_max_f32_e32 v52, v55, v55
	s_cbranch_vccz .LBB21_112
; %bb.111:
	v_min_f32_e32 v53, 0, v52
	v_lshl_add_u64 v[54:55], v[70:71], 2, v[48:49]
	flat_store_dword v[54:55], v53
	s_mov_b64 s[2:3], 0
.LBB21_112:
	v_lshl_add_u64 v[50:51], v[50:51], 2, s[10:11]
	s_andn2_b64 vcc, exec, s[2:3]
	v_mov_b32_e32 v53, 0
	s_cbranch_vccnz .LBB21_114
; %bb.113:
	v_lshl_add_u64 v[54:55], v[50:51], 0, v[76:77]
	flat_load_dword v53, v[54:55]
	v_lshl_add_u64 v[54:55], v[48:49], 0, v[76:77]
	s_waitcnt vmcnt(0) lgkmcnt(0)
	v_mul_f32_e32 v53, s26, v53
	v_min_f32_e32 v52, v53, v52
	flat_store_dword v[54:55], v52
	v_lshl_add_u64 v[52:53], v[64:65], 2, v[50:51]
	flat_load_dword v52, v[52:53]
	s_waitcnt vmcnt(0) lgkmcnt(0)
	v_mul_f32_e32 v53, s26, v52
.LBB21_114:
	v_pk_add_f32 v[54:55], v[24:25], v[44:45]
	s_mov_b64 s[2:3], -1
	v_min3_f32 v52, v54, v55, v122
	v_pk_add_f32 v[54:55], v[28:29], v[44:45]
	s_mov_b64 vcc, s[8:9]
	v_min3_f32 v56, v54, v55, v121
	v_pk_add_f32 v[54:55], v[26:27], v[46:47]
	s_nop 0
	v_min_f32_e32 v57, v54, v55
	v_pk_add_f32 v[54:55], v[30:31], v[46:47]
	s_nop 0
	v_min3_f32 v54, v54, v55, v56
	v_min3_f32 v55, v53, v57, v52
	v_lshl_add_u64 v[52:53], v[64:65], 2, v[48:49]
	flat_store_dword v[52:53], v55
	v_max_f32_e32 v52, v54, v54
	s_cbranch_vccz .LBB21_116
; %bb.115:
	v_min_f32_e32 v53, 0, v52
	v_lshl_add_u64 v[54:55], v[74:75], 2, v[48:49]
	flat_store_dword v[54:55], v53
	s_mov_b64 s[2:3], 0
.LBB21_116:
	s_andn2_b64 vcc, exec, s[2:3]
	v_mov_b32_e32 v53, 0
	s_cbranch_vccnz .LBB21_118
; %bb.117:
	v_lshl_add_u64 v[54:55], v[50:51], 0, v[80:81]
	flat_load_dword v53, v[54:55]
	v_lshl_add_u64 v[54:55], v[48:49], 0, v[80:81]
	s_waitcnt vmcnt(0) lgkmcnt(0)
	v_mul_f32_e32 v53, s26, v53
	v_min_f32_e32 v52, v53, v52
	flat_store_dword v[54:55], v52
	v_lshl_add_u64 v[52:53], v[66:67], 2, v[50:51]
	flat_load_dword v52, v[52:53]
	s_waitcnt vmcnt(0) lgkmcnt(0)
	v_mul_f32_e32 v53, s26, v52
.LBB21_118:
	v_pk_add_f32 v[54:55], v[20:21], v[44:45]
	s_mov_b64 s[2:3], -1
	v_min3_f32 v52, v54, v55, v120
	v_pk_add_f32 v[54:55], v[16:17], v[44:45]
	s_mov_b64 vcc, s[8:9]
	v_min3_f32 v56, v54, v55, v119
	v_pk_add_f32 v[54:55], v[22:23], v[46:47]
	s_nop 0
	v_min_f32_e32 v57, v54, v55
	v_pk_add_f32 v[54:55], v[18:19], v[46:47]
	s_nop 0
	v_min3_f32 v54, v54, v55, v56
	v_min3_f32 v55, v53, v57, v52
	v_lshl_add_u64 v[52:53], v[66:67], 2, v[48:49]
	flat_store_dword v[52:53], v55
	v_max_f32_e32 v52, v54, v54
	s_cbranch_vccz .LBB21_120
; %bb.119:
	v_min_f32_e32 v53, 0, v52
	v_lshl_add_u64 v[54:55], v[78:79], 2, v[48:49]
	flat_store_dword v[54:55], v53
	s_mov_b64 s[2:3], 0
.LBB21_120:
	;; [unrolled: 39-line block ×3, first 2 shown]
	s_andn2_b64 vcc, exec, s[2:3]
	v_mov_b32_e32 v53, 0
	s_cbranch_vccnz .LBB21_126
; %bb.125:
	v_lshl_add_u64 v[54:55], v[50:51], 0, v[86:87]
	flat_load_dword v53, v[54:55]
	v_lshl_add_u64 v[54:55], v[48:49], 0, v[86:87]
	v_lshl_add_u64 v[50:51], v[72:73], 2, v[50:51]
	s_waitcnt vmcnt(0) lgkmcnt(0)
	v_mul_f32_e32 v53, s26, v53
	v_min_f32_e32 v52, v53, v52
	flat_store_dword v[54:55], v52
	flat_load_dword v50, v[50:51]
	s_waitcnt vmcnt(0) lgkmcnt(0)
	v_mul_f32_e32 v53, s26, v50
.LBB21_126:
	v_pk_add_f32 v[44:45], v[0:1], v[44:45]
	s_mov_b64 vcc, s[8:9]
	v_min3_f32 v50, v44, v45, v118
	v_pk_add_f32 v[44:45], v[32:33], v[40:41]
	s_nop 0
	v_min3_f32 v51, v44, v45, v117
	v_pk_add_f32 v[44:45], v[2:3], v[46:47]
	s_nop 0
	v_min_f32_e32 v46, v44, v45
	v_pk_add_f32 v[44:45], v[34:35], v[42:43]
	v_min3_f32 v46, v53, v46, v50
	v_min3_f32 v51, v44, v45, v51
	v_lshl_add_u64 v[44:45], v[72:73], 2, v[48:49]
	flat_store_dword v[44:45], v46
	v_add_u32_e32 v46, 0xa0, v150
	v_mad_i64_i32 v[44:45], s[2:3], v46, s5, 0
	v_mad_i64_i32 v[46:47], s[2:3], v46, s4, 0
	v_lshl_add_u64 v[44:45], v[44:45], 2, s[0:1]
	s_mov_b64 s[2:3], -1
	v_max_f32_e32 v48, v51, v51
	s_cbranch_vccz .LBB21_128
; %bb.127:
	v_min_f32_e32 v49, 0, v48
	v_lshl_add_u64 v[50:51], v[70:71], 2, v[44:45]
	flat_store_dword v[50:51], v49
	s_mov_b64 s[2:3], 0
.LBB21_128:
	v_lshl_add_u64 v[46:47], v[46:47], 2, s[10:11]
	s_andn2_b64 vcc, exec, s[2:3]
	v_mov_b32_e32 v49, 0
	s_cbranch_vccnz .LBB21_130
; %bb.129:
	v_lshl_add_u64 v[50:51], v[46:47], 0, v[76:77]
	flat_load_dword v49, v[50:51]
	v_lshl_add_u64 v[50:51], v[44:45], 0, v[76:77]
	s_waitcnt vmcnt(0) lgkmcnt(0)
	v_mul_f32_e32 v49, s26, v49
	v_min_f32_e32 v48, v49, v48
	flat_store_dword v[50:51], v48
	v_lshl_add_u64 v[48:49], v[64:65], 2, v[46:47]
	flat_load_dword v48, v[48:49]
	s_waitcnt vmcnt(0) lgkmcnt(0)
	v_mul_f32_e32 v49, s26, v48
.LBB21_130:
	v_pk_add_f32 v[50:51], v[24:25], v[40:41]
	s_mov_b64 s[2:3], -1
	v_min3_f32 v48, v50, v51, v114
	v_pk_add_f32 v[50:51], v[28:29], v[40:41]
	s_mov_b64 vcc, s[8:9]
	v_min3_f32 v52, v50, v51, v113
	v_pk_add_f32 v[50:51], v[26:27], v[42:43]
	s_nop 0
	v_min_f32_e32 v53, v50, v51
	v_pk_add_f32 v[50:51], v[30:31], v[42:43]
	s_nop 0
	v_min3_f32 v50, v50, v51, v52
	v_min3_f32 v51, v49, v53, v48
	v_lshl_add_u64 v[48:49], v[64:65], 2, v[44:45]
	flat_store_dword v[48:49], v51
	v_max_f32_e32 v48, v50, v50
	s_cbranch_vccz .LBB21_132
; %bb.131:
	v_min_f32_e32 v49, 0, v48
	v_lshl_add_u64 v[50:51], v[74:75], 2, v[44:45]
	flat_store_dword v[50:51], v49
	s_mov_b64 s[2:3], 0
.LBB21_132:
	s_andn2_b64 vcc, exec, s[2:3]
	v_mov_b32_e32 v49, 0
	s_cbranch_vccnz .LBB21_134
; %bb.133:
	v_lshl_add_u64 v[50:51], v[46:47], 0, v[80:81]
	flat_load_dword v49, v[50:51]
	v_lshl_add_u64 v[50:51], v[44:45], 0, v[80:81]
	s_waitcnt vmcnt(0) lgkmcnt(0)
	v_mul_f32_e32 v49, s26, v49
	v_min_f32_e32 v48, v49, v48
	flat_store_dword v[50:51], v48
	v_lshl_add_u64 v[48:49], v[66:67], 2, v[46:47]
	flat_load_dword v48, v[48:49]
	s_waitcnt vmcnt(0) lgkmcnt(0)
	v_mul_f32_e32 v49, s26, v48
.LBB21_134:
	v_pk_add_f32 v[50:51], v[20:21], v[40:41]
	s_mov_b64 s[2:3], -1
	v_min3_f32 v48, v50, v51, v112
	v_pk_add_f32 v[50:51], v[16:17], v[40:41]
	s_mov_b64 vcc, s[8:9]
	v_min3_f32 v52, v50, v51, v111
	v_pk_add_f32 v[50:51], v[22:23], v[42:43]
	s_nop 0
	v_min_f32_e32 v53, v50, v51
	v_pk_add_f32 v[50:51], v[18:19], v[42:43]
	s_nop 0
	v_min3_f32 v50, v50, v51, v52
	v_min3_f32 v51, v49, v53, v48
	v_lshl_add_u64 v[48:49], v[66:67], 2, v[44:45]
	flat_store_dword v[48:49], v51
	v_max_f32_e32 v48, v50, v50
	s_cbranch_vccz .LBB21_136
; %bb.135:
	v_min_f32_e32 v49, 0, v48
	v_lshl_add_u64 v[50:51], v[78:79], 2, v[44:45]
	flat_store_dword v[50:51], v49
	s_mov_b64 s[2:3], 0
.LBB21_136:
	;; [unrolled: 39-line block ×3, first 2 shown]
	s_andn2_b64 vcc, exec, s[2:3]
	v_mov_b32_e32 v49, 0
	s_cbranch_vccnz .LBB21_142
; %bb.141:
	v_lshl_add_u64 v[50:51], v[46:47], 0, v[86:87]
	flat_load_dword v49, v[50:51]
	v_lshl_add_u64 v[50:51], v[44:45], 0, v[86:87]
	v_lshl_add_u64 v[46:47], v[72:73], 2, v[46:47]
	s_waitcnt vmcnt(0) lgkmcnt(0)
	v_mul_f32_e32 v49, s26, v49
	v_min_f32_e32 v48, v49, v48
	flat_store_dword v[50:51], v48
	flat_load_dword v46, v[46:47]
	s_waitcnt vmcnt(0) lgkmcnt(0)
	v_mul_f32_e32 v49, s26, v46
.LBB21_142:
	v_pk_add_f32 v[40:41], v[0:1], v[40:41]
	s_mov_b64 vcc, s[8:9]
	v_min3_f32 v46, v40, v41, v108
	v_pk_add_f32 v[40:41], v[32:33], v[36:37]
	s_nop 0
	v_min3_f32 v47, v40, v41, v107
	v_pk_add_f32 v[40:41], v[2:3], v[42:43]
	s_nop 0
	v_min_f32_e32 v42, v40, v41
	v_pk_add_f32 v[40:41], v[34:35], v[38:39]
	v_min3_f32 v42, v49, v42, v46
	v_min3_f32 v47, v40, v41, v47
	v_lshl_add_u64 v[40:41], v[72:73], 2, v[44:45]
	flat_store_dword v[40:41], v42
	v_add_u32_e32 v42, 0xc0, v150
	v_mad_i64_i32 v[40:41], s[2:3], v42, s5, 0
	v_mad_i64_i32 v[42:43], s[2:3], v42, s4, 0
	v_lshl_add_u64 v[40:41], v[40:41], 2, s[0:1]
	s_mov_b64 s[2:3], -1
	v_max_f32_e32 v44, v47, v47
	s_cbranch_vccz .LBB21_144
; %bb.143:
	v_min_f32_e32 v45, 0, v44
	v_lshl_add_u64 v[46:47], v[70:71], 2, v[40:41]
	flat_store_dword v[46:47], v45
	s_mov_b64 s[2:3], 0
.LBB21_144:
	v_lshl_add_u64 v[42:43], v[42:43], 2, s[10:11]
	s_andn2_b64 vcc, exec, s[2:3]
	v_mov_b32_e32 v45, 0
	s_cbranch_vccnz .LBB21_146
; %bb.145:
	v_lshl_add_u64 v[46:47], v[42:43], 0, v[76:77]
	flat_load_dword v45, v[46:47]
	v_lshl_add_u64 v[46:47], v[40:41], 0, v[76:77]
	s_waitcnt vmcnt(0) lgkmcnt(0)
	v_mul_f32_e32 v45, s26, v45
	v_min_f32_e32 v44, v45, v44
	flat_store_dword v[46:47], v44
	v_lshl_add_u64 v[44:45], v[64:65], 2, v[42:43]
	flat_load_dword v44, v[44:45]
	s_waitcnt vmcnt(0) lgkmcnt(0)
	v_mul_f32_e32 v45, s26, v44
.LBB21_146:
	v_pk_add_f32 v[46:47], v[24:25], v[36:37]
	s_mov_b64 s[2:3], -1
	v_min3_f32 v44, v46, v47, v106
	v_pk_add_f32 v[46:47], v[28:29], v[36:37]
	s_mov_b64 vcc, s[8:9]
	v_min3_f32 v48, v46, v47, v105
	v_pk_add_f32 v[46:47], v[26:27], v[38:39]
	s_nop 0
	v_min_f32_e32 v49, v46, v47
	v_pk_add_f32 v[46:47], v[30:31], v[38:39]
	s_nop 0
	v_min3_f32 v46, v46, v47, v48
	v_min3_f32 v47, v45, v49, v44
	v_lshl_add_u64 v[44:45], v[64:65], 2, v[40:41]
	flat_store_dword v[44:45], v47
	v_max_f32_e32 v44, v46, v46
	s_cbranch_vccz .LBB21_148
; %bb.147:
	v_min_f32_e32 v45, 0, v44
	v_lshl_add_u64 v[46:47], v[74:75], 2, v[40:41]
	flat_store_dword v[46:47], v45
	s_mov_b64 s[2:3], 0
.LBB21_148:
	s_andn2_b64 vcc, exec, s[2:3]
	v_mov_b32_e32 v45, 0
	s_cbranch_vccnz .LBB21_150
; %bb.149:
	v_lshl_add_u64 v[46:47], v[42:43], 0, v[80:81]
	flat_load_dword v45, v[46:47]
	v_lshl_add_u64 v[46:47], v[40:41], 0, v[80:81]
	s_waitcnt vmcnt(0) lgkmcnt(0)
	v_mul_f32_e32 v45, s26, v45
	v_min_f32_e32 v44, v45, v44
	flat_store_dword v[46:47], v44
	v_lshl_add_u64 v[44:45], v[66:67], 2, v[42:43]
	flat_load_dword v44, v[44:45]
	s_waitcnt vmcnt(0) lgkmcnt(0)
	v_mul_f32_e32 v45, s26, v44
.LBB21_150:
	v_pk_add_f32 v[46:47], v[20:21], v[36:37]
	s_mov_b64 s[2:3], -1
	v_min3_f32 v44, v46, v47, v104
	v_pk_add_f32 v[46:47], v[16:17], v[36:37]
	s_mov_b64 vcc, s[8:9]
	v_min3_f32 v48, v46, v47, v103
	v_pk_add_f32 v[46:47], v[22:23], v[38:39]
	s_nop 0
	v_min_f32_e32 v49, v46, v47
	v_pk_add_f32 v[46:47], v[18:19], v[38:39]
	s_nop 0
	v_min3_f32 v46, v46, v47, v48
	v_min3_f32 v47, v45, v49, v44
	v_lshl_add_u64 v[44:45], v[66:67], 2, v[40:41]
	flat_store_dword v[44:45], v47
	v_max_f32_e32 v44, v46, v46
	s_cbranch_vccz .LBB21_152
; %bb.151:
	v_min_f32_e32 v45, 0, v44
	v_lshl_add_u64 v[46:47], v[78:79], 2, v[40:41]
	flat_store_dword v[46:47], v45
	s_mov_b64 s[2:3], 0
.LBB21_152:
	;; [unrolled: 39-line block ×3, first 2 shown]
	s_andn2_b64 vcc, exec, s[2:3]
	v_mov_b32_e32 v45, 0
	s_cbranch_vccnz .LBB21_158
; %bb.157:
	v_lshl_add_u64 v[46:47], v[42:43], 0, v[86:87]
	flat_load_dword v45, v[46:47]
	v_lshl_add_u64 v[46:47], v[40:41], 0, v[86:87]
	v_lshl_add_u64 v[42:43], v[72:73], 2, v[42:43]
	s_waitcnt vmcnt(0) lgkmcnt(0)
	v_mul_f32_e32 v45, s26, v45
	v_min_f32_e32 v44, v45, v44
	flat_store_dword v[46:47], v44
	flat_load_dword v42, v[42:43]
	s_waitcnt vmcnt(0) lgkmcnt(0)
	v_mul_f32_e32 v45, s26, v42
.LBB21_158:
	v_pk_add_f32 v[36:37], v[0:1], v[36:37]
	v_pk_add_f32 v[32:33], v[32:33], v[4:5]
	v_min3_f32 v36, v36, v37, v99
	v_min3_f32 v37, v32, v33, v100
	v_pk_add_f32 v[32:33], v[2:3], v[38:39]
	s_mov_b64 vcc, s[8:9]
	v_min_f32_e32 v38, v32, v33
	v_pk_add_f32 v[32:33], v[34:35], v[6:7]
	v_min3_f32 v34, v45, v38, v36
	v_min3_f32 v37, v32, v33, v37
	v_lshl_add_u64 v[32:33], v[72:73], 2, v[40:41]
	flat_store_dword v[32:33], v34
	v_add_u32_e32 v34, 0xe0, v150
	v_mad_i64_i32 v[32:33], s[2:3], v34, s5, 0
	v_lshl_add_u64 v[32:33], v[32:33], 2, s[0:1]
	v_mad_i64_i32 v[34:35], s[0:1], v34, s4, 0
	s_mov_b64 s[0:1], -1
	v_max_f32_e32 v36, v37, v37
	s_cbranch_vccz .LBB21_160
; %bb.159:
	v_min_f32_e32 v37, 0, v36
	v_lshl_add_u64 v[38:39], v[70:71], 2, v[32:33]
	flat_store_dword v[38:39], v37
	s_mov_b64 s[0:1], 0
.LBB21_160:
	v_lshl_add_u64 v[34:35], v[34:35], 2, s[10:11]
	s_andn2_b64 vcc, exec, s[0:1]
	v_mov_b32_e32 v37, 0
	s_cbranch_vccnz .LBB21_162
; %bb.161:
	v_lshl_add_u64 v[38:39], v[34:35], 0, v[76:77]
	flat_load_dword v37, v[38:39]
	v_lshl_add_u64 v[38:39], v[32:33], 0, v[76:77]
	s_waitcnt vmcnt(0) lgkmcnt(0)
	v_mul_f32_e32 v37, s26, v37
	v_min_f32_e32 v36, v37, v36
	flat_store_dword v[38:39], v36
	v_lshl_add_u64 v[36:37], v[64:65], 2, v[34:35]
	flat_load_dword v36, v[36:37]
	s_waitcnt vmcnt(0) lgkmcnt(0)
	v_mul_f32_e32 v37, s26, v36
.LBB21_162:
	v_pk_add_f32 v[24:25], v[24:25], v[4:5]
	s_mov_b64 s[0:1], -1
	v_min3_f32 v36, v24, v25, v98
	v_pk_add_f32 v[24:25], v[28:29], v[4:5]
	s_mov_b64 vcc, s[8:9]
	v_min3_f32 v28, v24, v25, v97
	v_pk_add_f32 v[24:25], v[26:27], v[6:7]
	s_nop 0
	v_min_f32_e32 v26, v24, v25
	v_pk_add_f32 v[24:25], v[30:31], v[6:7]
	v_min3_f32 v26, v37, v26, v36
	v_min3_f32 v27, v24, v25, v28
	v_lshl_add_u64 v[24:25], v[64:65], 2, v[32:33]
	flat_store_dword v[24:25], v26
	v_max_f32_e32 v24, v27, v27
	s_cbranch_vccz .LBB21_164
; %bb.163:
	v_min_f32_e32 v25, 0, v24
	v_lshl_add_u64 v[26:27], v[74:75], 2, v[32:33]
	flat_store_dword v[26:27], v25
	s_mov_b64 s[0:1], 0
.LBB21_164:
	s_andn2_b64 vcc, exec, s[0:1]
	v_mov_b32_e32 v25, 0
	s_cbranch_vccnz .LBB21_166
; %bb.165:
	v_lshl_add_u64 v[26:27], v[34:35], 0, v[80:81]
	flat_load_dword v25, v[26:27]
	v_lshl_add_u64 v[26:27], v[32:33], 0, v[80:81]
	s_waitcnt vmcnt(0) lgkmcnt(0)
	v_mul_f32_e32 v25, s26, v25
	v_min_f32_e32 v24, v25, v24
	flat_store_dword v[26:27], v24
	v_lshl_add_u64 v[24:25], v[66:67], 2, v[34:35]
	flat_load_dword v24, v[24:25]
	s_waitcnt vmcnt(0) lgkmcnt(0)
	v_mul_f32_e32 v25, s26, v24
.LBB21_166:
	v_pk_add_f32 v[20:21], v[20:21], v[4:5]
	v_pk_add_f32 v[16:17], v[16:17], v[4:5]
	v_min3_f32 v20, v20, v21, v96
	v_min3_f32 v21, v16, v17, v95
	v_pk_add_f32 v[16:17], v[22:23], v[6:7]
	s_mov_b64 s[0:1], -1
	v_min_f32_e32 v22, v16, v17
	v_pk_add_f32 v[16:17], v[18:19], v[6:7]
	v_min3_f32 v19, v25, v22, v20
	v_min3_f32 v18, v16, v17, v21
	v_lshl_add_u64 v[16:17], v[66:67], 2, v[32:33]
	flat_store_dword v[16:17], v19
	v_max_f32_e32 v16, v18, v18
	s_mov_b64 vcc, s[8:9]
	s_cbranch_vccz .LBB21_168
; %bb.167:
	v_min_f32_e32 v17, 0, v16
	v_lshl_add_u64 v[18:19], v[78:79], 2, v[32:33]
	flat_store_dword v[18:19], v17
	s_mov_b64 s[0:1], 0
.LBB21_168:
	s_andn2_b64 vcc, exec, s[0:1]
	v_mov_b32_e32 v17, 0
	s_cbranch_vccnz .LBB21_170
; %bb.169:
	v_lshl_add_u64 v[18:19], v[34:35], 0, v[82:83]
	flat_load_dword v17, v[18:19]
	v_lshl_add_u64 v[18:19], v[32:33], 0, v[82:83]
	s_waitcnt vmcnt(0) lgkmcnt(0)
	v_mul_f32_e32 v17, s26, v17
	v_min_f32_e32 v16, v17, v16
	flat_store_dword v[18:19], v16
	v_lshl_add_u64 v[16:17], v[68:69], 2, v[34:35]
	flat_load_dword v16, v[16:17]
	s_waitcnt vmcnt(0) lgkmcnt(0)
	v_mul_f32_e32 v17, s26, v16
.LBB21_170:
	v_pk_add_f32 v[12:13], v[12:13], v[4:5]
	v_pk_add_f32 v[8:9], v[8:9], v[4:5]
	v_min3_f32 v12, v12, v13, v94
	v_min3_f32 v13, v8, v9, v93
	v_pk_add_f32 v[8:9], v[14:15], v[6:7]
	s_mov_b64 s[0:1], -1
	v_min_f32_e32 v14, v8, v9
	v_pk_add_f32 v[8:9], v[10:11], v[6:7]
	v_min3_f32 v11, v17, v14, v12
	v_min3_f32 v10, v8, v9, v13
	v_lshl_add_u64 v[8:9], v[68:69], 2, v[32:33]
	flat_store_dword v[8:9], v11
	v_max_f32_e32 v8, v10, v10
	s_mov_b64 vcc, s[8:9]
	s_cbranch_vccz .LBB21_172
; %bb.171:
	v_min_f32_e32 v9, 0, v8
	v_lshl_add_u64 v[10:11], v[84:85], 2, v[32:33]
	flat_store_dword v[10:11], v9
	s_mov_b64 s[0:1], 0
.LBB21_172:
	s_andn2_b64 vcc, exec, s[0:1]
	v_mov_b32_e32 v9, 0
	s_cbranch_vccnz .LBB21_174
; %bb.173:
	v_lshl_add_u64 v[10:11], v[34:35], 0, v[86:87]
	flat_load_dword v9, v[10:11]
	v_lshl_add_u64 v[10:11], v[32:33], 0, v[86:87]
	s_waitcnt vmcnt(0) lgkmcnt(0)
	v_mul_f32_e32 v9, s26, v9
	v_min_f32_e32 v8, v9, v8
	flat_store_dword v[10:11], v8
	v_lshl_add_u64 v[8:9], v[72:73], 2, v[34:35]
	flat_load_dword v8, v[8:9]
	s_waitcnt vmcnt(0) lgkmcnt(0)
	v_mul_f32_e32 v9, s26, v8
.LBB21_174:
	v_pk_add_f32 v[2:3], v[2:3], v[6:7]
	v_pk_add_f32 v[0:1], v[0:1], v[4:5]
	v_min_f32_e32 v2, v2, v3
	v_min3_f32 v0, v0, v1, v92
	v_min3_f32 v2, v9, v2, v0
	v_lshl_add_u64 v[0:1], v[72:73], 2, v[32:33]
	flat_store_dword v[0:1], v2
	s_endpgm
	.section	.rodata,"a",@progbits
	.p2align	6, 0x0
	.amdhsa_kernel _ZN12_GLOBAL__N_120geam_min_plus_kernelIf15HIP_vector_typeIfLj2EEfLi8ELi32ELi64ELi256ELi4ELi4ELi64ELi64ELi4ELc84ELc84ELb0ELb0ELb1EPKfKS4_KPfEEviiiT16_PT17_ilSA_ilS8_SA_ilPT18_ili26rocblas_geam_ex_operation_
		.amdhsa_group_segment_fixed_size 10240
		.amdhsa_private_segment_fixed_size 0
		.amdhsa_kernarg_size 136
		.amdhsa_user_sgpr_count 2
		.amdhsa_user_sgpr_dispatch_ptr 0
		.amdhsa_user_sgpr_queue_ptr 0
		.amdhsa_user_sgpr_kernarg_segment_ptr 1
		.amdhsa_user_sgpr_dispatch_id 0
		.amdhsa_user_sgpr_kernarg_preload_length 0
		.amdhsa_user_sgpr_kernarg_preload_offset 0
		.amdhsa_user_sgpr_private_segment_size 0
		.amdhsa_uses_dynamic_stack 0
		.amdhsa_enable_private_segment 0
		.amdhsa_system_sgpr_workgroup_id_x 1
		.amdhsa_system_sgpr_workgroup_id_y 0
		.amdhsa_system_sgpr_workgroup_id_z 1
		.amdhsa_system_sgpr_workgroup_info 0
		.amdhsa_system_vgpr_workitem_id 1
		.amdhsa_next_free_vgpr 158
		.amdhsa_next_free_sgpr 28
		.amdhsa_accum_offset 160
		.amdhsa_reserve_vcc 1
		.amdhsa_float_round_mode_32 0
		.amdhsa_float_round_mode_16_64 0
		.amdhsa_float_denorm_mode_32 3
		.amdhsa_float_denorm_mode_16_64 3
		.amdhsa_dx10_clamp 1
		.amdhsa_ieee_mode 1
		.amdhsa_fp16_overflow 0
		.amdhsa_tg_split 0
		.amdhsa_exception_fp_ieee_invalid_op 0
		.amdhsa_exception_fp_denorm_src 0
		.amdhsa_exception_fp_ieee_div_zero 0
		.amdhsa_exception_fp_ieee_overflow 0
		.amdhsa_exception_fp_ieee_underflow 0
		.amdhsa_exception_fp_ieee_inexact 0
		.amdhsa_exception_int_div_zero 0
	.end_amdhsa_kernel
	.section	.text._ZN12_GLOBAL__N_120geam_min_plus_kernelIf15HIP_vector_typeIfLj2EEfLi8ELi32ELi64ELi256ELi4ELi4ELi64ELi64ELi4ELc84ELc84ELb0ELb0ELb1EPKfKS4_KPfEEviiiT16_PT17_ilSA_ilS8_SA_ilPT18_ili26rocblas_geam_ex_operation_,"axG",@progbits,_ZN12_GLOBAL__N_120geam_min_plus_kernelIf15HIP_vector_typeIfLj2EEfLi8ELi32ELi64ELi256ELi4ELi4ELi64ELi64ELi4ELc84ELc84ELb0ELb0ELb1EPKfKS4_KPfEEviiiT16_PT17_ilSA_ilS8_SA_ilPT18_ili26rocblas_geam_ex_operation_,comdat
.Lfunc_end21:
	.size	_ZN12_GLOBAL__N_120geam_min_plus_kernelIf15HIP_vector_typeIfLj2EEfLi8ELi32ELi64ELi256ELi4ELi4ELi64ELi64ELi4ELc84ELc84ELb0ELb0ELb1EPKfKS4_KPfEEviiiT16_PT17_ilSA_ilS8_SA_ilPT18_ili26rocblas_geam_ex_operation_, .Lfunc_end21-_ZN12_GLOBAL__N_120geam_min_plus_kernelIf15HIP_vector_typeIfLj2EEfLi8ELi32ELi64ELi256ELi4ELi4ELi64ELi64ELi4ELc84ELc84ELb0ELb0ELb1EPKfKS4_KPfEEviiiT16_PT17_ilSA_ilS8_SA_ilPT18_ili26rocblas_geam_ex_operation_
                                        ; -- End function
	.set _ZN12_GLOBAL__N_120geam_min_plus_kernelIf15HIP_vector_typeIfLj2EEfLi8ELi32ELi64ELi256ELi4ELi4ELi64ELi64ELi4ELc84ELc84ELb0ELb0ELb1EPKfKS4_KPfEEviiiT16_PT17_ilSA_ilS8_SA_ilPT18_ili26rocblas_geam_ex_operation_.num_vgpr, 158
	.set _ZN12_GLOBAL__N_120geam_min_plus_kernelIf15HIP_vector_typeIfLj2EEfLi8ELi32ELi64ELi256ELi4ELi4ELi64ELi64ELi4ELc84ELc84ELb0ELb0ELb1EPKfKS4_KPfEEviiiT16_PT17_ilSA_ilS8_SA_ilPT18_ili26rocblas_geam_ex_operation_.num_agpr, 0
	.set _ZN12_GLOBAL__N_120geam_min_plus_kernelIf15HIP_vector_typeIfLj2EEfLi8ELi32ELi64ELi256ELi4ELi4ELi64ELi64ELi4ELc84ELc84ELb0ELb0ELb1EPKfKS4_KPfEEviiiT16_PT17_ilSA_ilS8_SA_ilPT18_ili26rocblas_geam_ex_operation_.numbered_sgpr, 28
	.set _ZN12_GLOBAL__N_120geam_min_plus_kernelIf15HIP_vector_typeIfLj2EEfLi8ELi32ELi64ELi256ELi4ELi4ELi64ELi64ELi4ELc84ELc84ELb0ELb0ELb1EPKfKS4_KPfEEviiiT16_PT17_ilSA_ilS8_SA_ilPT18_ili26rocblas_geam_ex_operation_.num_named_barrier, 0
	.set _ZN12_GLOBAL__N_120geam_min_plus_kernelIf15HIP_vector_typeIfLj2EEfLi8ELi32ELi64ELi256ELi4ELi4ELi64ELi64ELi4ELc84ELc84ELb0ELb0ELb1EPKfKS4_KPfEEviiiT16_PT17_ilSA_ilS8_SA_ilPT18_ili26rocblas_geam_ex_operation_.private_seg_size, 0
	.set _ZN12_GLOBAL__N_120geam_min_plus_kernelIf15HIP_vector_typeIfLj2EEfLi8ELi32ELi64ELi256ELi4ELi4ELi64ELi64ELi4ELc84ELc84ELb0ELb0ELb1EPKfKS4_KPfEEviiiT16_PT17_ilSA_ilS8_SA_ilPT18_ili26rocblas_geam_ex_operation_.uses_vcc, 1
	.set _ZN12_GLOBAL__N_120geam_min_plus_kernelIf15HIP_vector_typeIfLj2EEfLi8ELi32ELi64ELi256ELi4ELi4ELi64ELi64ELi4ELc84ELc84ELb0ELb0ELb1EPKfKS4_KPfEEviiiT16_PT17_ilSA_ilS8_SA_ilPT18_ili26rocblas_geam_ex_operation_.uses_flat_scratch, 0
	.set _ZN12_GLOBAL__N_120geam_min_plus_kernelIf15HIP_vector_typeIfLj2EEfLi8ELi32ELi64ELi256ELi4ELi4ELi64ELi64ELi4ELc84ELc84ELb0ELb0ELb1EPKfKS4_KPfEEviiiT16_PT17_ilSA_ilS8_SA_ilPT18_ili26rocblas_geam_ex_operation_.has_dyn_sized_stack, 0
	.set _ZN12_GLOBAL__N_120geam_min_plus_kernelIf15HIP_vector_typeIfLj2EEfLi8ELi32ELi64ELi256ELi4ELi4ELi64ELi64ELi4ELc84ELc84ELb0ELb0ELb1EPKfKS4_KPfEEviiiT16_PT17_ilSA_ilS8_SA_ilPT18_ili26rocblas_geam_ex_operation_.has_recursion, 0
	.set _ZN12_GLOBAL__N_120geam_min_plus_kernelIf15HIP_vector_typeIfLj2EEfLi8ELi32ELi64ELi256ELi4ELi4ELi64ELi64ELi4ELc84ELc84ELb0ELb0ELb1EPKfKS4_KPfEEviiiT16_PT17_ilSA_ilS8_SA_ilPT18_ili26rocblas_geam_ex_operation_.has_indirect_call, 0
	.section	.AMDGPU.csdata,"",@progbits
; Kernel info:
; codeLenInByte = 16652
; TotalNumSgprs: 34
; NumVgprs: 158
; NumAgprs: 0
; TotalNumVgprs: 158
; ScratchSize: 0
; MemoryBound: 0
; FloatMode: 240
; IeeeMode: 1
; LDSByteSize: 10240 bytes/workgroup (compile time only)
; SGPRBlocks: 4
; VGPRBlocks: 19
; NumSGPRsForWavesPerEU: 34
; NumVGPRsForWavesPerEU: 158
; AccumOffset: 160
; Occupancy: 3
; WaveLimiterHint : 1
; COMPUTE_PGM_RSRC2:SCRATCH_EN: 0
; COMPUTE_PGM_RSRC2:USER_SGPR: 2
; COMPUTE_PGM_RSRC2:TRAP_HANDLER: 0
; COMPUTE_PGM_RSRC2:TGID_X_EN: 1
; COMPUTE_PGM_RSRC2:TGID_Y_EN: 0
; COMPUTE_PGM_RSRC2:TGID_Z_EN: 1
; COMPUTE_PGM_RSRC2:TIDIG_COMP_CNT: 1
; COMPUTE_PGM_RSRC3_GFX90A:ACCUM_OFFSET: 39
; COMPUTE_PGM_RSRC3_GFX90A:TG_SPLIT: 0
	.section	.text._ZN12_GLOBAL__N_120geam_min_plus_kernelIf15HIP_vector_typeIfLj2EEfLi8ELi32ELi64ELi256ELi4ELi4ELi64ELi64ELi4ELc84ELc84ELb1ELb0ELb1EfKPKfKPfEEviiiT16_PT17_ilSA_ilS8_SA_ilPT18_ili26rocblas_geam_ex_operation_,"axG",@progbits,_ZN12_GLOBAL__N_120geam_min_plus_kernelIf15HIP_vector_typeIfLj2EEfLi8ELi32ELi64ELi256ELi4ELi4ELi64ELi64ELi4ELc84ELc84ELb1ELb0ELb1EfKPKfKPfEEviiiT16_PT17_ilSA_ilS8_SA_ilPT18_ili26rocblas_geam_ex_operation_,comdat
	.globl	_ZN12_GLOBAL__N_120geam_min_plus_kernelIf15HIP_vector_typeIfLj2EEfLi8ELi32ELi64ELi256ELi4ELi4ELi64ELi64ELi4ELc84ELc84ELb1ELb0ELb1EfKPKfKPfEEviiiT16_PT17_ilSA_ilS8_SA_ilPT18_ili26rocblas_geam_ex_operation_ ; -- Begin function _ZN12_GLOBAL__N_120geam_min_plus_kernelIf15HIP_vector_typeIfLj2EEfLi8ELi32ELi64ELi256ELi4ELi4ELi64ELi64ELi4ELc84ELc84ELb1ELb0ELb1EfKPKfKPfEEviiiT16_PT17_ilSA_ilS8_SA_ilPT18_ili26rocblas_geam_ex_operation_
	.p2align	8
	.type	_ZN12_GLOBAL__N_120geam_min_plus_kernelIf15HIP_vector_typeIfLj2EEfLi8ELi32ELi64ELi256ELi4ELi4ELi64ELi64ELi4ELc84ELc84ELb1ELb0ELb1EfKPKfKPfEEviiiT16_PT17_ilSA_ilS8_SA_ilPT18_ili26rocblas_geam_ex_operation_,@function
_ZN12_GLOBAL__N_120geam_min_plus_kernelIf15HIP_vector_typeIfLj2EEfLi8ELi32ELi64ELi256ELi4ELi4ELi64ELi64ELi4ELc84ELc84ELb1ELb0ELb1EfKPKfKPfEEviiiT16_PT17_ilSA_ilS8_SA_ilPT18_ili26rocblas_geam_ex_operation_: ; @_ZN12_GLOBAL__N_120geam_min_plus_kernelIf15HIP_vector_typeIfLj2EEfLi8ELi32ELi64ELi256ELi4ELi4ELi64ELi64ELi4ELc84ELc84ELb1ELb0ELb1EfKPKfKPfEEviiiT16_PT17_ilSA_ilS8_SA_ilPT18_ili26rocblas_geam_ex_operation_
; %bb.0:
	s_load_dwordx2 s[14:15], s[0:1], 0x8
	s_load_dwordx4 s[4:7], s[0:1], 0x20
	s_mov_b32 s8, s3
	s_mov_b32 s9, 0
	s_waitcnt lgkmcnt(0)
	v_cmp_eq_f32_e64 s[10:11], s15, 0
	s_and_b64 vcc, exec, s[10:11]
	s_cbranch_vccnz .LBB22_3
; %bb.1:
	s_load_dwordx2 s[12:13], s[0:1], 0x10
	s_lshl_b64 s[16:17], s[8:9], 3
	s_waitcnt lgkmcnt(0)
	s_add_u32 s12, s12, s16
	s_addc_u32 s13, s13, s17
	s_load_dwordx2 s[12:13], s[12:13], 0x0
	s_lshl_b64 s[4:5], s[4:5], 2
	s_waitcnt lgkmcnt(0)
	s_add_u32 s16, s12, s4
	s_addc_u32 s17, s13, s5
	s_andn2_b64 vcc, exec, s[10:11]
	s_cbranch_vccnz .LBB22_4
.LBB22_2:
	s_mov_b32 s21, 0
	s_mov_b32 s20, s8
	s_mov_b64 s[12:13], 0
	s_mov_b64 s[18:19], 0
	s_cbranch_execz .LBB22_5
	s_branch .LBB22_6
.LBB22_3:
	s_mov_b64 s[16:17], 0
	s_andn2_b64 vcc, exec, s[10:11]
	s_cbranch_vccz .LBB22_2
.LBB22_4:
	s_mov_b64 s[20:21], s[8:9]
	s_mov_b64 s[12:13], 0
	;; [unrolled: 1-line block ×3, first 2 shown]
.LBB22_5:
	s_lshl_b64 s[8:9], s[8:9], 3
	s_add_u32 s6, s6, s8
	s_load_dwordx2 s[4:5], s[0:1], 0x38
	s_addc_u32 s7, s7, s9
	s_load_dwordx2 s[6:7], s[6:7], 0x0
	s_waitcnt lgkmcnt(0)
	s_lshl_b64 s[4:5], s[4:5], 2
	s_add_u32 s18, s6, s4
	s_addc_u32 s19, s7, s5
.LBB22_6:
	s_load_dword s15, s[0:1], 0x40
	s_load_dwordx4 s[8:11], s[0:1], 0x58
	s_waitcnt lgkmcnt(0)
	v_cmp_eq_f32_e64 s[4:5], s15, 0
	s_and_b64 s[4:5], exec, s[4:5]
	s_mov_b64 vcc, s[4:5]
	s_cbranch_vccnz .LBB22_8
; %bb.7:
	s_load_dwordx2 s[6:7], s[0:1], 0x48
	s_lshl_b64 s[12:13], s[20:21], 3
	s_waitcnt lgkmcnt(0)
	s_add_u32 s6, s6, s12
	s_addc_u32 s7, s7, s13
	s_load_dwordx2 s[6:7], s[6:7], 0x0
	s_lshl_b64 s[8:9], s[8:9], 2
	s_waitcnt lgkmcnt(0)
	s_add_u32 s12, s6, s8
	s_addc_u32 s13, s7, s9
.LBB22_8:
	s_load_dword s3, s[0:1], 0x0
	s_lshl_b64 s[6:7], s[20:21], 3
	s_add_u32 s6, s10, s6
	s_addc_u32 s7, s11, s7
	s_load_dword s9, s[0:1], 0x18
	s_load_dword s8, s[0:1], 0x30
	s_waitcnt lgkmcnt(0)
	s_add_i32 s3, s3, -1
	s_ashr_i32 s10, s3, 31
	s_lshr_b32 s10, s10, 26
	s_add_i32 s3, s3, s10
	s_ashr_i32 s3, s3, 6
	s_add_i32 s10, s3, 1
	v_cvt_f32_u32_e32 v1, s10
	s_not_b32 s3, s3
	v_and_b32_e32 v72, 0x3ff, v0
	v_bfe_u32 v73, v0, 10, 10
	v_rcp_iflag_f32_e32 v1, v1
	v_lshl_add_u32 v2, v73, 3, v72
	v_lshrrev_b32_e32 v6, 2, v2
	v_and_b32_e32 v7, 63, v2
	v_mul_f32_e32 v1, 0x4f7ffffe, v1
	v_cvt_u32_f32_e32 v1, v1
	v_lshlrev_b32_e32 v0, 2, v0
	v_lshrrev_b32_e32 v62, 6, v2
	v_and_b32_e32 v58, 12, v0
	v_readfirstlane_b32 s11, v1
	s_mul_i32 s3, s3, s11
	s_mul_hi_u32 s3, s11, s3
	s_add_i32 s11, s11, s3
	s_mul_hi_u32 s3, s2, s11
	s_mul_i32 s11, s3, s10
	s_sub_i32 s11, s2, s11
	s_add_i32 s20, s3, 1
	s_sub_i32 s21, s11, s10
	s_cmp_ge_u32 s11, s10
	s_cselect_b32 s3, s20, s3
	s_cselect_b32 s11, s21, s11
	s_add_i32 s20, s3, 1
	s_cmp_ge_u32 s11, s10
	s_cselect_b32 s3, s20, s3
	s_mul_i32 s10, s3, s10
	s_sub_i32 s2, s2, s10
	s_lshl_b32 s10, s2, 6
	v_add_u32_e32 v1, s10, v6
	s_lshl_b32 s11, s3, 8
	v_mad_i64_i32 v[56:57], s[2:3], v1, s9, 0
	v_lshl_add_u64 v[2:3], v[56:57], 2, s[16:17]
	v_mov_b32_e32 v59, 0
	v_or_b32_e32 v60, s11, v7
	v_lshl_add_u64 v[0:1], v[2:3], 0, v[58:59]
	v_mad_i64_i32 v[2:3], s[2:3], s8, v62, 0
	v_ashrrev_i32_e32 v61, 31, v60
	v_lshl_add_u64 v[2:3], v[2:3], 2, s[18:19]
	v_lshlrev_b64 v[4:5], 2, v[60:61]
	v_lshl_add_u64 v[2:3], v[2:3], 0, v[4:5]
	flat_load_dword v8, v[2:3]
	flat_load_dword v9, v[2:3] offset:256
	flat_load_dword v10, v[2:3] offset:512
	;; [unrolled: 1-line block ×3, first 2 shown]
	flat_load_dword v12, v[0:1]
	v_add_u32_e32 v2, 4, v62
	v_lshlrev_b32_e32 v3, 4, v7
	s_load_dwordx2 s[2:3], s[6:7], 0x0
	v_lshl_add_u32 v76, v62, 2, v3
	v_mad_i64_i32 v[2:3], s[6:7], s8, v2, 0
	v_lshl_add_u64 v[2:3], v[2:3], 2, s[18:19]
	v_lshlrev_b32_e32 v75, 4, v72
	v_lshl_add_u64 v[2:3], v[2:3], 0, v[4:5]
	v_lshlrev_b32_e32 v74, 4, v73
	v_lshl_or_b32 v58, v6, 4, v58
	flat_load_dword v63, v[2:3]
	flat_load_dword v64, v[2:3] offset:256
	flat_load_dword v65, v[2:3] offset:512
	;; [unrolled: 1-line block ×4, first 2 shown]
	s_mov_b32 s9, 0x7f7fffff
	s_cmp_lt_i32 s14, 9
	s_waitcnt vmcnt(0) lgkmcnt(0)
	ds_write2st64_b32 v76, v8, v9 offset1:4
	ds_write2st64_b32 v76, v10, v11 offset0:8 offset1:12
	ds_write_b32 v58, v12 offset:8192
	s_waitcnt lgkmcnt(0)
	s_barrier
	ds_read_b128 v[28:31], v75 offset:8192
	ds_read_b128 v[24:27], v75 offset:8320
	;; [unrolled: 1-line block ×8, first 2 shown]
	ds_read_b128 v[52:55], v74
	ds_read_b128 v[48:51], v74 offset:512
	ds_read_b128 v[44:47], v74 offset:1024
	;; [unrolled: 1-line block ×5, first 2 shown]
	s_waitcnt lgkmcnt(5)
	v_pk_add_f32 v[68:69], v[28:29], v[52:53]
	v_pk_add_f32 v[70:71], v[24:25], v[52:53]
	;; [unrolled: 1-line block ×3, first 2 shown]
	s_waitcnt lgkmcnt(4)
	v_pk_add_f32 v[88:89], v[28:29], v[48:49]
	v_pk_add_f32 v[90:91], v[24:25], v[48:49]
	;; [unrolled: 1-line block ×8, first 2 shown]
	v_min3_f32 v68, v68, v69, s9
	v_min3_f32 v69, v70, v71, s9
	;; [unrolled: 1-line block ×5, first 2 shown]
	s_waitcnt lgkmcnt(3)
	v_pk_add_f32 v[48:49], v[28:29], v[44:45]
	v_pk_add_f32 v[82:83], v[12:13], v[52:53]
	v_min3_f32 v93, v48, v49, s9
	v_pk_add_f32 v[48:49], v[24:25], v[44:45]
	v_min3_f32 v77, v82, v83, s9
	v_min3_f32 v82, v94, v95, s9
	v_min3_f32 v94, v48, v49, s9
	v_pk_add_f32 v[48:49], v[20:21], v[44:45]
	v_pk_add_f32 v[78:79], v[20:21], v[52:53]
	;; [unrolled: 1-line block ×5, first 2 shown]
	v_min3_f32 v95, v48, v49, s9
	v_pk_add_f32 v[48:49], v[16:17], v[44:45]
	v_min3_f32 v52, v52, v53, s9
	v_min3_f32 v53, v88, v89, s9
	;; [unrolled: 1-line block ×4, first 2 shown]
	v_pk_add_f32 v[48:49], v[12:13], v[44:45]
	v_min3_f32 v80, v90, v91, s9
	v_min3_f32 v97, v48, v49, s9
	v_pk_add_f32 v[48:49], v[8:9], v[44:45]
	v_min3_f32 v90, v98, v99, s9
	v_min3_f32 v98, v48, v49, s9
	v_pk_add_f32 v[48:49], v[4:5], v[44:45]
	v_pk_add_f32 v[44:45], v[0:1], v[44:45]
	v_min3_f32 v91, v100, v101, s9
	v_min3_f32 v99, v44, v45, s9
	s_waitcnt lgkmcnt(2)
	v_pk_add_f32 v[44:45], v[28:29], v[40:41]
	v_min3_f32 v70, v78, v79, s9
	v_min3_f32 v100, v44, v45, s9
	v_pk_add_f32 v[44:45], v[24:25], v[40:41]
	v_min3_f32 v79, v86, v87, s9
	v_min3_f32 v101, v44, v45, s9
	;; [unrolled: 3-line block ×4, first 2 shown]
	v_pk_add_f32 v[44:45], v[12:13], v[40:41]
	s_nop 0
	v_min3_f32 v104, v44, v45, s9
	v_pk_add_f32 v[44:45], v[8:9], v[40:41]
	s_nop 0
	v_min3_f32 v105, v44, v45, s9
	v_pk_add_f32 v[44:45], v[4:5], v[40:41]
	v_pk_add_f32 v[40:41], v[0:1], v[40:41]
	v_min3_f32 v106, v44, v45, s9
	v_min3_f32 v107, v40, v41, s9
	s_waitcnt lgkmcnt(1)
	v_pk_add_f32 v[40:41], v[28:29], v[36:37]
	s_nop 0
	v_min3_f32 v108, v40, v41, s9
	v_pk_add_f32 v[40:41], v[24:25], v[36:37]
	s_nop 0
	v_min3_f32 v109, v40, v41, s9
	;; [unrolled: 3-line block ×6, first 2 shown]
	v_pk_add_f32 v[40:41], v[4:5], v[36:37]
	v_pk_add_f32 v[36:37], v[0:1], v[36:37]
	v_min3_f32 v114, v40, v41, s9
	v_min3_f32 v115, v36, v37, s9
	s_waitcnt lgkmcnt(0)
	v_pk_add_f32 v[36:37], v[28:29], v[32:33]
	v_pk_add_f32 v[40:41], v[16:17], v[32:33]
	v_min3_f32 v116, v36, v37, s9
	v_pk_add_f32 v[36:37], v[30:31], v[54:55]
	s_nop 0
	v_min3_f32 v88, v36, v37, v68
	v_pk_add_f32 v[36:37], v[26:27], v[54:55]
	s_nop 0
	;; [unrolled: 3-line block ×9, first 2 shown]
	v_min3_f32 v69, v36, v37, s9
	v_pk_add_f32 v[36:37], v[2:3], v[54:55]
	v_min3_f32 v54, v40, v41, s9
	v_min3_f32 v147, v36, v37, v52
	v_pk_add_f32 v[36:37], v[30:31], v[50:51]
	v_pk_add_f32 v[40:41], v[12:13], v[32:33]
	v_min3_f32 v148, v36, v37, v53
	v_pk_add_f32 v[36:37], v[26:27], v[50:51]
	v_min3_f32 v40, v40, v41, s9
	v_min3_f32 v145, v36, v37, v80
	v_pk_add_f32 v[36:37], v[22:23], v[50:51]
	s_nop 0
	v_min3_f32 v146, v36, v37, v81
	v_pk_add_f32 v[36:37], v[18:19], v[50:51]
	s_nop 0
	v_min3_f32 v143, v36, v37, v82
	v_pk_add_f32 v[36:37], v[14:15], v[50:51]
	s_nop 0
	v_min3_f32 v144, v36, v37, v89
	v_pk_add_f32 v[36:37], v[10:11], v[50:51]
	s_nop 0
	v_min3_f32 v140, v36, v37, v90
	v_pk_add_f32 v[36:37], v[6:7], v[50:51]
	s_nop 0
	v_min3_f32 v142, v36, v37, v91
	v_pk_add_f32 v[36:37], v[8:9], v[32:33]
	s_nop 0
	v_min3_f32 v41, v36, v37, s9
	v_pk_add_f32 v[36:37], v[4:5], v[32:33]
	v_pk_add_f32 v[32:33], v[0:1], v[32:33]
	v_min3_f32 v52, v36, v37, s9
	v_pk_add_f32 v[36:37], v[2:3], v[50:51]
	v_min3_f32 v53, v32, v33, s9
	v_min3_f32 v138, v36, v37, v92
	v_pk_add_f32 v[36:37], v[30:31], v[46:47]
	s_nop 0
	v_min3_f32 v141, v36, v37, v93
	v_pk_add_f32 v[36:37], v[26:27], v[46:47]
	s_nop 0
	;; [unrolled: 3-line block ×7, first 2 shown]
	v_min3_f32 v128, v36, v37, v48
	ds_read_b128 v[48:51], v74 offset:3072
	v_pk_add_f32 v[36:37], v[2:3], v[46:47]
	ds_read_b128 v[44:47], v74 offset:3584
	v_min3_f32 v135, v36, v37, v99
	ds_write_b32 v58, v67 offset:9216
	ds_write2st64_b32 v76, v63, v64 offset0:16 offset1:20
	ds_write2st64_b32 v76, v65, v66 offset0:24 offset1:28
	s_waitcnt lgkmcnt(4)
	v_pk_add_f32 v[32:33], v[28:29], v[48:49]
	v_pk_add_f32 v[36:37], v[16:17], v[48:49]
	v_min3_f32 v55, v32, v33, s9
	v_pk_add_f32 v[32:33], v[30:31], v[42:43]
	s_waitcnt lgkmcnt(3)
	v_pk_add_f32 v[28:29], v[28:29], v[44:45]
	v_min3_f32 v139, v32, v33, v100
	v_pk_add_f32 v[32:33], v[26:27], v[42:43]
	v_pk_add_f32 v[16:17], v[16:17], v[44:45]
	v_min3_f32 v133, v32, v33, v101
	v_pk_add_f32 v[32:33], v[22:23], v[42:43]
	v_min3_f32 v16, v16, v17, s9
	v_min3_f32 v134, v32, v33, v102
	v_pk_add_f32 v[32:33], v[18:19], v[42:43]
	s_waitcnt lgkmcnt(0)
	v_min3_f32 v129, v32, v33, v103
	v_pk_add_f32 v[32:33], v[14:15], v[42:43]
	s_barrier
	v_min3_f32 v130, v32, v33, v104
	v_pk_add_f32 v[32:33], v[10:11], v[42:43]
	s_nop 0
	v_min3_f32 v125, v32, v33, v105
	v_pk_add_f32 v[32:33], v[6:7], v[42:43]
	s_nop 0
	v_min3_f32 v126, v32, v33, v106
	v_pk_add_f32 v[32:33], v[24:25], v[48:49]
	v_pk_add_f32 v[24:25], v[24:25], v[44:45]
	v_min3_f32 v70, v32, v33, s9
	v_pk_add_f32 v[32:33], v[20:21], v[48:49]
	v_min3_f32 v24, v24, v25, s9
	v_min3_f32 v71, v32, v33, s9
	v_pk_add_f32 v[32:33], v[2:3], v[42:43]
	v_min3_f32 v42, v36, v37, s9
	v_min3_f32 v123, v32, v33, v107
	v_pk_add_f32 v[32:33], v[30:31], v[38:39]
	v_pk_add_f32 v[36:37], v[12:13], v[48:49]
	v_min3_f32 v124, v32, v33, v108
	v_pk_add_f32 v[32:33], v[26:27], v[38:39]
	v_min3_f32 v36, v36, v37, s9
	v_min3_f32 v121, v32, v33, v109
	v_pk_add_f32 v[32:33], v[22:23], v[38:39]
	v_pk_add_f32 v[12:13], v[12:13], v[44:45]
	v_min3_f32 v122, v32, v33, v110
	v_pk_add_f32 v[32:33], v[18:19], v[38:39]
	v_pk_add_f32 v[20:21], v[20:21], v[44:45]
	v_min3_f32 v119, v32, v33, v111
	v_pk_add_f32 v[32:33], v[14:15], v[38:39]
	v_min3_f32 v12, v12, v13, s9
	v_min3_f32 v120, v32, v33, v112
	v_pk_add_f32 v[32:33], v[10:11], v[38:39]
	v_min3_f32 v25, v20, v21, s9
	v_min3_f32 v117, v32, v33, v113
	v_pk_add_f32 v[32:33], v[6:7], v[38:39]
	v_pk_add_f32 v[20:21], v[2:3], v[50:51]
	v_min3_f32 v118, v32, v33, v114
	v_pk_add_f32 v[32:33], v[8:9], v[48:49]
	v_pk_add_f32 v[8:9], v[8:9], v[44:45]
	v_min3_f32 v37, v32, v33, s9
	v_pk_add_f32 v[32:33], v[4:5], v[48:49]
	v_min3_f32 v8, v8, v9, s9
	v_min3_f32 v43, v32, v33, s9
	v_pk_add_f32 v[32:33], v[2:3], v[38:39]
	v_pk_add_f32 v[4:5], v[4:5], v[44:45]
	v_min3_f32 v115, v32, v33, v115
	v_pk_add_f32 v[32:33], v[30:31], v[34:35]
	v_min3_f32 v9, v4, v5, s9
	v_min3_f32 v116, v32, v33, v116
	v_pk_add_f32 v[32:33], v[26:27], v[34:35]
	v_pk_add_f32 v[4:5], v[30:31], v[46:47]
	v_min3_f32 v113, v32, v33, v68
	v_pk_add_f32 v[32:33], v[22:23], v[34:35]
	s_nop 0
	v_min3_f32 v114, v32, v33, v69
	v_pk_add_f32 v[32:33], v[18:19], v[34:35]
	s_nop 0
	;; [unrolled: 3-line block ×5, first 2 shown]
	v_min3_f32 v109, v32, v33, v52
	v_pk_add_f32 v[32:33], v[2:3], v[34:35]
	v_pk_add_f32 v[34:35], v[0:1], v[48:49]
	;; [unrolled: 1-line block ×3, first 2 shown]
	v_min3_f32 v34, v34, v35, s9
	v_min3_f32 v35, v28, v29, s9
	v_pk_add_f32 v[28:29], v[30:31], v[50:51]
	v_min3_f32 v13, v0, v1, s9
	v_pk_add_f32 v[0:1], v[26:27], v[46:47]
	;; [unrolled: 2-line block ×14, first 2 shown]
	v_min3_f32 v107, v32, v33, v53
	v_min3_f32 v102, v28, v29, v43
	;; [unrolled: 1-line block ×5, first 2 shown]
	s_cbranch_scc1 .LBB22_11
; %bb.9:
	v_mov_b32_e32 v0, 0x2400
	v_lshl_add_u32 v81, v72, 4, v0
	v_mov_b32_e32 v0, 0x1000
	v_lshl_add_u32 v82, v73, 4, v0
	v_add_u32_e32 v0, 12, v62
	v_mad_i64_i32 v[0:1], s[6:7], v0, s8, 0
	v_lshlrev_b64 v[66:67], 2, v[0:1]
	v_and_b32_e32 v0, 3, v72
	v_add_u32_e32 v77, 0x2000, v58
	v_add_u32_e32 v79, 0x2400, v58
	v_lshlrev_b32_e32 v58, 2, v0
	v_lshl_add_u64 v[0:1], v[56:57], 2, v[58:59]
	v_lshl_add_u64 v[0:1], s[16:17], 0, v[0:1]
	s_ashr_i32 s9, s8, 31
	v_lshl_add_u64 v[68:69], v[0:1], 0, 32
	v_add_u32_e32 v0, 8, v62
	s_lshl_b64 s[6:7], s[8:9], 5
	v_mad_i64_i32 v[0:1], s[8:9], v0, s8, 0
	v_add_u32_e32 v78, 0x2000, v75
	v_or_b32_e32 v80, 0x1000, v76
	s_add_i32 s14, s14, -8
	v_lshl_add_u64 v[64:65], v[60:61], 2, s[18:19]
	v_lshlrev_b64 v[70:71], 2, v[0:1]
	s_mov_b32 s8, 0
.LBB22_10:                              ; =>This Inner Loop Header: Depth=1
	v_lshl_add_u64 v[0:1], v[64:65], 0, v[70:71]
	flat_load_dword v151, v[68:69]
	flat_load_dword v89, v[0:1]
	flat_load_dword v90, v[0:1] offset:256
	flat_load_dword v91, v[0:1] offset:512
	;; [unrolled: 1-line block ×3, first 2 shown]
	ds_read_b128 v[32:35], v81
	ds_read_b128 v[24:27], v81 offset:128
	ds_read_b128 v[20:23], v81 offset:256
	;; [unrolled: 1-line block ×7, first 2 shown]
	ds_read_b128 v[60:63], v82
	ds_read_b128 v[56:59], v82 offset:512
	ds_read_b128 v[52:55], v82 offset:1024
	;; [unrolled: 1-line block ×7, first 2 shown]
	s_waitcnt lgkmcnt(0)
	v_pk_add_f32 v[152:153], v[32:33], v[60:61]
	s_add_i32 s8, s8, 8
	v_min3_f32 v88, v152, v153, v88
	v_pk_add_f32 v[152:153], v[24:25], v[60:61]
	s_cmp_ge_i32 s8, s14
	v_min3_f32 v154, v152, v153, v87
	v_pk_add_f32 v[152:153], v[20:21], v[60:61]
	s_waitcnt vmcnt(0)
	ds_write_b32 v77, v151
	ds_write2st64_b32 v76, v89, v90 offset1:4
	ds_write2st64_b32 v76, v91, v150 offset0:8 offset1:12
	v_min3_f32 v149, v152, v153, v149
	v_pk_add_f32 v[152:153], v[16:17], v[60:61]
	s_waitcnt lgkmcnt(0)
	v_min3_f32 v155, v152, v153, v83
	v_pk_add_f32 v[152:153], v[12:13], v[60:61]
	s_barrier
	v_min3_f32 v152, v152, v153, v86
	v_pk_add_f32 v[86:87], v[8:9], v[60:61]
	s_nop 0
	v_min3_f32 v153, v86, v87, v84
	v_pk_add_f32 v[86:87], v[4:5], v[60:61]
	v_pk_add_f32 v[60:61], v[0:1], v[60:61]
	v_min3_f32 v156, v86, v87, v85
	v_min3_f32 v147, v60, v61, v147
	v_pk_add_f32 v[60:61], v[32:33], v[56:57]
	v_pk_add_f32 v[86:87], v[4:5], v[36:37]
	v_min3_f32 v148, v60, v61, v148
	v_pk_add_f32 v[60:61], v[24:25], v[56:57]
	flat_load_dword v89, v[68:69] offset:16
	v_min3_f32 v145, v60, v61, v145
	v_pk_add_f32 v[60:61], v[20:21], v[56:57]
	v_lshl_add_u64 v[68:69], v[68:69], 0, 32
	v_min3_f32 v146, v60, v61, v146
	v_pk_add_f32 v[60:61], v[16:17], v[56:57]
	s_nop 0
	v_min3_f32 v157, v60, v61, v143
	v_pk_add_f32 v[60:61], v[12:13], v[56:57]
	s_nop 0
	v_min3_f32 v158, v60, v61, v144
	v_pk_add_f32 v[60:61], v[8:9], v[56:57]
	s_nop 0
	v_min3_f32 v159, v60, v61, v140
	v_pk_add_f32 v[60:61], v[4:5], v[56:57]
	v_pk_add_f32 v[56:57], v[0:1], v[56:57]
	v_min3_f32 v160, v60, v61, v142
	v_min3_f32 v161, v56, v57, v138
	v_pk_add_f32 v[56:57], v[32:33], v[52:53]
	s_nop 0
	v_min3_f32 v144, v56, v57, v141
	v_pk_add_f32 v[56:57], v[24:25], v[52:53]
	s_nop 0
	v_min3_f32 v143, v56, v57, v136
	v_pk_add_f32 v[56:57], v[20:21], v[52:53]
	s_nop 0
	v_min3_f32 v142, v56, v57, v137
	v_pk_add_f32 v[56:57], v[16:17], v[52:53]
	s_nop 0
	v_min3_f32 v141, v56, v57, v131
	v_pk_add_f32 v[56:57], v[12:13], v[52:53]
	s_nop 0
	v_min3_f32 v140, v56, v57, v132
	v_pk_add_f32 v[56:57], v[8:9], v[52:53]
	s_nop 0
	v_min3_f32 v138, v56, v57, v127
	v_pk_add_f32 v[56:57], v[4:5], v[52:53]
	v_pk_add_f32 v[52:53], v[0:1], v[52:53]
	v_min3_f32 v137, v56, v57, v128
	v_min3_f32 v136, v52, v53, v135
	v_pk_add_f32 v[52:53], v[32:33], v[48:49]
	s_nop 0
	v_min3_f32 v135, v52, v53, v139
	v_pk_add_f32 v[52:53], v[24:25], v[48:49]
	s_nop 0
	v_min3_f32 v132, v52, v53, v133
	v_pk_add_f32 v[52:53], v[20:21], v[48:49]
	s_nop 0
	;; [unrolled: 22-line block ×4, first 2 shown]
	v_min3_f32 v83, v44, v45, v114
	v_pk_add_f32 v[44:45], v[16:17], v[40:41]
	s_nop 0
	v_min3_f32 v61, v44, v45, v111
	v_pk_add_f32 v[44:45], v[12:13], v[40:41]
	s_nop 0
	;; [unrolled: 3-line block ×3, first 2 shown]
	v_min3_f32 v57, v44, v45, v108
	v_pk_add_f32 v[44:45], v[4:5], v[40:41]
	v_pk_add_f32 v[40:41], v[0:1], v[40:41]
	v_min3_f32 v56, v44, v45, v109
	v_min3_f32 v53, v40, v41, v107
	v_pk_add_f32 v[40:41], v[32:33], v[36:37]
	v_pk_add_f32 v[32:33], v[32:33], v[28:29]
	v_min3_f32 v52, v40, v41, v110
	v_pk_add_f32 v[40:41], v[24:25], v[36:37]
	v_pk_add_f32 v[24:25], v[24:25], v[28:29]
	;; [unrolled: 3-line block ×6, first 2 shown]
	v_pk_add_f32 v[8:9], v[8:9], v[28:29]
	v_pk_add_f32 v[4:5], v[4:5], v[28:29]
	v_pk_add_f32 v[0:1], v[0:1], v[28:29]
	v_pk_add_f32 v[28:29], v[34:35], v[62:63]
	v_min3_f32 v36, v36, v37, v99
	v_min3_f32 v99, v28, v29, v88
	v_pk_add_f32 v[28:29], v[26:27], v[62:63]
	v_min3_f32 v0, v0, v1, v98
	v_min3_f32 v98, v28, v29, v154
	v_pk_add_f32 v[28:29], v[22:23], v[62:63]
	;; [unrolled: 3-line block ×11, first 2 shown]
	s_nop 0
	v_min3_f32 v100, v28, v29, v157
	v_pk_add_f32 v[28:29], v[14:15], v[58:59]
	s_nop 0
	v_min3_f32 v101, v28, v29, v158
	v_pk_add_f32 v[28:29], v[10:11], v[58:59]
	;; [unrolled: 3-line block ×38, first 2 shown]
	v_pk_add_f32 v[26:27], v[26:27], v[30:31]
	v_min3_f32 v154, v28, v29, v49
	v_pk_add_f32 v[28:29], v[22:23], v[38:39]
	v_pk_add_f32 v[22:23], v[22:23], v[30:31]
	v_min3_f32 v155, v28, v29, v48
	v_pk_add_f32 v[28:29], v[18:19], v[38:39]
	;; [unrolled: 3-line block ×7, first 2 shown]
	v_min3_f32 v168, v2, v3, v0
	v_lshl_add_u64 v[0:1], v[64:65], 0, v[66:67]
	v_min3_f32 v161, v28, v29, v32
	v_min3_f32 v162, v26, v27, v24
	;; [unrolled: 1-line block ×7, first 2 shown]
	flat_load_dword v90, v[0:1]
	flat_load_dword v91, v[0:1] offset:256
	flat_load_dword v150, v[0:1] offset:512
	;; [unrolled: 1-line block ×3, first 2 shown]
	ds_read_b128 v[28:31], v78
	ds_read_b128 v[24:27], v78 offset:128
	ds_read_b128 v[20:23], v78 offset:256
	;; [unrolled: 1-line block ×7, first 2 shown]
	ds_read_b128 v[60:63], v74
	ds_read_b128 v[56:59], v74 offset:512
	ds_read_b128 v[52:55], v74 offset:1024
	;; [unrolled: 1-line block ×7, first 2 shown]
	s_waitcnt lgkmcnt(0)
	v_pk_add_f32 v[84:85], v[28:29], v[60:61]
	v_lshl_add_u64 v[64:65], v[64:65], 0, s[6:7]
	v_min3_f32 v169, v84, v85, v99
	v_pk_add_f32 v[84:85], v[24:25], v[60:61]
	s_waitcnt vmcnt(0)
	ds_write_b32 v79, v89
	ds_write2st64_b32 v80, v90, v91 offset1:4
	ds_write2st64_b32 v80, v150, v151 offset0:8 offset1:12
	v_min3_f32 v170, v84, v85, v98
	v_pk_add_f32 v[84:85], v[20:21], v[60:61]
	s_waitcnt lgkmcnt(0)
	v_min3_f32 v171, v84, v85, v95
	v_pk_add_f32 v[84:85], v[16:17], v[60:61]
	s_barrier
	v_min3_f32 v172, v84, v85, v94
	v_pk_add_f32 v[84:85], v[12:13], v[60:61]
	s_nop 0
	v_min3_f32 v173, v84, v85, v92
	v_pk_add_f32 v[84:85], v[8:9], v[60:61]
	s_nop 0
	v_min3_f32 v174, v84, v85, v88
	v_pk_add_f32 v[84:85], v[4:5], v[60:61]
	v_pk_add_f32 v[60:61], v[0:1], v[60:61]
	v_min3_f32 v175, v84, v85, v87
	v_min3_f32 v176, v60, v61, v86
	v_pk_add_f32 v[60:61], v[28:29], v[56:57]
	v_pk_add_f32 v[84:85], v[4:5], v[36:37]
	v_min3_f32 v135, v60, v61, v93
	v_pk_add_f32 v[60:61], v[24:25], v[56:57]
	s_nop 0
	v_min3_f32 v134, v60, v61, v96
	v_pk_add_f32 v[60:61], v[20:21], v[56:57]
	s_nop 0
	v_min3_f32 v133, v60, v61, v97
	v_pk_add_f32 v[60:61], v[16:17], v[56:57]
	s_nop 0
	v_min3_f32 v124, v60, v61, v100
	v_pk_add_f32 v[60:61], v[12:13], v[56:57]
	s_nop 0
	v_min3_f32 v123, v60, v61, v101
	v_pk_add_f32 v[60:61], v[8:9], v[56:57]
	s_nop 0
	v_min3_f32 v122, v60, v61, v102
	v_pk_add_f32 v[60:61], v[4:5], v[56:57]
	v_pk_add_f32 v[56:57], v[0:1], v[56:57]
	v_min3_f32 v121, v60, v61, v103
	v_min3_f32 v120, v56, v57, v104
	v_pk_add_f32 v[56:57], v[28:29], v[52:53]
	s_nop 0
	v_min3_f32 v119, v56, v57, v105
	v_pk_add_f32 v[56:57], v[24:25], v[52:53]
	s_nop 0
	v_min3_f32 v117, v56, v57, v106
	v_pk_add_f32 v[56:57], v[20:21], v[52:53]
	s_nop 0
	v_min3_f32 v116, v56, v57, v107
	v_pk_add_f32 v[56:57], v[16:17], v[52:53]
	s_nop 0
	v_min3_f32 v115, v56, v57, v108
	v_pk_add_f32 v[56:57], v[12:13], v[52:53]
	s_nop 0
	v_min3_f32 v114, v56, v57, v109
	v_pk_add_f32 v[56:57], v[8:9], v[52:53]
	s_nop 0
	v_min3_f32 v113, v56, v57, v110
	v_pk_add_f32 v[56:57], v[4:5], v[52:53]
	v_pk_add_f32 v[52:53], v[0:1], v[52:53]
	v_min3_f32 v112, v56, v57, v111
	v_min3_f32 v111, v52, v53, v118
	v_pk_add_f32 v[52:53], v[28:29], v[48:49]
	s_nop 0
	;; [unrolled: 22-line block ×4, first 2 shown]
	v_min3_f32 v94, v44, v45, v144
	v_pk_add_f32 v[44:45], v[24:25], v[40:41]
	s_nop 0
	v_min3_f32 v93, v44, v45, v145
	v_pk_add_f32 v[44:45], v[20:21], v[40:41]
	s_nop 0
	;; [unrolled: 3-line block ×5, first 2 shown]
	v_min3_f32 v57, v44, v45, v148
	v_pk_add_f32 v[44:45], v[4:5], v[40:41]
	v_pk_add_f32 v[40:41], v[0:1], v[40:41]
	v_min3_f32 v56, v44, v45, v149
	v_min3_f32 v53, v40, v41, v152
	v_pk_add_f32 v[40:41], v[28:29], v[36:37]
	v_pk_add_f32 v[28:29], v[28:29], v[32:33]
	v_min3_f32 v52, v40, v41, v153
	v_pk_add_f32 v[40:41], v[24:25], v[36:37]
	v_pk_add_f32 v[24:25], v[24:25], v[32:33]
	;; [unrolled: 3-line block ×6, first 2 shown]
	v_pk_add_f32 v[8:9], v[8:9], v[32:33]
	v_pk_add_f32 v[4:5], v[4:5], v[32:33]
	;; [unrolled: 1-line block ×4, first 2 shown]
	v_min3_f32 v41, v40, v41, v158
	v_min3_f32 v88, v32, v33, v169
	v_pk_add_f32 v[32:33], v[26:27], v[62:63]
	v_min3_f32 v40, v84, v85, v159
	v_min3_f32 v87, v32, v33, v170
	v_pk_add_f32 v[32:33], v[22:23], v[62:63]
	;; [unrolled: 3-line block ×11, first 2 shown]
	s_nop 0
	v_min3_f32 v143, v32, v33, v124
	v_pk_add_f32 v[32:33], v[14:15], v[58:59]
	s_nop 0
	v_min3_f32 v144, v32, v33, v123
	v_pk_add_f32 v[32:33], v[10:11], v[58:59]
	;; [unrolled: 3-line block ×37, first 2 shown]
	v_pk_add_f32 v[30:31], v[30:31], v[34:35]
	v_min3_f32 v110, v32, v33, v52
	v_pk_add_f32 v[32:33], v[26:27], v[38:39]
	v_pk_add_f32 v[26:27], v[26:27], v[34:35]
	v_min3_f32 v105, v32, v33, v49
	v_pk_add_f32 v[32:33], v[22:23], v[38:39]
	;; [unrolled: 3-line block ×7, first 2 shown]
	v_pk_add_f32 v[2:3], v[2:3], v[34:35]
	v_min3_f32 v99, v32, v33, v36
	v_min3_f32 v100, v30, v31, v28
	;; [unrolled: 1-line block ×9, first 2 shown]
	s_cbranch_scc0 .LBB22_10
.LBB22_11:
	s_load_dwordx2 s[8:9], s[0:1], 0x70
	s_load_dword s6, s[0:1], 0x50
	s_load_dword s7, s[0:1], 0x68
	ds_read_b128 v[32:35], v75 offset:9216
	ds_read_b128 v[24:27], v75 offset:9344
	ds_read_b128 v[28:31], v75 offset:9472
	ds_read_b128 v[20:23], v75 offset:9600
	ds_read_b128 v[16:19], v75 offset:9728
	ds_read_b128 v[12:15], v75 offset:9856
	ds_read_b128 v[8:11], v75 offset:9984
	ds_read_b128 v[0:3], v75 offset:10112
	ds_read_b128 v[60:63], v74 offset:4096
	ds_read_b128 v[56:59], v74 offset:4608
	ds_read_b128 v[52:55], v74 offset:5120
	ds_read_b128 v[48:51], v74 offset:5632
	ds_read_b128 v[44:47], v74 offset:6144
	ds_read_b128 v[40:43], v74 offset:6656
	ds_read_b128 v[36:39], v74 offset:7168
	ds_read_b128 v[4:7], v74 offset:7680
	s_waitcnt lgkmcnt(0)
	s_lshl_b64 s[0:1], s[8:9], 2
	s_add_u32 s0, s2, s0
	v_pk_add_f32 v[64:65], v[32:33], v[60:61]
	v_add_u32_e32 v150, s11, v73
	v_min3_f32 v66, v64, v65, v88
	v_pk_add_f32 v[64:65], v[34:35], v[62:63]
	s_addc_u32 s1, s3, s1
	v_min3_f32 v68, v64, v65, v66
	v_add_u32_e32 v70, s10, v72
	v_mad_i64_i32 v[66:67], s[2:3], v150, s7, 0
	v_add_u32_e32 v64, 8, v70
	v_lshl_add_u64 v[88:89], v[66:67], 2, s[0:1]
	v_mad_i64_i32 v[66:67], s[2:3], v150, s6, 0
	v_ashrrev_i32_e32 v71, 31, v70
	v_ashrrev_i32_e32 v65, 31, v64
	s_mov_b64 s[2:3], -1
	v_max_f32_e32 v68, v68, v68
	s_mov_b64 vcc, s[4:5]
	s_cbranch_vccz .LBB22_13
; %bb.12:
	v_min_f32_e32 v69, 0, v68
	v_lshl_add_u64 v[72:73], v[70:71], 2, v[88:89]
	flat_store_dword v[72:73], v69
	s_mov_b64 s[2:3], 0
.LBB22_13:
	v_lshl_add_u64 v[90:91], v[66:67], 2, s[12:13]
	v_mov_b32_e32 v69, 0
	s_andn2_b64 vcc, exec, s[2:3]
	v_lshlrev_b64 v[76:77], 2, v[70:71]
	s_cbranch_vccnz .LBB22_15
; %bb.14:
	v_lshl_add_u64 v[66:67], v[90:91], 0, v[76:77]
	flat_load_dword v69, v[66:67]
	v_lshl_add_u64 v[66:67], v[88:89], 0, v[76:77]
	s_waitcnt vmcnt(0) lgkmcnt(0)
	v_mul_f32_e32 v69, s15, v69
	v_min_f32_e32 v68, v69, v68
	flat_store_dword v[66:67], v68
	v_lshl_add_u64 v[66:67], v[64:65], 2, v[90:91]
	flat_load_dword v66, v[66:67]
	s_waitcnt vmcnt(0) lgkmcnt(0)
	v_mul_f32_e32 v69, s15, v66
.LBB22_15:
	v_pk_add_f32 v[66:67], v[24:25], v[60:61]
	v_add_u32_e32 v74, 16, v70
	v_min3_f32 v68, v66, v67, v87
	v_pk_add_f32 v[66:67], v[28:29], v[60:61]
	v_ashrrev_i32_e32 v75, 31, v74
	v_min3_f32 v72, v66, v67, v149
	v_pk_add_f32 v[66:67], v[26:27], v[62:63]
	s_mov_b64 s[2:3], -1
	v_min_f32_e32 v73, v66, v67
	v_pk_add_f32 v[66:67], v[30:31], v[62:63]
	v_min3_f32 v73, v69, v73, v68
	v_min3_f32 v72, v66, v67, v72
	v_add_u32_e32 v66, 24, v70
	v_lshl_add_u64 v[68:69], v[64:65], 2, v[88:89]
	v_ashrrev_i32_e32 v67, 31, v66
	flat_store_dword v[68:69], v73
	v_max_f32_e32 v68, v72, v72
	s_mov_b64 vcc, s[4:5]
	s_cbranch_vccz .LBB22_17
; %bb.16:
	v_min_f32_e32 v69, 0, v68
	v_lshl_add_u64 v[72:73], v[74:75], 2, v[88:89]
	flat_store_dword v[72:73], v69
	s_mov_b64 s[2:3], 0
.LBB22_17:
	v_mov_b32_e32 v72, 0
	s_andn2_b64 vcc, exec, s[2:3]
	v_lshlrev_b64 v[80:81], 2, v[74:75]
	s_cbranch_vccnz .LBB22_19
; %bb.18:
	v_lshl_add_u64 v[72:73], v[90:91], 0, v[80:81]
	flat_load_dword v69, v[72:73]
	v_lshl_add_u64 v[72:73], v[88:89], 0, v[80:81]
	s_waitcnt vmcnt(0) lgkmcnt(0)
	v_mul_f32_e32 v69, s15, v69
	v_min_f32_e32 v68, v69, v68
	flat_store_dword v[72:73], v68
	v_lshl_add_u64 v[68:69], v[66:67], 2, v[90:91]
	flat_load_dword v68, v[68:69]
	s_waitcnt vmcnt(0) lgkmcnt(0)
	v_mul_f32_e32 v72, s15, v68
.LBB22_19:
	v_pk_add_f32 v[68:69], v[20:21], v[60:61]
	s_mov_b64 s[2:3], -1
	v_min3_f32 v73, v68, v69, v83
	v_pk_add_f32 v[68:69], v[16:17], v[60:61]
	s_mov_b64 vcc, s[4:5]
	v_min3_f32 v78, v68, v69, v86
	v_pk_add_f32 v[68:69], v[22:23], v[62:63]
	s_nop 0
	v_min_f32_e32 v82, v68, v69
	v_pk_add_f32 v[68:69], v[18:19], v[62:63]
	v_min3_f32 v82, v72, v82, v73
	v_min3_f32 v83, v68, v69, v78
	v_add_u32_e32 v78, 32, v70
	v_add_u32_e32 v68, 40, v70
	v_lshl_add_u64 v[72:73], v[66:67], 2, v[88:89]
	v_ashrrev_i32_e32 v79, 31, v78
	v_ashrrev_i32_e32 v69, 31, v68
	flat_store_dword v[72:73], v82
	v_max_f32_e32 v72, v83, v83
	s_cbranch_vccz .LBB22_21
; %bb.20:
	v_min_f32_e32 v73, 0, v72
	v_lshl_add_u64 v[82:83], v[78:79], 2, v[88:89]
	flat_store_dword v[82:83], v73
	s_mov_b64 s[2:3], 0
.LBB22_21:
	v_mov_b32_e32 v86, 0
	s_andn2_b64 vcc, exec, s[2:3]
	v_lshlrev_b64 v[82:83], 2, v[78:79]
	s_cbranch_vccnz .LBB22_23
; %bb.22:
	v_lshl_add_u64 v[86:87], v[90:91], 0, v[82:83]
	flat_load_dword v73, v[86:87]
	v_lshl_add_u64 v[86:87], v[88:89], 0, v[82:83]
	s_waitcnt vmcnt(0) lgkmcnt(0)
	v_mul_f32_e32 v73, s15, v73
	v_min_f32_e32 v72, v73, v72
	flat_store_dword v[86:87], v72
	v_lshl_add_u64 v[72:73], v[68:69], 2, v[90:91]
	flat_load_dword v72, v[72:73]
	s_waitcnt vmcnt(0) lgkmcnt(0)
	v_mul_f32_e32 v86, s15, v72
.LBB22_23:
	v_pk_add_f32 v[72:73], v[12:13], v[60:61]
	s_mov_b64 s[2:3], -1
	v_min3_f32 v87, v72, v73, v84
	v_pk_add_f32 v[72:73], v[8:9], v[60:61]
	s_mov_b64 vcc, s[4:5]
	v_min3_f32 v84, v72, v73, v85
	v_pk_add_f32 v[72:73], v[14:15], v[62:63]
	s_nop 0
	v_min_f32_e32 v149, v72, v73
	v_pk_add_f32 v[72:73], v[10:11], v[62:63]
	v_min3_f32 v149, v86, v149, v87
	v_min3_f32 v151, v72, v73, v84
	v_add_u32_e32 v84, 48, v70
	v_add_u32_e32 v72, 56, v70
	v_lshl_add_u64 v[86:87], v[68:69], 2, v[88:89]
	v_ashrrev_i32_e32 v85, 31, v84
	v_ashrrev_i32_e32 v73, 31, v72
	flat_store_dword v[86:87], v149
	v_max_f32_e32 v149, v151, v151
	s_cbranch_vccz .LBB22_25
; %bb.24:
	v_min_f32_e32 v151, 0, v149
	v_lshl_add_u64 v[86:87], v[84:85], 2, v[88:89]
	flat_store_dword v[86:87], v151
	s_mov_b64 s[2:3], 0
.LBB22_25:
	v_mov_b32_e32 v151, 0
	s_andn2_b64 vcc, exec, s[2:3]
	v_lshlrev_b64 v[86:87], 2, v[84:85]
	s_cbranch_vccnz .LBB22_27
; %bb.26:
	v_lshl_add_u64 v[152:153], v[90:91], 0, v[86:87]
	flat_load_dword v151, v[152:153]
	v_lshl_add_u64 v[152:153], v[88:89], 0, v[86:87]
	v_lshl_add_u64 v[90:91], v[72:73], 2, v[90:91]
	s_waitcnt vmcnt(0) lgkmcnt(0)
	v_mul_f32_e32 v151, s15, v151
	v_min_f32_e32 v149, v151, v149
	flat_store_dword v[152:153], v149
	flat_load_dword v90, v[90:91]
	s_waitcnt vmcnt(0) lgkmcnt(0)
	v_mul_f32_e32 v151, s15, v90
.LBB22_27:
	v_pk_add_f32 v[60:61], v[0:1], v[60:61]
	s_mov_b64 vcc, s[4:5]
	v_min3_f32 v90, v60, v61, v147
	v_pk_add_f32 v[60:61], v[32:33], v[56:57]
	s_nop 0
	v_min3_f32 v91, v60, v61, v148
	v_pk_add_f32 v[60:61], v[2:3], v[62:63]
	s_nop 0
	v_min_f32_e32 v62, v60, v61
	v_pk_add_f32 v[60:61], v[34:35], v[58:59]
	v_min3_f32 v62, v151, v62, v90
	v_min3_f32 v91, v60, v61, v91
	v_lshl_add_u64 v[60:61], v[72:73], 2, v[88:89]
	flat_store_dword v[60:61], v62
	v_add_u32_e32 v62, 32, v150
	v_mad_i64_i32 v[60:61], s[2:3], v62, s7, 0
	v_mad_i64_i32 v[62:63], s[2:3], v62, s6, 0
	v_lshl_add_u64 v[60:61], v[60:61], 2, s[0:1]
	s_mov_b64 s[2:3], -1
	v_max_f32_e32 v88, v91, v91
	s_cbranch_vccz .LBB22_29
; %bb.28:
	v_min_f32_e32 v89, 0, v88
	v_lshl_add_u64 v[90:91], v[70:71], 2, v[60:61]
	flat_store_dword v[90:91], v89
	s_mov_b64 s[2:3], 0
.LBB22_29:
	v_lshl_add_u64 v[62:63], v[62:63], 2, s[12:13]
	s_andn2_b64 vcc, exec, s[2:3]
	v_mov_b32_e32 v89, 0
	s_cbranch_vccnz .LBB22_31
; %bb.30:
	v_lshl_add_u64 v[90:91], v[62:63], 0, v[76:77]
	flat_load_dword v89, v[90:91]
	v_lshl_add_u64 v[90:91], v[60:61], 0, v[76:77]
	s_waitcnt vmcnt(0) lgkmcnt(0)
	v_mul_f32_e32 v89, s15, v89
	v_min_f32_e32 v88, v89, v88
	flat_store_dword v[90:91], v88
	v_lshl_add_u64 v[88:89], v[64:65], 2, v[62:63]
	flat_load_dword v88, v[88:89]
	s_waitcnt vmcnt(0) lgkmcnt(0)
	v_mul_f32_e32 v89, s15, v88
.LBB22_31:
	v_pk_add_f32 v[90:91], v[24:25], v[56:57]
	s_mov_b64 s[2:3], -1
	v_min3_f32 v88, v90, v91, v145
	v_pk_add_f32 v[90:91], v[28:29], v[56:57]
	s_mov_b64 vcc, s[4:5]
	v_min3_f32 v145, v90, v91, v146
	v_pk_add_f32 v[90:91], v[26:27], v[58:59]
	s_nop 0
	v_min_f32_e32 v146, v90, v91
	v_pk_add_f32 v[90:91], v[30:31], v[58:59]
	s_nop 0
	v_min3_f32 v90, v90, v91, v145
	v_min3_f32 v91, v89, v146, v88
	v_lshl_add_u64 v[88:89], v[64:65], 2, v[60:61]
	flat_store_dword v[88:89], v91
	v_max_f32_e32 v88, v90, v90
	s_cbranch_vccz .LBB22_33
; %bb.32:
	v_min_f32_e32 v89, 0, v88
	v_lshl_add_u64 v[90:91], v[74:75], 2, v[60:61]
	flat_store_dword v[90:91], v89
	s_mov_b64 s[2:3], 0
.LBB22_33:
	s_andn2_b64 vcc, exec, s[2:3]
	v_mov_b32_e32 v89, 0
	s_cbranch_vccnz .LBB22_35
; %bb.34:
	v_lshl_add_u64 v[90:91], v[62:63], 0, v[80:81]
	flat_load_dword v89, v[90:91]
	v_lshl_add_u64 v[90:91], v[60:61], 0, v[80:81]
	s_waitcnt vmcnt(0) lgkmcnt(0)
	v_mul_f32_e32 v89, s15, v89
	v_min_f32_e32 v88, v89, v88
	flat_store_dword v[90:91], v88
	v_lshl_add_u64 v[88:89], v[66:67], 2, v[62:63]
	flat_load_dword v88, v[88:89]
	s_waitcnt vmcnt(0) lgkmcnt(0)
	v_mul_f32_e32 v89, s15, v88
.LBB22_35:
	v_pk_add_f32 v[90:91], v[20:21], v[56:57]
	s_mov_b64 s[2:3], -1
	v_min3_f32 v88, v90, v91, v143
	v_pk_add_f32 v[90:91], v[16:17], v[56:57]
	s_mov_b64 vcc, s[4:5]
	v_min3_f32 v143, v90, v91, v144
	v_pk_add_f32 v[90:91], v[22:23], v[58:59]
	s_nop 0
	v_min_f32_e32 v144, v90, v91
	v_pk_add_f32 v[90:91], v[18:19], v[58:59]
	s_nop 0
	v_min3_f32 v90, v90, v91, v143
	v_min3_f32 v91, v89, v144, v88
	v_lshl_add_u64 v[88:89], v[66:67], 2, v[60:61]
	flat_store_dword v[88:89], v91
	v_max_f32_e32 v88, v90, v90
	s_cbranch_vccz .LBB22_37
; %bb.36:
	v_min_f32_e32 v89, 0, v88
	v_lshl_add_u64 v[90:91], v[78:79], 2, v[60:61]
	flat_store_dword v[90:91], v89
	s_mov_b64 s[2:3], 0
.LBB22_37:
	;; [unrolled: 39-line block ×3, first 2 shown]
	s_andn2_b64 vcc, exec, s[2:3]
	v_mov_b32_e32 v89, 0
	s_cbranch_vccnz .LBB22_43
; %bb.42:
	v_lshl_add_u64 v[90:91], v[62:63], 0, v[86:87]
	flat_load_dword v89, v[90:91]
	v_lshl_add_u64 v[90:91], v[60:61], 0, v[86:87]
	v_lshl_add_u64 v[62:63], v[72:73], 2, v[62:63]
	s_waitcnt vmcnt(0) lgkmcnt(0)
	v_mul_f32_e32 v89, s15, v89
	v_min_f32_e32 v88, v89, v88
	flat_store_dword v[90:91], v88
	flat_load_dword v62, v[62:63]
	s_waitcnt vmcnt(0) lgkmcnt(0)
	v_mul_f32_e32 v89, s15, v62
.LBB22_43:
	v_pk_add_f32 v[56:57], v[0:1], v[56:57]
	s_mov_b64 vcc, s[4:5]
	v_min3_f32 v62, v56, v57, v138
	v_pk_add_f32 v[56:57], v[32:33], v[52:53]
	s_nop 0
	v_min3_f32 v63, v56, v57, v141
	v_pk_add_f32 v[56:57], v[2:3], v[58:59]
	s_nop 0
	v_min_f32_e32 v58, v56, v57
	v_pk_add_f32 v[56:57], v[34:35], v[54:55]
	v_min3_f32 v58, v89, v58, v62
	v_min3_f32 v63, v56, v57, v63
	v_lshl_add_u64 v[56:57], v[72:73], 2, v[60:61]
	flat_store_dword v[56:57], v58
	v_add_u32_e32 v58, 64, v150
	v_mad_i64_i32 v[56:57], s[2:3], v58, s7, 0
	v_mad_i64_i32 v[58:59], s[2:3], v58, s6, 0
	v_lshl_add_u64 v[56:57], v[56:57], 2, s[0:1]
	s_mov_b64 s[2:3], -1
	v_max_f32_e32 v60, v63, v63
	s_cbranch_vccz .LBB22_45
; %bb.44:
	v_min_f32_e32 v61, 0, v60
	v_lshl_add_u64 v[62:63], v[70:71], 2, v[56:57]
	flat_store_dword v[62:63], v61
	s_mov_b64 s[2:3], 0
.LBB22_45:
	v_lshl_add_u64 v[58:59], v[58:59], 2, s[12:13]
	s_andn2_b64 vcc, exec, s[2:3]
	v_mov_b32_e32 v61, 0
	s_cbranch_vccnz .LBB22_47
; %bb.46:
	v_lshl_add_u64 v[62:63], v[58:59], 0, v[76:77]
	flat_load_dword v61, v[62:63]
	v_lshl_add_u64 v[62:63], v[56:57], 0, v[76:77]
	s_waitcnt vmcnt(0) lgkmcnt(0)
	v_mul_f32_e32 v61, s15, v61
	v_min_f32_e32 v60, v61, v60
	flat_store_dword v[62:63], v60
	v_lshl_add_u64 v[60:61], v[64:65], 2, v[58:59]
	flat_load_dword v60, v[60:61]
	s_waitcnt vmcnt(0) lgkmcnt(0)
	v_mul_f32_e32 v61, s15, v60
.LBB22_47:
	v_pk_add_f32 v[62:63], v[24:25], v[52:53]
	s_mov_b64 s[2:3], -1
	v_min3_f32 v60, v62, v63, v136
	v_pk_add_f32 v[62:63], v[28:29], v[52:53]
	s_mov_b64 vcc, s[4:5]
	v_min3_f32 v88, v62, v63, v137
	v_pk_add_f32 v[62:63], v[26:27], v[54:55]
	s_nop 0
	v_min_f32_e32 v89, v62, v63
	v_pk_add_f32 v[62:63], v[30:31], v[54:55]
	s_nop 0
	v_min3_f32 v62, v62, v63, v88
	v_min3_f32 v63, v61, v89, v60
	v_lshl_add_u64 v[60:61], v[64:65], 2, v[56:57]
	flat_store_dword v[60:61], v63
	v_max_f32_e32 v60, v62, v62
	s_cbranch_vccz .LBB22_49
; %bb.48:
	v_min_f32_e32 v61, 0, v60
	v_lshl_add_u64 v[62:63], v[74:75], 2, v[56:57]
	flat_store_dword v[62:63], v61
	s_mov_b64 s[2:3], 0
.LBB22_49:
	s_andn2_b64 vcc, exec, s[2:3]
	v_mov_b32_e32 v61, 0
	s_cbranch_vccnz .LBB22_51
; %bb.50:
	v_lshl_add_u64 v[62:63], v[58:59], 0, v[80:81]
	flat_load_dword v61, v[62:63]
	v_lshl_add_u64 v[62:63], v[56:57], 0, v[80:81]
	s_waitcnt vmcnt(0) lgkmcnt(0)
	v_mul_f32_e32 v61, s15, v61
	v_min_f32_e32 v60, v61, v60
	flat_store_dword v[62:63], v60
	v_lshl_add_u64 v[60:61], v[66:67], 2, v[58:59]
	flat_load_dword v60, v[60:61]
	s_waitcnt vmcnt(0) lgkmcnt(0)
	v_mul_f32_e32 v61, s15, v60
.LBB22_51:
	v_pk_add_f32 v[62:63], v[20:21], v[52:53]
	s_mov_b64 s[2:3], -1
	v_min3_f32 v60, v62, v63, v131
	v_pk_add_f32 v[62:63], v[16:17], v[52:53]
	s_mov_b64 vcc, s[4:5]
	v_min3_f32 v88, v62, v63, v132
	v_pk_add_f32 v[62:63], v[22:23], v[54:55]
	s_nop 0
	v_min_f32_e32 v89, v62, v63
	v_pk_add_f32 v[62:63], v[18:19], v[54:55]
	s_nop 0
	v_min3_f32 v62, v62, v63, v88
	v_min3_f32 v63, v61, v89, v60
	v_lshl_add_u64 v[60:61], v[66:67], 2, v[56:57]
	flat_store_dword v[60:61], v63
	v_max_f32_e32 v60, v62, v62
	s_cbranch_vccz .LBB22_53
; %bb.52:
	v_min_f32_e32 v61, 0, v60
	v_lshl_add_u64 v[62:63], v[78:79], 2, v[56:57]
	flat_store_dword v[62:63], v61
	s_mov_b64 s[2:3], 0
.LBB22_53:
	;; [unrolled: 39-line block ×3, first 2 shown]
	s_andn2_b64 vcc, exec, s[2:3]
	v_mov_b32_e32 v61, 0
	s_cbranch_vccnz .LBB22_59
; %bb.58:
	v_lshl_add_u64 v[62:63], v[58:59], 0, v[86:87]
	flat_load_dword v61, v[62:63]
	v_lshl_add_u64 v[62:63], v[56:57], 0, v[86:87]
	v_lshl_add_u64 v[58:59], v[72:73], 2, v[58:59]
	s_waitcnt vmcnt(0) lgkmcnt(0)
	v_mul_f32_e32 v61, s15, v61
	v_min_f32_e32 v60, v61, v60
	flat_store_dword v[62:63], v60
	flat_load_dword v58, v[58:59]
	s_waitcnt vmcnt(0) lgkmcnt(0)
	v_mul_f32_e32 v61, s15, v58
.LBB22_59:
	v_pk_add_f32 v[52:53], v[0:1], v[52:53]
	s_mov_b64 vcc, s[4:5]
	v_min3_f32 v58, v52, v53, v135
	v_pk_add_f32 v[52:53], v[32:33], v[48:49]
	s_nop 0
	v_min3_f32 v59, v52, v53, v139
	v_pk_add_f32 v[52:53], v[2:3], v[54:55]
	s_nop 0
	v_min_f32_e32 v54, v52, v53
	v_pk_add_f32 v[52:53], v[34:35], v[50:51]
	v_min3_f32 v54, v61, v54, v58
	v_min3_f32 v59, v52, v53, v59
	v_lshl_add_u64 v[52:53], v[72:73], 2, v[56:57]
	flat_store_dword v[52:53], v54
	v_add_u32_e32 v54, 0x60, v150
	v_mad_i64_i32 v[52:53], s[2:3], v54, s7, 0
	v_mad_i64_i32 v[54:55], s[2:3], v54, s6, 0
	v_lshl_add_u64 v[52:53], v[52:53], 2, s[0:1]
	s_mov_b64 s[2:3], -1
	v_max_f32_e32 v56, v59, v59
	s_cbranch_vccz .LBB22_61
; %bb.60:
	v_min_f32_e32 v57, 0, v56
	v_lshl_add_u64 v[58:59], v[70:71], 2, v[52:53]
	flat_store_dword v[58:59], v57
	s_mov_b64 s[2:3], 0
.LBB22_61:
	v_lshl_add_u64 v[54:55], v[54:55], 2, s[12:13]
	s_andn2_b64 vcc, exec, s[2:3]
	v_mov_b32_e32 v57, 0
	s_cbranch_vccnz .LBB22_63
; %bb.62:
	v_lshl_add_u64 v[58:59], v[54:55], 0, v[76:77]
	flat_load_dword v57, v[58:59]
	v_lshl_add_u64 v[58:59], v[52:53], 0, v[76:77]
	s_waitcnt vmcnt(0) lgkmcnt(0)
	v_mul_f32_e32 v57, s15, v57
	v_min_f32_e32 v56, v57, v56
	flat_store_dword v[58:59], v56
	v_lshl_add_u64 v[56:57], v[64:65], 2, v[54:55]
	flat_load_dword v56, v[56:57]
	s_waitcnt vmcnt(0) lgkmcnt(0)
	v_mul_f32_e32 v57, s15, v56
.LBB22_63:
	v_pk_add_f32 v[58:59], v[24:25], v[48:49]
	s_mov_b64 s[2:3], -1
	v_min3_f32 v56, v58, v59, v133
	v_pk_add_f32 v[58:59], v[28:29], v[48:49]
	s_mov_b64 vcc, s[4:5]
	v_min3_f32 v60, v58, v59, v134
	v_pk_add_f32 v[58:59], v[26:27], v[50:51]
	s_nop 0
	v_min_f32_e32 v61, v58, v59
	v_pk_add_f32 v[58:59], v[30:31], v[50:51]
	s_nop 0
	v_min3_f32 v58, v58, v59, v60
	v_min3_f32 v59, v57, v61, v56
	v_lshl_add_u64 v[56:57], v[64:65], 2, v[52:53]
	flat_store_dword v[56:57], v59
	v_max_f32_e32 v56, v58, v58
	s_cbranch_vccz .LBB22_65
; %bb.64:
	v_min_f32_e32 v57, 0, v56
	v_lshl_add_u64 v[58:59], v[74:75], 2, v[52:53]
	flat_store_dword v[58:59], v57
	s_mov_b64 s[2:3], 0
.LBB22_65:
	s_andn2_b64 vcc, exec, s[2:3]
	v_mov_b32_e32 v57, 0
	s_cbranch_vccnz .LBB22_67
; %bb.66:
	v_lshl_add_u64 v[58:59], v[54:55], 0, v[80:81]
	flat_load_dword v57, v[58:59]
	v_lshl_add_u64 v[58:59], v[52:53], 0, v[80:81]
	s_waitcnt vmcnt(0) lgkmcnt(0)
	v_mul_f32_e32 v57, s15, v57
	v_min_f32_e32 v56, v57, v56
	flat_store_dword v[58:59], v56
	v_lshl_add_u64 v[56:57], v[66:67], 2, v[54:55]
	flat_load_dword v56, v[56:57]
	s_waitcnt vmcnt(0) lgkmcnt(0)
	v_mul_f32_e32 v57, s15, v56
.LBB22_67:
	v_pk_add_f32 v[58:59], v[20:21], v[48:49]
	s_mov_b64 s[2:3], -1
	v_min3_f32 v56, v58, v59, v129
	v_pk_add_f32 v[58:59], v[16:17], v[48:49]
	s_mov_b64 vcc, s[4:5]
	v_min3_f32 v60, v58, v59, v130
	v_pk_add_f32 v[58:59], v[22:23], v[50:51]
	s_nop 0
	v_min_f32_e32 v61, v58, v59
	v_pk_add_f32 v[58:59], v[18:19], v[50:51]
	s_nop 0
	v_min3_f32 v58, v58, v59, v60
	v_min3_f32 v59, v57, v61, v56
	v_lshl_add_u64 v[56:57], v[66:67], 2, v[52:53]
	flat_store_dword v[56:57], v59
	v_max_f32_e32 v56, v58, v58
	s_cbranch_vccz .LBB22_69
; %bb.68:
	v_min_f32_e32 v57, 0, v56
	v_lshl_add_u64 v[58:59], v[78:79], 2, v[52:53]
	flat_store_dword v[58:59], v57
	s_mov_b64 s[2:3], 0
.LBB22_69:
	;; [unrolled: 39-line block ×3, first 2 shown]
	s_andn2_b64 vcc, exec, s[2:3]
	v_mov_b32_e32 v57, 0
	s_cbranch_vccnz .LBB22_75
; %bb.74:
	v_lshl_add_u64 v[58:59], v[54:55], 0, v[86:87]
	flat_load_dword v57, v[58:59]
	v_lshl_add_u64 v[58:59], v[52:53], 0, v[86:87]
	v_lshl_add_u64 v[54:55], v[72:73], 2, v[54:55]
	s_waitcnt vmcnt(0) lgkmcnt(0)
	v_mul_f32_e32 v57, s15, v57
	v_min_f32_e32 v56, v57, v56
	flat_store_dword v[58:59], v56
	flat_load_dword v54, v[54:55]
	s_waitcnt vmcnt(0) lgkmcnt(0)
	v_mul_f32_e32 v57, s15, v54
.LBB22_75:
	v_pk_add_f32 v[48:49], v[0:1], v[48:49]
	s_mov_b64 vcc, s[4:5]
	v_min3_f32 v54, v48, v49, v123
	v_pk_add_f32 v[48:49], v[32:33], v[44:45]
	s_nop 0
	v_min3_f32 v55, v48, v49, v124
	v_pk_add_f32 v[48:49], v[2:3], v[50:51]
	s_nop 0
	v_min_f32_e32 v50, v48, v49
	v_pk_add_f32 v[48:49], v[34:35], v[46:47]
	v_min3_f32 v50, v57, v50, v54
	v_min3_f32 v55, v48, v49, v55
	v_lshl_add_u64 v[48:49], v[72:73], 2, v[52:53]
	flat_store_dword v[48:49], v50
	v_add_u32_e32 v50, 0x80, v150
	v_mad_i64_i32 v[48:49], s[2:3], v50, s7, 0
	v_mad_i64_i32 v[50:51], s[2:3], v50, s6, 0
	v_lshl_add_u64 v[48:49], v[48:49], 2, s[0:1]
	s_mov_b64 s[2:3], -1
	v_max_f32_e32 v52, v55, v55
	s_cbranch_vccz .LBB22_77
; %bb.76:
	v_min_f32_e32 v53, 0, v52
	v_lshl_add_u64 v[54:55], v[70:71], 2, v[48:49]
	flat_store_dword v[54:55], v53
	s_mov_b64 s[2:3], 0
.LBB22_77:
	v_lshl_add_u64 v[50:51], v[50:51], 2, s[12:13]
	s_andn2_b64 vcc, exec, s[2:3]
	v_mov_b32_e32 v53, 0
	s_cbranch_vccnz .LBB22_79
; %bb.78:
	v_lshl_add_u64 v[54:55], v[50:51], 0, v[76:77]
	flat_load_dword v53, v[54:55]
	v_lshl_add_u64 v[54:55], v[48:49], 0, v[76:77]
	s_waitcnt vmcnt(0) lgkmcnt(0)
	v_mul_f32_e32 v53, s15, v53
	v_min_f32_e32 v52, v53, v52
	flat_store_dword v[54:55], v52
	v_lshl_add_u64 v[52:53], v[64:65], 2, v[50:51]
	flat_load_dword v52, v[52:53]
	s_waitcnt vmcnt(0) lgkmcnt(0)
	v_mul_f32_e32 v53, s15, v52
.LBB22_79:
	v_pk_add_f32 v[54:55], v[24:25], v[44:45]
	s_mov_b64 s[2:3], -1
	v_min3_f32 v52, v54, v55, v121
	v_pk_add_f32 v[54:55], v[28:29], v[44:45]
	s_mov_b64 vcc, s[4:5]
	v_min3_f32 v56, v54, v55, v122
	v_pk_add_f32 v[54:55], v[26:27], v[46:47]
	s_nop 0
	v_min_f32_e32 v57, v54, v55
	v_pk_add_f32 v[54:55], v[30:31], v[46:47]
	s_nop 0
	v_min3_f32 v54, v54, v55, v56
	v_min3_f32 v55, v53, v57, v52
	v_lshl_add_u64 v[52:53], v[64:65], 2, v[48:49]
	flat_store_dword v[52:53], v55
	v_max_f32_e32 v52, v54, v54
	s_cbranch_vccz .LBB22_81
; %bb.80:
	v_min_f32_e32 v53, 0, v52
	v_lshl_add_u64 v[54:55], v[74:75], 2, v[48:49]
	flat_store_dword v[54:55], v53
	s_mov_b64 s[2:3], 0
.LBB22_81:
	s_andn2_b64 vcc, exec, s[2:3]
	v_mov_b32_e32 v53, 0
	s_cbranch_vccnz .LBB22_83
; %bb.82:
	v_lshl_add_u64 v[54:55], v[50:51], 0, v[80:81]
	flat_load_dword v53, v[54:55]
	v_lshl_add_u64 v[54:55], v[48:49], 0, v[80:81]
	s_waitcnt vmcnt(0) lgkmcnt(0)
	v_mul_f32_e32 v53, s15, v53
	v_min_f32_e32 v52, v53, v52
	flat_store_dword v[54:55], v52
	v_lshl_add_u64 v[52:53], v[66:67], 2, v[50:51]
	flat_load_dword v52, v[52:53]
	s_waitcnt vmcnt(0) lgkmcnt(0)
	v_mul_f32_e32 v53, s15, v52
.LBB22_83:
	v_pk_add_f32 v[54:55], v[20:21], v[44:45]
	s_mov_b64 s[2:3], -1
	v_min3_f32 v52, v54, v55, v119
	v_pk_add_f32 v[54:55], v[16:17], v[44:45]
	s_mov_b64 vcc, s[4:5]
	v_min3_f32 v56, v54, v55, v120
	v_pk_add_f32 v[54:55], v[22:23], v[46:47]
	s_nop 0
	v_min_f32_e32 v57, v54, v55
	v_pk_add_f32 v[54:55], v[18:19], v[46:47]
	s_nop 0
	v_min3_f32 v54, v54, v55, v56
	v_min3_f32 v55, v53, v57, v52
	v_lshl_add_u64 v[52:53], v[66:67], 2, v[48:49]
	flat_store_dword v[52:53], v55
	v_max_f32_e32 v52, v54, v54
	s_cbranch_vccz .LBB22_85
; %bb.84:
	v_min_f32_e32 v53, 0, v52
	v_lshl_add_u64 v[54:55], v[78:79], 2, v[48:49]
	flat_store_dword v[54:55], v53
	s_mov_b64 s[2:3], 0
.LBB22_85:
	;; [unrolled: 39-line block ×3, first 2 shown]
	s_andn2_b64 vcc, exec, s[2:3]
	v_mov_b32_e32 v53, 0
	s_cbranch_vccnz .LBB22_91
; %bb.90:
	v_lshl_add_u64 v[54:55], v[50:51], 0, v[86:87]
	flat_load_dword v53, v[54:55]
	v_lshl_add_u64 v[54:55], v[48:49], 0, v[86:87]
	v_lshl_add_u64 v[50:51], v[72:73], 2, v[50:51]
	s_waitcnt vmcnt(0) lgkmcnt(0)
	v_mul_f32_e32 v53, s15, v53
	v_min_f32_e32 v52, v53, v52
	flat_store_dword v[54:55], v52
	flat_load_dword v50, v[50:51]
	s_waitcnt vmcnt(0) lgkmcnt(0)
	v_mul_f32_e32 v53, s15, v50
.LBB22_91:
	v_pk_add_f32 v[44:45], v[0:1], v[44:45]
	s_mov_b64 vcc, s[4:5]
	v_min3_f32 v50, v44, v45, v115
	v_pk_add_f32 v[44:45], v[32:33], v[40:41]
	s_nop 0
	v_min3_f32 v51, v44, v45, v116
	v_pk_add_f32 v[44:45], v[2:3], v[46:47]
	s_nop 0
	v_min_f32_e32 v46, v44, v45
	v_pk_add_f32 v[44:45], v[34:35], v[42:43]
	v_min3_f32 v46, v53, v46, v50
	v_min3_f32 v51, v44, v45, v51
	v_lshl_add_u64 v[44:45], v[72:73], 2, v[48:49]
	flat_store_dword v[44:45], v46
	v_add_u32_e32 v46, 0xa0, v150
	v_mad_i64_i32 v[44:45], s[2:3], v46, s7, 0
	v_mad_i64_i32 v[46:47], s[2:3], v46, s6, 0
	v_lshl_add_u64 v[44:45], v[44:45], 2, s[0:1]
	s_mov_b64 s[2:3], -1
	v_max_f32_e32 v48, v51, v51
	s_cbranch_vccz .LBB22_93
; %bb.92:
	v_min_f32_e32 v49, 0, v48
	v_lshl_add_u64 v[50:51], v[70:71], 2, v[44:45]
	flat_store_dword v[50:51], v49
	s_mov_b64 s[2:3], 0
.LBB22_93:
	v_lshl_add_u64 v[46:47], v[46:47], 2, s[12:13]
	s_andn2_b64 vcc, exec, s[2:3]
	v_mov_b32_e32 v49, 0
	s_cbranch_vccnz .LBB22_95
; %bb.94:
	v_lshl_add_u64 v[50:51], v[46:47], 0, v[76:77]
	flat_load_dword v49, v[50:51]
	v_lshl_add_u64 v[50:51], v[44:45], 0, v[76:77]
	s_waitcnt vmcnt(0) lgkmcnt(0)
	v_mul_f32_e32 v49, s15, v49
	v_min_f32_e32 v48, v49, v48
	flat_store_dword v[50:51], v48
	v_lshl_add_u64 v[48:49], v[64:65], 2, v[46:47]
	flat_load_dword v48, v[48:49]
	s_waitcnt vmcnt(0) lgkmcnt(0)
	v_mul_f32_e32 v49, s15, v48
.LBB22_95:
	v_pk_add_f32 v[50:51], v[24:25], v[40:41]
	s_mov_b64 s[2:3], -1
	v_min3_f32 v48, v50, v51, v113
	v_pk_add_f32 v[50:51], v[28:29], v[40:41]
	s_mov_b64 vcc, s[4:5]
	v_min3_f32 v52, v50, v51, v114
	v_pk_add_f32 v[50:51], v[26:27], v[42:43]
	s_nop 0
	v_min_f32_e32 v53, v50, v51
	v_pk_add_f32 v[50:51], v[30:31], v[42:43]
	s_nop 0
	v_min3_f32 v50, v50, v51, v52
	v_min3_f32 v51, v49, v53, v48
	v_lshl_add_u64 v[48:49], v[64:65], 2, v[44:45]
	flat_store_dword v[48:49], v51
	v_max_f32_e32 v48, v50, v50
	s_cbranch_vccz .LBB22_97
; %bb.96:
	v_min_f32_e32 v49, 0, v48
	v_lshl_add_u64 v[50:51], v[74:75], 2, v[44:45]
	flat_store_dword v[50:51], v49
	s_mov_b64 s[2:3], 0
.LBB22_97:
	s_andn2_b64 vcc, exec, s[2:3]
	v_mov_b32_e32 v49, 0
	s_cbranch_vccnz .LBB22_99
; %bb.98:
	v_lshl_add_u64 v[50:51], v[46:47], 0, v[80:81]
	flat_load_dword v49, v[50:51]
	v_lshl_add_u64 v[50:51], v[44:45], 0, v[80:81]
	s_waitcnt vmcnt(0) lgkmcnt(0)
	v_mul_f32_e32 v49, s15, v49
	v_min_f32_e32 v48, v49, v48
	flat_store_dword v[50:51], v48
	v_lshl_add_u64 v[48:49], v[66:67], 2, v[46:47]
	flat_load_dword v48, v[48:49]
	s_waitcnt vmcnt(0) lgkmcnt(0)
	v_mul_f32_e32 v49, s15, v48
.LBB22_99:
	v_pk_add_f32 v[50:51], v[20:21], v[40:41]
	s_mov_b64 s[2:3], -1
	v_min3_f32 v48, v50, v51, v111
	v_pk_add_f32 v[50:51], v[16:17], v[40:41]
	s_mov_b64 vcc, s[4:5]
	v_min3_f32 v52, v50, v51, v112
	v_pk_add_f32 v[50:51], v[22:23], v[42:43]
	s_nop 0
	v_min_f32_e32 v53, v50, v51
	v_pk_add_f32 v[50:51], v[18:19], v[42:43]
	s_nop 0
	v_min3_f32 v50, v50, v51, v52
	v_min3_f32 v51, v49, v53, v48
	v_lshl_add_u64 v[48:49], v[66:67], 2, v[44:45]
	flat_store_dword v[48:49], v51
	v_max_f32_e32 v48, v50, v50
	s_cbranch_vccz .LBB22_101
; %bb.100:
	v_min_f32_e32 v49, 0, v48
	v_lshl_add_u64 v[50:51], v[78:79], 2, v[44:45]
	flat_store_dword v[50:51], v49
	s_mov_b64 s[2:3], 0
.LBB22_101:
	;; [unrolled: 39-line block ×3, first 2 shown]
	s_andn2_b64 vcc, exec, s[2:3]
	v_mov_b32_e32 v49, 0
	s_cbranch_vccnz .LBB22_107
; %bb.106:
	v_lshl_add_u64 v[50:51], v[46:47], 0, v[86:87]
	flat_load_dword v49, v[50:51]
	v_lshl_add_u64 v[50:51], v[44:45], 0, v[86:87]
	v_lshl_add_u64 v[46:47], v[72:73], 2, v[46:47]
	s_waitcnt vmcnt(0) lgkmcnt(0)
	v_mul_f32_e32 v49, s15, v49
	v_min_f32_e32 v48, v49, v48
	flat_store_dword v[50:51], v48
	flat_load_dword v46, v[46:47]
	s_waitcnt vmcnt(0) lgkmcnt(0)
	v_mul_f32_e32 v49, s15, v46
.LBB22_107:
	v_pk_add_f32 v[40:41], v[0:1], v[40:41]
	s_mov_b64 vcc, s[4:5]
	v_min3_f32 v46, v40, v41, v107
	v_pk_add_f32 v[40:41], v[32:33], v[36:37]
	s_nop 0
	v_min3_f32 v47, v40, v41, v110
	v_pk_add_f32 v[40:41], v[2:3], v[42:43]
	s_nop 0
	v_min_f32_e32 v42, v40, v41
	v_pk_add_f32 v[40:41], v[34:35], v[38:39]
	v_min3_f32 v42, v49, v42, v46
	v_min3_f32 v47, v40, v41, v47
	v_lshl_add_u64 v[40:41], v[72:73], 2, v[44:45]
	flat_store_dword v[40:41], v42
	v_add_u32_e32 v42, 0xc0, v150
	v_mad_i64_i32 v[40:41], s[2:3], v42, s7, 0
	v_mad_i64_i32 v[42:43], s[2:3], v42, s6, 0
	v_lshl_add_u64 v[40:41], v[40:41], 2, s[0:1]
	s_mov_b64 s[2:3], -1
	v_max_f32_e32 v44, v47, v47
	s_cbranch_vccz .LBB22_109
; %bb.108:
	v_min_f32_e32 v45, 0, v44
	v_lshl_add_u64 v[46:47], v[70:71], 2, v[40:41]
	flat_store_dword v[46:47], v45
	s_mov_b64 s[2:3], 0
.LBB22_109:
	v_lshl_add_u64 v[42:43], v[42:43], 2, s[12:13]
	s_andn2_b64 vcc, exec, s[2:3]
	v_mov_b32_e32 v45, 0
	s_cbranch_vccnz .LBB22_111
; %bb.110:
	v_lshl_add_u64 v[46:47], v[42:43], 0, v[76:77]
	flat_load_dword v45, v[46:47]
	v_lshl_add_u64 v[46:47], v[40:41], 0, v[76:77]
	s_waitcnt vmcnt(0) lgkmcnt(0)
	v_mul_f32_e32 v45, s15, v45
	v_min_f32_e32 v44, v45, v44
	flat_store_dword v[46:47], v44
	v_lshl_add_u64 v[44:45], v[64:65], 2, v[42:43]
	flat_load_dword v44, v[44:45]
	s_waitcnt vmcnt(0) lgkmcnt(0)
	v_mul_f32_e32 v45, s15, v44
.LBB22_111:
	v_pk_add_f32 v[46:47], v[24:25], v[36:37]
	s_mov_b64 s[2:3], -1
	v_min3_f32 v44, v46, v47, v105
	v_pk_add_f32 v[46:47], v[28:29], v[36:37]
	s_mov_b64 vcc, s[4:5]
	v_min3_f32 v48, v46, v47, v106
	v_pk_add_f32 v[46:47], v[26:27], v[38:39]
	s_nop 0
	v_min_f32_e32 v49, v46, v47
	v_pk_add_f32 v[46:47], v[30:31], v[38:39]
	s_nop 0
	v_min3_f32 v46, v46, v47, v48
	v_min3_f32 v47, v45, v49, v44
	v_lshl_add_u64 v[44:45], v[64:65], 2, v[40:41]
	flat_store_dword v[44:45], v47
	v_max_f32_e32 v44, v46, v46
	s_cbranch_vccz .LBB22_113
; %bb.112:
	v_min_f32_e32 v45, 0, v44
	v_lshl_add_u64 v[46:47], v[74:75], 2, v[40:41]
	flat_store_dword v[46:47], v45
	s_mov_b64 s[2:3], 0
.LBB22_113:
	s_andn2_b64 vcc, exec, s[2:3]
	v_mov_b32_e32 v45, 0
	s_cbranch_vccnz .LBB22_115
; %bb.114:
	v_lshl_add_u64 v[46:47], v[42:43], 0, v[80:81]
	flat_load_dword v45, v[46:47]
	v_lshl_add_u64 v[46:47], v[40:41], 0, v[80:81]
	s_waitcnt vmcnt(0) lgkmcnt(0)
	v_mul_f32_e32 v45, s15, v45
	v_min_f32_e32 v44, v45, v44
	flat_store_dword v[46:47], v44
	v_lshl_add_u64 v[44:45], v[66:67], 2, v[42:43]
	flat_load_dword v44, v[44:45]
	s_waitcnt vmcnt(0) lgkmcnt(0)
	v_mul_f32_e32 v45, s15, v44
.LBB22_115:
	v_pk_add_f32 v[46:47], v[20:21], v[36:37]
	s_mov_b64 s[2:3], -1
	v_min3_f32 v44, v46, v47, v103
	v_pk_add_f32 v[46:47], v[16:17], v[36:37]
	s_mov_b64 vcc, s[4:5]
	v_min3_f32 v48, v46, v47, v104
	v_pk_add_f32 v[46:47], v[22:23], v[38:39]
	s_nop 0
	v_min_f32_e32 v49, v46, v47
	v_pk_add_f32 v[46:47], v[18:19], v[38:39]
	s_nop 0
	v_min3_f32 v46, v46, v47, v48
	v_min3_f32 v47, v45, v49, v44
	v_lshl_add_u64 v[44:45], v[66:67], 2, v[40:41]
	flat_store_dword v[44:45], v47
	v_max_f32_e32 v44, v46, v46
	s_cbranch_vccz .LBB22_117
; %bb.116:
	v_min_f32_e32 v45, 0, v44
	v_lshl_add_u64 v[46:47], v[78:79], 2, v[40:41]
	flat_store_dword v[46:47], v45
	s_mov_b64 s[2:3], 0
.LBB22_117:
	;; [unrolled: 39-line block ×3, first 2 shown]
	s_andn2_b64 vcc, exec, s[2:3]
	v_mov_b32_e32 v45, 0
	s_cbranch_vccnz .LBB22_123
; %bb.122:
	v_lshl_add_u64 v[46:47], v[42:43], 0, v[86:87]
	flat_load_dword v45, v[46:47]
	v_lshl_add_u64 v[46:47], v[40:41], 0, v[86:87]
	v_lshl_add_u64 v[42:43], v[72:73], 2, v[42:43]
	s_waitcnt vmcnt(0) lgkmcnt(0)
	v_mul_f32_e32 v45, s15, v45
	v_min_f32_e32 v44, v45, v44
	flat_store_dword v[46:47], v44
	flat_load_dword v42, v[42:43]
	s_waitcnt vmcnt(0) lgkmcnt(0)
	v_mul_f32_e32 v45, s15, v42
.LBB22_123:
	v_pk_add_f32 v[36:37], v[0:1], v[36:37]
	v_pk_add_f32 v[32:33], v[32:33], v[4:5]
	v_min3_f32 v36, v36, v37, v99
	v_min3_f32 v37, v32, v33, v100
	v_pk_add_f32 v[32:33], v[2:3], v[38:39]
	s_mov_b64 vcc, s[4:5]
	v_min_f32_e32 v38, v32, v33
	v_pk_add_f32 v[32:33], v[34:35], v[6:7]
	v_min3_f32 v34, v45, v38, v36
	v_min3_f32 v37, v32, v33, v37
	v_lshl_add_u64 v[32:33], v[72:73], 2, v[40:41]
	flat_store_dword v[32:33], v34
	v_add_u32_e32 v34, 0xe0, v150
	v_mad_i64_i32 v[32:33], s[2:3], v34, s7, 0
	v_lshl_add_u64 v[32:33], v[32:33], 2, s[0:1]
	v_mad_i64_i32 v[34:35], s[0:1], v34, s6, 0
	s_mov_b64 s[0:1], -1
	v_max_f32_e32 v36, v37, v37
	s_cbranch_vccz .LBB22_125
; %bb.124:
	v_min_f32_e32 v37, 0, v36
	v_lshl_add_u64 v[38:39], v[70:71], 2, v[32:33]
	flat_store_dword v[38:39], v37
	s_mov_b64 s[0:1], 0
.LBB22_125:
	v_lshl_add_u64 v[34:35], v[34:35], 2, s[12:13]
	s_andn2_b64 vcc, exec, s[0:1]
	v_mov_b32_e32 v37, 0
	s_cbranch_vccnz .LBB22_127
; %bb.126:
	v_lshl_add_u64 v[38:39], v[34:35], 0, v[76:77]
	flat_load_dword v37, v[38:39]
	v_lshl_add_u64 v[38:39], v[32:33], 0, v[76:77]
	s_waitcnt vmcnt(0) lgkmcnt(0)
	v_mul_f32_e32 v37, s15, v37
	v_min_f32_e32 v36, v37, v36
	flat_store_dword v[38:39], v36
	v_lshl_add_u64 v[36:37], v[64:65], 2, v[34:35]
	flat_load_dword v36, v[36:37]
	s_waitcnt vmcnt(0) lgkmcnt(0)
	v_mul_f32_e32 v37, s15, v36
.LBB22_127:
	v_pk_add_f32 v[24:25], v[24:25], v[4:5]
	s_mov_b64 s[0:1], -1
	v_min3_f32 v36, v24, v25, v96
	v_pk_add_f32 v[24:25], v[28:29], v[4:5]
	s_mov_b64 vcc, s[4:5]
	v_min3_f32 v28, v24, v25, v97
	v_pk_add_f32 v[24:25], v[26:27], v[6:7]
	s_nop 0
	v_min_f32_e32 v26, v24, v25
	v_pk_add_f32 v[24:25], v[30:31], v[6:7]
	v_min3_f32 v26, v37, v26, v36
	v_min3_f32 v27, v24, v25, v28
	v_lshl_add_u64 v[24:25], v[64:65], 2, v[32:33]
	flat_store_dword v[24:25], v26
	v_max_f32_e32 v24, v27, v27
	s_cbranch_vccz .LBB22_129
; %bb.128:
	v_min_f32_e32 v25, 0, v24
	v_lshl_add_u64 v[26:27], v[74:75], 2, v[32:33]
	flat_store_dword v[26:27], v25
	s_mov_b64 s[0:1], 0
.LBB22_129:
	s_andn2_b64 vcc, exec, s[0:1]
	v_mov_b32_e32 v25, 0
	s_cbranch_vccnz .LBB22_131
; %bb.130:
	v_lshl_add_u64 v[26:27], v[34:35], 0, v[80:81]
	flat_load_dword v25, v[26:27]
	v_lshl_add_u64 v[26:27], v[32:33], 0, v[80:81]
	s_waitcnt vmcnt(0) lgkmcnt(0)
	v_mul_f32_e32 v25, s15, v25
	v_min_f32_e32 v24, v25, v24
	flat_store_dword v[26:27], v24
	v_lshl_add_u64 v[24:25], v[66:67], 2, v[34:35]
	flat_load_dword v24, v[24:25]
	s_waitcnt vmcnt(0) lgkmcnt(0)
	v_mul_f32_e32 v25, s15, v24
.LBB22_131:
	v_pk_add_f32 v[20:21], v[20:21], v[4:5]
	v_pk_add_f32 v[16:17], v[16:17], v[4:5]
	v_min3_f32 v20, v20, v21, v94
	v_min3_f32 v21, v16, v17, v95
	v_pk_add_f32 v[16:17], v[22:23], v[6:7]
	s_mov_b64 s[0:1], -1
	v_min_f32_e32 v22, v16, v17
	v_pk_add_f32 v[16:17], v[18:19], v[6:7]
	v_min3_f32 v19, v25, v22, v20
	v_min3_f32 v18, v16, v17, v21
	v_lshl_add_u64 v[16:17], v[66:67], 2, v[32:33]
	flat_store_dword v[16:17], v19
	v_max_f32_e32 v16, v18, v18
	s_mov_b64 vcc, s[4:5]
	s_cbranch_vccz .LBB22_133
; %bb.132:
	v_min_f32_e32 v17, 0, v16
	v_lshl_add_u64 v[18:19], v[78:79], 2, v[32:33]
	flat_store_dword v[18:19], v17
	s_mov_b64 s[0:1], 0
.LBB22_133:
	s_andn2_b64 vcc, exec, s[0:1]
	v_mov_b32_e32 v17, 0
	s_cbranch_vccnz .LBB22_135
; %bb.134:
	v_lshl_add_u64 v[18:19], v[34:35], 0, v[82:83]
	flat_load_dword v17, v[18:19]
	v_lshl_add_u64 v[18:19], v[32:33], 0, v[82:83]
	s_waitcnt vmcnt(0) lgkmcnt(0)
	v_mul_f32_e32 v17, s15, v17
	v_min_f32_e32 v16, v17, v16
	flat_store_dword v[18:19], v16
	v_lshl_add_u64 v[16:17], v[68:69], 2, v[34:35]
	flat_load_dword v16, v[16:17]
	s_waitcnt vmcnt(0) lgkmcnt(0)
	v_mul_f32_e32 v17, s15, v16
.LBB22_135:
	v_pk_add_f32 v[12:13], v[12:13], v[4:5]
	v_pk_add_f32 v[8:9], v[8:9], v[4:5]
	v_min3_f32 v12, v12, v13, v92
	v_min3_f32 v13, v8, v9, v93
	v_pk_add_f32 v[8:9], v[14:15], v[6:7]
	s_mov_b64 s[0:1], -1
	v_min_f32_e32 v14, v8, v9
	v_pk_add_f32 v[8:9], v[10:11], v[6:7]
	v_min3_f32 v11, v17, v14, v12
	v_min3_f32 v10, v8, v9, v13
	v_lshl_add_u64 v[8:9], v[68:69], 2, v[32:33]
	flat_store_dword v[8:9], v11
	v_max_f32_e32 v8, v10, v10
	s_mov_b64 vcc, s[4:5]
	s_cbranch_vccz .LBB22_137
; %bb.136:
	v_min_f32_e32 v9, 0, v8
	v_lshl_add_u64 v[10:11], v[84:85], 2, v[32:33]
	flat_store_dword v[10:11], v9
	s_mov_b64 s[0:1], 0
.LBB22_137:
	s_andn2_b64 vcc, exec, s[0:1]
	v_mov_b32_e32 v9, 0
	s_cbranch_vccnz .LBB22_139
; %bb.138:
	v_lshl_add_u64 v[10:11], v[34:35], 0, v[86:87]
	flat_load_dword v9, v[10:11]
	v_lshl_add_u64 v[10:11], v[32:33], 0, v[86:87]
	s_waitcnt vmcnt(0) lgkmcnt(0)
	v_mul_f32_e32 v9, s15, v9
	v_min_f32_e32 v8, v9, v8
	flat_store_dword v[10:11], v8
	v_lshl_add_u64 v[8:9], v[72:73], 2, v[34:35]
	flat_load_dword v8, v[8:9]
	s_waitcnt vmcnt(0) lgkmcnt(0)
	v_mul_f32_e32 v9, s15, v8
.LBB22_139:
	v_pk_add_f32 v[2:3], v[2:3], v[6:7]
	v_pk_add_f32 v[0:1], v[0:1], v[4:5]
	v_min_f32_e32 v2, v2, v3
	v_min3_f32 v0, v0, v1, v98
	v_min3_f32 v2, v9, v2, v0
	v_lshl_add_u64 v[0:1], v[72:73], 2, v[32:33]
	flat_store_dword v[0:1], v2
	s_endpgm
	.section	.rodata,"a",@progbits
	.p2align	6, 0x0
	.amdhsa_kernel _ZN12_GLOBAL__N_120geam_min_plus_kernelIf15HIP_vector_typeIfLj2EEfLi8ELi32ELi64ELi256ELi4ELi4ELi64ELi64ELi4ELc84ELc84ELb1ELb0ELb1EfKPKfKPfEEviiiT16_PT17_ilSA_ilS8_SA_ilPT18_ili26rocblas_geam_ex_operation_
		.amdhsa_group_segment_fixed_size 10240
		.amdhsa_private_segment_fixed_size 0
		.amdhsa_kernarg_size 128
		.amdhsa_user_sgpr_count 2
		.amdhsa_user_sgpr_dispatch_ptr 0
		.amdhsa_user_sgpr_queue_ptr 0
		.amdhsa_user_sgpr_kernarg_segment_ptr 1
		.amdhsa_user_sgpr_dispatch_id 0
		.amdhsa_user_sgpr_kernarg_preload_length 0
		.amdhsa_user_sgpr_kernarg_preload_offset 0
		.amdhsa_user_sgpr_private_segment_size 0
		.amdhsa_uses_dynamic_stack 0
		.amdhsa_enable_private_segment 0
		.amdhsa_system_sgpr_workgroup_id_x 1
		.amdhsa_system_sgpr_workgroup_id_y 0
		.amdhsa_system_sgpr_workgroup_id_z 1
		.amdhsa_system_sgpr_workgroup_info 0
		.amdhsa_system_vgpr_workitem_id 1
		.amdhsa_next_free_vgpr 177
		.amdhsa_next_free_sgpr 22
		.amdhsa_accum_offset 180
		.amdhsa_reserve_vcc 1
		.amdhsa_float_round_mode_32 0
		.amdhsa_float_round_mode_16_64 0
		.amdhsa_float_denorm_mode_32 3
		.amdhsa_float_denorm_mode_16_64 3
		.amdhsa_dx10_clamp 1
		.amdhsa_ieee_mode 1
		.amdhsa_fp16_overflow 0
		.amdhsa_tg_split 0
		.amdhsa_exception_fp_ieee_invalid_op 0
		.amdhsa_exception_fp_denorm_src 0
		.amdhsa_exception_fp_ieee_div_zero 0
		.amdhsa_exception_fp_ieee_overflow 0
		.amdhsa_exception_fp_ieee_underflow 0
		.amdhsa_exception_fp_ieee_inexact 0
		.amdhsa_exception_int_div_zero 0
	.end_amdhsa_kernel
	.section	.text._ZN12_GLOBAL__N_120geam_min_plus_kernelIf15HIP_vector_typeIfLj2EEfLi8ELi32ELi64ELi256ELi4ELi4ELi64ELi64ELi4ELc84ELc84ELb1ELb0ELb1EfKPKfKPfEEviiiT16_PT17_ilSA_ilS8_SA_ilPT18_ili26rocblas_geam_ex_operation_,"axG",@progbits,_ZN12_GLOBAL__N_120geam_min_plus_kernelIf15HIP_vector_typeIfLj2EEfLi8ELi32ELi64ELi256ELi4ELi4ELi64ELi64ELi4ELc84ELc84ELb1ELb0ELb1EfKPKfKPfEEviiiT16_PT17_ilSA_ilS8_SA_ilPT18_ili26rocblas_geam_ex_operation_,comdat
.Lfunc_end22:
	.size	_ZN12_GLOBAL__N_120geam_min_plus_kernelIf15HIP_vector_typeIfLj2EEfLi8ELi32ELi64ELi256ELi4ELi4ELi64ELi64ELi4ELc84ELc84ELb1ELb0ELb1EfKPKfKPfEEviiiT16_PT17_ilSA_ilS8_SA_ilPT18_ili26rocblas_geam_ex_operation_, .Lfunc_end22-_ZN12_GLOBAL__N_120geam_min_plus_kernelIf15HIP_vector_typeIfLj2EEfLi8ELi32ELi64ELi256ELi4ELi4ELi64ELi64ELi4ELc84ELc84ELb1ELb0ELb1EfKPKfKPfEEviiiT16_PT17_ilSA_ilS8_SA_ilPT18_ili26rocblas_geam_ex_operation_
                                        ; -- End function
	.set _ZN12_GLOBAL__N_120geam_min_plus_kernelIf15HIP_vector_typeIfLj2EEfLi8ELi32ELi64ELi256ELi4ELi4ELi64ELi64ELi4ELc84ELc84ELb1ELb0ELb1EfKPKfKPfEEviiiT16_PT17_ilSA_ilS8_SA_ilPT18_ili26rocblas_geam_ex_operation_.num_vgpr, 177
	.set _ZN12_GLOBAL__N_120geam_min_plus_kernelIf15HIP_vector_typeIfLj2EEfLi8ELi32ELi64ELi256ELi4ELi4ELi64ELi64ELi4ELc84ELc84ELb1ELb0ELb1EfKPKfKPfEEviiiT16_PT17_ilSA_ilS8_SA_ilPT18_ili26rocblas_geam_ex_operation_.num_agpr, 0
	.set _ZN12_GLOBAL__N_120geam_min_plus_kernelIf15HIP_vector_typeIfLj2EEfLi8ELi32ELi64ELi256ELi4ELi4ELi64ELi64ELi4ELc84ELc84ELb1ELb0ELb1EfKPKfKPfEEviiiT16_PT17_ilSA_ilS8_SA_ilPT18_ili26rocblas_geam_ex_operation_.numbered_sgpr, 22
	.set _ZN12_GLOBAL__N_120geam_min_plus_kernelIf15HIP_vector_typeIfLj2EEfLi8ELi32ELi64ELi256ELi4ELi4ELi64ELi64ELi4ELc84ELc84ELb1ELb0ELb1EfKPKfKPfEEviiiT16_PT17_ilSA_ilS8_SA_ilPT18_ili26rocblas_geam_ex_operation_.num_named_barrier, 0
	.set _ZN12_GLOBAL__N_120geam_min_plus_kernelIf15HIP_vector_typeIfLj2EEfLi8ELi32ELi64ELi256ELi4ELi4ELi64ELi64ELi4ELc84ELc84ELb1ELb0ELb1EfKPKfKPfEEviiiT16_PT17_ilSA_ilS8_SA_ilPT18_ili26rocblas_geam_ex_operation_.private_seg_size, 0
	.set _ZN12_GLOBAL__N_120geam_min_plus_kernelIf15HIP_vector_typeIfLj2EEfLi8ELi32ELi64ELi256ELi4ELi4ELi64ELi64ELi4ELc84ELc84ELb1ELb0ELb1EfKPKfKPfEEviiiT16_PT17_ilSA_ilS8_SA_ilPT18_ili26rocblas_geam_ex_operation_.uses_vcc, 1
	.set _ZN12_GLOBAL__N_120geam_min_plus_kernelIf15HIP_vector_typeIfLj2EEfLi8ELi32ELi64ELi256ELi4ELi4ELi64ELi64ELi4ELc84ELc84ELb1ELb0ELb1EfKPKfKPfEEviiiT16_PT17_ilSA_ilS8_SA_ilPT18_ili26rocblas_geam_ex_operation_.uses_flat_scratch, 0
	.set _ZN12_GLOBAL__N_120geam_min_plus_kernelIf15HIP_vector_typeIfLj2EEfLi8ELi32ELi64ELi256ELi4ELi4ELi64ELi64ELi4ELc84ELc84ELb1ELb0ELb1EfKPKfKPfEEviiiT16_PT17_ilSA_ilS8_SA_ilPT18_ili26rocblas_geam_ex_operation_.has_dyn_sized_stack, 0
	.set _ZN12_GLOBAL__N_120geam_min_plus_kernelIf15HIP_vector_typeIfLj2EEfLi8ELi32ELi64ELi256ELi4ELi4ELi64ELi64ELi4ELc84ELc84ELb1ELb0ELb1EfKPKfKPfEEviiiT16_PT17_ilSA_ilS8_SA_ilPT18_ili26rocblas_geam_ex_operation_.has_recursion, 0
	.set _ZN12_GLOBAL__N_120geam_min_plus_kernelIf15HIP_vector_typeIfLj2EEfLi8ELi32ELi64ELi256ELi4ELi4ELi64ELi64ELi4ELc84ELc84ELb1ELb0ELb1EfKPKfKPfEEviiiT16_PT17_ilSA_ilS8_SA_ilPT18_ili26rocblas_geam_ex_operation_.has_indirect_call, 0
	.section	.AMDGPU.csdata,"",@progbits
; Kernel info:
; codeLenInByte = 15704
; TotalNumSgprs: 28
; NumVgprs: 177
; NumAgprs: 0
; TotalNumVgprs: 177
; ScratchSize: 0
; MemoryBound: 0
; FloatMode: 240
; IeeeMode: 1
; LDSByteSize: 10240 bytes/workgroup (compile time only)
; SGPRBlocks: 3
; VGPRBlocks: 22
; NumSGPRsForWavesPerEU: 28
; NumVGPRsForWavesPerEU: 177
; AccumOffset: 180
; Occupancy: 2
; WaveLimiterHint : 1
; COMPUTE_PGM_RSRC2:SCRATCH_EN: 0
; COMPUTE_PGM_RSRC2:USER_SGPR: 2
; COMPUTE_PGM_RSRC2:TRAP_HANDLER: 0
; COMPUTE_PGM_RSRC2:TGID_X_EN: 1
; COMPUTE_PGM_RSRC2:TGID_Y_EN: 0
; COMPUTE_PGM_RSRC2:TGID_Z_EN: 1
; COMPUTE_PGM_RSRC2:TIDIG_COMP_CNT: 1
; COMPUTE_PGM_RSRC3_GFX90A:ACCUM_OFFSET: 44
; COMPUTE_PGM_RSRC3_GFX90A:TG_SPLIT: 0
	.section	.text._ZN12_GLOBAL__N_120geam_min_plus_kernelIf15HIP_vector_typeIfLj2EEfLi8ELi32ELi64ELi256ELi4ELi4ELi64ELi64ELi4ELc84ELc84ELb0ELb0ELb1EfKPKfKPfEEviiiT16_PT17_ilSA_ilS8_SA_ilPT18_ili26rocblas_geam_ex_operation_,"axG",@progbits,_ZN12_GLOBAL__N_120geam_min_plus_kernelIf15HIP_vector_typeIfLj2EEfLi8ELi32ELi64ELi256ELi4ELi4ELi64ELi64ELi4ELc84ELc84ELb0ELb0ELb1EfKPKfKPfEEviiiT16_PT17_ilSA_ilS8_SA_ilPT18_ili26rocblas_geam_ex_operation_,comdat
	.globl	_ZN12_GLOBAL__N_120geam_min_plus_kernelIf15HIP_vector_typeIfLj2EEfLi8ELi32ELi64ELi256ELi4ELi4ELi64ELi64ELi4ELc84ELc84ELb0ELb0ELb1EfKPKfKPfEEviiiT16_PT17_ilSA_ilS8_SA_ilPT18_ili26rocblas_geam_ex_operation_ ; -- Begin function _ZN12_GLOBAL__N_120geam_min_plus_kernelIf15HIP_vector_typeIfLj2EEfLi8ELi32ELi64ELi256ELi4ELi4ELi64ELi64ELi4ELc84ELc84ELb0ELb0ELb1EfKPKfKPfEEviiiT16_PT17_ilSA_ilS8_SA_ilPT18_ili26rocblas_geam_ex_operation_
	.p2align	8
	.type	_ZN12_GLOBAL__N_120geam_min_plus_kernelIf15HIP_vector_typeIfLj2EEfLi8ELi32ELi64ELi256ELi4ELi4ELi64ELi64ELi4ELc84ELc84ELb0ELb0ELb1EfKPKfKPfEEviiiT16_PT17_ilSA_ilS8_SA_ilPT18_ili26rocblas_geam_ex_operation_,@function
_ZN12_GLOBAL__N_120geam_min_plus_kernelIf15HIP_vector_typeIfLj2EEfLi8ELi32ELi64ELi256ELi4ELi4ELi64ELi64ELi4ELc84ELc84ELb0ELb0ELb1EfKPKfKPfEEviiiT16_PT17_ilSA_ilS8_SA_ilPT18_ili26rocblas_geam_ex_operation_: ; @_ZN12_GLOBAL__N_120geam_min_plus_kernelIf15HIP_vector_typeIfLj2EEfLi8ELi32ELi64ELi256ELi4ELi4ELi64ELi64ELi4ELc84ELc84ELb0ELb0ELb1EfKPKfKPfEEviiiT16_PT17_ilSA_ilS8_SA_ilPT18_ili26rocblas_geam_ex_operation_
; %bb.0:
	s_load_dwordx2 s[18:19], s[0:1], 0x8
	s_load_dwordx4 s[8:11], s[0:1], 0x20
	s_mov_b32 s6, s3
	s_mov_b32 s7, 0
	s_waitcnt lgkmcnt(0)
	v_cmp_eq_f32_e64 s[12:13], s19, 0
	s_and_b64 s[4:5], exec, s[12:13]
	s_mov_b64 vcc, s[4:5]
	s_cbranch_vccnz .LBB23_3
; %bb.1:
	s_load_dwordx2 s[14:15], s[0:1], 0x10
	s_lshl_b64 s[16:17], s[6:7], 3
	s_waitcnt lgkmcnt(0)
	s_add_u32 s14, s14, s16
	s_addc_u32 s15, s15, s17
	s_load_dwordx2 s[14:15], s[14:15], 0x0
	s_lshl_b64 s[8:9], s[8:9], 2
	s_waitcnt lgkmcnt(0)
	s_add_u32 s20, s14, s8
	s_addc_u32 s21, s15, s9
	s_andn2_b64 vcc, exec, s[12:13]
	s_cbranch_vccnz .LBB23_4
.LBB23_2:
	s_mov_b32 s27, 0
	s_mov_b32 s26, s6
	s_mov_b64 s[16:17], 0
	s_mov_b64 s[22:23], 0
	s_cbranch_execz .LBB23_5
	s_branch .LBB23_6
.LBB23_3:
	s_mov_b64 s[20:21], 0
	s_andn2_b64 vcc, exec, s[12:13]
	s_cbranch_vccz .LBB23_2
.LBB23_4:
	s_mov_b64 s[26:27], s[6:7]
	s_mov_b64 s[16:17], 0
	;; [unrolled: 1-line block ×3, first 2 shown]
.LBB23_5:
	s_lshl_b64 s[6:7], s[6:7], 3
	s_add_u32 s6, s10, s6
	s_load_dwordx2 s[8:9], s[0:1], 0x38
	s_addc_u32 s7, s11, s7
	s_load_dwordx2 s[6:7], s[6:7], 0x0
	s_waitcnt lgkmcnt(0)
	s_lshl_b64 s[8:9], s[8:9], 2
	s_add_u32 s22, s6, s8
	s_addc_u32 s23, s7, s9
.LBB23_6:
	s_load_dword s28, s[0:1], 0x40
	s_load_dwordx4 s[12:15], s[0:1], 0x58
	v_cmp_neq_f32_e64 s[24:25], s19, 0
	s_waitcnt lgkmcnt(0)
	v_cmp_eq_f32_e64 s[6:7], s28, 0
	s_and_b64 s[8:9], exec, s[6:7]
	s_mov_b64 vcc, s[8:9]
	s_cbranch_vccnz .LBB23_8
; %bb.7:
	s_load_dwordx2 s[6:7], s[0:1], 0x48
	s_lshl_b64 s[10:11], s[26:27], 3
	s_waitcnt lgkmcnt(0)
	s_add_u32 s6, s6, s10
	s_addc_u32 s7, s7, s11
	s_load_dwordx2 s[6:7], s[6:7], 0x0
	s_lshl_b64 s[10:11], s[12:13], 2
	s_waitcnt lgkmcnt(0)
	s_add_u32 s16, s6, s10
	s_addc_u32 s17, s7, s11
.LBB23_8:
	s_load_dword s12, s[0:1], 0x0
	s_load_dword s3, s[0:1], 0x18
	s_lshl_b64 s[6:7], s[26:27], 3
	s_add_u32 s10, s14, s6
	s_addc_u32 s11, s15, s7
	s_waitcnt lgkmcnt(0)
	s_add_i32 s6, s12, -1
	s_ashr_i32 s7, s6, 31
	s_lshr_b32 s7, s7, 26
	s_add_i32 s6, s6, s7
	s_ashr_i32 s6, s6, 6
	s_add_i32 s7, s6, 1
	v_cvt_f32_u32_e32 v1, s7
	v_and_b32_e32 v78, 0x3ff, v0
	v_bfe_u32 v79, v0, 10, 10
	v_and_b32_e32 v4, 3, v0
	v_rcp_iflag_f32_e32 v1, v1
	s_not_b32 s6, s6
	v_mov_b32_e32 v3, 0
	v_lshlrev_b32_e32 v8, 2, v4
	v_mul_f32_e32 v0, 0x4f7ffffe, v1
	v_cvt_u32_f32_e32 v1, v0
	v_lshl_add_u32 v0, v79, 3, v78
	v_lshrrev_b32_e32 v44, 2, v0
	v_mov_b32_e32 v5, 0
	v_readfirstlane_b32 s12, v1
	s_mul_i32 s6, s6, s12
	s_mul_hi_u32 s6, s12, s6
	s_add_i32 s12, s12, s6
	s_mul_hi_u32 s6, s2, s12
	s_mul_i32 s12, s6, s7
	s_sub_i32 s12, s2, s12
	s_add_i32 s13, s6, 1
	s_sub_i32 s14, s12, s7
	s_cmp_ge_u32 s12, s7
	s_cselect_b32 s6, s13, s6
	s_cselect_b32 s12, s14, s12
	s_add_i32 s13, s6, 1
	s_cmp_ge_u32 s12, s7
	s_cselect_b32 s13, s13, s6
	s_mul_i32 s27, s13, s7
	s_sub_i32 s6, s2, s27
	s_lshl_b32 s26, s6, 6
	v_cndmask_b32_e64 v1, 0, 1, s[24:25]
	v_cmp_ne_u32_e64 s[6:7], 1, v1
	s_andn2_b64 vcc, exec, s[24:25]
	v_add_u32_e32 v2, s26, v44
	s_cbranch_vccnz .LBB23_10
; %bb.9:
	v_mad_i64_i32 v[4:5], s[14:15], v2, s3, 0
	v_lshl_add_u64 v[4:5], v[4:5], 2, s[20:21]
	v_mov_b32_e32 v9, 0
	v_lshl_add_u64 v[4:5], v[4:5], 0, v[8:9]
	flat_load_dword v1, v[4:5]
	s_waitcnt vmcnt(0) lgkmcnt(0)
	v_mul_f32_e32 v5, s19, v1
.LBB23_10:
	s_load_dword s12, s[0:1], 0x30
	v_and_b32_e32 v46, 63, v0
	v_lshrrev_b32_e32 v45, 6, v0
	s_lshl_b32 s24, s13, 8
	v_or_b32_e32 v10, s24, v46
	s_waitcnt lgkmcnt(0)
	v_mad_i64_i32 v[0:1], s[14:15], s12, v45, 0
	v_lshl_add_u64 v[0:1], v[0:1], 2, s[22:23]
	s_and_b64 vcc, exec, s[6:7]
	v_ashrrev_i32_e32 v11, 31, v10
	v_mov_b32_e32 v4, 0
	s_cbranch_vccnz .LBB23_12
; %bb.11:
	v_lshl_add_u64 v[6:7], v[10:11], 2, v[0:1]
	flat_load_dword v3, v[6:7]
	flat_load_dword v9, v[6:7] offset:256
	s_waitcnt vmcnt(0) lgkmcnt(0)
	v_mul_f32_e32 v4, s19, v3
	v_mul_f32_e32 v3, s19, v9
.LBB23_12:
	s_ashr_i32 s13, s12, 31
	v_mov_b32_e32 v7, 0
	s_mov_b64 vcc, s[4:5]
	s_cbranch_vccz .LBB23_14
; %bb.13:
	s_mov_b32 s14, 0
	v_mov_b32_e32 v6, s14
	s_cbranch_execz .LBB23_15
	s_branch .LBB23_16
.LBB23_14:
                                        ; implicit-def: $vgpr6
.LBB23_15:
	v_lshl_add_u64 v[0:1], v[10:11], 2, v[0:1]
	flat_load_dword v6, v[0:1] offset:512
	flat_load_dword v7, v[0:1] offset:768
	s_waitcnt vmcnt(0) lgkmcnt(0)
	v_mul_f32_e32 v6, s19, v6
	v_mul_f32_e32 v7, s19, v7
.LBB23_16:
	v_mov_b32_e32 v1, 0
	s_and_b64 vcc, exec, s[6:7]
	v_mov_b32_e32 v49, 0
	s_cbranch_vccnz .LBB23_18
; %bb.17:
	v_mad_i64_i32 v[12:13], s[14:15], v2, s3, 0
	v_lshl_add_u64 v[12:13], v[12:13], 2, s[20:21]
	v_mov_b32_e32 v9, 0
	v_lshl_add_u64 v[12:13], v[12:13], 0, v[8:9]
	flat_load_dword v0, v[12:13] offset:16
	s_waitcnt vmcnt(0) lgkmcnt(0)
	v_mul_f32_e32 v49, s19, v0
.LBB23_18:
	v_add_u32_e32 v0, 4, v45
	v_mad_i64_i32 v[12:13], s[14:15], s12, v0, 0
	v_lshl_add_u64 v[12:13], v[12:13], 2, s[22:23]
	s_and_b64 vcc, exec, s[6:7]
	v_mov_b32_e32 v0, 0
	s_cbranch_vccnz .LBB23_20
; %bb.19:
	v_lshl_add_u64 v[0:1], v[10:11], 2, v[12:13]
	flat_load_dword v2, v[0:1]
	flat_load_dword v9, v[0:1] offset:256
	s_waitcnt vmcnt(0) lgkmcnt(0)
	v_mul_f32_e32 v0, s19, v2
	v_mul_f32_e32 v1, s19, v9
.LBB23_20:
	v_mov_b32_e32 v48, 0
	s_mov_b64 vcc, s[4:5]
	s_cbranch_vccz .LBB23_22
; %bb.21:
	s_mov_b32 s14, 0
	v_mov_b32_e32 v2, s14
	s_cbranch_execz .LBB23_23
	s_branch .LBB23_24
.LBB23_22:
                                        ; implicit-def: $vgpr2
.LBB23_23:
	v_lshl_add_u64 v[10:11], v[10:11], 2, v[12:13]
	flat_load_dword v2, v[10:11] offset:512
	flat_load_dword v9, v[10:11] offset:768
	s_waitcnt vmcnt(0) lgkmcnt(0)
	v_mul_f32_e32 v2, s19, v2
	v_mul_f32_e32 v48, s19, v9
.LBB23_24:
	v_lshl_or_b32 v47, v44, 4, v8
	ds_write_b32 v47, v5 offset:8192
	v_lshlrev_b32_e32 v5, 4, v46
	v_lshl_add_u32 v82, v45, 2, v5
	v_lshlrev_b32_e32 v81, 4, v78
	s_load_dwordx2 s[10:11], s[10:11], 0x0
	ds_write2st64_b32 v82, v4, v3 offset1:4
	ds_write2st64_b32 v82, v6, v7 offset0:8 offset1:12
	s_waitcnt lgkmcnt(0)
	s_barrier
	v_lshlrev_b32_e32 v80, 4, v79
	ds_read_b128 v[32:35], v81 offset:8192
	ds_read_b128 v[28:31], v81 offset:8320
	;; [unrolled: 1-line block ×8, first 2 shown]
	ds_read_b128 v[50:53], v80
	ds_read_b128 v[54:57], v80 offset:512
	ds_read_b128 v[58:61], v80 offset:1024
	ds_read_b128 v[40:43], v80 offset:1536
	ds_read_b128 v[36:39], v80 offset:2048
	s_waitcnt lgkmcnt(4)
	v_pk_add_f32 v[62:63], v[32:33], v[50:51]
	s_mov_b32 s14, 0x7f7fffff
	v_min3_f32 v3, v62, v63, s14
	v_pk_add_f32 v[62:63], v[28:29], v[50:51]
	s_cmp_lt_i32 s18, 9
	v_min3_f32 v66, v62, v63, s14
	v_pk_add_f32 v[62:63], v[24:25], v[50:51]
	s_nop 0
	v_min3_f32 v67, v62, v63, s14
	v_pk_add_f32 v[62:63], v[20:21], v[50:51]
	s_nop 0
	;; [unrolled: 3-line block ×4, first 2 shown]
	v_min3_f32 v70, v62, v63, s14
	v_pk_add_f32 v[62:63], v[8:9], v[50:51]
	v_pk_add_f32 v[50:51], v[4:5], v[50:51]
	v_min3_f32 v71, v62, v63, s14
	v_min3_f32 v72, v50, v51, s14
	s_waitcnt lgkmcnt(3)
	v_pk_add_f32 v[50:51], v[32:33], v[54:55]
	ds_read_b128 v[62:65], v80 offset:2560
	v_min3_f32 v73, v50, v51, s14
	v_pk_add_f32 v[50:51], v[28:29], v[54:55]
	s_nop 0
	v_min3_f32 v74, v50, v51, s14
	v_pk_add_f32 v[50:51], v[24:25], v[54:55]
	s_nop 0
	;; [unrolled: 3-line block ×7, first 2 shown]
	v_min3_f32 v54, v50, v51, s14
	s_waitcnt lgkmcnt(3)
	v_pk_add_f32 v[50:51], v[32:33], v[58:59]
	s_nop 0
	v_min3_f32 v55, v50, v51, s14
	v_pk_add_f32 v[50:51], v[28:29], v[58:59]
	s_nop 0
	v_min3_f32 v91, v50, v51, s14
	;; [unrolled: 3-line block ×8, first 2 shown]
	s_waitcnt lgkmcnt(2)
	v_pk_add_f32 v[50:51], v[32:33], v[40:41]
	s_nop 0
	v_min3_f32 v59, v50, v51, s14
	v_pk_add_f32 v[50:51], v[28:29], v[40:41]
	s_nop 0
	v_min3_f32 v97, v50, v51, s14
	;; [unrolled: 3-line block ×6, first 2 shown]
	v_pk_add_f32 v[50:51], v[8:9], v[40:41]
	v_pk_add_f32 v[40:41], v[4:5], v[40:41]
	v_min3_f32 v50, v50, v51, s14
	v_min3_f32 v51, v40, v41, s14
	s_waitcnt lgkmcnt(1)
	v_pk_add_f32 v[40:41], v[32:33], v[36:37]
	s_nop 0
	v_min3_f32 v102, v40, v41, s14
	v_pk_add_f32 v[40:41], v[28:29], v[36:37]
	s_nop 0
	v_min3_f32 v103, v40, v41, s14
	;; [unrolled: 3-line block ×6, first 2 shown]
	v_pk_add_f32 v[40:41], v[8:9], v[36:37]
	v_pk_add_f32 v[36:37], v[4:5], v[36:37]
	v_min3_f32 v108, v40, v41, s14
	v_min3_f32 v109, v36, v37, s14
	v_pk_add_f32 v[36:37], v[34:35], v[52:53]
	s_waitcnt lgkmcnt(0)
	v_pk_add_f32 v[40:41], v[24:25], v[62:63]
	v_min3_f32 v88, v36, v37, v3
	v_pk_add_f32 v[36:37], v[30:31], v[52:53]
	s_nop 0
	v_min3_f32 v149, v36, v37, v66
	v_pk_add_f32 v[36:37], v[26:27], v[52:53]
	s_nop 0
	;; [unrolled: 3-line block ×16, first 2 shown]
	v_min3_f32 v66, v36, v37, s14
	v_pk_add_f32 v[36:37], v[6:7], v[56:57]
	v_min3_f32 v56, v40, v41, s14
	v_min3_f32 v140, v36, v37, v54
	v_pk_add_f32 v[36:37], v[34:35], v[60:61]
	v_pk_add_f32 v[40:41], v[20:21], v[62:63]
	v_min3_f32 v139, v36, v37, v55
	v_pk_add_f32 v[36:37], v[30:31], v[60:61]
	v_min3_f32 v57, v40, v41, s14
	v_min3_f32 v138, v36, v37, v91
	v_pk_add_f32 v[36:37], v[26:27], v[60:61]
	v_pk_add_f32 v[40:41], v[8:9], v[62:63]
	v_min3_f32 v137, v36, v37, v92
	v_pk_add_f32 v[36:37], v[22:23], v[60:61]
	s_nop 0
	v_min3_f32 v136, v36, v37, v93
	v_pk_add_f32 v[36:37], v[18:19], v[60:61]
	s_nop 0
	;; [unrolled: 3-line block ×6, first 2 shown]
	v_min3_f32 v55, v36, v37, s14
	v_pk_add_f32 v[36:37], v[6:7], v[60:61]
	v_min3_f32 v60, v40, v41, s14
	v_min3_f32 v132, v36, v37, v58
	v_pk_add_f32 v[36:37], v[34:35], v[42:43]
	v_pk_add_f32 v[40:41], v[4:5], v[62:63]
	v_min3_f32 v131, v36, v37, v59
	v_pk_add_f32 v[36:37], v[30:31], v[42:43]
	v_min3_f32 v61, v40, v41, s14
	v_min3_f32 v130, v36, v37, v97
	v_pk_add_f32 v[36:37], v[26:27], v[42:43]
	s_nop 0
	v_min3_f32 v129, v36, v37, v98
	v_pk_add_f32 v[36:37], v[22:23], v[42:43]
	s_nop 0
	;; [unrolled: 3-line block ×5, first 2 shown]
	v_min3_f32 v125, v36, v37, v50
	v_pk_add_f32 v[36:37], v[6:7], v[42:43]
	ds_read_b128 v[40:43], v80 offset:3072
	v_min3_f32 v124, v36, v37, v51
	v_pk_add_f32 v[36:37], v[34:35], v[38:39]
	ds_read_b128 v[50:53], v80 offset:3584
	v_min3_f32 v123, v36, v37, v102
	v_pk_add_f32 v[36:37], v[30:31], v[38:39]
	ds_write_b32 v47, v49 offset:9216
	ds_write2st64_b32 v82, v0, v1 offset0:16 offset1:20
	ds_write2st64_b32 v82, v2, v48 offset0:24 offset1:28
	v_min3_f32 v122, v36, v37, v103
	v_pk_add_f32 v[36:37], v[26:27], v[38:39]
	s_waitcnt lgkmcnt(0)
	v_min3_f32 v121, v36, v37, v104
	v_pk_add_f32 v[36:37], v[22:23], v[38:39]
	s_barrier
	v_min3_f32 v120, v36, v37, v105
	v_pk_add_f32 v[36:37], v[18:19], v[38:39]
	s_nop 0
	v_min3_f32 v119, v36, v37, v106
	v_pk_add_f32 v[36:37], v[14:15], v[38:39]
	s_nop 0
	;; [unrolled: 3-line block ×3, first 2 shown]
	v_min3_f32 v115, v36, v37, v108
	v_pk_add_f32 v[36:37], v[32:33], v[40:41]
	v_pk_add_f32 v[32:33], v[32:33], v[50:51]
	v_min3_f32 v58, v36, v37, s14
	v_pk_add_f32 v[36:37], v[28:29], v[40:41]
	v_pk_add_f32 v[28:29], v[28:29], v[50:51]
	;; [unrolled: 3-line block ×3, first 2 shown]
	v_min3_f32 v118, v36, v37, v109
	v_pk_add_f32 v[36:37], v[34:35], v[64:65]
	v_min3_f32 v62, v38, v39, s14
	v_min3_f32 v117, v36, v37, v3
	v_pk_add_f32 v[36:37], v[30:31], v[64:65]
	v_pk_add_f32 v[38:39], v[20:21], v[40:41]
	v_min3_f32 v114, v36, v37, v66
	v_pk_add_f32 v[36:37], v[26:27], v[64:65]
	v_min3_f32 v63, v38, v39, s14
	v_min3_f32 v113, v36, v37, v56
	v_pk_add_f32 v[36:37], v[22:23], v[64:65]
	v_pk_add_f32 v[38:39], v[8:9], v[40:41]
	v_min3_f32 v112, v36, v37, v57
	v_pk_add_f32 v[36:37], v[18:19], v[64:65]
	v_pk_add_f32 v[24:25], v[24:25], v[50:51]
	;; [unrolled: 3-line block ×3, first 2 shown]
	v_min3_f32 v110, v36, v37, v55
	v_pk_add_f32 v[36:37], v[10:11], v[64:65]
	v_min3_f32 v55, v38, v39, s14
	v_min3_f32 v109, v36, v37, v60
	v_pk_add_f32 v[36:37], v[16:17], v[40:41]
	v_pk_add_f32 v[38:39], v[4:5], v[40:41]
	v_min3_f32 v3, v36, v37, s14
	v_pk_add_f32 v[36:37], v[12:13], v[40:41]
	v_pk_add_f32 v[4:5], v[4:5], v[50:51]
	v_min3_f32 v54, v36, v37, s14
	v_pk_add_f32 v[36:37], v[6:7], v[64:65]
	v_min3_f32 v24, v24, v25, s14
	v_min3_f32 v108, v36, v37, v61
	v_pk_add_f32 v[36:37], v[34:35], v[42:43]
	v_pk_add_f32 v[20:21], v[20:21], v[50:51]
	v_min3_f32 v107, v36, v37, v58
	v_pk_add_f32 v[36:37], v[30:31], v[42:43]
	v_min3_f32 v8, v8, v9, s14
	v_min3_f32 v106, v36, v37, v59
	v_pk_add_f32 v[36:37], v[26:27], v[42:43]
	v_min3_f32 v9, v4, v5, s14
	v_min3_f32 v105, v36, v37, v62
	v_pk_add_f32 v[36:37], v[22:23], v[42:43]
	v_pk_add_f32 v[4:5], v[26:27], v[52:53]
	v_min3_f32 v104, v36, v37, v63
	v_pk_add_f32 v[36:37], v[18:19], v[42:43]
	v_min3_f32 v20, v20, v21, s14
	v_min3_f32 v103, v36, v37, v3
	;; [unrolled: 1-line block ×4, first 2 shown]
	v_pk_add_f32 v[28:29], v[34:35], v[52:53]
	v_pk_add_f32 v[16:17], v[16:17], v[50:51]
	v_min3_f32 v97, v4, v5, v24
	v_pk_add_f32 v[4:5], v[22:23], v[52:53]
	v_min3_f32 v100, v28, v29, v3
	v_min3_f32 v3, v16, v17, s14
	v_pk_add_f32 v[12:13], v[12:13], v[50:51]
	v_min3_f32 v96, v4, v5, v20
	v_pk_add_f32 v[4:5], v[18:19], v[52:53]
	v_pk_add_f32 v[36:37], v[14:15], v[42:43]
	v_min3_f32 v16, v12, v13, s14
	v_min3_f32 v95, v4, v5, v3
	v_pk_add_f32 v[4:5], v[14:15], v[52:53]
	v_min3_f32 v102, v36, v37, v54
	v_pk_add_f32 v[36:37], v[10:11], v[42:43]
	;; [unrolled: 2-line block ×3, first 2 shown]
	v_min3_f32 v38, v38, v39, s14
	v_min3_f32 v101, v36, v37, v55
	v_pk_add_f32 v[36:37], v[6:7], v[42:43]
	v_pk_add_f32 v[12:13], v[30:31], v[52:53]
	v_min3_f32 v93, v4, v5, v8
	v_pk_add_f32 v[4:5], v[6:7], v[52:53]
	v_min3_f32 v99, v36, v37, v38
	v_min3_f32 v98, v12, v13, v32
	;; [unrolled: 1-line block ×3, first 2 shown]
	s_cbranch_scc1 .LBB23_47
; %bb.25:
	v_mov_b32_e32 v0, 0x2400
	v_lshl_add_u32 v151, v78, 4, v0
	v_mov_b32_e32 v0, 0x1000
	v_lshl_add_u32 v152, v79, 4, v0
	v_lshl_add_u32 v0, s2, 6, v44
	s_lshl_b32 s2, s27, 6
	v_subrev_u32_e32 v0, s2, v0
	v_and_b32_e32 v2, 3, v78
	v_mad_i64_i32 v[0:1], s[2:3], s3, v0, 0
	v_lshlrev_b32_e32 v2, 2, v2
	v_mov_b32_e32 v3, 0
	v_lshl_add_u64 v[0:1], v[0:1], 2, v[2:3]
	v_lshl_add_u64 v[0:1], s[20:21], 0, v[0:1]
	;; [unrolled: 1-line block ×3, first 2 shown]
	v_add_u32_e32 v0, 8, v45
	v_mad_i64_i32 v[0:1], s[2:3], v0, s12, 0
	v_lshlrev_b64 v[70:71], 2, v[0:1]
	v_add_u32_e32 v0, s24, v46
	v_ashrrev_i32_e32 v1, 31, v0
	v_lshl_add_u64 v[72:73], v[0:1], 2, s[22:23]
	v_add_u32_e32 v0, 12, v45
	s_lshl_b64 s[2:3], s[12:13], 5
	v_mad_i64_i32 v[0:1], s[12:13], v0, s12, 0
	v_add_u32_e32 v89, 0x2000, v47
	v_add_u32_e32 v90, 0x2000, v81
	v_add_u32_e32 v91, 0x2400, v47
	v_or_b32_e32 v150, 0x1000, v82
	s_add_i32 s14, s18, -8
	v_lshlrev_b64 v[74:75], 2, v[0:1]
	s_mov_b32 s15, 0
	s_mov_b32 s18, 0
	s_branch .LBB23_27
.LBB23_26:                              ;   in Loop: Header=BB23_27 Depth=1
	v_pk_add_f32 v[76:77], v[32:33], v[64:65]
	s_add_i32 s18, s18, 8
	v_min3_f32 v88, v76, v77, v88
	v_pk_add_f32 v[76:77], v[28:29], v[64:65]
	v_lshl_add_u64 v[68:69], v[68:69], 0, 32
	v_min3_f32 v149, v76, v77, v149
	v_pk_add_f32 v[76:77], v[24:25], v[64:65]
	s_cmp_ge_i32 s18, s14
	v_min3_f32 v87, v76, v77, v87
	v_pk_add_f32 v[76:77], v[20:21], v[64:65]
	v_lshl_add_u64 v[72:73], v[72:73], 0, s[2:3]
	v_min3_f32 v86, v76, v77, v86
	v_pk_add_f32 v[76:77], v[16:17], v[64:65]
	s_nop 0
	v_min3_f32 v83, v76, v77, v83
	v_pk_add_f32 v[76:77], v[12:13], v[64:65]
	s_nop 0
	v_min3_f32 v85, v76, v77, v85
	v_pk_add_f32 v[76:77], v[8:9], v[64:65]
	v_pk_add_f32 v[64:65], v[4:5], v[64:65]
	v_min3_f32 v76, v76, v77, v84
	v_min3_f32 v77, v64, v65, v148
	v_pk_add_f32 v[64:65], v[32:33], v[60:61]
	s_nop 0
	v_min3_f32 v84, v64, v65, v147
	v_pk_add_f32 v[64:65], v[28:29], v[60:61]
	s_nop 0
	v_min3_f32 v146, v64, v65, v146
	v_pk_add_f32 v[64:65], v[24:25], v[60:61]
	s_nop 0
	v_min3_f32 v145, v64, v65, v145
	v_pk_add_f32 v[64:65], v[20:21], v[60:61]
	s_nop 0
	v_min3_f32 v144, v64, v65, v144
	v_pk_add_f32 v[64:65], v[16:17], v[60:61]
	s_nop 0
	v_min3_f32 v143, v64, v65, v143
	v_pk_add_f32 v[64:65], v[12:13], v[60:61]
	s_nop 0
	v_min3_f32 v142, v64, v65, v142
	v_pk_add_f32 v[64:65], v[8:9], v[60:61]
	v_pk_add_f32 v[60:61], v[4:5], v[60:61]
	v_min3_f32 v64, v64, v65, v141
	v_min3_f32 v65, v60, v61, v140
	v_pk_add_f32 v[60:61], v[32:33], v[56:57]
	s_nop 0
	v_min3_f32 v139, v60, v61, v139
	v_pk_add_f32 v[60:61], v[28:29], v[56:57]
	s_nop 0
	v_min3_f32 v138, v60, v61, v138
	v_pk_add_f32 v[60:61], v[24:25], v[56:57]
	s_nop 0
	v_min3_f32 v137, v60, v61, v137
	v_pk_add_f32 v[60:61], v[20:21], v[56:57]
	s_nop 0
	v_min3_f32 v136, v60, v61, v136
	v_pk_add_f32 v[60:61], v[16:17], v[56:57]
	s_nop 0
	v_min3_f32 v135, v60, v61, v135
	v_pk_add_f32 v[60:61], v[12:13], v[56:57]
	s_nop 0
	v_min3_f32 v134, v60, v61, v134
	v_pk_add_f32 v[60:61], v[8:9], v[56:57]
	v_pk_add_f32 v[56:57], v[4:5], v[56:57]
	v_min3_f32 v60, v60, v61, v133
	v_min3_f32 v61, v56, v57, v132
	v_pk_add_f32 v[56:57], v[32:33], v[52:53]
	s_nop 0
	v_min3_f32 v131, v56, v57, v131
	v_pk_add_f32 v[56:57], v[28:29], v[52:53]
	s_nop 0
	v_min3_f32 v130, v56, v57, v130
	v_pk_add_f32 v[56:57], v[24:25], v[52:53]
	s_nop 0
	v_min3_f32 v129, v56, v57, v129
	v_pk_add_f32 v[56:57], v[20:21], v[52:53]
	s_nop 0
	v_min3_f32 v128, v56, v57, v128
	v_pk_add_f32 v[56:57], v[16:17], v[52:53]
	s_nop 0
	v_min3_f32 v127, v56, v57, v127
	v_pk_add_f32 v[56:57], v[12:13], v[52:53]
	s_nop 0
	v_min3_f32 v126, v56, v57, v126
	v_pk_add_f32 v[56:57], v[8:9], v[52:53]
	v_pk_add_f32 v[52:53], v[4:5], v[52:53]
	v_min3_f32 v56, v56, v57, v125
	v_min3_f32 v57, v52, v53, v124
	v_pk_add_f32 v[52:53], v[32:33], v[48:49]
	s_nop 0
	v_min3_f32 v123, v52, v53, v123
	v_pk_add_f32 v[52:53], v[28:29], v[48:49]
	s_nop 0
	v_min3_f32 v122, v52, v53, v122
	v_pk_add_f32 v[52:53], v[24:25], v[48:49]
	s_nop 0
	v_min3_f32 v121, v52, v53, v121
	v_pk_add_f32 v[52:53], v[20:21], v[48:49]
	s_nop 0
	v_min3_f32 v120, v52, v53, v120
	v_pk_add_f32 v[52:53], v[16:17], v[48:49]
	s_nop 0
	v_min3_f32 v119, v52, v53, v119
	v_pk_add_f32 v[52:53], v[12:13], v[48:49]
	s_nop 0
	v_min3_f32 v116, v52, v53, v116
	v_pk_add_f32 v[52:53], v[8:9], v[48:49]
	v_pk_add_f32 v[48:49], v[4:5], v[48:49]
	v_min3_f32 v52, v52, v53, v115
	v_min3_f32 v53, v48, v49, v118
	v_pk_add_f32 v[48:49], v[32:33], v[44:45]
	s_nop 0
	v_min3_f32 v115, v48, v49, v117
	v_pk_add_f32 v[48:49], v[28:29], v[44:45]
	s_nop 0
	v_min3_f32 v114, v48, v49, v114
	v_pk_add_f32 v[48:49], v[24:25], v[44:45]
	s_nop 0
	v_min3_f32 v113, v48, v49, v113
	v_pk_add_f32 v[48:49], v[20:21], v[44:45]
	s_nop 0
	v_min3_f32 v112, v48, v49, v112
	v_pk_add_f32 v[48:49], v[16:17], v[44:45]
	s_nop 0
	v_min3_f32 v111, v48, v49, v111
	v_pk_add_f32 v[48:49], v[12:13], v[44:45]
	s_nop 0
	v_min3_f32 v110, v48, v49, v110
	v_pk_add_f32 v[48:49], v[8:9], v[44:45]
	v_pk_add_f32 v[44:45], v[4:5], v[44:45]
	v_min3_f32 v48, v48, v49, v109
	v_min3_f32 v49, v44, v45, v108
	v_pk_add_f32 v[44:45], v[32:33], v[40:41]
	v_pk_add_f32 v[32:33], v[32:33], v[36:37]
	v_min3_f32 v107, v44, v45, v107
	v_pk_add_f32 v[44:45], v[28:29], v[40:41]
	v_pk_add_f32 v[28:29], v[28:29], v[36:37]
	;; [unrolled: 3-line block ×7, first 2 shown]
	v_pk_add_f32 v[8:9], v[8:9], v[36:37]
	v_pk_add_f32 v[4:5], v[4:5], v[36:37]
	v_min3_f32 v8, v8, v9, v93
	v_min3_f32 v9, v4, v5, v92
	v_pk_add_f32 v[4:5], v[34:35], v[66:67]
	v_min3_f32 v12, v12, v13, v94
	v_min3_f32 v88, v4, v5, v88
	;; [unrolled: 3-line block ×9, first 2 shown]
	v_pk_add_f32 v[4:5], v[34:35], v[62:63]
	s_nop 0
	v_min3_f32 v84, v4, v5, v84
	v_pk_add_f32 v[4:5], v[30:31], v[62:63]
	s_nop 0
	v_min3_f32 v95, v4, v5, v146
	;; [unrolled: 3-line block ×56, first 2 shown]
	ds_read_b128 v[4:7], v90
	ds_read_b128 v[8:11], v90 offset:128
	ds_read_b128 v[12:15], v90 offset:256
	;; [unrolled: 1-line block ×7, first 2 shown]
	ds_read_b128 v[40:43], v80
	ds_read_b128 v[44:47], v80 offset:512
	ds_read_b128 v[48:51], v80 offset:1024
	ds_read_b128 v[52:55], v80 offset:1536
	ds_read_b128 v[56:59], v80 offset:2048
	ds_read_b128 v[60:63], v80 offset:2560
	ds_read_b128 v[64:67], v80 offset:3072
	ds_read_b128 v[36:39], v80 offset:3584
	s_waitcnt lgkmcnt(7)
	v_pk_add_f32 v[76:77], v[4:5], v[40:41]
	ds_write_b32 v91, v153
	ds_write2st64_b32 v150, v0, v1 offset1:4
	ds_write2st64_b32 v150, v2, v3 offset0:8 offset1:12
	v_min3_f32 v88, v76, v77, v88
	v_pk_add_f32 v[76:77], v[8:9], v[40:41]
	s_waitcnt lgkmcnt(0)
	v_min3_f32 v92, v76, v77, v92
	v_pk_add_f32 v[76:77], v[12:13], v[40:41]
	s_barrier
	v_min3_f32 v87, v76, v77, v87
	v_pk_add_f32 v[76:77], v[16:17], v[40:41]
	s_nop 0
	v_min3_f32 v86, v76, v77, v86
	v_pk_add_f32 v[76:77], v[20:21], v[40:41]
	s_nop 0
	;; [unrolled: 3-line block ×3, first 2 shown]
	v_min3_f32 v85, v76, v77, v85
	v_pk_add_f32 v[76:77], v[28:29], v[40:41]
	v_pk_add_f32 v[40:41], v[32:33], v[40:41]
	v_min3_f32 v76, v76, v77, v93
	v_min3_f32 v77, v40, v41, v94
	v_pk_add_f32 v[40:41], v[4:5], v[44:45]
	s_nop 0
	v_min3_f32 v93, v40, v41, v84
	v_pk_add_f32 v[40:41], v[8:9], v[44:45]
	s_nop 0
	;; [unrolled: 3-line block ×40, first 2 shown]
	v_min3_f32 v60, v40, v41, v139
	v_pk_add_f32 v[40:41], v[4:5], v[64:65]
	v_pk_add_f32 v[4:5], v[4:5], v[36:37]
	v_min3_f32 v61, v40, v41, v107
	v_pk_add_f32 v[40:41], v[8:9], v[64:65]
	s_nop 0
	v_min3_f32 v106, v40, v41, v106
	v_pk_add_f32 v[40:41], v[12:13], v[64:65]
	s_nop 0
	;; [unrolled: 3-line block ×7, first 2 shown]
	v_min3_f32 v40, v40, v41, v141
	v_min3_f32 v41, v4, v5, v142
	v_pk_add_f32 v[4:5], v[8:9], v[36:37]
	s_nop 0
	v_min3_f32 v8, v4, v5, v143
	v_pk_add_f32 v[4:5], v[12:13], v[36:37]
	s_nop 0
	;; [unrolled: 3-line block ×71, first 2 shown]
	v_min3_f32 v92, v4, v5, v20
	s_cbranch_scc1 .LBB23_47
.LBB23_27:                              ; =>This Inner Loop Header: Depth=1
	s_and_b64 vcc, exec, s[6:7]
	v_mov_b32_e32 v76, 0
	s_cbranch_vccnz .LBB23_29
; %bb.28:                               ;   in Loop: Header=BB23_27 Depth=1
	flat_load_dword v0, v[68:69]
	s_waitcnt vmcnt(0) lgkmcnt(0)
	v_mul_f32_e32 v76, s19, v0
.LBB23_29:                              ;   in Loop: Header=BB23_27 Depth=1
	s_mov_b64 s[12:13], -1
	s_mov_b64 vcc, s[4:5]
                                        ; implicit-def: $vgpr0_vgpr1_vgpr2_vgpr3
	s_cbranch_vccnz .LBB23_40
; %bb.30:                               ;   in Loop: Header=BB23_27 Depth=1
	v_mov_b32_e32 v1, 0
	s_andn2_b64 vcc, exec, s[12:13]
	v_lshl_add_u64 v[4:5], v[72:73], 0, v[70:71]
	s_cbranch_vccz .LBB23_41
.LBB23_31:                              ;   in Loop: Header=BB23_27 Depth=1
	s_mov_b64 s[12:13], -1
	s_mov_b64 vcc, s[4:5]
                                        ; implicit-def: $vgpr2
	s_cbranch_vccnz .LBB23_42
.LBB23_32:                              ;   in Loop: Header=BB23_27 Depth=1
	v_mov_b32_e32 v153, 0
	s_andn2_b64 vcc, exec, s[12:13]
	v_mov_b32_e32 v3, 0
	s_cbranch_vccnz .LBB23_34
.LBB23_33:                              ;   in Loop: Header=BB23_27 Depth=1
	flat_load_dword v2, v[4:5] offset:512
	flat_load_dword v3, v[4:5] offset:768
	s_waitcnt vmcnt(0) lgkmcnt(0)
	v_mul_f32_e32 v2, s19, v2
	v_mul_f32_e32 v3, s19, v3
.LBB23_34:                              ;   in Loop: Header=BB23_27 Depth=1
	ds_read_b128 v[32:35], v151
	ds_read_b128 v[28:31], v151 offset:128
	ds_read_b128 v[24:27], v151 offset:256
	;; [unrolled: 1-line block ×7, first 2 shown]
	ds_read_b128 v[64:67], v152
	ds_read_b128 v[60:63], v152 offset:512
	ds_read_b128 v[56:59], v152 offset:1024
	;; [unrolled: 1-line block ×7, first 2 shown]
	s_and_b64 vcc, exec, s[6:7]
	ds_write_b32 v89, v76
	ds_write2st64_b32 v82, v0, v1 offset1:4
	ds_write2st64_b32 v82, v2, v3 offset0:8 offset1:12
	s_waitcnt lgkmcnt(0)
	s_barrier
	s_cbranch_vccnz .LBB23_36
; %bb.35:                               ;   in Loop: Header=BB23_27 Depth=1
	flat_load_dword v0, v[68:69] offset:16
	s_waitcnt vmcnt(0) lgkmcnt(0)
	v_mul_f32_e32 v153, s19, v0
.LBB23_36:                              ;   in Loop: Header=BB23_27 Depth=1
	s_mov_b64 s[12:13], -1
	s_mov_b64 vcc, s[4:5]
                                        ; implicit-def: $vgpr0_vgpr1_vgpr2_vgpr3
	s_cbranch_vccnz .LBB23_43
; %bb.37:                               ;   in Loop: Header=BB23_27 Depth=1
	v_mov_b32_e32 v1, 0
	s_andn2_b64 vcc, exec, s[12:13]
	v_lshl_add_u64 v[76:77], v[72:73], 0, v[74:75]
	s_cbranch_vccz .LBB23_44
.LBB23_38:                              ;   in Loop: Header=BB23_27 Depth=1
	s_mov_b64 s[12:13], -1
	s_mov_b64 vcc, s[4:5]
                                        ; implicit-def: $vgpr2
	s_cbranch_vccnz .LBB23_45
.LBB23_39:                              ;   in Loop: Header=BB23_27 Depth=1
	s_andn2_b64 vcc, exec, s[12:13]
	v_mov_b32_e32 v3, 0
	s_cbranch_vccnz .LBB23_26
	s_branch .LBB23_46
.LBB23_40:                              ;   in Loop: Header=BB23_27 Depth=1
	v_mov_b32_e32 v0, s15
	v_mov_b32_e32 v1, 0
	v_lshl_add_u64 v[4:5], v[72:73], 0, v[70:71]
	s_cbranch_execnz .LBB23_31
.LBB23_41:                              ;   in Loop: Header=BB23_27 Depth=1
	flat_load_dword v0, v[4:5]
	flat_load_dword v1, v[4:5] offset:256
	s_waitcnt vmcnt(0) lgkmcnt(0)
	v_mul_f32_e32 v0, s19, v0
	v_mul_f32_e32 v1, s19, v1
	s_mov_b64 s[12:13], -1
	s_mov_b64 vcc, s[4:5]
                                        ; implicit-def: $vgpr2
	s_cbranch_vccz .LBB23_32
.LBB23_42:                              ;   in Loop: Header=BB23_27 Depth=1
	v_mov_b32_e32 v2, s15
	v_mov_b32_e32 v153, 0
	;; [unrolled: 1-line block ×3, first 2 shown]
	s_cbranch_execz .LBB23_33
	s_branch .LBB23_34
.LBB23_43:                              ;   in Loop: Header=BB23_27 Depth=1
	v_mov_b32_e32 v0, s15
	v_mov_b32_e32 v1, 0
	v_lshl_add_u64 v[76:77], v[72:73], 0, v[74:75]
	s_cbranch_execnz .LBB23_38
.LBB23_44:                              ;   in Loop: Header=BB23_27 Depth=1
	flat_load_dword v0, v[76:77]
	flat_load_dword v1, v[76:77] offset:256
	s_waitcnt vmcnt(0) lgkmcnt(0)
	v_mul_f32_e32 v0, s19, v0
	v_mul_f32_e32 v1, s19, v1
	s_mov_b64 s[12:13], -1
	s_mov_b64 vcc, s[4:5]
                                        ; implicit-def: $vgpr2
	s_cbranch_vccz .LBB23_39
.LBB23_45:                              ;   in Loop: Header=BB23_27 Depth=1
	v_mov_b32_e32 v2, s15
	v_mov_b32_e32 v3, 0
	s_cbranch_execnz .LBB23_26
.LBB23_46:                              ;   in Loop: Header=BB23_27 Depth=1
	flat_load_dword v2, v[76:77] offset:512
	flat_load_dword v3, v[76:77] offset:768
	s_waitcnt vmcnt(0) lgkmcnt(0)
	v_mul_f32_e32 v2, s19, v2
	v_mul_f32_e32 v3, s19, v3
	s_branch .LBB23_26
.LBB23_47:
	s_load_dwordx2 s[2:3], s[0:1], 0x70
	s_load_dword s4, s[0:1], 0x50
	s_load_dword s5, s[0:1], 0x68
	ds_read_b128 v[32:35], v81 offset:9216
	ds_read_b128 v[24:27], v81 offset:9344
	;; [unrolled: 1-line block ×16, first 2 shown]
	s_waitcnt lgkmcnt(0)
	s_lshl_b64 s[0:1], s[2:3], 2
	s_add_u32 s0, s10, s0
	v_pk_add_f32 v[64:65], v[32:33], v[60:61]
	v_add_u32_e32 v150, s24, v79
	v_min3_f32 v66, v64, v65, v88
	v_pk_add_f32 v[64:65], v[34:35], v[62:63]
	s_addc_u32 s1, s11, s1
	v_min3_f32 v68, v64, v65, v66
	v_add_u32_e32 v70, s26, v78
	v_mad_i64_i32 v[66:67], s[2:3], v150, s5, 0
	v_add_u32_e32 v64, 8, v70
	v_lshl_add_u64 v[88:89], v[66:67], 2, s[0:1]
	v_mad_i64_i32 v[66:67], s[2:3], v150, s4, 0
	v_ashrrev_i32_e32 v71, 31, v70
	v_ashrrev_i32_e32 v65, 31, v64
	s_mov_b64 s[2:3], -1
	v_max_f32_e32 v68, v68, v68
	s_mov_b64 vcc, s[8:9]
	s_cbranch_vccz .LBB23_49
; %bb.48:
	v_min_f32_e32 v69, 0, v68
	v_lshl_add_u64 v[72:73], v[70:71], 2, v[88:89]
	flat_store_dword v[72:73], v69
	s_mov_b64 s[2:3], 0
.LBB23_49:
	v_lshl_add_u64 v[90:91], v[66:67], 2, s[16:17]
	v_mov_b32_e32 v69, 0
	s_andn2_b64 vcc, exec, s[2:3]
	v_lshlrev_b64 v[76:77], 2, v[70:71]
	s_cbranch_vccnz .LBB23_51
; %bb.50:
	v_lshl_add_u64 v[66:67], v[90:91], 0, v[76:77]
	flat_load_dword v69, v[66:67]
	v_lshl_add_u64 v[66:67], v[88:89], 0, v[76:77]
	s_waitcnt vmcnt(0) lgkmcnt(0)
	v_mul_f32_e32 v69, s28, v69
	v_min_f32_e32 v68, v69, v68
	flat_store_dword v[66:67], v68
	v_lshl_add_u64 v[66:67], v[64:65], 2, v[90:91]
	flat_load_dword v66, v[66:67]
	s_waitcnt vmcnt(0) lgkmcnt(0)
	v_mul_f32_e32 v69, s28, v66
.LBB23_51:
	v_pk_add_f32 v[66:67], v[24:25], v[60:61]
	v_add_u32_e32 v74, 16, v70
	v_min3_f32 v68, v66, v67, v149
	v_pk_add_f32 v[66:67], v[28:29], v[60:61]
	v_ashrrev_i32_e32 v75, 31, v74
	v_min3_f32 v72, v66, v67, v87
	v_pk_add_f32 v[66:67], v[26:27], v[62:63]
	s_mov_b64 s[2:3], -1
	v_min_f32_e32 v73, v66, v67
	v_pk_add_f32 v[66:67], v[30:31], v[62:63]
	v_min3_f32 v73, v69, v73, v68
	v_min3_f32 v72, v66, v67, v72
	v_add_u32_e32 v66, 24, v70
	v_lshl_add_u64 v[68:69], v[64:65], 2, v[88:89]
	v_ashrrev_i32_e32 v67, 31, v66
	flat_store_dword v[68:69], v73
	v_max_f32_e32 v68, v72, v72
	s_mov_b64 vcc, s[8:9]
	s_cbranch_vccz .LBB23_53
; %bb.52:
	v_min_f32_e32 v69, 0, v68
	v_lshl_add_u64 v[72:73], v[74:75], 2, v[88:89]
	flat_store_dword v[72:73], v69
	s_mov_b64 s[2:3], 0
.LBB23_53:
	v_mov_b32_e32 v72, 0
	s_andn2_b64 vcc, exec, s[2:3]
	v_lshlrev_b64 v[80:81], 2, v[74:75]
	s_cbranch_vccnz .LBB23_55
; %bb.54:
	v_lshl_add_u64 v[72:73], v[90:91], 0, v[80:81]
	flat_load_dword v69, v[72:73]
	v_lshl_add_u64 v[72:73], v[88:89], 0, v[80:81]
	s_waitcnt vmcnt(0) lgkmcnt(0)
	v_mul_f32_e32 v69, s28, v69
	v_min_f32_e32 v68, v69, v68
	flat_store_dword v[72:73], v68
	v_lshl_add_u64 v[68:69], v[66:67], 2, v[90:91]
	flat_load_dword v68, v[68:69]
	s_waitcnt vmcnt(0) lgkmcnt(0)
	v_mul_f32_e32 v72, s28, v68
.LBB23_55:
	v_pk_add_f32 v[68:69], v[20:21], v[60:61]
	s_mov_b64 s[2:3], -1
	v_min3_f32 v73, v68, v69, v86
	v_pk_add_f32 v[68:69], v[16:17], v[60:61]
	s_mov_b64 vcc, s[8:9]
	v_min3_f32 v78, v68, v69, v83
	v_pk_add_f32 v[68:69], v[22:23], v[62:63]
	s_nop 0
	v_min_f32_e32 v82, v68, v69
	v_pk_add_f32 v[68:69], v[18:19], v[62:63]
	v_min3_f32 v82, v72, v82, v73
	v_min3_f32 v83, v68, v69, v78
	v_add_u32_e32 v78, 32, v70
	v_add_u32_e32 v68, 40, v70
	v_lshl_add_u64 v[72:73], v[66:67], 2, v[88:89]
	v_ashrrev_i32_e32 v79, 31, v78
	v_ashrrev_i32_e32 v69, 31, v68
	flat_store_dword v[72:73], v82
	v_max_f32_e32 v72, v83, v83
	s_cbranch_vccz .LBB23_57
; %bb.56:
	v_min_f32_e32 v73, 0, v72
	v_lshl_add_u64 v[82:83], v[78:79], 2, v[88:89]
	flat_store_dword v[82:83], v73
	s_mov_b64 s[2:3], 0
.LBB23_57:
	v_mov_b32_e32 v86, 0
	s_andn2_b64 vcc, exec, s[2:3]
	v_lshlrev_b64 v[82:83], 2, v[78:79]
	s_cbranch_vccnz .LBB23_59
; %bb.58:
	v_lshl_add_u64 v[86:87], v[90:91], 0, v[82:83]
	flat_load_dword v73, v[86:87]
	v_lshl_add_u64 v[86:87], v[88:89], 0, v[82:83]
	s_waitcnt vmcnt(0) lgkmcnt(0)
	v_mul_f32_e32 v73, s28, v73
	v_min_f32_e32 v72, v73, v72
	flat_store_dword v[86:87], v72
	v_lshl_add_u64 v[72:73], v[68:69], 2, v[90:91]
	flat_load_dword v72, v[72:73]
	s_waitcnt vmcnt(0) lgkmcnt(0)
	v_mul_f32_e32 v86, s28, v72
.LBB23_59:
	v_pk_add_f32 v[72:73], v[12:13], v[60:61]
	s_mov_b64 s[2:3], -1
	v_min3_f32 v87, v72, v73, v85
	v_pk_add_f32 v[72:73], v[8:9], v[60:61]
	s_mov_b64 vcc, s[8:9]
	v_min3_f32 v84, v72, v73, v84
	v_pk_add_f32 v[72:73], v[14:15], v[62:63]
	s_nop 0
	v_min_f32_e32 v149, v72, v73
	v_pk_add_f32 v[72:73], v[10:11], v[62:63]
	v_min3_f32 v149, v86, v149, v87
	v_min3_f32 v151, v72, v73, v84
	v_add_u32_e32 v84, 48, v70
	v_add_u32_e32 v72, 56, v70
	v_lshl_add_u64 v[86:87], v[68:69], 2, v[88:89]
	v_ashrrev_i32_e32 v85, 31, v84
	v_ashrrev_i32_e32 v73, 31, v72
	flat_store_dword v[86:87], v149
	v_max_f32_e32 v149, v151, v151
	s_cbranch_vccz .LBB23_61
; %bb.60:
	v_min_f32_e32 v151, 0, v149
	v_lshl_add_u64 v[86:87], v[84:85], 2, v[88:89]
	flat_store_dword v[86:87], v151
	s_mov_b64 s[2:3], 0
.LBB23_61:
	v_mov_b32_e32 v151, 0
	s_andn2_b64 vcc, exec, s[2:3]
	v_lshlrev_b64 v[86:87], 2, v[84:85]
	s_cbranch_vccnz .LBB23_63
; %bb.62:
	v_lshl_add_u64 v[152:153], v[90:91], 0, v[86:87]
	flat_load_dword v151, v[152:153]
	v_lshl_add_u64 v[152:153], v[88:89], 0, v[86:87]
	v_lshl_add_u64 v[90:91], v[72:73], 2, v[90:91]
	s_waitcnt vmcnt(0) lgkmcnt(0)
	v_mul_f32_e32 v151, s28, v151
	v_min_f32_e32 v149, v151, v149
	flat_store_dword v[152:153], v149
	flat_load_dword v90, v[90:91]
	s_waitcnt vmcnt(0) lgkmcnt(0)
	v_mul_f32_e32 v151, s28, v90
.LBB23_63:
	v_pk_add_f32 v[60:61], v[0:1], v[60:61]
	s_mov_b64 vcc, s[8:9]
	v_min3_f32 v90, v60, v61, v148
	v_pk_add_f32 v[60:61], v[32:33], v[56:57]
	s_nop 0
	v_min3_f32 v91, v60, v61, v147
	v_pk_add_f32 v[60:61], v[2:3], v[62:63]
	s_nop 0
	v_min_f32_e32 v62, v60, v61
	v_pk_add_f32 v[60:61], v[34:35], v[58:59]
	v_min3_f32 v62, v151, v62, v90
	v_min3_f32 v91, v60, v61, v91
	v_lshl_add_u64 v[60:61], v[72:73], 2, v[88:89]
	flat_store_dword v[60:61], v62
	v_add_u32_e32 v62, 32, v150
	v_mad_i64_i32 v[60:61], s[2:3], v62, s5, 0
	v_mad_i64_i32 v[62:63], s[2:3], v62, s4, 0
	v_lshl_add_u64 v[60:61], v[60:61], 2, s[0:1]
	s_mov_b64 s[2:3], -1
	v_max_f32_e32 v88, v91, v91
	s_cbranch_vccz .LBB23_65
; %bb.64:
	v_min_f32_e32 v89, 0, v88
	v_lshl_add_u64 v[90:91], v[70:71], 2, v[60:61]
	flat_store_dword v[90:91], v89
	s_mov_b64 s[2:3], 0
.LBB23_65:
	v_lshl_add_u64 v[62:63], v[62:63], 2, s[16:17]
	s_andn2_b64 vcc, exec, s[2:3]
	v_mov_b32_e32 v89, 0
	s_cbranch_vccnz .LBB23_67
; %bb.66:
	v_lshl_add_u64 v[90:91], v[62:63], 0, v[76:77]
	flat_load_dword v89, v[90:91]
	v_lshl_add_u64 v[90:91], v[60:61], 0, v[76:77]
	s_waitcnt vmcnt(0) lgkmcnt(0)
	v_mul_f32_e32 v89, s28, v89
	v_min_f32_e32 v88, v89, v88
	flat_store_dword v[90:91], v88
	v_lshl_add_u64 v[88:89], v[64:65], 2, v[62:63]
	flat_load_dword v88, v[88:89]
	s_waitcnt vmcnt(0) lgkmcnt(0)
	v_mul_f32_e32 v89, s28, v88
.LBB23_67:
	v_pk_add_f32 v[90:91], v[24:25], v[56:57]
	s_mov_b64 s[2:3], -1
	v_min3_f32 v88, v90, v91, v146
	v_pk_add_f32 v[90:91], v[28:29], v[56:57]
	s_mov_b64 vcc, s[8:9]
	v_min3_f32 v145, v90, v91, v145
	v_pk_add_f32 v[90:91], v[26:27], v[58:59]
	s_nop 0
	v_min_f32_e32 v146, v90, v91
	v_pk_add_f32 v[90:91], v[30:31], v[58:59]
	s_nop 0
	v_min3_f32 v90, v90, v91, v145
	v_min3_f32 v91, v89, v146, v88
	v_lshl_add_u64 v[88:89], v[64:65], 2, v[60:61]
	flat_store_dword v[88:89], v91
	v_max_f32_e32 v88, v90, v90
	s_cbranch_vccz .LBB23_69
; %bb.68:
	v_min_f32_e32 v89, 0, v88
	v_lshl_add_u64 v[90:91], v[74:75], 2, v[60:61]
	flat_store_dword v[90:91], v89
	s_mov_b64 s[2:3], 0
.LBB23_69:
	s_andn2_b64 vcc, exec, s[2:3]
	v_mov_b32_e32 v89, 0
	s_cbranch_vccnz .LBB23_71
; %bb.70:
	v_lshl_add_u64 v[90:91], v[62:63], 0, v[80:81]
	flat_load_dword v89, v[90:91]
	v_lshl_add_u64 v[90:91], v[60:61], 0, v[80:81]
	s_waitcnt vmcnt(0) lgkmcnt(0)
	v_mul_f32_e32 v89, s28, v89
	v_min_f32_e32 v88, v89, v88
	flat_store_dword v[90:91], v88
	v_lshl_add_u64 v[88:89], v[66:67], 2, v[62:63]
	flat_load_dword v88, v[88:89]
	s_waitcnt vmcnt(0) lgkmcnt(0)
	v_mul_f32_e32 v89, s28, v88
.LBB23_71:
	v_pk_add_f32 v[90:91], v[20:21], v[56:57]
	s_mov_b64 s[2:3], -1
	v_min3_f32 v88, v90, v91, v144
	v_pk_add_f32 v[90:91], v[16:17], v[56:57]
	s_mov_b64 vcc, s[8:9]
	v_min3_f32 v143, v90, v91, v143
	v_pk_add_f32 v[90:91], v[22:23], v[58:59]
	s_nop 0
	v_min_f32_e32 v144, v90, v91
	v_pk_add_f32 v[90:91], v[18:19], v[58:59]
	s_nop 0
	v_min3_f32 v90, v90, v91, v143
	v_min3_f32 v91, v89, v144, v88
	v_lshl_add_u64 v[88:89], v[66:67], 2, v[60:61]
	flat_store_dword v[88:89], v91
	v_max_f32_e32 v88, v90, v90
	s_cbranch_vccz .LBB23_73
; %bb.72:
	v_min_f32_e32 v89, 0, v88
	v_lshl_add_u64 v[90:91], v[78:79], 2, v[60:61]
	flat_store_dword v[90:91], v89
	s_mov_b64 s[2:3], 0
.LBB23_73:
	;; [unrolled: 39-line block ×3, first 2 shown]
	s_andn2_b64 vcc, exec, s[2:3]
	v_mov_b32_e32 v89, 0
	s_cbranch_vccnz .LBB23_79
; %bb.78:
	v_lshl_add_u64 v[90:91], v[62:63], 0, v[86:87]
	flat_load_dword v89, v[90:91]
	v_lshl_add_u64 v[90:91], v[60:61], 0, v[86:87]
	v_lshl_add_u64 v[62:63], v[72:73], 2, v[62:63]
	s_waitcnt vmcnt(0) lgkmcnt(0)
	v_mul_f32_e32 v89, s28, v89
	v_min_f32_e32 v88, v89, v88
	flat_store_dword v[90:91], v88
	flat_load_dword v62, v[62:63]
	s_waitcnt vmcnt(0) lgkmcnt(0)
	v_mul_f32_e32 v89, s28, v62
.LBB23_79:
	v_pk_add_f32 v[56:57], v[0:1], v[56:57]
	s_mov_b64 vcc, s[8:9]
	v_min3_f32 v62, v56, v57, v140
	v_pk_add_f32 v[56:57], v[32:33], v[52:53]
	s_nop 0
	v_min3_f32 v63, v56, v57, v139
	v_pk_add_f32 v[56:57], v[2:3], v[58:59]
	s_nop 0
	v_min_f32_e32 v58, v56, v57
	v_pk_add_f32 v[56:57], v[34:35], v[54:55]
	v_min3_f32 v58, v89, v58, v62
	v_min3_f32 v63, v56, v57, v63
	v_lshl_add_u64 v[56:57], v[72:73], 2, v[60:61]
	flat_store_dword v[56:57], v58
	v_add_u32_e32 v58, 64, v150
	v_mad_i64_i32 v[56:57], s[2:3], v58, s5, 0
	v_mad_i64_i32 v[58:59], s[2:3], v58, s4, 0
	v_lshl_add_u64 v[56:57], v[56:57], 2, s[0:1]
	s_mov_b64 s[2:3], -1
	v_max_f32_e32 v60, v63, v63
	s_cbranch_vccz .LBB23_81
; %bb.80:
	v_min_f32_e32 v61, 0, v60
	v_lshl_add_u64 v[62:63], v[70:71], 2, v[56:57]
	flat_store_dword v[62:63], v61
	s_mov_b64 s[2:3], 0
.LBB23_81:
	v_lshl_add_u64 v[58:59], v[58:59], 2, s[16:17]
	s_andn2_b64 vcc, exec, s[2:3]
	v_mov_b32_e32 v61, 0
	s_cbranch_vccnz .LBB23_83
; %bb.82:
	v_lshl_add_u64 v[62:63], v[58:59], 0, v[76:77]
	flat_load_dword v61, v[62:63]
	v_lshl_add_u64 v[62:63], v[56:57], 0, v[76:77]
	s_waitcnt vmcnt(0) lgkmcnt(0)
	v_mul_f32_e32 v61, s28, v61
	v_min_f32_e32 v60, v61, v60
	flat_store_dword v[62:63], v60
	v_lshl_add_u64 v[60:61], v[64:65], 2, v[58:59]
	flat_load_dword v60, v[60:61]
	s_waitcnt vmcnt(0) lgkmcnt(0)
	v_mul_f32_e32 v61, s28, v60
.LBB23_83:
	v_pk_add_f32 v[62:63], v[24:25], v[52:53]
	s_mov_b64 s[2:3], -1
	v_min3_f32 v60, v62, v63, v138
	v_pk_add_f32 v[62:63], v[28:29], v[52:53]
	s_mov_b64 vcc, s[8:9]
	v_min3_f32 v88, v62, v63, v137
	v_pk_add_f32 v[62:63], v[26:27], v[54:55]
	s_nop 0
	v_min_f32_e32 v89, v62, v63
	v_pk_add_f32 v[62:63], v[30:31], v[54:55]
	s_nop 0
	v_min3_f32 v62, v62, v63, v88
	v_min3_f32 v63, v61, v89, v60
	v_lshl_add_u64 v[60:61], v[64:65], 2, v[56:57]
	flat_store_dword v[60:61], v63
	v_max_f32_e32 v60, v62, v62
	s_cbranch_vccz .LBB23_85
; %bb.84:
	v_min_f32_e32 v61, 0, v60
	v_lshl_add_u64 v[62:63], v[74:75], 2, v[56:57]
	flat_store_dword v[62:63], v61
	s_mov_b64 s[2:3], 0
.LBB23_85:
	s_andn2_b64 vcc, exec, s[2:3]
	v_mov_b32_e32 v61, 0
	s_cbranch_vccnz .LBB23_87
; %bb.86:
	v_lshl_add_u64 v[62:63], v[58:59], 0, v[80:81]
	flat_load_dword v61, v[62:63]
	v_lshl_add_u64 v[62:63], v[56:57], 0, v[80:81]
	s_waitcnt vmcnt(0) lgkmcnt(0)
	v_mul_f32_e32 v61, s28, v61
	v_min_f32_e32 v60, v61, v60
	flat_store_dword v[62:63], v60
	v_lshl_add_u64 v[60:61], v[66:67], 2, v[58:59]
	flat_load_dword v60, v[60:61]
	s_waitcnt vmcnt(0) lgkmcnt(0)
	v_mul_f32_e32 v61, s28, v60
.LBB23_87:
	v_pk_add_f32 v[62:63], v[20:21], v[52:53]
	s_mov_b64 s[2:3], -1
	v_min3_f32 v60, v62, v63, v136
	v_pk_add_f32 v[62:63], v[16:17], v[52:53]
	s_mov_b64 vcc, s[8:9]
	v_min3_f32 v88, v62, v63, v135
	v_pk_add_f32 v[62:63], v[22:23], v[54:55]
	s_nop 0
	v_min_f32_e32 v89, v62, v63
	v_pk_add_f32 v[62:63], v[18:19], v[54:55]
	s_nop 0
	v_min3_f32 v62, v62, v63, v88
	v_min3_f32 v63, v61, v89, v60
	v_lshl_add_u64 v[60:61], v[66:67], 2, v[56:57]
	flat_store_dword v[60:61], v63
	v_max_f32_e32 v60, v62, v62
	s_cbranch_vccz .LBB23_89
; %bb.88:
	v_min_f32_e32 v61, 0, v60
	v_lshl_add_u64 v[62:63], v[78:79], 2, v[56:57]
	flat_store_dword v[62:63], v61
	s_mov_b64 s[2:3], 0
.LBB23_89:
	s_andn2_b64 vcc, exec, s[2:3]
	v_mov_b32_e32 v61, 0
	s_cbranch_vccnz .LBB23_91
; %bb.90:
	v_lshl_add_u64 v[62:63], v[58:59], 0, v[82:83]
	flat_load_dword v61, v[62:63]
	v_lshl_add_u64 v[62:63], v[56:57], 0, v[82:83]
	s_waitcnt vmcnt(0) lgkmcnt(0)
	v_mul_f32_e32 v61, s28, v61
	v_min_f32_e32 v60, v61, v60
	flat_store_dword v[62:63], v60
	v_lshl_add_u64 v[60:61], v[68:69], 2, v[58:59]
	flat_load_dword v60, v[60:61]
	s_waitcnt vmcnt(0) lgkmcnt(0)
	v_mul_f32_e32 v61, s28, v60
.LBB23_91:
	v_pk_add_f32 v[62:63], v[12:13], v[52:53]
	s_mov_b64 s[2:3], -1
	v_min3_f32 v60, v62, v63, v134
	v_pk_add_f32 v[62:63], v[8:9], v[52:53]
	s_mov_b64 vcc, s[8:9]
	v_min3_f32 v88, v62, v63, v133
	v_pk_add_f32 v[62:63], v[14:15], v[54:55]
	s_nop 0
	v_min_f32_e32 v89, v62, v63
	v_pk_add_f32 v[62:63], v[10:11], v[54:55]
	s_nop 0
	v_min3_f32 v62, v62, v63, v88
	v_min3_f32 v63, v61, v89, v60
	v_lshl_add_u64 v[60:61], v[68:69], 2, v[56:57]
	flat_store_dword v[60:61], v63
	v_max_f32_e32 v60, v62, v62
	s_cbranch_vccz .LBB23_93
; %bb.92:
	v_min_f32_e32 v61, 0, v60
	v_lshl_add_u64 v[62:63], v[84:85], 2, v[56:57]
	flat_store_dword v[62:63], v61
	s_mov_b64 s[2:3], 0
.LBB23_93:
	s_andn2_b64 vcc, exec, s[2:3]
	v_mov_b32_e32 v61, 0
	s_cbranch_vccnz .LBB23_95
; %bb.94:
	v_lshl_add_u64 v[62:63], v[58:59], 0, v[86:87]
	flat_load_dword v61, v[62:63]
	v_lshl_add_u64 v[62:63], v[56:57], 0, v[86:87]
	v_lshl_add_u64 v[58:59], v[72:73], 2, v[58:59]
	s_waitcnt vmcnt(0) lgkmcnt(0)
	v_mul_f32_e32 v61, s28, v61
	v_min_f32_e32 v60, v61, v60
	flat_store_dword v[62:63], v60
	flat_load_dword v58, v[58:59]
	s_waitcnt vmcnt(0) lgkmcnt(0)
	v_mul_f32_e32 v61, s28, v58
.LBB23_95:
	v_pk_add_f32 v[52:53], v[0:1], v[52:53]
	s_mov_b64 vcc, s[8:9]
	v_min3_f32 v58, v52, v53, v132
	v_pk_add_f32 v[52:53], v[32:33], v[48:49]
	s_nop 0
	v_min3_f32 v59, v52, v53, v131
	v_pk_add_f32 v[52:53], v[2:3], v[54:55]
	s_nop 0
	v_min_f32_e32 v54, v52, v53
	v_pk_add_f32 v[52:53], v[34:35], v[50:51]
	v_min3_f32 v54, v61, v54, v58
	v_min3_f32 v59, v52, v53, v59
	v_lshl_add_u64 v[52:53], v[72:73], 2, v[56:57]
	flat_store_dword v[52:53], v54
	v_add_u32_e32 v54, 0x60, v150
	v_mad_i64_i32 v[52:53], s[2:3], v54, s5, 0
	v_mad_i64_i32 v[54:55], s[2:3], v54, s4, 0
	v_lshl_add_u64 v[52:53], v[52:53], 2, s[0:1]
	s_mov_b64 s[2:3], -1
	v_max_f32_e32 v56, v59, v59
	s_cbranch_vccz .LBB23_97
; %bb.96:
	v_min_f32_e32 v57, 0, v56
	v_lshl_add_u64 v[58:59], v[70:71], 2, v[52:53]
	flat_store_dword v[58:59], v57
	s_mov_b64 s[2:3], 0
.LBB23_97:
	v_lshl_add_u64 v[54:55], v[54:55], 2, s[16:17]
	s_andn2_b64 vcc, exec, s[2:3]
	v_mov_b32_e32 v57, 0
	s_cbranch_vccnz .LBB23_99
; %bb.98:
	v_lshl_add_u64 v[58:59], v[54:55], 0, v[76:77]
	flat_load_dword v57, v[58:59]
	v_lshl_add_u64 v[58:59], v[52:53], 0, v[76:77]
	s_waitcnt vmcnt(0) lgkmcnt(0)
	v_mul_f32_e32 v57, s28, v57
	v_min_f32_e32 v56, v57, v56
	flat_store_dword v[58:59], v56
	v_lshl_add_u64 v[56:57], v[64:65], 2, v[54:55]
	flat_load_dword v56, v[56:57]
	s_waitcnt vmcnt(0) lgkmcnt(0)
	v_mul_f32_e32 v57, s28, v56
.LBB23_99:
	v_pk_add_f32 v[58:59], v[24:25], v[48:49]
	s_mov_b64 s[2:3], -1
	v_min3_f32 v56, v58, v59, v130
	v_pk_add_f32 v[58:59], v[28:29], v[48:49]
	s_mov_b64 vcc, s[8:9]
	v_min3_f32 v60, v58, v59, v129
	v_pk_add_f32 v[58:59], v[26:27], v[50:51]
	s_nop 0
	v_min_f32_e32 v61, v58, v59
	v_pk_add_f32 v[58:59], v[30:31], v[50:51]
	s_nop 0
	v_min3_f32 v58, v58, v59, v60
	v_min3_f32 v59, v57, v61, v56
	v_lshl_add_u64 v[56:57], v[64:65], 2, v[52:53]
	flat_store_dword v[56:57], v59
	v_max_f32_e32 v56, v58, v58
	s_cbranch_vccz .LBB23_101
; %bb.100:
	v_min_f32_e32 v57, 0, v56
	v_lshl_add_u64 v[58:59], v[74:75], 2, v[52:53]
	flat_store_dword v[58:59], v57
	s_mov_b64 s[2:3], 0
.LBB23_101:
	s_andn2_b64 vcc, exec, s[2:3]
	v_mov_b32_e32 v57, 0
	s_cbranch_vccnz .LBB23_103
; %bb.102:
	v_lshl_add_u64 v[58:59], v[54:55], 0, v[80:81]
	flat_load_dword v57, v[58:59]
	v_lshl_add_u64 v[58:59], v[52:53], 0, v[80:81]
	s_waitcnt vmcnt(0) lgkmcnt(0)
	v_mul_f32_e32 v57, s28, v57
	v_min_f32_e32 v56, v57, v56
	flat_store_dword v[58:59], v56
	v_lshl_add_u64 v[56:57], v[66:67], 2, v[54:55]
	flat_load_dword v56, v[56:57]
	s_waitcnt vmcnt(0) lgkmcnt(0)
	v_mul_f32_e32 v57, s28, v56
.LBB23_103:
	v_pk_add_f32 v[58:59], v[20:21], v[48:49]
	s_mov_b64 s[2:3], -1
	v_min3_f32 v56, v58, v59, v128
	v_pk_add_f32 v[58:59], v[16:17], v[48:49]
	s_mov_b64 vcc, s[8:9]
	v_min3_f32 v60, v58, v59, v127
	v_pk_add_f32 v[58:59], v[22:23], v[50:51]
	s_nop 0
	v_min_f32_e32 v61, v58, v59
	v_pk_add_f32 v[58:59], v[18:19], v[50:51]
	s_nop 0
	v_min3_f32 v58, v58, v59, v60
	v_min3_f32 v59, v57, v61, v56
	v_lshl_add_u64 v[56:57], v[66:67], 2, v[52:53]
	flat_store_dword v[56:57], v59
	v_max_f32_e32 v56, v58, v58
	s_cbranch_vccz .LBB23_105
; %bb.104:
	v_min_f32_e32 v57, 0, v56
	v_lshl_add_u64 v[58:59], v[78:79], 2, v[52:53]
	flat_store_dword v[58:59], v57
	s_mov_b64 s[2:3], 0
.LBB23_105:
	;; [unrolled: 39-line block ×3, first 2 shown]
	s_andn2_b64 vcc, exec, s[2:3]
	v_mov_b32_e32 v57, 0
	s_cbranch_vccnz .LBB23_111
; %bb.110:
	v_lshl_add_u64 v[58:59], v[54:55], 0, v[86:87]
	flat_load_dword v57, v[58:59]
	v_lshl_add_u64 v[58:59], v[52:53], 0, v[86:87]
	v_lshl_add_u64 v[54:55], v[72:73], 2, v[54:55]
	s_waitcnt vmcnt(0) lgkmcnt(0)
	v_mul_f32_e32 v57, s28, v57
	v_min_f32_e32 v56, v57, v56
	flat_store_dword v[58:59], v56
	flat_load_dword v54, v[54:55]
	s_waitcnt vmcnt(0) lgkmcnt(0)
	v_mul_f32_e32 v57, s28, v54
.LBB23_111:
	v_pk_add_f32 v[48:49], v[0:1], v[48:49]
	s_mov_b64 vcc, s[8:9]
	v_min3_f32 v54, v48, v49, v124
	v_pk_add_f32 v[48:49], v[32:33], v[44:45]
	s_nop 0
	v_min3_f32 v55, v48, v49, v123
	v_pk_add_f32 v[48:49], v[2:3], v[50:51]
	s_nop 0
	v_min_f32_e32 v50, v48, v49
	v_pk_add_f32 v[48:49], v[34:35], v[46:47]
	v_min3_f32 v50, v57, v50, v54
	v_min3_f32 v55, v48, v49, v55
	v_lshl_add_u64 v[48:49], v[72:73], 2, v[52:53]
	flat_store_dword v[48:49], v50
	v_add_u32_e32 v50, 0x80, v150
	v_mad_i64_i32 v[48:49], s[2:3], v50, s5, 0
	v_mad_i64_i32 v[50:51], s[2:3], v50, s4, 0
	v_lshl_add_u64 v[48:49], v[48:49], 2, s[0:1]
	s_mov_b64 s[2:3], -1
	v_max_f32_e32 v52, v55, v55
	s_cbranch_vccz .LBB23_113
; %bb.112:
	v_min_f32_e32 v53, 0, v52
	v_lshl_add_u64 v[54:55], v[70:71], 2, v[48:49]
	flat_store_dword v[54:55], v53
	s_mov_b64 s[2:3], 0
.LBB23_113:
	v_lshl_add_u64 v[50:51], v[50:51], 2, s[16:17]
	s_andn2_b64 vcc, exec, s[2:3]
	v_mov_b32_e32 v53, 0
	s_cbranch_vccnz .LBB23_115
; %bb.114:
	v_lshl_add_u64 v[54:55], v[50:51], 0, v[76:77]
	flat_load_dword v53, v[54:55]
	v_lshl_add_u64 v[54:55], v[48:49], 0, v[76:77]
	s_waitcnt vmcnt(0) lgkmcnt(0)
	v_mul_f32_e32 v53, s28, v53
	v_min_f32_e32 v52, v53, v52
	flat_store_dword v[54:55], v52
	v_lshl_add_u64 v[52:53], v[64:65], 2, v[50:51]
	flat_load_dword v52, v[52:53]
	s_waitcnt vmcnt(0) lgkmcnt(0)
	v_mul_f32_e32 v53, s28, v52
.LBB23_115:
	v_pk_add_f32 v[54:55], v[24:25], v[44:45]
	s_mov_b64 s[2:3], -1
	v_min3_f32 v52, v54, v55, v122
	v_pk_add_f32 v[54:55], v[28:29], v[44:45]
	s_mov_b64 vcc, s[8:9]
	v_min3_f32 v56, v54, v55, v121
	v_pk_add_f32 v[54:55], v[26:27], v[46:47]
	s_nop 0
	v_min_f32_e32 v57, v54, v55
	v_pk_add_f32 v[54:55], v[30:31], v[46:47]
	s_nop 0
	v_min3_f32 v54, v54, v55, v56
	v_min3_f32 v55, v53, v57, v52
	v_lshl_add_u64 v[52:53], v[64:65], 2, v[48:49]
	flat_store_dword v[52:53], v55
	v_max_f32_e32 v52, v54, v54
	s_cbranch_vccz .LBB23_117
; %bb.116:
	v_min_f32_e32 v53, 0, v52
	v_lshl_add_u64 v[54:55], v[74:75], 2, v[48:49]
	flat_store_dword v[54:55], v53
	s_mov_b64 s[2:3], 0
.LBB23_117:
	s_andn2_b64 vcc, exec, s[2:3]
	v_mov_b32_e32 v53, 0
	s_cbranch_vccnz .LBB23_119
; %bb.118:
	v_lshl_add_u64 v[54:55], v[50:51], 0, v[80:81]
	flat_load_dword v53, v[54:55]
	v_lshl_add_u64 v[54:55], v[48:49], 0, v[80:81]
	s_waitcnt vmcnt(0) lgkmcnt(0)
	v_mul_f32_e32 v53, s28, v53
	v_min_f32_e32 v52, v53, v52
	flat_store_dword v[54:55], v52
	v_lshl_add_u64 v[52:53], v[66:67], 2, v[50:51]
	flat_load_dword v52, v[52:53]
	s_waitcnt vmcnt(0) lgkmcnt(0)
	v_mul_f32_e32 v53, s28, v52
.LBB23_119:
	v_pk_add_f32 v[54:55], v[20:21], v[44:45]
	s_mov_b64 s[2:3], -1
	v_min3_f32 v52, v54, v55, v120
	v_pk_add_f32 v[54:55], v[16:17], v[44:45]
	s_mov_b64 vcc, s[8:9]
	v_min3_f32 v56, v54, v55, v119
	v_pk_add_f32 v[54:55], v[22:23], v[46:47]
	s_nop 0
	v_min_f32_e32 v57, v54, v55
	v_pk_add_f32 v[54:55], v[18:19], v[46:47]
	s_nop 0
	v_min3_f32 v54, v54, v55, v56
	v_min3_f32 v55, v53, v57, v52
	v_lshl_add_u64 v[52:53], v[66:67], 2, v[48:49]
	flat_store_dword v[52:53], v55
	v_max_f32_e32 v52, v54, v54
	s_cbranch_vccz .LBB23_121
; %bb.120:
	v_min_f32_e32 v53, 0, v52
	v_lshl_add_u64 v[54:55], v[78:79], 2, v[48:49]
	flat_store_dword v[54:55], v53
	s_mov_b64 s[2:3], 0
.LBB23_121:
	s_andn2_b64 vcc, exec, s[2:3]
	v_mov_b32_e32 v53, 0
	s_cbranch_vccnz .LBB23_123
; %bb.122:
	v_lshl_add_u64 v[54:55], v[50:51], 0, v[82:83]
	flat_load_dword v53, v[54:55]
	v_lshl_add_u64 v[54:55], v[48:49], 0, v[82:83]
	s_waitcnt vmcnt(0) lgkmcnt(0)
	v_mul_f32_e32 v53, s28, v53
	v_min_f32_e32 v52, v53, v52
	flat_store_dword v[54:55], v52
	v_lshl_add_u64 v[52:53], v[68:69], 2, v[50:51]
	flat_load_dword v52, v[52:53]
	s_waitcnt vmcnt(0) lgkmcnt(0)
	v_mul_f32_e32 v53, s28, v52
.LBB23_123:
	v_pk_add_f32 v[54:55], v[12:13], v[44:45]
	s_mov_b64 s[2:3], -1
	v_min3_f32 v52, v54, v55, v116
	v_pk_add_f32 v[54:55], v[8:9], v[44:45]
	s_mov_b64 vcc, s[8:9]
	v_min3_f32 v56, v54, v55, v115
	v_pk_add_f32 v[54:55], v[14:15], v[46:47]
	s_nop 0
	v_min_f32_e32 v57, v54, v55
	v_pk_add_f32 v[54:55], v[10:11], v[46:47]
	s_nop 0
	v_min3_f32 v54, v54, v55, v56
	v_min3_f32 v55, v53, v57, v52
	v_lshl_add_u64 v[52:53], v[68:69], 2, v[48:49]
	flat_store_dword v[52:53], v55
	v_max_f32_e32 v52, v54, v54
	s_cbranch_vccz .LBB23_125
; %bb.124:
	v_min_f32_e32 v53, 0, v52
	v_lshl_add_u64 v[54:55], v[84:85], 2, v[48:49]
	flat_store_dword v[54:55], v53
	s_mov_b64 s[2:3], 0
.LBB23_125:
	s_andn2_b64 vcc, exec, s[2:3]
	v_mov_b32_e32 v53, 0
	s_cbranch_vccnz .LBB23_127
; %bb.126:
	v_lshl_add_u64 v[54:55], v[50:51], 0, v[86:87]
	flat_load_dword v53, v[54:55]
	v_lshl_add_u64 v[54:55], v[48:49], 0, v[86:87]
	v_lshl_add_u64 v[50:51], v[72:73], 2, v[50:51]
	s_waitcnt vmcnt(0) lgkmcnt(0)
	v_mul_f32_e32 v53, s28, v53
	v_min_f32_e32 v52, v53, v52
	flat_store_dword v[54:55], v52
	flat_load_dword v50, v[50:51]
	s_waitcnt vmcnt(0) lgkmcnt(0)
	v_mul_f32_e32 v53, s28, v50
.LBB23_127:
	v_pk_add_f32 v[44:45], v[0:1], v[44:45]
	s_mov_b64 vcc, s[8:9]
	v_min3_f32 v50, v44, v45, v118
	v_pk_add_f32 v[44:45], v[32:33], v[40:41]
	s_nop 0
	v_min3_f32 v51, v44, v45, v117
	v_pk_add_f32 v[44:45], v[2:3], v[46:47]
	s_nop 0
	v_min_f32_e32 v46, v44, v45
	v_pk_add_f32 v[44:45], v[34:35], v[42:43]
	v_min3_f32 v46, v53, v46, v50
	v_min3_f32 v51, v44, v45, v51
	v_lshl_add_u64 v[44:45], v[72:73], 2, v[48:49]
	flat_store_dword v[44:45], v46
	v_add_u32_e32 v46, 0xa0, v150
	v_mad_i64_i32 v[44:45], s[2:3], v46, s5, 0
	v_mad_i64_i32 v[46:47], s[2:3], v46, s4, 0
	v_lshl_add_u64 v[44:45], v[44:45], 2, s[0:1]
	s_mov_b64 s[2:3], -1
	v_max_f32_e32 v48, v51, v51
	s_cbranch_vccz .LBB23_129
; %bb.128:
	v_min_f32_e32 v49, 0, v48
	v_lshl_add_u64 v[50:51], v[70:71], 2, v[44:45]
	flat_store_dword v[50:51], v49
	s_mov_b64 s[2:3], 0
.LBB23_129:
	v_lshl_add_u64 v[46:47], v[46:47], 2, s[16:17]
	s_andn2_b64 vcc, exec, s[2:3]
	v_mov_b32_e32 v49, 0
	s_cbranch_vccnz .LBB23_131
; %bb.130:
	v_lshl_add_u64 v[50:51], v[46:47], 0, v[76:77]
	flat_load_dword v49, v[50:51]
	v_lshl_add_u64 v[50:51], v[44:45], 0, v[76:77]
	s_waitcnt vmcnt(0) lgkmcnt(0)
	v_mul_f32_e32 v49, s28, v49
	v_min_f32_e32 v48, v49, v48
	flat_store_dword v[50:51], v48
	v_lshl_add_u64 v[48:49], v[64:65], 2, v[46:47]
	flat_load_dword v48, v[48:49]
	s_waitcnt vmcnt(0) lgkmcnt(0)
	v_mul_f32_e32 v49, s28, v48
.LBB23_131:
	v_pk_add_f32 v[50:51], v[24:25], v[40:41]
	s_mov_b64 s[2:3], -1
	v_min3_f32 v48, v50, v51, v114
	v_pk_add_f32 v[50:51], v[28:29], v[40:41]
	s_mov_b64 vcc, s[8:9]
	v_min3_f32 v52, v50, v51, v113
	v_pk_add_f32 v[50:51], v[26:27], v[42:43]
	s_nop 0
	v_min_f32_e32 v53, v50, v51
	v_pk_add_f32 v[50:51], v[30:31], v[42:43]
	s_nop 0
	v_min3_f32 v50, v50, v51, v52
	v_min3_f32 v51, v49, v53, v48
	v_lshl_add_u64 v[48:49], v[64:65], 2, v[44:45]
	flat_store_dword v[48:49], v51
	v_max_f32_e32 v48, v50, v50
	s_cbranch_vccz .LBB23_133
; %bb.132:
	v_min_f32_e32 v49, 0, v48
	v_lshl_add_u64 v[50:51], v[74:75], 2, v[44:45]
	flat_store_dword v[50:51], v49
	s_mov_b64 s[2:3], 0
.LBB23_133:
	s_andn2_b64 vcc, exec, s[2:3]
	v_mov_b32_e32 v49, 0
	s_cbranch_vccnz .LBB23_135
; %bb.134:
	v_lshl_add_u64 v[50:51], v[46:47], 0, v[80:81]
	flat_load_dword v49, v[50:51]
	v_lshl_add_u64 v[50:51], v[44:45], 0, v[80:81]
	s_waitcnt vmcnt(0) lgkmcnt(0)
	v_mul_f32_e32 v49, s28, v49
	v_min_f32_e32 v48, v49, v48
	flat_store_dword v[50:51], v48
	v_lshl_add_u64 v[48:49], v[66:67], 2, v[46:47]
	flat_load_dword v48, v[48:49]
	s_waitcnt vmcnt(0) lgkmcnt(0)
	v_mul_f32_e32 v49, s28, v48
.LBB23_135:
	v_pk_add_f32 v[50:51], v[20:21], v[40:41]
	s_mov_b64 s[2:3], -1
	v_min3_f32 v48, v50, v51, v112
	v_pk_add_f32 v[50:51], v[16:17], v[40:41]
	s_mov_b64 vcc, s[8:9]
	v_min3_f32 v52, v50, v51, v111
	v_pk_add_f32 v[50:51], v[22:23], v[42:43]
	s_nop 0
	v_min_f32_e32 v53, v50, v51
	v_pk_add_f32 v[50:51], v[18:19], v[42:43]
	s_nop 0
	v_min3_f32 v50, v50, v51, v52
	v_min3_f32 v51, v49, v53, v48
	v_lshl_add_u64 v[48:49], v[66:67], 2, v[44:45]
	flat_store_dword v[48:49], v51
	v_max_f32_e32 v48, v50, v50
	s_cbranch_vccz .LBB23_137
; %bb.136:
	v_min_f32_e32 v49, 0, v48
	v_lshl_add_u64 v[50:51], v[78:79], 2, v[44:45]
	flat_store_dword v[50:51], v49
	s_mov_b64 s[2:3], 0
.LBB23_137:
	;; [unrolled: 39-line block ×3, first 2 shown]
	s_andn2_b64 vcc, exec, s[2:3]
	v_mov_b32_e32 v49, 0
	s_cbranch_vccnz .LBB23_143
; %bb.142:
	v_lshl_add_u64 v[50:51], v[46:47], 0, v[86:87]
	flat_load_dword v49, v[50:51]
	v_lshl_add_u64 v[50:51], v[44:45], 0, v[86:87]
	v_lshl_add_u64 v[46:47], v[72:73], 2, v[46:47]
	s_waitcnt vmcnt(0) lgkmcnt(0)
	v_mul_f32_e32 v49, s28, v49
	v_min_f32_e32 v48, v49, v48
	flat_store_dword v[50:51], v48
	flat_load_dword v46, v[46:47]
	s_waitcnt vmcnt(0) lgkmcnt(0)
	v_mul_f32_e32 v49, s28, v46
.LBB23_143:
	v_pk_add_f32 v[40:41], v[0:1], v[40:41]
	s_mov_b64 vcc, s[8:9]
	v_min3_f32 v46, v40, v41, v108
	v_pk_add_f32 v[40:41], v[32:33], v[36:37]
	s_nop 0
	v_min3_f32 v47, v40, v41, v107
	v_pk_add_f32 v[40:41], v[2:3], v[42:43]
	s_nop 0
	v_min_f32_e32 v42, v40, v41
	v_pk_add_f32 v[40:41], v[34:35], v[38:39]
	v_min3_f32 v42, v49, v42, v46
	v_min3_f32 v47, v40, v41, v47
	v_lshl_add_u64 v[40:41], v[72:73], 2, v[44:45]
	flat_store_dword v[40:41], v42
	v_add_u32_e32 v42, 0xc0, v150
	v_mad_i64_i32 v[40:41], s[2:3], v42, s5, 0
	v_mad_i64_i32 v[42:43], s[2:3], v42, s4, 0
	v_lshl_add_u64 v[40:41], v[40:41], 2, s[0:1]
	s_mov_b64 s[2:3], -1
	v_max_f32_e32 v44, v47, v47
	s_cbranch_vccz .LBB23_145
; %bb.144:
	v_min_f32_e32 v45, 0, v44
	v_lshl_add_u64 v[46:47], v[70:71], 2, v[40:41]
	flat_store_dword v[46:47], v45
	s_mov_b64 s[2:3], 0
.LBB23_145:
	v_lshl_add_u64 v[42:43], v[42:43], 2, s[16:17]
	s_andn2_b64 vcc, exec, s[2:3]
	v_mov_b32_e32 v45, 0
	s_cbranch_vccnz .LBB23_147
; %bb.146:
	v_lshl_add_u64 v[46:47], v[42:43], 0, v[76:77]
	flat_load_dword v45, v[46:47]
	v_lshl_add_u64 v[46:47], v[40:41], 0, v[76:77]
	s_waitcnt vmcnt(0) lgkmcnt(0)
	v_mul_f32_e32 v45, s28, v45
	v_min_f32_e32 v44, v45, v44
	flat_store_dword v[46:47], v44
	v_lshl_add_u64 v[44:45], v[64:65], 2, v[42:43]
	flat_load_dword v44, v[44:45]
	s_waitcnt vmcnt(0) lgkmcnt(0)
	v_mul_f32_e32 v45, s28, v44
.LBB23_147:
	v_pk_add_f32 v[46:47], v[24:25], v[36:37]
	s_mov_b64 s[2:3], -1
	v_min3_f32 v44, v46, v47, v106
	v_pk_add_f32 v[46:47], v[28:29], v[36:37]
	s_mov_b64 vcc, s[8:9]
	v_min3_f32 v48, v46, v47, v105
	v_pk_add_f32 v[46:47], v[26:27], v[38:39]
	s_nop 0
	v_min_f32_e32 v49, v46, v47
	v_pk_add_f32 v[46:47], v[30:31], v[38:39]
	s_nop 0
	v_min3_f32 v46, v46, v47, v48
	v_min3_f32 v47, v45, v49, v44
	v_lshl_add_u64 v[44:45], v[64:65], 2, v[40:41]
	flat_store_dword v[44:45], v47
	v_max_f32_e32 v44, v46, v46
	s_cbranch_vccz .LBB23_149
; %bb.148:
	v_min_f32_e32 v45, 0, v44
	v_lshl_add_u64 v[46:47], v[74:75], 2, v[40:41]
	flat_store_dword v[46:47], v45
	s_mov_b64 s[2:3], 0
.LBB23_149:
	s_andn2_b64 vcc, exec, s[2:3]
	v_mov_b32_e32 v45, 0
	s_cbranch_vccnz .LBB23_151
; %bb.150:
	v_lshl_add_u64 v[46:47], v[42:43], 0, v[80:81]
	flat_load_dword v45, v[46:47]
	v_lshl_add_u64 v[46:47], v[40:41], 0, v[80:81]
	s_waitcnt vmcnt(0) lgkmcnt(0)
	v_mul_f32_e32 v45, s28, v45
	v_min_f32_e32 v44, v45, v44
	flat_store_dword v[46:47], v44
	v_lshl_add_u64 v[44:45], v[66:67], 2, v[42:43]
	flat_load_dword v44, v[44:45]
	s_waitcnt vmcnt(0) lgkmcnt(0)
	v_mul_f32_e32 v45, s28, v44
.LBB23_151:
	v_pk_add_f32 v[46:47], v[20:21], v[36:37]
	s_mov_b64 s[2:3], -1
	v_min3_f32 v44, v46, v47, v104
	v_pk_add_f32 v[46:47], v[16:17], v[36:37]
	s_mov_b64 vcc, s[8:9]
	v_min3_f32 v48, v46, v47, v103
	v_pk_add_f32 v[46:47], v[22:23], v[38:39]
	s_nop 0
	v_min_f32_e32 v49, v46, v47
	v_pk_add_f32 v[46:47], v[18:19], v[38:39]
	s_nop 0
	v_min3_f32 v46, v46, v47, v48
	v_min3_f32 v47, v45, v49, v44
	v_lshl_add_u64 v[44:45], v[66:67], 2, v[40:41]
	flat_store_dword v[44:45], v47
	v_max_f32_e32 v44, v46, v46
	s_cbranch_vccz .LBB23_153
; %bb.152:
	v_min_f32_e32 v45, 0, v44
	v_lshl_add_u64 v[46:47], v[78:79], 2, v[40:41]
	flat_store_dword v[46:47], v45
	s_mov_b64 s[2:3], 0
.LBB23_153:
	;; [unrolled: 39-line block ×3, first 2 shown]
	s_andn2_b64 vcc, exec, s[2:3]
	v_mov_b32_e32 v45, 0
	s_cbranch_vccnz .LBB23_159
; %bb.158:
	v_lshl_add_u64 v[46:47], v[42:43], 0, v[86:87]
	flat_load_dword v45, v[46:47]
	v_lshl_add_u64 v[46:47], v[40:41], 0, v[86:87]
	v_lshl_add_u64 v[42:43], v[72:73], 2, v[42:43]
	s_waitcnt vmcnt(0) lgkmcnt(0)
	v_mul_f32_e32 v45, s28, v45
	v_min_f32_e32 v44, v45, v44
	flat_store_dword v[46:47], v44
	flat_load_dword v42, v[42:43]
	s_waitcnt vmcnt(0) lgkmcnt(0)
	v_mul_f32_e32 v45, s28, v42
.LBB23_159:
	v_pk_add_f32 v[36:37], v[0:1], v[36:37]
	v_pk_add_f32 v[32:33], v[32:33], v[4:5]
	v_min3_f32 v36, v36, v37, v99
	v_min3_f32 v37, v32, v33, v100
	v_pk_add_f32 v[32:33], v[2:3], v[38:39]
	s_mov_b64 vcc, s[8:9]
	v_min_f32_e32 v38, v32, v33
	v_pk_add_f32 v[32:33], v[34:35], v[6:7]
	v_min3_f32 v34, v45, v38, v36
	v_min3_f32 v37, v32, v33, v37
	v_lshl_add_u64 v[32:33], v[72:73], 2, v[40:41]
	flat_store_dword v[32:33], v34
	v_add_u32_e32 v34, 0xe0, v150
	v_mad_i64_i32 v[32:33], s[2:3], v34, s5, 0
	v_lshl_add_u64 v[32:33], v[32:33], 2, s[0:1]
	v_mad_i64_i32 v[34:35], s[0:1], v34, s4, 0
	s_mov_b64 s[0:1], -1
	v_max_f32_e32 v36, v37, v37
	s_cbranch_vccz .LBB23_161
; %bb.160:
	v_min_f32_e32 v37, 0, v36
	v_lshl_add_u64 v[38:39], v[70:71], 2, v[32:33]
	flat_store_dword v[38:39], v37
	s_mov_b64 s[0:1], 0
.LBB23_161:
	v_lshl_add_u64 v[34:35], v[34:35], 2, s[16:17]
	s_andn2_b64 vcc, exec, s[0:1]
	v_mov_b32_e32 v37, 0
	s_cbranch_vccnz .LBB23_163
; %bb.162:
	v_lshl_add_u64 v[38:39], v[34:35], 0, v[76:77]
	flat_load_dword v37, v[38:39]
	v_lshl_add_u64 v[38:39], v[32:33], 0, v[76:77]
	s_waitcnt vmcnt(0) lgkmcnt(0)
	v_mul_f32_e32 v37, s28, v37
	v_min_f32_e32 v36, v37, v36
	flat_store_dword v[38:39], v36
	v_lshl_add_u64 v[36:37], v[64:65], 2, v[34:35]
	flat_load_dword v36, v[36:37]
	s_waitcnt vmcnt(0) lgkmcnt(0)
	v_mul_f32_e32 v37, s28, v36
.LBB23_163:
	v_pk_add_f32 v[24:25], v[24:25], v[4:5]
	s_mov_b64 s[0:1], -1
	v_min3_f32 v36, v24, v25, v98
	v_pk_add_f32 v[24:25], v[28:29], v[4:5]
	s_mov_b64 vcc, s[8:9]
	v_min3_f32 v28, v24, v25, v97
	v_pk_add_f32 v[24:25], v[26:27], v[6:7]
	s_nop 0
	v_min_f32_e32 v26, v24, v25
	v_pk_add_f32 v[24:25], v[30:31], v[6:7]
	v_min3_f32 v26, v37, v26, v36
	v_min3_f32 v27, v24, v25, v28
	v_lshl_add_u64 v[24:25], v[64:65], 2, v[32:33]
	flat_store_dword v[24:25], v26
	v_max_f32_e32 v24, v27, v27
	s_cbranch_vccz .LBB23_165
; %bb.164:
	v_min_f32_e32 v25, 0, v24
	v_lshl_add_u64 v[26:27], v[74:75], 2, v[32:33]
	flat_store_dword v[26:27], v25
	s_mov_b64 s[0:1], 0
.LBB23_165:
	s_andn2_b64 vcc, exec, s[0:1]
	v_mov_b32_e32 v25, 0
	s_cbranch_vccnz .LBB23_167
; %bb.166:
	v_lshl_add_u64 v[26:27], v[34:35], 0, v[80:81]
	flat_load_dword v25, v[26:27]
	v_lshl_add_u64 v[26:27], v[32:33], 0, v[80:81]
	s_waitcnt vmcnt(0) lgkmcnt(0)
	v_mul_f32_e32 v25, s28, v25
	v_min_f32_e32 v24, v25, v24
	flat_store_dword v[26:27], v24
	v_lshl_add_u64 v[24:25], v[66:67], 2, v[34:35]
	flat_load_dword v24, v[24:25]
	s_waitcnt vmcnt(0) lgkmcnt(0)
	v_mul_f32_e32 v25, s28, v24
.LBB23_167:
	v_pk_add_f32 v[20:21], v[20:21], v[4:5]
	v_pk_add_f32 v[16:17], v[16:17], v[4:5]
	v_min3_f32 v20, v20, v21, v96
	v_min3_f32 v21, v16, v17, v95
	v_pk_add_f32 v[16:17], v[22:23], v[6:7]
	s_mov_b64 s[0:1], -1
	v_min_f32_e32 v22, v16, v17
	v_pk_add_f32 v[16:17], v[18:19], v[6:7]
	v_min3_f32 v19, v25, v22, v20
	v_min3_f32 v18, v16, v17, v21
	v_lshl_add_u64 v[16:17], v[66:67], 2, v[32:33]
	flat_store_dword v[16:17], v19
	v_max_f32_e32 v16, v18, v18
	s_mov_b64 vcc, s[8:9]
	s_cbranch_vccz .LBB23_169
; %bb.168:
	v_min_f32_e32 v17, 0, v16
	v_lshl_add_u64 v[18:19], v[78:79], 2, v[32:33]
	flat_store_dword v[18:19], v17
	s_mov_b64 s[0:1], 0
.LBB23_169:
	s_andn2_b64 vcc, exec, s[0:1]
	v_mov_b32_e32 v17, 0
	s_cbranch_vccnz .LBB23_171
; %bb.170:
	v_lshl_add_u64 v[18:19], v[34:35], 0, v[82:83]
	flat_load_dword v17, v[18:19]
	v_lshl_add_u64 v[18:19], v[32:33], 0, v[82:83]
	s_waitcnt vmcnt(0) lgkmcnt(0)
	v_mul_f32_e32 v17, s28, v17
	v_min_f32_e32 v16, v17, v16
	flat_store_dword v[18:19], v16
	v_lshl_add_u64 v[16:17], v[68:69], 2, v[34:35]
	flat_load_dword v16, v[16:17]
	s_waitcnt vmcnt(0) lgkmcnt(0)
	v_mul_f32_e32 v17, s28, v16
.LBB23_171:
	v_pk_add_f32 v[12:13], v[12:13], v[4:5]
	v_pk_add_f32 v[8:9], v[8:9], v[4:5]
	v_min3_f32 v12, v12, v13, v94
	v_min3_f32 v13, v8, v9, v93
	v_pk_add_f32 v[8:9], v[14:15], v[6:7]
	s_mov_b64 s[0:1], -1
	v_min_f32_e32 v14, v8, v9
	v_pk_add_f32 v[8:9], v[10:11], v[6:7]
	v_min3_f32 v11, v17, v14, v12
	v_min3_f32 v10, v8, v9, v13
	v_lshl_add_u64 v[8:9], v[68:69], 2, v[32:33]
	flat_store_dword v[8:9], v11
	v_max_f32_e32 v8, v10, v10
	s_mov_b64 vcc, s[8:9]
	s_cbranch_vccz .LBB23_173
; %bb.172:
	v_min_f32_e32 v9, 0, v8
	v_lshl_add_u64 v[10:11], v[84:85], 2, v[32:33]
	flat_store_dword v[10:11], v9
	s_mov_b64 s[0:1], 0
.LBB23_173:
	s_andn2_b64 vcc, exec, s[0:1]
	v_mov_b32_e32 v9, 0
	s_cbranch_vccnz .LBB23_175
; %bb.174:
	v_lshl_add_u64 v[10:11], v[34:35], 0, v[86:87]
	flat_load_dword v9, v[10:11]
	v_lshl_add_u64 v[10:11], v[32:33], 0, v[86:87]
	s_waitcnt vmcnt(0) lgkmcnt(0)
	v_mul_f32_e32 v9, s28, v9
	v_min_f32_e32 v8, v9, v8
	flat_store_dword v[10:11], v8
	v_lshl_add_u64 v[8:9], v[72:73], 2, v[34:35]
	flat_load_dword v8, v[8:9]
	s_waitcnt vmcnt(0) lgkmcnt(0)
	v_mul_f32_e32 v9, s28, v8
.LBB23_175:
	v_pk_add_f32 v[2:3], v[2:3], v[6:7]
	v_pk_add_f32 v[0:1], v[0:1], v[4:5]
	v_min_f32_e32 v2, v2, v3
	v_min3_f32 v0, v0, v1, v92
	v_min3_f32 v2, v9, v2, v0
	v_lshl_add_u64 v[0:1], v[72:73], 2, v[32:33]
	flat_store_dword v[0:1], v2
	s_endpgm
	.section	.rodata,"a",@progbits
	.p2align	6, 0x0
	.amdhsa_kernel _ZN12_GLOBAL__N_120geam_min_plus_kernelIf15HIP_vector_typeIfLj2EEfLi8ELi32ELi64ELi256ELi4ELi4ELi64ELi64ELi4ELc84ELc84ELb0ELb0ELb1EfKPKfKPfEEviiiT16_PT17_ilSA_ilS8_SA_ilPT18_ili26rocblas_geam_ex_operation_
		.amdhsa_group_segment_fixed_size 10240
		.amdhsa_private_segment_fixed_size 0
		.amdhsa_kernarg_size 128
		.amdhsa_user_sgpr_count 2
		.amdhsa_user_sgpr_dispatch_ptr 0
		.amdhsa_user_sgpr_queue_ptr 0
		.amdhsa_user_sgpr_kernarg_segment_ptr 1
		.amdhsa_user_sgpr_dispatch_id 0
		.amdhsa_user_sgpr_kernarg_preload_length 0
		.amdhsa_user_sgpr_kernarg_preload_offset 0
		.amdhsa_user_sgpr_private_segment_size 0
		.amdhsa_uses_dynamic_stack 0
		.amdhsa_enable_private_segment 0
		.amdhsa_system_sgpr_workgroup_id_x 1
		.amdhsa_system_sgpr_workgroup_id_y 0
		.amdhsa_system_sgpr_workgroup_id_z 1
		.amdhsa_system_sgpr_workgroup_info 0
		.amdhsa_system_vgpr_workitem_id 1
		.amdhsa_next_free_vgpr 158
		.amdhsa_next_free_sgpr 29
		.amdhsa_accum_offset 160
		.amdhsa_reserve_vcc 1
		.amdhsa_float_round_mode_32 0
		.amdhsa_float_round_mode_16_64 0
		.amdhsa_float_denorm_mode_32 3
		.amdhsa_float_denorm_mode_16_64 3
		.amdhsa_dx10_clamp 1
		.amdhsa_ieee_mode 1
		.amdhsa_fp16_overflow 0
		.amdhsa_tg_split 0
		.amdhsa_exception_fp_ieee_invalid_op 0
		.amdhsa_exception_fp_denorm_src 0
		.amdhsa_exception_fp_ieee_div_zero 0
		.amdhsa_exception_fp_ieee_overflow 0
		.amdhsa_exception_fp_ieee_underflow 0
		.amdhsa_exception_fp_ieee_inexact 0
		.amdhsa_exception_int_div_zero 0
	.end_amdhsa_kernel
	.section	.text._ZN12_GLOBAL__N_120geam_min_plus_kernelIf15HIP_vector_typeIfLj2EEfLi8ELi32ELi64ELi256ELi4ELi4ELi64ELi64ELi4ELc84ELc84ELb0ELb0ELb1EfKPKfKPfEEviiiT16_PT17_ilSA_ilS8_SA_ilPT18_ili26rocblas_geam_ex_operation_,"axG",@progbits,_ZN12_GLOBAL__N_120geam_min_plus_kernelIf15HIP_vector_typeIfLj2EEfLi8ELi32ELi64ELi256ELi4ELi4ELi64ELi64ELi4ELc84ELc84ELb0ELb0ELb1EfKPKfKPfEEviiiT16_PT17_ilSA_ilS8_SA_ilPT18_ili26rocblas_geam_ex_operation_,comdat
.Lfunc_end23:
	.size	_ZN12_GLOBAL__N_120geam_min_plus_kernelIf15HIP_vector_typeIfLj2EEfLi8ELi32ELi64ELi256ELi4ELi4ELi64ELi64ELi4ELc84ELc84ELb0ELb0ELb1EfKPKfKPfEEviiiT16_PT17_ilSA_ilS8_SA_ilPT18_ili26rocblas_geam_ex_operation_, .Lfunc_end23-_ZN12_GLOBAL__N_120geam_min_plus_kernelIf15HIP_vector_typeIfLj2EEfLi8ELi32ELi64ELi256ELi4ELi4ELi64ELi64ELi4ELc84ELc84ELb0ELb0ELb1EfKPKfKPfEEviiiT16_PT17_ilSA_ilS8_SA_ilPT18_ili26rocblas_geam_ex_operation_
                                        ; -- End function
	.set _ZN12_GLOBAL__N_120geam_min_plus_kernelIf15HIP_vector_typeIfLj2EEfLi8ELi32ELi64ELi256ELi4ELi4ELi64ELi64ELi4ELc84ELc84ELb0ELb0ELb1EfKPKfKPfEEviiiT16_PT17_ilSA_ilS8_SA_ilPT18_ili26rocblas_geam_ex_operation_.num_vgpr, 158
	.set _ZN12_GLOBAL__N_120geam_min_plus_kernelIf15HIP_vector_typeIfLj2EEfLi8ELi32ELi64ELi256ELi4ELi4ELi64ELi64ELi4ELc84ELc84ELb0ELb0ELb1EfKPKfKPfEEviiiT16_PT17_ilSA_ilS8_SA_ilPT18_ili26rocblas_geam_ex_operation_.num_agpr, 0
	.set _ZN12_GLOBAL__N_120geam_min_plus_kernelIf15HIP_vector_typeIfLj2EEfLi8ELi32ELi64ELi256ELi4ELi4ELi64ELi64ELi4ELc84ELc84ELb0ELb0ELb1EfKPKfKPfEEviiiT16_PT17_ilSA_ilS8_SA_ilPT18_ili26rocblas_geam_ex_operation_.numbered_sgpr, 29
	.set _ZN12_GLOBAL__N_120geam_min_plus_kernelIf15HIP_vector_typeIfLj2EEfLi8ELi32ELi64ELi256ELi4ELi4ELi64ELi64ELi4ELc84ELc84ELb0ELb0ELb1EfKPKfKPfEEviiiT16_PT17_ilSA_ilS8_SA_ilPT18_ili26rocblas_geam_ex_operation_.num_named_barrier, 0
	.set _ZN12_GLOBAL__N_120geam_min_plus_kernelIf15HIP_vector_typeIfLj2EEfLi8ELi32ELi64ELi256ELi4ELi4ELi64ELi64ELi4ELc84ELc84ELb0ELb0ELb1EfKPKfKPfEEviiiT16_PT17_ilSA_ilS8_SA_ilPT18_ili26rocblas_geam_ex_operation_.private_seg_size, 0
	.set _ZN12_GLOBAL__N_120geam_min_plus_kernelIf15HIP_vector_typeIfLj2EEfLi8ELi32ELi64ELi256ELi4ELi4ELi64ELi64ELi4ELc84ELc84ELb0ELb0ELb1EfKPKfKPfEEviiiT16_PT17_ilSA_ilS8_SA_ilPT18_ili26rocblas_geam_ex_operation_.uses_vcc, 1
	.set _ZN12_GLOBAL__N_120geam_min_plus_kernelIf15HIP_vector_typeIfLj2EEfLi8ELi32ELi64ELi256ELi4ELi4ELi64ELi64ELi4ELc84ELc84ELb0ELb0ELb1EfKPKfKPfEEviiiT16_PT17_ilSA_ilS8_SA_ilPT18_ili26rocblas_geam_ex_operation_.uses_flat_scratch, 0
	.set _ZN12_GLOBAL__N_120geam_min_plus_kernelIf15HIP_vector_typeIfLj2EEfLi8ELi32ELi64ELi256ELi4ELi4ELi64ELi64ELi4ELc84ELc84ELb0ELb0ELb1EfKPKfKPfEEviiiT16_PT17_ilSA_ilS8_SA_ilPT18_ili26rocblas_geam_ex_operation_.has_dyn_sized_stack, 0
	.set _ZN12_GLOBAL__N_120geam_min_plus_kernelIf15HIP_vector_typeIfLj2EEfLi8ELi32ELi64ELi256ELi4ELi4ELi64ELi64ELi4ELc84ELc84ELb0ELb0ELb1EfKPKfKPfEEviiiT16_PT17_ilSA_ilS8_SA_ilPT18_ili26rocblas_geam_ex_operation_.has_recursion, 0
	.set _ZN12_GLOBAL__N_120geam_min_plus_kernelIf15HIP_vector_typeIfLj2EEfLi8ELi32ELi64ELi256ELi4ELi4ELi64ELi64ELi4ELc84ELc84ELb0ELb0ELb1EfKPKfKPfEEviiiT16_PT17_ilSA_ilS8_SA_ilPT18_ili26rocblas_geam_ex_operation_.has_indirect_call, 0
	.section	.AMDGPU.csdata,"",@progbits
; Kernel info:
; codeLenInByte = 16652
; TotalNumSgprs: 35
; NumVgprs: 158
; NumAgprs: 0
; TotalNumVgprs: 158
; ScratchSize: 0
; MemoryBound: 0
; FloatMode: 240
; IeeeMode: 1
; LDSByteSize: 10240 bytes/workgroup (compile time only)
; SGPRBlocks: 4
; VGPRBlocks: 19
; NumSGPRsForWavesPerEU: 35
; NumVGPRsForWavesPerEU: 158
; AccumOffset: 160
; Occupancy: 3
; WaveLimiterHint : 1
; COMPUTE_PGM_RSRC2:SCRATCH_EN: 0
; COMPUTE_PGM_RSRC2:USER_SGPR: 2
; COMPUTE_PGM_RSRC2:TRAP_HANDLER: 0
; COMPUTE_PGM_RSRC2:TGID_X_EN: 1
; COMPUTE_PGM_RSRC2:TGID_Y_EN: 0
; COMPUTE_PGM_RSRC2:TGID_Z_EN: 1
; COMPUTE_PGM_RSRC2:TIDIG_COMP_CNT: 1
; COMPUTE_PGM_RSRC3_GFX90A:ACCUM_OFFSET: 39
; COMPUTE_PGM_RSRC3_GFX90A:TG_SPLIT: 0
	.section	.text._ZN12_GLOBAL__N_120geam_min_plus_kernelIf15HIP_vector_typeIfLj2EEfLi8ELi32ELi64ELi256ELi4ELi4ELi64ELi64ELi4ELc84ELc84ELb0ELb1ELb1EPKfKS4_KPfEEviiiT16_PT17_ilSA_ilS8_SA_ilPT18_ili26rocblas_geam_ex_operation_,"axG",@progbits,_ZN12_GLOBAL__N_120geam_min_plus_kernelIf15HIP_vector_typeIfLj2EEfLi8ELi32ELi64ELi256ELi4ELi4ELi64ELi64ELi4ELc84ELc84ELb0ELb1ELb1EPKfKS4_KPfEEviiiT16_PT17_ilSA_ilS8_SA_ilPT18_ili26rocblas_geam_ex_operation_,comdat
	.globl	_ZN12_GLOBAL__N_120geam_min_plus_kernelIf15HIP_vector_typeIfLj2EEfLi8ELi32ELi64ELi256ELi4ELi4ELi64ELi64ELi4ELc84ELc84ELb0ELb1ELb1EPKfKS4_KPfEEviiiT16_PT17_ilSA_ilS8_SA_ilPT18_ili26rocblas_geam_ex_operation_ ; -- Begin function _ZN12_GLOBAL__N_120geam_min_plus_kernelIf15HIP_vector_typeIfLj2EEfLi8ELi32ELi64ELi256ELi4ELi4ELi64ELi64ELi4ELc84ELc84ELb0ELb1ELb1EPKfKS4_KPfEEviiiT16_PT17_ilSA_ilS8_SA_ilPT18_ili26rocblas_geam_ex_operation_
	.p2align	8
	.type	_ZN12_GLOBAL__N_120geam_min_plus_kernelIf15HIP_vector_typeIfLj2EEfLi8ELi32ELi64ELi256ELi4ELi4ELi64ELi64ELi4ELc84ELc84ELb0ELb1ELb1EPKfKS4_KPfEEviiiT16_PT17_ilSA_ilS8_SA_ilPT18_ili26rocblas_geam_ex_operation_,@function
_ZN12_GLOBAL__N_120geam_min_plus_kernelIf15HIP_vector_typeIfLj2EEfLi8ELi32ELi64ELi256ELi4ELi4ELi64ELi64ELi4ELc84ELc84ELb0ELb1ELb1EPKfKS4_KPfEEviiiT16_PT17_ilSA_ilS8_SA_ilPT18_ili26rocblas_geam_ex_operation_: ; @_ZN12_GLOBAL__N_120geam_min_plus_kernelIf15HIP_vector_typeIfLj2EEfLi8ELi32ELi64ELi256ELi4ELi4ELi64ELi64ELi4ELc84ELc84ELb0ELb1ELb1EPKfKS4_KPfEEviiiT16_PT17_ilSA_ilS8_SA_ilPT18_ili26rocblas_geam_ex_operation_
; %bb.0:
	s_load_dwordx4 s[12:15], s[0:1], 0x10
	s_load_dwordx4 s[8:11], s[0:1], 0x28
	s_load_dwordx4 s[4:7], s[0:1], 0x40
	s_mov_b32 s18, s3
	s_mov_b32 s19, 0
	s_lshl_b64 s[16:17], s[18:19], 2
	s_waitcnt lgkmcnt(0)
	s_add_u32 s20, s12, s16
	s_addc_u32 s21, s13, s17
	s_load_dword s34, s[20:21], 0x0
	s_load_dwordx2 s[12:13], s[0:1], 0x50
	s_add_u32 s6, s6, s16
	s_addc_u32 s7, s7, s17
	s_mov_b64 s[16:17], 0
	s_waitcnt lgkmcnt(0)
	v_cmp_eq_f32_e64 s[22:23], s34, 0
	v_cmp_neq_f32_e64 s[20:21], s34, 0
	s_and_b64 vcc, exec, s[22:23]
	s_mov_b64 s[28:29], 0
	s_cbranch_vccnz .LBB24_2
; %bb.1:
	s_lshl_b64 s[22:23], s[18:19], 3
	s_add_u32 s14, s14, s22
	s_addc_u32 s15, s15, s23
	s_load_dwordx2 s[14:15], s[14:15], 0x0
	s_lshl_b64 s[8:9], s[8:9], 2
	s_waitcnt lgkmcnt(0)
	s_add_u32 s28, s14, s8
	s_addc_u32 s29, s15, s9
.LBB24_2:
	s_load_dword s30, s[6:7], 0x0
	s_andn2_b64 vcc, exec, s[20:21]
	s_cbranch_vccnz .LBB24_4
; %bb.3:
	s_lshl_b64 s[6:7], s[18:19], 3
	s_add_u32 s6, s10, s6
	s_addc_u32 s7, s11, s7
	s_load_dwordx2 s[6:7], s[6:7], 0x0
	s_lshl_b64 s[4:5], s[4:5], 2
	s_waitcnt lgkmcnt(0)
	s_add_u32 s16, s6, s4
	s_addc_u32 s17, s7, s5
.LBB24_4:
	s_load_dwordx4 s[4:7], s[0:1], 0x60
	s_waitcnt lgkmcnt(0)
	v_cmp_eq_f32_e64 s[8:9], s30, 0
	v_cmp_neq_f32_e64 s[14:15], s30, 0
	s_and_b64 vcc, exec, s[8:9]
	s_cbranch_vccnz .LBB24_6
; %bb.5:
	s_lshl_b64 s[8:9], s[18:19], 3
	s_add_u32 s8, s12, s8
	s_addc_u32 s9, s13, s9
	s_load_dwordx2 s[8:9], s[8:9], 0x0
	s_lshl_b64 s[4:5], s[4:5], 2
	s_waitcnt lgkmcnt(0)
	s_add_u32 s24, s8, s4
	s_addc_u32 s25, s9, s5
	s_branch .LBB24_7
.LBB24_6:
	s_mov_b64 s[24:25], 0
.LBB24_7:
	s_load_dwordx4 s[20:23], s[0:1], 0x0
	s_load_dword s35, s[0:1], 0x20
	s_lshl_b64 s[4:5], s[18:19], 3
	s_add_u32 s26, s6, s4
	s_addc_u32 s27, s7, s5
	s_waitcnt lgkmcnt(0)
	s_add_i32 s3, s20, -1
	s_ashr_i32 s4, s3, 31
	s_lshr_b32 s4, s4, 26
	s_add_i32 s3, s3, s4
	s_ashr_i32 s3, s3, 6
	s_add_i32 s7, s3, 1
	v_cvt_f32_u32_e32 v1, s7
	s_not_b32 s3, s3
	v_and_b32_e32 v70, 0x3ff, v0
	v_bfe_u32 v71, v0, 10, 10
	v_rcp_iflag_f32_e32 v1, v1
	v_and_b32_e32 v72, 3, v0
	v_lshl_add_u32 v0, v71, 3, v70
	v_lshrrev_b32_e32 v2, 2, v0
	v_mul_f32_e32 v1, 0x4f7ffffe, v1
	v_cvt_u32_f32_e32 v1, v1
	v_cmp_le_i32_e64 s[4:5], s22, v72
	v_cmp_eq_f32_e64 s[18:19], s34, 0
                                        ; implicit-def: $vgpr3
	v_readfirstlane_b32 s6, v1
	s_mul_i32 s3, s3, s6
	s_mul_hi_u32 s3, s6, s3
	s_add_i32 s6, s6, s3
	s_mul_hi_u32 s3, s2, s6
	s_mul_i32 s6, s3, s7
	s_sub_i32 s6, s2, s6
	s_add_i32 s8, s3, 1
	s_sub_i32 s9, s6, s7
	s_cmp_ge_u32 s6, s7
	s_cselect_b32 s3, s8, s3
	s_cselect_b32 s6, s9, s6
	s_add_i32 s8, s3, 1
	s_cmp_ge_u32 s6, s7
	s_cselect_b32 s6, s8, s3
	s_mul_i32 s3, s6, s7
	s_sub_i32 s2, s2, s3
	s_lshl_b32 s31, s2, 6
	v_add_u32_e32 v56, s31, v2
	v_cmp_le_i32_e32 vcc, s20, v56
	s_or_b64 s[2:3], s[4:5], vcc
	s_nor_b64 s[4:5], s[18:19], s[2:3]
                                        ; implicit-def: $sgpr7
	s_and_saveexec_b64 s[8:9], s[4:5]
	s_xor_b64 s[4:5], exec, s[8:9]
	s_cbranch_execz .LBB24_9
; %bb.8:
	s_add_i32 s7, s22, -1
	v_mad_i64_i32 v[4:5], s[8:9], v56, s35, 0
	v_min_u32_e32 v1, s7, v72
	v_lshl_add_u64 v[4:5], v[4:5], 2, s[28:29]
	v_lshlrev_b32_e32 v6, 2, v1
	v_mov_b32_e32 v7, 0
	v_lshl_add_u64 v[4:5], v[4:5], 0, v[6:7]
	flat_load_dword v1, v[4:5]
	s_waitcnt vmcnt(0) lgkmcnt(0)
	v_mul_f32_e32 v3, s34, v1
.LBB24_9:
	s_or_saveexec_b64 s[4:5], s[4:5]
	v_mov_b32_e32 v1, s7
	s_xor_b64 exec, exec, s[4:5]
; %bb.10:
	v_mov_b32_e32 v1, 0x7f7fffff
	v_cndmask_b32_e64 v3, 0, v1, s[2:3]
	s_add_i32 s2, s22, -1
	v_mov_b32_e32 v1, s2
; %bb.11:
	s_or_b64 exec, exec, s[4:5]
	s_load_dword s23, s[0:1], 0x38
	v_lshrrev_b32_e32 v73, 6, v0
	v_and_b32_e32 v4, 63, v0
	s_lshl_b32 s33, s6, 8
	v_min_i32_e32 v0, v73, v1
	v_or_b32_e32 v64, s33, v4
	s_waitcnt lgkmcnt(0)
	v_mad_i64_i32 v[0:1], s[2:3], v0, s23, 0
	v_cmp_le_i32_e64 s[10:11], s22, v73
	v_cmp_le_i32_e64 s[2:3], s21, v64
	v_mov_b32_e32 v6, 0x7f7fffff
	s_or_b64 s[4:5], s[2:3], s[10:11]
	v_lshl_add_u64 v[0:1], v[0:1], 2, s[16:17]
	v_cndmask_b32_e64 v5, 0, v6, s[4:5]
	s_nor_b64 s[6:7], s[18:19], s[4:5]
	v_ashrrev_i32_e32 v65, 31, v64
	s_and_saveexec_b64 s[4:5], s[6:7]
	s_cbranch_execz .LBB24_13
; %bb.12:
	v_lshl_add_u64 v[8:9], v[64:65], 2, v[0:1]
	flat_load_dword v5, v[8:9]
	s_waitcnt vmcnt(0) lgkmcnt(0)
	v_mul_f32_e32 v5, s34, v5
.LBB24_13:
	s_or_b64 exec, exec, s[4:5]
	v_or_b32_e32 v7, 64, v64
	v_cmp_le_i32_e64 s[4:5], s21, v7
	s_or_b64 s[6:7], s[4:5], s[10:11]
	v_cndmask_b32_e64 v6, 0, v6, s[6:7]
	s_nor_b64 s[8:9], s[18:19], s[6:7]
	s_and_saveexec_b64 s[6:7], s[8:9]
	s_cbranch_execz .LBB24_15
; %bb.14:
	v_lshl_add_u64 v[6:7], v[64:65], 2, v[0:1]
	flat_load_dword v6, v[6:7] offset:256
	s_waitcnt vmcnt(0) lgkmcnt(0)
	v_mul_f32_e32 v6, s34, v6
.LBB24_15:
	s_or_b64 exec, exec, s[6:7]
	v_or_b32_e32 v7, 0x80, v64
	v_cmp_le_i32_e64 s[6:7], s21, v7
	v_mov_b32_e32 v8, 0x7f7fffff
	s_or_b64 s[8:9], s[6:7], s[10:11]
	v_cndmask_b32_e64 v7, 0, v8, s[8:9]
	s_nor_b64 s[12:13], s[18:19], s[8:9]
	s_and_saveexec_b64 s[8:9], s[12:13]
	s_cbranch_execz .LBB24_17
; %bb.16:
	v_lshl_add_u64 v[10:11], v[64:65], 2, v[0:1]
	flat_load_dword v7, v[10:11] offset:512
	s_waitcnt vmcnt(0) lgkmcnt(0)
	v_mul_f32_e32 v7, s34, v7
.LBB24_17:
	s_or_b64 exec, exec, s[8:9]
	v_or_b32_e32 v9, 0xc0, v64
	v_cmp_le_i32_e64 s[8:9], s21, v9
	s_or_b64 s[10:11], s[8:9], s[10:11]
	v_cndmask_b32_e64 v8, 0, v8, s[10:11]
	s_nor_b64 s[12:13], s[18:19], s[10:11]
	s_and_saveexec_b64 s[10:11], s[12:13]
	s_cbranch_execz .LBB24_19
; %bb.18:
	v_lshl_add_u64 v[0:1], v[64:65], 2, v[0:1]
	flat_load_dword v0, v[0:1] offset:768
	s_waitcnt vmcnt(0) lgkmcnt(0)
	v_mul_f32_e32 v8, s34, v0
.LBB24_19:
	s_or_b64 exec, exec, s[10:11]
	v_or_b32_e32 v0, 4, v72
	v_cmp_le_i32_e64 s[10:11], s22, v0
	s_or_b64 s[10:11], s[10:11], vcc
	s_nor_b64 s[12:13], s[18:19], s[10:11]
                                        ; implicit-def: $vgpr57
                                        ; implicit-def: $sgpr36
	s_and_saveexec_b64 s[38:39], s[12:13]
	s_xor_b64 s[12:13], exec, s[38:39]
	s_cbranch_execz .LBB24_21
; %bb.20:
	v_mad_i64_i32 v[10:11], s[36:37], v56, s35, 0
	s_add_i32 s36, s22, -1
	s_nop 0
	v_min_u32_e32 v0, s36, v0
	v_lshl_add_u64 v[10:11], v[10:11], 2, s[28:29]
	v_lshlrev_b32_e32 v0, 2, v0
	v_mov_b32_e32 v1, 0
	v_lshl_add_u64 v[0:1], v[10:11], 0, v[0:1]
	flat_load_dword v0, v[0:1]
	s_waitcnt vmcnt(0) lgkmcnt(0)
	v_mul_f32_e32 v57, s34, v0
.LBB24_21:
	s_or_saveexec_b64 s[12:13], s[12:13]
	v_mov_b32_e32 v0, s36
	s_xor_b64 exec, exec, s[12:13]
; %bb.22:
	v_mov_b32_e32 v0, 0x7f7fffff
	v_cndmask_b32_e64 v57, 0, v0, s[10:11]
	s_add_i32 s10, s22, -1
	v_mov_b32_e32 v0, s10
; %bb.23:
	s_or_b64 exec, exec, s[12:13]
	v_add_u32_e32 v1, 4, v73
	v_min_i32_e32 v0, v1, v0
	v_cmp_le_i32_e64 s[10:11], s22, v1
	v_mad_i64_i32 v[0:1], s[12:13], v0, s23, 0
	v_mov_b32_e32 v9, 0x7f7fffff
	s_or_b64 s[12:13], s[2:3], s[10:11]
	v_lshl_add_u64 v[0:1], v[0:1], 2, s[16:17]
	v_cndmask_b32_e64 v58, 0, v9, s[12:13]
	s_nor_b64 s[36:37], s[18:19], s[12:13]
	s_and_saveexec_b64 s[12:13], s[36:37]
	s_cbranch_execz .LBB24_25
; %bb.24:
	v_lshl_add_u64 v[10:11], v[64:65], 2, v[0:1]
	flat_load_dword v10, v[10:11]
	s_waitcnt vmcnt(0) lgkmcnt(0)
	v_mul_f32_e32 v58, s34, v10
.LBB24_25:
	s_or_b64 exec, exec, s[12:13]
	s_or_b64 s[12:13], s[4:5], s[10:11]
	v_cndmask_b32_e64 v59, 0, v9, s[12:13]
	s_nor_b64 s[36:37], s[18:19], s[12:13]
	s_and_saveexec_b64 s[12:13], s[36:37]
	s_cbranch_execz .LBB24_27
; %bb.26:
	v_lshl_add_u64 v[10:11], v[64:65], 2, v[0:1]
	flat_load_dword v9, v[10:11] offset:256
	s_waitcnt vmcnt(0) lgkmcnt(0)
	v_mul_f32_e32 v59, s34, v9
.LBB24_27:
	s_or_b64 exec, exec, s[12:13]
	v_mov_b32_e32 v9, 0x7f7fffff
	s_or_b64 s[12:13], s[6:7], s[10:11]
	v_cndmask_b32_e64 v60, 0, v9, s[12:13]
	s_nor_b64 s[36:37], s[18:19], s[12:13]
	s_and_saveexec_b64 s[12:13], s[36:37]
	s_cbranch_execz .LBB24_29
; %bb.28:
	v_lshl_add_u64 v[10:11], v[64:65], 2, v[0:1]
	flat_load_dword v10, v[10:11] offset:512
	s_waitcnt vmcnt(0) lgkmcnt(0)
	v_mul_f32_e32 v60, s34, v10
.LBB24_29:
	s_or_b64 exec, exec, s[12:13]
	s_or_b64 s[10:11], s[8:9], s[10:11]
	v_cndmask_b32_e64 v61, 0, v9, s[10:11]
	s_nor_b64 s[36:37], s[18:19], s[10:11]
	s_mov_b32 s12, 0x7f7fffff
	s_and_saveexec_b64 s[10:11], s[36:37]
	s_cbranch_execz .LBB24_31
; %bb.30:
	v_lshl_add_u64 v[0:1], v[64:65], 2, v[0:1]
	flat_load_dword v0, v[0:1] offset:768
	s_waitcnt vmcnt(0) lgkmcnt(0)
	v_mul_f32_e32 v61, s34, v0
.LBB24_31:
	s_or_b64 exec, exec, s[10:11]
	v_lshlrev_b32_e32 v0, 2, v72
	v_lshl_or_b32 v62, v2, 4, v0
	v_lshlrev_b32_e32 v0, 4, v4
	v_lshl_add_u32 v76, v73, 2, v0
	v_lshlrev_b32_e32 v75, 4, v70
	s_load_dwordx2 s[26:27], s[26:27], 0x0
	ds_write_b32 v62, v3 offset:8192
	ds_write2st64_b32 v76, v5, v6 offset1:4
	ds_write2st64_b32 v76, v7, v8 offset0:8 offset1:12
	s_waitcnt lgkmcnt(0)
	s_barrier
	v_lshlrev_b32_e32 v74, 4, v71
	ds_read_b128 v[28:31], v75 offset:8192
	ds_read_b128 v[24:27], v75 offset:8320
	;; [unrolled: 1-line block ×8, first 2 shown]
	ds_read_b128 v[52:55], v74
	ds_read_b128 v[48:51], v74 offset:512
	ds_read_b128 v[44:47], v74 offset:1024
	;; [unrolled: 1-line block ×5, first 2 shown]
	s_waitcnt lgkmcnt(5)
	v_pk_add_f32 v[66:67], v[28:29], v[52:53]
	s_cmp_lt_i32 s22, 9
	v_min3_f32 v63, v66, v67, s12
	v_pk_add_f32 v[66:67], v[24:25], v[52:53]
	s_nop 0
	v_min3_f32 v68, v66, v67, s12
	v_pk_add_f32 v[66:67], v[20:21], v[52:53]
	s_nop 0
	v_min3_f32 v69, v66, v67, s12
	v_pk_add_f32 v[66:67], v[16:17], v[52:53]
	s_nop 0
	v_min3_f32 v77, v66, v67, s12
	v_pk_add_f32 v[66:67], v[12:13], v[52:53]
	s_nop 0
	v_min3_f32 v78, v66, v67, s12
	v_pk_add_f32 v[66:67], v[8:9], v[52:53]
	s_nop 0
	v_min3_f32 v80, v66, v67, s12
	v_pk_add_f32 v[66:67], v[4:5], v[52:53]
	v_pk_add_f32 v[52:53], v[0:1], v[52:53]
	v_min3_f32 v66, v66, v67, s12
	v_min3_f32 v67, v52, v53, s12
	s_waitcnt lgkmcnt(4)
	v_pk_add_f32 v[52:53], v[28:29], v[48:49]
	s_nop 0
	v_min3_f32 v81, v52, v53, s12
	v_pk_add_f32 v[52:53], v[24:25], v[48:49]
	s_nop 0
	v_min3_f32 v82, v52, v53, s12
	v_pk_add_f32 v[52:53], v[20:21], v[48:49]
	s_nop 0
	v_min3_f32 v83, v52, v53, s12
	v_pk_add_f32 v[52:53], v[16:17], v[48:49]
	s_nop 0
	v_min3_f32 v84, v52, v53, s12
	v_pk_add_f32 v[52:53], v[12:13], v[48:49]
	s_nop 0
	v_min3_f32 v85, v52, v53, s12
	v_pk_add_f32 v[52:53], v[8:9], v[48:49]
	s_nop 0
	v_min3_f32 v86, v52, v53, s12
	v_pk_add_f32 v[52:53], v[4:5], v[48:49]
	v_pk_add_f32 v[48:49], v[0:1], v[48:49]
	v_min3_f32 v87, v52, v53, s12
	v_min3_f32 v88, v48, v49, s12
	s_waitcnt lgkmcnt(3)
	v_pk_add_f32 v[48:49], v[28:29], v[44:45]
	s_nop 0
	;; [unrolled: 23-line block ×5, first 2 shown]
	v_min3_f32 v124, v36, v37, s12
	v_pk_add_f32 v[36:37], v[24:25], v[32:33]
	s_nop 0
	v_min3_f32 v146, v36, v37, s12
	v_pk_add_f32 v[36:37], v[20:21], v[32:33]
	s_nop 0
	;; [unrolled: 3-line block ×12, first 2 shown]
	v_min3_f32 v78, v36, v37, v66
	v_pk_add_f32 v[36:37], v[4:5], v[32:33]
	v_pk_add_f32 v[32:33], v[0:1], v[32:33]
	v_min3_f32 v63, v36, v37, s12
	v_min3_f32 v66, v32, v33, s12
	v_pk_add_f32 v[32:33], v[2:3], v[54:55]
	ds_read_b128 v[52:55], v74 offset:3072
	v_min3_f32 v141, v32, v33, v67
	v_pk_add_f32 v[32:33], v[30:31], v[50:51]
	s_nop 0
	v_min3_f32 v140, v32, v33, v81
	v_pk_add_f32 v[32:33], v[26:27], v[50:51]
	s_nop 0
	;; [unrolled: 3-line block ×7, first 2 shown]
	v_min3_f32 v131, v32, v33, v87
	v_pk_add_f32 v[32:33], v[2:3], v[50:51]
	ds_read_b128 v[48:51], v74 offset:3584
	v_min3_f32 v136, v32, v33, v88
	v_pk_add_f32 v[32:33], v[30:31], v[46:47]
	s_waitcnt lgkmcnt(1)
	v_pk_add_f32 v[36:37], v[28:29], v[52:53]
	v_min3_f32 v134, v32, v33, v89
	v_pk_add_f32 v[32:33], v[26:27], v[46:47]
	v_min3_f32 v67, v36, v37, s12
	v_min3_f32 v132, v32, v33, v90
	v_pk_add_f32 v[32:33], v[22:23], v[46:47]
	v_pk_add_f32 v[36:37], v[24:25], v[52:53]
	v_min3_f32 v130, v32, v33, v91
	v_pk_add_f32 v[32:33], v[18:19], v[46:47]
	v_min3_f32 v68, v36, v37, s12
	v_min3_f32 v129, v32, v33, v92
	v_pk_add_f32 v[32:33], v[14:15], v[46:47]
	v_pk_add_f32 v[36:37], v[12:13], v[52:53]
	v_min3_f32 v128, v32, v33, v93
	v_pk_add_f32 v[32:33], v[10:11], v[46:47]
	s_waitcnt lgkmcnt(0)
	v_pk_add_f32 v[28:29], v[28:29], v[48:49]
	v_min3_f32 v127, v32, v33, v94
	v_pk_add_f32 v[32:33], v[6:7], v[46:47]
	v_min3_f32 v28, v28, v29, s12
	v_min3_f32 v126, v32, v33, v95
	v_pk_add_f32 v[32:33], v[20:21], v[52:53]
	v_pk_add_f32 v[24:25], v[24:25], v[48:49]
	v_min3_f32 v69, v32, v33, s12
	v_pk_add_f32 v[32:33], v[16:17], v[52:53]
	v_pk_add_f32 v[12:13], v[12:13], v[48:49]
	v_min3_f32 v80, v32, v33, s12
	v_pk_add_f32 v[32:33], v[2:3], v[46:47]
	v_min3_f32 v46, v36, v37, s12
	v_min3_f32 v125, v32, v33, v96
	v_pk_add_f32 v[32:33], v[30:31], v[42:43]
	v_pk_add_f32 v[36:37], v[8:9], v[52:53]
	v_min3_f32 v123, v32, v33, v97
	v_pk_add_f32 v[32:33], v[26:27], v[42:43]
	v_min3_f32 v36, v36, v37, s12
	;; [unrolled: 6-line block ×3, first 2 shown]
	v_min3_f32 v120, v32, v33, v100
	v_pk_add_f32 v[32:33], v[14:15], v[42:43]
	v_pk_add_f32 v[24:25], v[30:31], v[34:35]
	v_min3_f32 v119, v32, v33, v101
	v_pk_add_f32 v[32:33], v[10:11], v[42:43]
	v_pk_add_f32 v[20:21], v[20:21], v[48:49]
	v_min3_f32 v118, v32, v33, v102
	v_pk_add_f32 v[32:33], v[6:7], v[42:43]
	v_min3_f32 v12, v12, v13, s12
	v_min3_f32 v117, v32, v33, v44
	v_pk_add_f32 v[32:33], v[4:5], v[52:53]
	v_pk_add_f32 v[4:5], v[4:5], v[48:49]
	v_min3_f32 v37, v32, v33, s12
	v_pk_add_f32 v[32:33], v[0:1], v[52:53]
	v_pk_add_f32 v[0:1], v[0:1], v[48:49]
	v_min3_f32 v44, v32, v33, s12
	v_pk_add_f32 v[32:33], v[2:3], v[42:43]
	v_min3_f32 v4, v4, v5, s12
	v_min3_f32 v116, v32, v33, v45
	v_pk_add_f32 v[32:33], v[30:31], v[38:39]
	v_min3_f32 v5, v0, v1, s12
	v_min3_f32 v115, v32, v33, v103
	v_pk_add_f32 v[32:33], v[26:27], v[38:39]
	v_pk_add_f32 v[0:1], v[2:3], v[54:55]
	v_min3_f32 v114, v32, v33, v104
	v_pk_add_f32 v[32:33], v[22:23], v[38:39]
	v_min3_f32 v92, v0, v1, v44
	v_min3_f32 v113, v32, v33, v105
	v_pk_add_f32 v[32:33], v[18:19], v[38:39]
	v_pk_add_f32 v[0:1], v[30:31], v[50:51]
	v_min3_f32 v112, v32, v33, v106
	v_pk_add_f32 v[32:33], v[14:15], v[38:39]
	v_min3_f32 v13, v8, v9, s12
	;; [unrolled: 2-line block ×4, first 2 shown]
	v_min3_f32 v107, v24, v25, v124
	v_pk_add_f32 v[24:25], v[26:27], v[34:35]
	v_min3_f32 v20, v20, v21, s12
	v_pk_add_f32 v[16:17], v[16:17], v[48:49]
	;; [unrolled: 2-line block ×5, first 2 shown]
	v_min3_f32 v21, v16, v17, s12
	v_min3_f32 v98, v8, v9, v68
	v_pk_add_f32 v[8:9], v[22:23], v[54:55]
	v_min3_f32 v89, v0, v1, v20
	v_pk_add_f32 v[0:1], v[18:19], v[50:51]
	;; [unrolled: 2-line block ×5, first 2 shown]
	v_pk_add_f32 v[32:33], v[10:11], v[38:39]
	v_min3_f32 v104, v24, v25, v148
	v_pk_add_f32 v[24:25], v[14:15], v[34:35]
	v_min3_f32 v96, v8, v9, v80
	v_pk_add_f32 v[8:9], v[14:15], v[54:55]
	v_min3_f32 v86, v0, v1, v12
	v_pk_add_f32 v[0:1], v[10:11], v[50:51]
	v_min3_f32 v110, v32, v33, v108
	v_pk_add_f32 v[32:33], v[6:7], v[38:39]
	v_min3_f32 v103, v24, v25, v149
	v_pk_add_f32 v[24:25], v[10:11], v[34:35]
	v_min3_f32 v95, v8, v9, v46
	v_pk_add_f32 v[8:9], v[10:11], v[54:55]
	v_min3_f32 v85, v0, v1, v13
	v_pk_add_f32 v[0:1], v[6:7], v[50:51]
	v_min3_f32 v109, v32, v33, v40
	v_pk_add_f32 v[32:33], v[2:3], v[38:39]
	v_min3_f32 v102, v24, v25, v150
	v_pk_add_f32 v[24:25], v[6:7], v[34:35]
	v_pk_add_f32 v[16:17], v[2:3], v[34:35]
	v_min3_f32 v94, v8, v9, v36
	v_pk_add_f32 v[8:9], v[6:7], v[54:55]
	v_min3_f32 v84, v0, v1, v4
	;; [unrolled: 2-line block ×3, first 2 shown]
	v_min3_f32 v101, v24, v25, v63
	v_min3_f32 v100, v16, v17, v66
	;; [unrolled: 1-line block ×4, first 2 shown]
	ds_write_b32 v62, v57 offset:9216
	ds_write2st64_b32 v76, v58, v59 offset0:16 offset1:20
	ds_write2st64_b32 v76, v60, v61 offset0:24 offset1:28
	s_waitcnt lgkmcnt(0)
	s_barrier
	s_cbranch_scc1 .LBB24_58
; %bb.32:
	v_mov_b32_e32 v0, 0x2400
	v_lshl_add_u32 v124, v70, 4, v0
	v_mov_b32_e32 v0, 0x1000
	v_and_b32_e32 v2, 3, v70
	v_lshl_add_u32 v146, v71, 4, v0
	v_mad_i64_i32 v[0:1], s[10:11], s35, v56, 0
	v_lshlrev_b32_e32 v2, 2, v2
	v_mov_b32_e32 v3, 0
	v_lshl_add_u64 v[0:1], v[0:1], 2, v[2:3]
	v_lshl_add_u64 v[0:1], s[28:29], 0, v[0:1]
	v_add_u32_e32 v80, 0x2000, v62
	v_add_u32_e32 v81, 0x2000, v75
	;; [unrolled: 1-line block ×4, first 2 shown]
	s_add_i32 s36, s22, -8
	s_add_i32 s37, s22, -1
	v_lshl_add_u64 v[66:67], v[0:1], 0, 48
	s_mov_b32 s35, 0
	v_mov_b32_e32 v147, 0x7f7fffff
	s_branch .LBB24_34
.LBB24_33:                              ;   in Loop: Header=BB24_34 Depth=1
	s_or_b64 exec, exec, s[10:11]
	v_pk_add_f32 v[68:69], v[28:29], v[60:61]
	s_add_i32 s35, s35, 8
	v_min3_f32 v145, v68, v69, v145
	v_pk_add_f32 v[68:69], v[24:25], v[60:61]
	s_cmp_ge_i32 s35, s36
	v_min3_f32 v144, v68, v69, v144
	v_pk_add_f32 v[68:69], v[20:21], v[60:61]
	v_lshl_add_u64 v[66:67], v[66:67], 0, 32
	v_min3_f32 v143, v68, v69, v143
	v_pk_add_f32 v[68:69], v[16:17], v[60:61]
	s_nop 0
	v_min3_f32 v142, v68, v69, v142
	v_pk_add_f32 v[68:69], v[12:13], v[60:61]
	s_nop 0
	v_min3_f32 v79, v68, v69, v79
	v_pk_add_f32 v[68:69], v[8:9], v[60:61]
	s_nop 0
	v_min3_f32 v77, v68, v69, v77
	v_pk_add_f32 v[68:69], v[4:5], v[60:61]
	v_pk_add_f32 v[60:61], v[0:1], v[60:61]
	v_min3_f32 v68, v68, v69, v78
	v_min3_f32 v69, v60, v61, v141
	v_pk_add_f32 v[60:61], v[28:29], v[56:57]
	s_nop 0
	v_min3_f32 v78, v60, v61, v140
	v_pk_add_f32 v[60:61], v[24:25], v[56:57]
	s_nop 0
	v_min3_f32 v139, v60, v61, v139
	v_pk_add_f32 v[60:61], v[20:21], v[56:57]
	s_nop 0
	v_min3_f32 v138, v60, v61, v138
	v_pk_add_f32 v[60:61], v[16:17], v[56:57]
	s_nop 0
	v_min3_f32 v137, v60, v61, v137
	v_pk_add_f32 v[60:61], v[12:13], v[56:57]
	s_nop 0
	v_min3_f32 v135, v60, v61, v135
	v_pk_add_f32 v[60:61], v[8:9], v[56:57]
	s_nop 0
	v_min3_f32 v133, v60, v61, v133
	v_pk_add_f32 v[60:61], v[4:5], v[56:57]
	v_pk_add_f32 v[56:57], v[0:1], v[56:57]
	v_min3_f32 v60, v60, v61, v131
	v_min3_f32 v61, v56, v57, v136
	v_pk_add_f32 v[56:57], v[28:29], v[52:53]
	s_nop 0
	v_min3_f32 v131, v56, v57, v134
	v_pk_add_f32 v[56:57], v[24:25], v[52:53]
	s_nop 0
	v_min3_f32 v132, v56, v57, v132
	v_pk_add_f32 v[56:57], v[20:21], v[52:53]
	s_nop 0
	;; [unrolled: 22-line block ×5, first 2 shown]
	v_min3_f32 v105, v44, v45, v105
	v_pk_add_f32 v[44:45], v[16:17], v[40:41]
	s_nop 0
	v_min3_f32 v104, v44, v45, v104
	v_pk_add_f32 v[44:45], v[12:13], v[40:41]
	s_nop 0
	;; [unrolled: 3-line block ×3, first 2 shown]
	v_min3_f32 v102, v44, v45, v102
	v_pk_add_f32 v[44:45], v[4:5], v[40:41]
	v_pk_add_f32 v[40:41], v[0:1], v[40:41]
	v_min3_f32 v44, v44, v45, v101
	v_min3_f32 v45, v40, v41, v100
	v_pk_add_f32 v[40:41], v[28:29], v[36:37]
	v_pk_add_f32 v[28:29], v[28:29], v[32:33]
	v_min3_f32 v99, v40, v41, v99
	v_pk_add_f32 v[40:41], v[24:25], v[36:37]
	v_pk_add_f32 v[24:25], v[24:25], v[32:33]
	;; [unrolled: 3-line block ×7, first 2 shown]
	v_pk_add_f32 v[4:5], v[4:5], v[32:33]
	v_pk_add_f32 v[0:1], v[0:1], v[32:33]
	v_min3_f32 v4, v4, v5, v84
	v_min3_f32 v5, v0, v1, v88
	v_pk_add_f32 v[0:1], v[30:31], v[62:63]
	v_min3_f32 v8, v8, v9, v85
	v_min3_f32 v84, v0, v1, v145
	;; [unrolled: 3-line block ×9, first 2 shown]
	v_pk_add_f32 v[0:1], v[30:31], v[58:59]
	s_nop 0
	v_min3_f32 v78, v0, v1, v78
	v_pk_add_f32 v[0:1], v[26:27], v[58:59]
	s_nop 0
	v_min3_f32 v90, v0, v1, v139
	;; [unrolled: 3-line block ×56, first 2 shown]
	ds_read_b128 v[0:3], v81
	ds_read_b128 v[4:7], v81 offset:128
	ds_read_b128 v[8:11], v81 offset:256
	;; [unrolled: 1-line block ×7, first 2 shown]
	ds_read_b128 v[36:39], v74
	ds_read_b128 v[40:43], v74 offset:512
	ds_read_b128 v[44:47], v74 offset:1024
	;; [unrolled: 1-line block ×7, first 2 shown]
	s_waitcnt lgkmcnt(7)
	v_pk_add_f32 v[68:69], v[0:1], v[36:37]
	ds_write_b32 v82, v148
	ds_write2st64_b32 v83, v149, v150 offset1:4
	ds_write2st64_b32 v83, v151, v152 offset0:8 offset1:12
	v_min3_f32 v84, v68, v69, v84
	v_pk_add_f32 v[68:69], v[4:5], v[36:37]
	s_waitcnt lgkmcnt(0)
	v_min3_f32 v85, v68, v69, v85
	v_pk_add_f32 v[68:69], v[8:9], v[36:37]
	s_barrier
	v_min3_f32 v86, v68, v69, v86
	v_pk_add_f32 v[68:69], v[12:13], v[36:37]
	s_nop 0
	v_min3_f32 v87, v68, v69, v87
	v_pk_add_f32 v[68:69], v[16:17], v[36:37]
	s_nop 0
	;; [unrolled: 3-line block ×3, first 2 shown]
	v_min3_f32 v77, v68, v69, v77
	v_pk_add_f32 v[68:69], v[24:25], v[36:37]
	v_pk_add_f32 v[36:37], v[28:29], v[36:37]
	v_min3_f32 v68, v68, v69, v88
	v_min3_f32 v69, v36, v37, v89
	v_pk_add_f32 v[36:37], v[0:1], v[40:41]
	s_nop 0
	v_min3_f32 v88, v36, v37, v78
	v_pk_add_f32 v[36:37], v[4:5], v[40:41]
	s_nop 0
	;; [unrolled: 3-line block ×40, first 2 shown]
	v_min3_f32 v56, v36, v37, v135
	v_pk_add_f32 v[36:37], v[0:1], v[60:61]
	v_pk_add_f32 v[0:1], v[0:1], v[32:33]
	v_min3_f32 v57, v36, v37, v99
	v_pk_add_f32 v[36:37], v[4:5], v[60:61]
	s_nop 0
	v_min3_f32 v98, v36, v37, v98
	v_pk_add_f32 v[36:37], v[8:9], v[60:61]
	s_nop 0
	;; [unrolled: 3-line block ×7, first 2 shown]
	v_min3_f32 v36, v36, v37, v137
	v_min3_f32 v37, v0, v1, v138
	v_pk_add_f32 v[0:1], v[4:5], v[32:33]
	s_nop 0
	v_min3_f32 v4, v0, v1, v139
	v_pk_add_f32 v[0:1], v[8:9], v[32:33]
	s_nop 0
	v_min3_f32 v5, v0, v1, v140
	v_pk_add_f32 v[0:1], v[12:13], v[32:33]
	s_nop 0
	v_min3_f32 v8, v0, v1, v141
	v_pk_add_f32 v[0:1], v[16:17], v[32:33]
	s_nop 0
	v_min3_f32 v9, v0, v1, v142
	v_pk_add_f32 v[0:1], v[20:21], v[32:33]
	s_nop 0
	v_min3_f32 v12, v0, v1, v143
	v_pk_add_f32 v[0:1], v[24:25], v[32:33]
	s_nop 0
	v_min3_f32 v13, v0, v1, v144
	v_pk_add_f32 v[0:1], v[28:29], v[32:33]
	s_nop 0
	v_min3_f32 v16, v0, v1, v145
	v_pk_add_f32 v[0:1], v[2:3], v[38:39]
	s_nop 0
	v_min3_f32 v145, v0, v1, v84
	v_pk_add_f32 v[0:1], v[6:7], v[38:39]
	s_nop 0
	v_min3_f32 v144, v0, v1, v85
	v_pk_add_f32 v[0:1], v[10:11], v[38:39]
	s_nop 0
	v_min3_f32 v143, v0, v1, v86
	v_pk_add_f32 v[0:1], v[14:15], v[38:39]
	s_nop 0
	v_min3_f32 v142, v0, v1, v87
	v_pk_add_f32 v[0:1], v[18:19], v[38:39]
	s_nop 0
	v_min3_f32 v79, v0, v1, v79
	v_pk_add_f32 v[0:1], v[22:23], v[38:39]
	s_nop 0
	v_min3_f32 v77, v0, v1, v77
	v_pk_add_f32 v[0:1], v[26:27], v[38:39]
	s_nop 0
	v_min3_f32 v78, v0, v1, v68
	v_pk_add_f32 v[0:1], v[30:31], v[38:39]
	s_nop 0
	v_min3_f32 v141, v0, v1, v69
	v_pk_add_f32 v[0:1], v[2:3], v[42:43]
	s_nop 0
	v_min3_f32 v140, v0, v1, v88
	v_pk_add_f32 v[0:1], v[6:7], v[42:43]
	s_nop 0
	v_min3_f32 v139, v0, v1, v89
	v_pk_add_f32 v[0:1], v[10:11], v[42:43]
	s_nop 0
	v_min3_f32 v138, v0, v1, v90
	v_pk_add_f32 v[0:1], v[14:15], v[42:43]
	s_nop 0
	v_min3_f32 v137, v0, v1, v91
	v_pk_add_f32 v[0:1], v[18:19], v[42:43]
	s_nop 0
	v_min3_f32 v135, v0, v1, v92
	v_pk_add_f32 v[0:1], v[22:23], v[42:43]
	s_nop 0
	v_min3_f32 v133, v0, v1, v93
	v_pk_add_f32 v[0:1], v[26:27], v[42:43]
	s_nop 0
	v_min3_f32 v131, v0, v1, v100
	v_pk_add_f32 v[0:1], v[30:31], v[42:43]
	s_nop 0
	v_min3_f32 v136, v0, v1, v40
	v_pk_add_f32 v[0:1], v[2:3], v[46:47]
	s_nop 0
	v_min3_f32 v134, v0, v1, v41
	v_pk_add_f32 v[0:1], v[6:7], v[46:47]
	s_nop 0
	v_min3_f32 v132, v0, v1, v101
	v_pk_add_f32 v[0:1], v[10:11], v[46:47]
	s_nop 0
	v_min3_f32 v130, v0, v1, v108
	v_pk_add_f32 v[0:1], v[14:15], v[46:47]
	s_nop 0
	v_min3_f32 v129, v0, v1, v109
	v_pk_add_f32 v[0:1], v[18:19], v[46:47]
	s_nop 0
	v_min3_f32 v128, v0, v1, v116
	v_pk_add_f32 v[0:1], v[22:23], v[46:47]
	s_nop 0
	v_min3_f32 v127, v0, v1, v117
	v_pk_add_f32 v[0:1], v[26:27], v[46:47]
	s_nop 0
	v_min3_f32 v126, v0, v1, v125
	v_pk_add_f32 v[0:1], v[30:31], v[46:47]
	s_nop 0
	v_min3_f32 v125, v0, v1, v44
	v_pk_add_f32 v[0:1], v[2:3], v[50:51]
	s_nop 0
	v_min3_f32 v123, v0, v1, v45
	v_pk_add_f32 v[0:1], v[6:7], v[50:51]
	s_nop 0
	v_min3_f32 v122, v0, v1, v122
	v_pk_add_f32 v[0:1], v[10:11], v[50:51]
	s_nop 0
	v_min3_f32 v121, v0, v1, v121
	v_pk_add_f32 v[0:1], v[14:15], v[50:51]
	s_nop 0
	v_min3_f32 v120, v0, v1, v120
	v_pk_add_f32 v[0:1], v[18:19], v[50:51]
	s_nop 0
	v_min3_f32 v119, v0, v1, v119
	v_pk_add_f32 v[0:1], v[22:23], v[50:51]
	s_nop 0
	v_min3_f32 v118, v0, v1, v118
	v_pk_add_f32 v[0:1], v[26:27], v[50:51]
	s_nop 0
	v_min3_f32 v117, v0, v1, v153
	v_pk_add_f32 v[0:1], v[30:31], v[50:51]
	s_nop 0
	v_min3_f32 v116, v0, v1, v48
	v_pk_add_f32 v[0:1], v[2:3], v[54:55]
	s_nop 0
	v_min3_f32 v115, v0, v1, v49
	v_pk_add_f32 v[0:1], v[6:7], v[54:55]
	s_nop 0
	v_min3_f32 v114, v0, v1, v114
	v_pk_add_f32 v[0:1], v[10:11], v[54:55]
	s_nop 0
	v_min3_f32 v113, v0, v1, v113
	v_pk_add_f32 v[0:1], v[14:15], v[54:55]
	s_nop 0
	v_min3_f32 v112, v0, v1, v112
	v_pk_add_f32 v[0:1], v[18:19], v[54:55]
	s_nop 0
	v_min3_f32 v111, v0, v1, v111
	v_pk_add_f32 v[0:1], v[22:23], v[54:55]
	s_nop 0
	v_min3_f32 v110, v0, v1, v110
	v_pk_add_f32 v[0:1], v[26:27], v[54:55]
	s_nop 0
	v_min3_f32 v109, v0, v1, v154
	v_pk_add_f32 v[0:1], v[30:31], v[54:55]
	s_nop 0
	v_min3_f32 v108, v0, v1, v52
	v_pk_add_f32 v[0:1], v[2:3], v[58:59]
	s_nop 0
	v_min3_f32 v107, v0, v1, v53
	v_pk_add_f32 v[0:1], v[6:7], v[58:59]
	s_nop 0
	v_min3_f32 v106, v0, v1, v106
	v_pk_add_f32 v[0:1], v[10:11], v[58:59]
	s_nop 0
	v_min3_f32 v105, v0, v1, v105
	v_pk_add_f32 v[0:1], v[14:15], v[58:59]
	s_nop 0
	v_min3_f32 v104, v0, v1, v104
	v_pk_add_f32 v[0:1], v[18:19], v[58:59]
	s_nop 0
	v_min3_f32 v103, v0, v1, v103
	v_pk_add_f32 v[0:1], v[22:23], v[58:59]
	s_nop 0
	v_min3_f32 v102, v0, v1, v102
	v_pk_add_f32 v[0:1], v[26:27], v[58:59]
	s_nop 0
	v_min3_f32 v101, v0, v1, v155
	v_pk_add_f32 v[0:1], v[30:31], v[58:59]
	s_nop 0
	v_min3_f32 v100, v0, v1, v56
	v_pk_add_f32 v[0:1], v[2:3], v[62:63]
	s_nop 0
	v_min3_f32 v99, v0, v1, v57
	v_pk_add_f32 v[0:1], v[6:7], v[62:63]
	s_nop 0
	v_min3_f32 v98, v0, v1, v98
	v_pk_add_f32 v[0:1], v[10:11], v[62:63]
	s_nop 0
	v_min3_f32 v97, v0, v1, v97
	v_pk_add_f32 v[0:1], v[14:15], v[62:63]
	s_nop 0
	v_min3_f32 v96, v0, v1, v96
	v_pk_add_f32 v[0:1], v[18:19], v[62:63]
	s_nop 0
	v_min3_f32 v95, v0, v1, v95
	v_pk_add_f32 v[0:1], v[22:23], v[62:63]
	s_nop 0
	v_min3_f32 v94, v0, v1, v94
	v_pk_add_f32 v[0:1], v[26:27], v[62:63]
	s_nop 0
	v_min3_f32 v93, v0, v1, v156
	v_pk_add_f32 v[0:1], v[30:31], v[62:63]
	s_nop 0
	v_min3_f32 v92, v0, v1, v36
	v_pk_add_f32 v[0:1], v[2:3], v[34:35]
	s_nop 0
	v_min3_f32 v91, v0, v1, v37
	v_pk_add_f32 v[0:1], v[6:7], v[34:35]
	s_nop 0
	v_min3_f32 v90, v0, v1, v4
	v_pk_add_f32 v[0:1], v[10:11], v[34:35]
	s_nop 0
	v_min3_f32 v89, v0, v1, v5
	v_pk_add_f32 v[0:1], v[14:15], v[34:35]
	s_nop 0
	v_min3_f32 v87, v0, v1, v8
	v_pk_add_f32 v[0:1], v[18:19], v[34:35]
	s_nop 0
	v_min3_f32 v86, v0, v1, v9
	v_pk_add_f32 v[0:1], v[22:23], v[34:35]
	s_nop 0
	v_min3_f32 v85, v0, v1, v12
	v_pk_add_f32 v[0:1], v[26:27], v[34:35]
	s_nop 0
	v_min3_f32 v84, v0, v1, v13
	v_pk_add_f32 v[0:1], v[30:31], v[34:35]
	s_nop 0
	v_min3_f32 v88, v0, v1, v16
	s_cbranch_scc1 .LBB24_58
.LBB24_34:                              ; =>This Inner Loop Header: Depth=1
	v_add_u32_e32 v68, s35, v72
	v_add_u32_e32 v0, 8, v68
	v_cmp_le_i32_e64 s[10:11], s22, v0
	s_or_b64 s[10:11], s[10:11], vcc
	s_nor_b64 s[12:13], s[18:19], s[10:11]
                                        ; implicit-def: $vgpr148
	s_and_saveexec_b64 s[28:29], s[12:13]
	s_xor_b64 s[28:29], exec, s[28:29]
	s_cbranch_execz .LBB24_36
; %bb.35:                               ;   in Loop: Header=BB24_34 Depth=1
	v_add_co_u32_e64 v0, s[12:13], -16, v66
	s_nop 1
	v_addc_co_u32_e64 v1, s[12:13], -1, v67, s[12:13]
	flat_load_dword v0, v[0:1]
	s_waitcnt vmcnt(0) lgkmcnt(0)
	v_mul_f32_e32 v148, s34, v0
.LBB24_36:                              ;   in Loop: Header=BB24_34 Depth=1
	s_andn2_saveexec_b64 s[12:13], s[28:29]
; %bb.37:                               ;   in Loop: Header=BB24_34 Depth=1
	v_cndmask_b32_e64 v148, 0, v147, s[10:11]
; %bb.38:                               ;   in Loop: Header=BB24_34 Depth=1
	s_or_b64 exec, exec, s[12:13]
	v_add_u32_e32 v69, s35, v73
	v_add_u32_e32 v0, 8, v69
	v_cmp_le_i32_e64 s[10:11], s22, v0
	v_min_i32_e32 v0, s37, v0
	v_mad_i64_i32 v[0:1], s[12:13], v0, s23, 0
	v_lshl_add_u64 v[0:1], v[0:1], 2, s[16:17]
	s_or_b64 s[12:13], s[2:3], s[10:11]
	v_cndmask_b32_e64 v149, 0, v147, s[12:13]
	s_nor_b64 s[28:29], s[18:19], s[12:13]
	v_lshl_add_u64 v[0:1], v[64:65], 2, v[0:1]
	s_and_saveexec_b64 s[12:13], s[28:29]
	s_cbranch_execz .LBB24_40
; %bb.39:                               ;   in Loop: Header=BB24_34 Depth=1
	flat_load_dword v2, v[0:1]
	s_waitcnt vmcnt(0) lgkmcnt(0)
	v_mul_f32_e32 v149, s34, v2
.LBB24_40:                              ;   in Loop: Header=BB24_34 Depth=1
	s_or_b64 exec, exec, s[12:13]
	s_or_b64 s[12:13], s[4:5], s[10:11]
	v_cndmask_b32_e64 v150, 0, v147, s[12:13]
	s_nor_b64 s[28:29], s[18:19], s[12:13]
	s_and_saveexec_b64 s[12:13], s[28:29]
	s_cbranch_execz .LBB24_42
; %bb.41:                               ;   in Loop: Header=BB24_34 Depth=1
	flat_load_dword v2, v[0:1] offset:256
	s_waitcnt vmcnt(0) lgkmcnt(0)
	v_mul_f32_e32 v150, s34, v2
.LBB24_42:                              ;   in Loop: Header=BB24_34 Depth=1
	s_or_b64 exec, exec, s[12:13]
	s_or_b64 s[12:13], s[6:7], s[10:11]
	v_cndmask_b32_e64 v151, 0, v147, s[12:13]
	s_nor_b64 s[28:29], s[18:19], s[12:13]
	s_and_saveexec_b64 s[12:13], s[28:29]
	s_cbranch_execz .LBB24_44
; %bb.43:                               ;   in Loop: Header=BB24_34 Depth=1
	flat_load_dword v2, v[0:1] offset:512
	s_waitcnt vmcnt(0) lgkmcnt(0)
	v_mul_f32_e32 v151, s34, v2
.LBB24_44:                              ;   in Loop: Header=BB24_34 Depth=1
	s_or_b64 exec, exec, s[12:13]
	s_or_b64 s[10:11], s[8:9], s[10:11]
	v_cndmask_b32_e64 v152, 0, v147, s[10:11]
	s_nor_b64 s[12:13], s[18:19], s[10:11]
	s_and_saveexec_b64 s[10:11], s[12:13]
	s_cbranch_execz .LBB24_46
; %bb.45:                               ;   in Loop: Header=BB24_34 Depth=1
	flat_load_dword v0, v[0:1] offset:768
	s_waitcnt vmcnt(0) lgkmcnt(0)
	v_mul_f32_e32 v152, s34, v0
.LBB24_46:                              ;   in Loop: Header=BB24_34 Depth=1
	s_or_b64 exec, exec, s[10:11]
	ds_read_b128 v[28:31], v124
	ds_read_b128 v[24:27], v124 offset:128
	ds_read_b128 v[20:23], v124 offset:256
	;; [unrolled: 1-line block ×7, first 2 shown]
	ds_read_b128 v[60:63], v146
	ds_read_b128 v[56:59], v146 offset:512
	ds_read_b128 v[52:55], v146 offset:1024
	;; [unrolled: 1-line block ×7, first 2 shown]
	v_add_u32_e32 v68, 12, v68
	v_cmp_le_i32_e64 s[10:11], s22, v68
	s_or_b64 s[10:11], s[10:11], vcc
	s_nor_b64 s[12:13], s[18:19], s[10:11]
	ds_write_b32 v80, v148
	ds_write2st64_b32 v76, v149, v150 offset1:4
	ds_write2st64_b32 v76, v151, v152 offset0:8 offset1:12
	s_waitcnt lgkmcnt(0)
	s_barrier
                                        ; implicit-def: $vgpr148
	s_and_saveexec_b64 s[28:29], s[12:13]
	s_xor_b64 s[12:13], exec, s[28:29]
	s_cbranch_execz .LBB24_48
; %bb.47:                               ;   in Loop: Header=BB24_34 Depth=1
	flat_load_dword v68, v[66:67]
	s_waitcnt vmcnt(0) lgkmcnt(0)
	v_mul_f32_e32 v148, s34, v68
.LBB24_48:                              ;   in Loop: Header=BB24_34 Depth=1
	s_andn2_saveexec_b64 s[12:13], s[12:13]
; %bb.49:                               ;   in Loop: Header=BB24_34 Depth=1
	v_cndmask_b32_e64 v148, 0, v147, s[10:11]
; %bb.50:                               ;   in Loop: Header=BB24_34 Depth=1
	s_or_b64 exec, exec, s[12:13]
	v_add_u32_e32 v68, 12, v69
	v_cmp_le_i32_e64 s[10:11], s22, v68
	v_min_i32_e32 v68, s37, v68
	v_mad_i64_i32 v[68:69], s[12:13], v68, s23, 0
	v_lshl_add_u64 v[68:69], v[68:69], 2, s[16:17]
	s_or_b64 s[12:13], s[2:3], s[10:11]
	v_cndmask_b32_e64 v149, 0, v147, s[12:13]
	s_nor_b64 s[28:29], s[18:19], s[12:13]
	v_lshl_add_u64 v[68:69], v[64:65], 2, v[68:69]
	s_and_saveexec_b64 s[12:13], s[28:29]
	s_cbranch_execz .LBB24_52
; %bb.51:                               ;   in Loop: Header=BB24_34 Depth=1
	flat_load_dword v149, v[68:69]
	s_waitcnt vmcnt(0) lgkmcnt(0)
	v_mul_f32_e32 v149, s34, v149
.LBB24_52:                              ;   in Loop: Header=BB24_34 Depth=1
	s_or_b64 exec, exec, s[12:13]
	s_or_b64 s[12:13], s[4:5], s[10:11]
	v_cndmask_b32_e64 v150, 0, v147, s[12:13]
	s_nor_b64 s[28:29], s[18:19], s[12:13]
	s_and_saveexec_b64 s[12:13], s[28:29]
	s_cbranch_execz .LBB24_54
; %bb.53:                               ;   in Loop: Header=BB24_34 Depth=1
	flat_load_dword v150, v[68:69] offset:256
	s_waitcnt vmcnt(0) lgkmcnt(0)
	v_mul_f32_e32 v150, s34, v150
.LBB24_54:                              ;   in Loop: Header=BB24_34 Depth=1
	s_or_b64 exec, exec, s[12:13]
	s_or_b64 s[12:13], s[6:7], s[10:11]
	v_cndmask_b32_e64 v151, 0, v147, s[12:13]
	s_nor_b64 s[28:29], s[18:19], s[12:13]
	s_and_saveexec_b64 s[12:13], s[28:29]
	s_cbranch_execz .LBB24_56
; %bb.55:                               ;   in Loop: Header=BB24_34 Depth=1
	flat_load_dword v151, v[68:69] offset:512
	s_waitcnt vmcnt(0) lgkmcnt(0)
	v_mul_f32_e32 v151, s34, v151
.LBB24_56:                              ;   in Loop: Header=BB24_34 Depth=1
	s_or_b64 exec, exec, s[12:13]
	s_or_b64 s[10:11], s[8:9], s[10:11]
	v_cndmask_b32_e64 v152, 0, v147, s[10:11]
	s_nor_b64 s[12:13], s[18:19], s[10:11]
	s_and_saveexec_b64 s[10:11], s[12:13]
	s_cbranch_execz .LBB24_33
; %bb.57:                               ;   in Loop: Header=BB24_34 Depth=1
	flat_load_dword v68, v[68:69] offset:768
	s_waitcnt vmcnt(0) lgkmcnt(0)
	v_mul_f32_e32 v152, s34, v68
	s_branch .LBB24_33
.LBB24_58:
	s_load_dwordx2 s[2:3], s[0:1], 0x78
	s_load_dword s29, s[0:1], 0x58
	s_load_dword s28, s[0:1], 0x70
	ds_read_b128 v[32:35], v75 offset:9216
	ds_read_b128 v[28:31], v75 offset:9344
	;; [unrolled: 1-line block ×16, first 2 shown]
	s_waitcnt lgkmcnt(0)
	s_lshl_b64 s[0:1], s[2:3], 2
	s_add_u32 s22, s26, s0
	v_add_u32_e32 v124, s33, v71
	s_addc_u32 s23, s27, s1
	v_mad_i64_i32 v[66:67], s[0:1], v124, s29, 0
	v_add_u32_e32 v64, s31, v70
	v_lshl_add_u64 v[82:83], v[66:67], 2, s[24:25]
	v_mad_i64_i32 v[66:67], s[0:1], v124, s28, 0
	v_cmp_gt_i32_e64 s[18:19], s21, v124
	v_lshl_add_u64 v[80:81], v[66:67], 2, s[22:23]
	v_cmp_gt_i32_e64 s[2:3], s20, v64
	v_cndmask_b32_e64 v66, 0, 1, s[14:15]
	s_and_b64 s[6:7], s[2:3], s[18:19]
	v_ashrrev_i32_e32 v65, 31, v64
	v_cmp_ne_u32_e64 s[0:1], 1, v66
	s_and_saveexec_b64 s[4:5], s[6:7]
	s_cbranch_execz .LBB24_63
; %bb.59:
	s_and_b64 vcc, exec, s[0:1]
	s_cbranch_vccnz .LBB24_61
; %bb.60:
	v_lshl_add_u64 v[66:67], v[64:65], 2, v[82:83]
	flat_load_dword v66, v[66:67]
	s_waitcnt vmcnt(0) lgkmcnt(0)
	v_mul_f32_e32 v66, s30, v66
	s_branch .LBB24_62
.LBB24_61:
	v_mov_b32_e32 v66, 0
.LBB24_62:
	v_pk_add_f32 v[68:69], v[32:33], v[60:61]
	s_nop 0
	v_min3_f32 v67, v68, v69, v145
	v_pk_add_f32 v[68:69], v[34:35], v[62:63]
	s_nop 0
	v_min_f32_e32 v68, v68, v69
	v_min3_f32 v68, v66, v68, v67
	v_lshl_add_u64 v[66:67], v[64:65], 2, v[80:81]
	flat_store_dword v[66:67], v68
.LBB24_63:
	s_or_b64 exec, exec, s[4:5]
	v_add_u32_e32 v66, 8, v64
	v_cmp_gt_i32_e64 s[4:5], s20, v66
	s_and_b64 s[8:9], s[4:5], s[18:19]
	v_ashrrev_i32_e32 v67, 31, v66
	s_and_saveexec_b64 s[6:7], s[8:9]
	s_cbranch_execz .LBB24_68
; %bb.64:
	s_and_b64 vcc, exec, s[0:1]
	s_cbranch_vccnz .LBB24_66
; %bb.65:
	v_lshl_add_u64 v[68:69], v[66:67], 2, v[82:83]
	flat_load_dword v68, v[68:69]
	s_waitcnt vmcnt(0) lgkmcnt(0)
	v_mul_f32_e32 v68, s30, v68
	s_branch .LBB24_67
.LBB24_66:
	v_mov_b32_e32 v68, 0
.LBB24_67:
	v_pk_add_f32 v[70:71], v[28:29], v[60:61]
	s_nop 0
	v_min3_f32 v69, v70, v71, v144
	v_pk_add_f32 v[70:71], v[30:31], v[62:63]
	s_nop 0
	v_min_f32_e32 v70, v70, v71
	v_min3_f32 v70, v68, v70, v69
	v_lshl_add_u64 v[68:69], v[66:67], 2, v[80:81]
	flat_store_dword v[68:69], v70
.LBB24_68:
	s_or_b64 exec, exec, s[6:7]
	v_add_u32_e32 v68, 16, v64
	v_cmp_gt_i32_e64 s[6:7], s20, v68
	s_and_b64 s[10:11], s[6:7], s[18:19]
	v_ashrrev_i32_e32 v69, 31, v68
	;; [unrolled: 29-line block ×7, first 2 shown]
	s_and_saveexec_b64 s[18:19], s[26:27]
	s_cbranch_execz .LBB24_98
; %bb.94:
	s_and_b64 vcc, exec, s[0:1]
	s_cbranch_vccnz .LBB24_96
; %bb.95:
	v_lshl_add_u64 v[82:83], v[78:79], 2, v[82:83]
	flat_load_dword v82, v[82:83]
	s_waitcnt vmcnt(0) lgkmcnt(0)
	v_mul_f32_e32 v82, s30, v82
	s_branch .LBB24_97
.LBB24_96:
	v_mov_b32_e32 v82, 0
.LBB24_97:
	v_pk_add_f32 v[60:61], v[0:1], v[60:61]
	s_nop 0
	v_min3_f32 v83, v60, v61, v141
	v_pk_add_f32 v[60:61], v[2:3], v[62:63]
	s_nop 0
	v_min_f32_e32 v60, v60, v61
	v_min3_f32 v62, v82, v60, v83
	v_lshl_add_u64 v[60:61], v[78:79], 2, v[80:81]
	flat_store_dword v[60:61], v62
.LBB24_98:
	s_or_b64 exec, exec, s[18:19]
	v_add_u32_e32 v80, 32, v124
	v_mad_i64_i32 v[60:61], s[26:27], v80, s29, 0
	v_cmp_gt_i32_e64 s[18:19], s21, v80
	v_lshl_add_u64 v[62:63], v[60:61], 2, s[24:25]
	v_mad_i64_i32 v[60:61], s[26:27], v80, s28, 0
	v_lshl_add_u64 v[60:61], v[60:61], 2, s[22:23]
	s_and_b64 s[34:35], s[2:3], s[18:19]
	s_and_saveexec_b64 s[26:27], s[34:35]
	s_cbranch_execnz .LBB24_106
; %bb.99:
	s_or_b64 exec, exec, s[26:27]
	s_and_b64 s[34:35], s[4:5], s[18:19]
	s_and_saveexec_b64 s[26:27], s[34:35]
	s_cbranch_execnz .LBB24_110
.LBB24_100:
	s_or_b64 exec, exec, s[26:27]
	s_and_b64 s[34:35], s[6:7], s[18:19]
	s_and_saveexec_b64 s[26:27], s[34:35]
	s_cbranch_execnz .LBB24_114
.LBB24_101:
	s_or_b64 exec, exec, s[26:27]
	s_and_b64 s[34:35], s[8:9], s[18:19]
	s_and_saveexec_b64 s[26:27], s[34:35]
	s_cbranch_execnz .LBB24_118
.LBB24_102:
	s_or_b64 exec, exec, s[26:27]
	s_and_b64 s[34:35], s[10:11], s[18:19]
	s_and_saveexec_b64 s[26:27], s[34:35]
	s_cbranch_execnz .LBB24_122
.LBB24_103:
	s_or_b64 exec, exec, s[26:27]
	s_and_b64 s[34:35], s[12:13], s[18:19]
	s_and_saveexec_b64 s[26:27], s[34:35]
	s_cbranch_execnz .LBB24_126
.LBB24_104:
	s_or_b64 exec, exec, s[26:27]
	s_and_b64 s[34:35], s[14:15], s[18:19]
	s_and_saveexec_b64 s[26:27], s[34:35]
	s_cbranch_execnz .LBB24_130
.LBB24_105:
	s_or_b64 exec, exec, s[26:27]
	s_and_b64 s[26:27], s[16:17], s[18:19]
	s_and_saveexec_b64 s[18:19], s[26:27]
	s_cbranch_execnz .LBB24_134
	s_branch .LBB24_138
.LBB24_106:
	s_and_b64 vcc, exec, s[0:1]
	s_cbranch_vccnz .LBB24_108
; %bb.107:
	v_lshl_add_u64 v[80:81], v[64:65], 2, v[62:63]
	flat_load_dword v80, v[80:81]
	s_waitcnt vmcnt(0) lgkmcnt(0)
	v_mul_f32_e32 v80, s30, v80
	s_branch .LBB24_109
.LBB24_108:
	v_mov_b32_e32 v80, 0
.LBB24_109:
	v_pk_add_f32 v[82:83], v[32:33], v[56:57]
	s_nop 0
	v_min3_f32 v81, v82, v83, v140
	v_pk_add_f32 v[82:83], v[34:35], v[58:59]
	s_nop 0
	v_min_f32_e32 v82, v82, v83
	v_min3_f32 v82, v80, v82, v81
	v_lshl_add_u64 v[80:81], v[64:65], 2, v[60:61]
	flat_store_dword v[80:81], v82
	s_or_b64 exec, exec, s[26:27]
	s_and_b64 s[34:35], s[4:5], s[18:19]
	s_and_saveexec_b64 s[26:27], s[34:35]
	s_cbranch_execz .LBB24_100
.LBB24_110:
	s_and_b64 vcc, exec, s[0:1]
	s_cbranch_vccnz .LBB24_112
; %bb.111:
	v_lshl_add_u64 v[80:81], v[66:67], 2, v[62:63]
	flat_load_dword v80, v[80:81]
	s_waitcnt vmcnt(0) lgkmcnt(0)
	v_mul_f32_e32 v80, s30, v80
	s_branch .LBB24_113
.LBB24_112:
	v_mov_b32_e32 v80, 0
.LBB24_113:
	v_pk_add_f32 v[82:83], v[28:29], v[56:57]
	s_nop 0
	v_min3_f32 v81, v82, v83, v139
	v_pk_add_f32 v[82:83], v[30:31], v[58:59]
	s_nop 0
	v_min_f32_e32 v82, v82, v83
	v_min3_f32 v82, v80, v82, v81
	v_lshl_add_u64 v[80:81], v[66:67], 2, v[60:61]
	flat_store_dword v[80:81], v82
	s_or_b64 exec, exec, s[26:27]
	s_and_b64 s[34:35], s[6:7], s[18:19]
	s_and_saveexec_b64 s[26:27], s[34:35]
	s_cbranch_execz .LBB24_101
.LBB24_114:
	s_and_b64 vcc, exec, s[0:1]
	s_cbranch_vccnz .LBB24_116
; %bb.115:
	v_lshl_add_u64 v[80:81], v[68:69], 2, v[62:63]
	flat_load_dword v80, v[80:81]
	s_waitcnt vmcnt(0) lgkmcnt(0)
	v_mul_f32_e32 v80, s30, v80
	s_branch .LBB24_117
.LBB24_116:
	v_mov_b32_e32 v80, 0
.LBB24_117:
	v_pk_add_f32 v[82:83], v[24:25], v[56:57]
	s_nop 0
	v_min3_f32 v81, v82, v83, v138
	v_pk_add_f32 v[82:83], v[26:27], v[58:59]
	s_nop 0
	v_min_f32_e32 v82, v82, v83
	v_min3_f32 v82, v80, v82, v81
	v_lshl_add_u64 v[80:81], v[68:69], 2, v[60:61]
	flat_store_dword v[80:81], v82
	s_or_b64 exec, exec, s[26:27]
	s_and_b64 s[34:35], s[8:9], s[18:19]
	s_and_saveexec_b64 s[26:27], s[34:35]
	s_cbranch_execz .LBB24_102
.LBB24_118:
	s_and_b64 vcc, exec, s[0:1]
	s_cbranch_vccnz .LBB24_120
; %bb.119:
	v_lshl_add_u64 v[80:81], v[70:71], 2, v[62:63]
	flat_load_dword v80, v[80:81]
	s_waitcnt vmcnt(0) lgkmcnt(0)
	v_mul_f32_e32 v80, s30, v80
	s_branch .LBB24_121
.LBB24_120:
	v_mov_b32_e32 v80, 0
.LBB24_121:
	v_pk_add_f32 v[82:83], v[20:21], v[56:57]
	s_nop 0
	v_min3_f32 v81, v82, v83, v137
	v_pk_add_f32 v[82:83], v[22:23], v[58:59]
	s_nop 0
	v_min_f32_e32 v82, v82, v83
	v_min3_f32 v82, v80, v82, v81
	v_lshl_add_u64 v[80:81], v[70:71], 2, v[60:61]
	flat_store_dword v[80:81], v82
	s_or_b64 exec, exec, s[26:27]
	s_and_b64 s[34:35], s[10:11], s[18:19]
	s_and_saveexec_b64 s[26:27], s[34:35]
	s_cbranch_execz .LBB24_103
.LBB24_122:
	s_and_b64 vcc, exec, s[0:1]
	s_cbranch_vccnz .LBB24_124
; %bb.123:
	v_lshl_add_u64 v[80:81], v[72:73], 2, v[62:63]
	flat_load_dword v80, v[80:81]
	s_waitcnt vmcnt(0) lgkmcnt(0)
	v_mul_f32_e32 v80, s30, v80
	s_branch .LBB24_125
.LBB24_124:
	v_mov_b32_e32 v80, 0
.LBB24_125:
	v_pk_add_f32 v[82:83], v[16:17], v[56:57]
	s_nop 0
	v_min3_f32 v81, v82, v83, v135
	v_pk_add_f32 v[82:83], v[18:19], v[58:59]
	s_nop 0
	v_min_f32_e32 v82, v82, v83
	v_min3_f32 v82, v80, v82, v81
	v_lshl_add_u64 v[80:81], v[72:73], 2, v[60:61]
	flat_store_dword v[80:81], v82
	s_or_b64 exec, exec, s[26:27]
	s_and_b64 s[34:35], s[12:13], s[18:19]
	s_and_saveexec_b64 s[26:27], s[34:35]
	s_cbranch_execz .LBB24_104
.LBB24_126:
	s_and_b64 vcc, exec, s[0:1]
	s_cbranch_vccnz .LBB24_128
; %bb.127:
	v_lshl_add_u64 v[80:81], v[74:75], 2, v[62:63]
	flat_load_dword v80, v[80:81]
	s_waitcnt vmcnt(0) lgkmcnt(0)
	v_mul_f32_e32 v80, s30, v80
	s_branch .LBB24_129
.LBB24_128:
	v_mov_b32_e32 v80, 0
.LBB24_129:
	v_pk_add_f32 v[82:83], v[12:13], v[56:57]
	s_nop 0
	v_min3_f32 v81, v82, v83, v133
	v_pk_add_f32 v[82:83], v[14:15], v[58:59]
	s_nop 0
	v_min_f32_e32 v82, v82, v83
	v_min3_f32 v82, v80, v82, v81
	v_lshl_add_u64 v[80:81], v[74:75], 2, v[60:61]
	flat_store_dword v[80:81], v82
	s_or_b64 exec, exec, s[26:27]
	s_and_b64 s[34:35], s[14:15], s[18:19]
	s_and_saveexec_b64 s[26:27], s[34:35]
	s_cbranch_execz .LBB24_105
.LBB24_130:
	s_and_b64 vcc, exec, s[0:1]
	s_cbranch_vccnz .LBB24_132
; %bb.131:
	v_lshl_add_u64 v[80:81], v[76:77], 2, v[62:63]
	flat_load_dword v80, v[80:81]
	s_waitcnt vmcnt(0) lgkmcnt(0)
	v_mul_f32_e32 v80, s30, v80
	s_branch .LBB24_133
.LBB24_132:
	v_mov_b32_e32 v80, 0
.LBB24_133:
	v_pk_add_f32 v[82:83], v[8:9], v[56:57]
	s_nop 0
	v_min3_f32 v81, v82, v83, v131
	v_pk_add_f32 v[82:83], v[10:11], v[58:59]
	s_nop 0
	v_min_f32_e32 v82, v82, v83
	v_min3_f32 v82, v80, v82, v81
	v_lshl_add_u64 v[80:81], v[76:77], 2, v[60:61]
	flat_store_dword v[80:81], v82
	s_or_b64 exec, exec, s[26:27]
	s_and_b64 s[26:27], s[16:17], s[18:19]
	s_and_saveexec_b64 s[18:19], s[26:27]
	s_cbranch_execz .LBB24_138
.LBB24_134:
	s_and_b64 vcc, exec, s[0:1]
	s_cbranch_vccnz .LBB24_136
; %bb.135:
	v_lshl_add_u64 v[62:63], v[78:79], 2, v[62:63]
	flat_load_dword v62, v[62:63]
	s_waitcnt vmcnt(0) lgkmcnt(0)
	v_mul_f32_e32 v62, s30, v62
	s_branch .LBB24_137
.LBB24_136:
	v_mov_b32_e32 v62, 0
.LBB24_137:
	v_pk_add_f32 v[56:57], v[0:1], v[56:57]
	s_nop 0
	v_min3_f32 v63, v56, v57, v136
	v_pk_add_f32 v[56:57], v[2:3], v[58:59]
	s_nop 0
	v_min_f32_e32 v56, v56, v57
	v_min3_f32 v58, v62, v56, v63
	v_lshl_add_u64 v[56:57], v[78:79], 2, v[60:61]
	flat_store_dword v[56:57], v58
.LBB24_138:
	s_or_b64 exec, exec, s[18:19]
	v_add_u32_e32 v60, 64, v124
	v_mad_i64_i32 v[56:57], s[26:27], v60, s29, 0
	v_cmp_gt_i32_e64 s[18:19], s21, v60
	v_lshl_add_u64 v[58:59], v[56:57], 2, s[24:25]
	v_mad_i64_i32 v[56:57], s[26:27], v60, s28, 0
	v_lshl_add_u64 v[56:57], v[56:57], 2, s[22:23]
	s_and_b64 s[34:35], s[2:3], s[18:19]
	s_and_saveexec_b64 s[26:27], s[34:35]
	s_cbranch_execnz .LBB24_146
; %bb.139:
	s_or_b64 exec, exec, s[26:27]
	s_and_b64 s[34:35], s[4:5], s[18:19]
	s_and_saveexec_b64 s[26:27], s[34:35]
	s_cbranch_execnz .LBB24_150
.LBB24_140:
	s_or_b64 exec, exec, s[26:27]
	s_and_b64 s[34:35], s[6:7], s[18:19]
	s_and_saveexec_b64 s[26:27], s[34:35]
	s_cbranch_execnz .LBB24_154
.LBB24_141:
	s_or_b64 exec, exec, s[26:27]
	s_and_b64 s[34:35], s[8:9], s[18:19]
	s_and_saveexec_b64 s[26:27], s[34:35]
	s_cbranch_execnz .LBB24_158
.LBB24_142:
	s_or_b64 exec, exec, s[26:27]
	s_and_b64 s[34:35], s[10:11], s[18:19]
	s_and_saveexec_b64 s[26:27], s[34:35]
	s_cbranch_execnz .LBB24_162
.LBB24_143:
	s_or_b64 exec, exec, s[26:27]
	s_and_b64 s[34:35], s[12:13], s[18:19]
	s_and_saveexec_b64 s[26:27], s[34:35]
	s_cbranch_execnz .LBB24_166
.LBB24_144:
	s_or_b64 exec, exec, s[26:27]
	s_and_b64 s[34:35], s[14:15], s[18:19]
	s_and_saveexec_b64 s[26:27], s[34:35]
	s_cbranch_execnz .LBB24_170
.LBB24_145:
	s_or_b64 exec, exec, s[26:27]
	s_and_b64 s[26:27], s[16:17], s[18:19]
	s_and_saveexec_b64 s[18:19], s[26:27]
	s_cbranch_execnz .LBB24_174
	s_branch .LBB24_178
.LBB24_146:
	s_and_b64 vcc, exec, s[0:1]
	s_cbranch_vccnz .LBB24_148
; %bb.147:
	v_lshl_add_u64 v[60:61], v[64:65], 2, v[58:59]
	flat_load_dword v60, v[60:61]
	s_waitcnt vmcnt(0) lgkmcnt(0)
	v_mul_f32_e32 v60, s30, v60
	s_branch .LBB24_149
.LBB24_148:
	v_mov_b32_e32 v60, 0
.LBB24_149:
	v_pk_add_f32 v[62:63], v[32:33], v[52:53]
	s_nop 0
	v_min3_f32 v61, v62, v63, v134
	v_pk_add_f32 v[62:63], v[34:35], v[54:55]
	s_nop 0
	v_min_f32_e32 v62, v62, v63
	v_min3_f32 v62, v60, v62, v61
	v_lshl_add_u64 v[60:61], v[64:65], 2, v[56:57]
	flat_store_dword v[60:61], v62
	s_or_b64 exec, exec, s[26:27]
	s_and_b64 s[34:35], s[4:5], s[18:19]
	s_and_saveexec_b64 s[26:27], s[34:35]
	s_cbranch_execz .LBB24_140
.LBB24_150:
	s_and_b64 vcc, exec, s[0:1]
	s_cbranch_vccnz .LBB24_152
; %bb.151:
	v_lshl_add_u64 v[60:61], v[66:67], 2, v[58:59]
	flat_load_dword v60, v[60:61]
	s_waitcnt vmcnt(0) lgkmcnt(0)
	v_mul_f32_e32 v60, s30, v60
	s_branch .LBB24_153
.LBB24_152:
	v_mov_b32_e32 v60, 0
.LBB24_153:
	v_pk_add_f32 v[62:63], v[28:29], v[52:53]
	s_nop 0
	v_min3_f32 v61, v62, v63, v132
	v_pk_add_f32 v[62:63], v[30:31], v[54:55]
	s_nop 0
	v_min_f32_e32 v62, v62, v63
	v_min3_f32 v62, v60, v62, v61
	v_lshl_add_u64 v[60:61], v[66:67], 2, v[56:57]
	flat_store_dword v[60:61], v62
	s_or_b64 exec, exec, s[26:27]
	s_and_b64 s[34:35], s[6:7], s[18:19]
	s_and_saveexec_b64 s[26:27], s[34:35]
	s_cbranch_execz .LBB24_141
.LBB24_154:
	s_and_b64 vcc, exec, s[0:1]
	s_cbranch_vccnz .LBB24_156
; %bb.155:
	v_lshl_add_u64 v[60:61], v[68:69], 2, v[58:59]
	flat_load_dword v60, v[60:61]
	s_waitcnt vmcnt(0) lgkmcnt(0)
	v_mul_f32_e32 v60, s30, v60
	s_branch .LBB24_157
.LBB24_156:
	v_mov_b32_e32 v60, 0
.LBB24_157:
	v_pk_add_f32 v[62:63], v[24:25], v[52:53]
	s_nop 0
	v_min3_f32 v61, v62, v63, v130
	v_pk_add_f32 v[62:63], v[26:27], v[54:55]
	s_nop 0
	v_min_f32_e32 v62, v62, v63
	v_min3_f32 v62, v60, v62, v61
	v_lshl_add_u64 v[60:61], v[68:69], 2, v[56:57]
	flat_store_dword v[60:61], v62
	s_or_b64 exec, exec, s[26:27]
	s_and_b64 s[34:35], s[8:9], s[18:19]
	s_and_saveexec_b64 s[26:27], s[34:35]
	s_cbranch_execz .LBB24_142
.LBB24_158:
	s_and_b64 vcc, exec, s[0:1]
	s_cbranch_vccnz .LBB24_160
; %bb.159:
	v_lshl_add_u64 v[60:61], v[70:71], 2, v[58:59]
	flat_load_dword v60, v[60:61]
	s_waitcnt vmcnt(0) lgkmcnt(0)
	v_mul_f32_e32 v60, s30, v60
	s_branch .LBB24_161
.LBB24_160:
	v_mov_b32_e32 v60, 0
.LBB24_161:
	v_pk_add_f32 v[62:63], v[20:21], v[52:53]
	s_nop 0
	v_min3_f32 v61, v62, v63, v129
	v_pk_add_f32 v[62:63], v[22:23], v[54:55]
	s_nop 0
	v_min_f32_e32 v62, v62, v63
	v_min3_f32 v62, v60, v62, v61
	v_lshl_add_u64 v[60:61], v[70:71], 2, v[56:57]
	flat_store_dword v[60:61], v62
	s_or_b64 exec, exec, s[26:27]
	s_and_b64 s[34:35], s[10:11], s[18:19]
	s_and_saveexec_b64 s[26:27], s[34:35]
	s_cbranch_execz .LBB24_143
.LBB24_162:
	s_and_b64 vcc, exec, s[0:1]
	s_cbranch_vccnz .LBB24_164
; %bb.163:
	v_lshl_add_u64 v[60:61], v[72:73], 2, v[58:59]
	flat_load_dword v60, v[60:61]
	s_waitcnt vmcnt(0) lgkmcnt(0)
	v_mul_f32_e32 v60, s30, v60
	s_branch .LBB24_165
.LBB24_164:
	v_mov_b32_e32 v60, 0
.LBB24_165:
	v_pk_add_f32 v[62:63], v[16:17], v[52:53]
	s_nop 0
	v_min3_f32 v61, v62, v63, v128
	v_pk_add_f32 v[62:63], v[18:19], v[54:55]
	s_nop 0
	v_min_f32_e32 v62, v62, v63
	v_min3_f32 v62, v60, v62, v61
	v_lshl_add_u64 v[60:61], v[72:73], 2, v[56:57]
	flat_store_dword v[60:61], v62
	s_or_b64 exec, exec, s[26:27]
	s_and_b64 s[34:35], s[12:13], s[18:19]
	s_and_saveexec_b64 s[26:27], s[34:35]
	s_cbranch_execz .LBB24_144
.LBB24_166:
	s_and_b64 vcc, exec, s[0:1]
	s_cbranch_vccnz .LBB24_168
; %bb.167:
	v_lshl_add_u64 v[60:61], v[74:75], 2, v[58:59]
	flat_load_dword v60, v[60:61]
	s_waitcnt vmcnt(0) lgkmcnt(0)
	v_mul_f32_e32 v60, s30, v60
	s_branch .LBB24_169
.LBB24_168:
	v_mov_b32_e32 v60, 0
.LBB24_169:
	v_pk_add_f32 v[62:63], v[12:13], v[52:53]
	s_nop 0
	v_min3_f32 v61, v62, v63, v127
	v_pk_add_f32 v[62:63], v[14:15], v[54:55]
	s_nop 0
	v_min_f32_e32 v62, v62, v63
	v_min3_f32 v62, v60, v62, v61
	v_lshl_add_u64 v[60:61], v[74:75], 2, v[56:57]
	flat_store_dword v[60:61], v62
	s_or_b64 exec, exec, s[26:27]
	s_and_b64 s[34:35], s[14:15], s[18:19]
	s_and_saveexec_b64 s[26:27], s[34:35]
	s_cbranch_execz .LBB24_145
.LBB24_170:
	s_and_b64 vcc, exec, s[0:1]
	s_cbranch_vccnz .LBB24_172
; %bb.171:
	v_lshl_add_u64 v[60:61], v[76:77], 2, v[58:59]
	flat_load_dword v60, v[60:61]
	s_waitcnt vmcnt(0) lgkmcnt(0)
	v_mul_f32_e32 v60, s30, v60
	s_branch .LBB24_173
.LBB24_172:
	v_mov_b32_e32 v60, 0
.LBB24_173:
	v_pk_add_f32 v[62:63], v[8:9], v[52:53]
	s_nop 0
	v_min3_f32 v61, v62, v63, v126
	v_pk_add_f32 v[62:63], v[10:11], v[54:55]
	s_nop 0
	v_min_f32_e32 v62, v62, v63
	v_min3_f32 v62, v60, v62, v61
	v_lshl_add_u64 v[60:61], v[76:77], 2, v[56:57]
	flat_store_dword v[60:61], v62
	s_or_b64 exec, exec, s[26:27]
	s_and_b64 s[26:27], s[16:17], s[18:19]
	s_and_saveexec_b64 s[18:19], s[26:27]
	s_cbranch_execz .LBB24_178
.LBB24_174:
	s_and_b64 vcc, exec, s[0:1]
	s_cbranch_vccnz .LBB24_176
; %bb.175:
	v_lshl_add_u64 v[58:59], v[78:79], 2, v[58:59]
	flat_load_dword v58, v[58:59]
	s_waitcnt vmcnt(0) lgkmcnt(0)
	v_mul_f32_e32 v58, s30, v58
	s_branch .LBB24_177
.LBB24_176:
	v_mov_b32_e32 v58, 0
.LBB24_177:
	v_pk_add_f32 v[52:53], v[0:1], v[52:53]
	s_nop 0
	v_min3_f32 v59, v52, v53, v125
	v_pk_add_f32 v[52:53], v[2:3], v[54:55]
	s_nop 0
	v_min_f32_e32 v52, v52, v53
	v_min3_f32 v54, v58, v52, v59
	v_lshl_add_u64 v[52:53], v[78:79], 2, v[56:57]
	flat_store_dword v[52:53], v54
.LBB24_178:
	s_or_b64 exec, exec, s[18:19]
	v_add_u32_e32 v56, 0x60, v124
	v_mad_i64_i32 v[52:53], s[26:27], v56, s29, 0
	v_cmp_gt_i32_e64 s[18:19], s21, v56
	v_lshl_add_u64 v[54:55], v[52:53], 2, s[24:25]
	v_mad_i64_i32 v[52:53], s[26:27], v56, s28, 0
	v_lshl_add_u64 v[52:53], v[52:53], 2, s[22:23]
	s_and_b64 s[34:35], s[2:3], s[18:19]
	s_and_saveexec_b64 s[26:27], s[34:35]
	s_cbranch_execnz .LBB24_186
; %bb.179:
	s_or_b64 exec, exec, s[26:27]
	s_and_b64 s[34:35], s[4:5], s[18:19]
	s_and_saveexec_b64 s[26:27], s[34:35]
	s_cbranch_execnz .LBB24_190
.LBB24_180:
	s_or_b64 exec, exec, s[26:27]
	s_and_b64 s[34:35], s[6:7], s[18:19]
	s_and_saveexec_b64 s[26:27], s[34:35]
	s_cbranch_execnz .LBB24_194
.LBB24_181:
	s_or_b64 exec, exec, s[26:27]
	s_and_b64 s[34:35], s[8:9], s[18:19]
	s_and_saveexec_b64 s[26:27], s[34:35]
	s_cbranch_execnz .LBB24_198
.LBB24_182:
	s_or_b64 exec, exec, s[26:27]
	s_and_b64 s[34:35], s[10:11], s[18:19]
	s_and_saveexec_b64 s[26:27], s[34:35]
	s_cbranch_execnz .LBB24_202
.LBB24_183:
	s_or_b64 exec, exec, s[26:27]
	s_and_b64 s[34:35], s[12:13], s[18:19]
	s_and_saveexec_b64 s[26:27], s[34:35]
	s_cbranch_execnz .LBB24_206
.LBB24_184:
	s_or_b64 exec, exec, s[26:27]
	s_and_b64 s[34:35], s[14:15], s[18:19]
	s_and_saveexec_b64 s[26:27], s[34:35]
	s_cbranch_execnz .LBB24_210
.LBB24_185:
	s_or_b64 exec, exec, s[26:27]
	s_and_b64 s[26:27], s[16:17], s[18:19]
	s_and_saveexec_b64 s[18:19], s[26:27]
	s_cbranch_execnz .LBB24_214
	s_branch .LBB24_218
.LBB24_186:
	s_and_b64 vcc, exec, s[0:1]
	s_cbranch_vccnz .LBB24_188
; %bb.187:
	v_lshl_add_u64 v[56:57], v[64:65], 2, v[54:55]
	flat_load_dword v56, v[56:57]
	s_waitcnt vmcnt(0) lgkmcnt(0)
	v_mul_f32_e32 v56, s30, v56
	s_branch .LBB24_189
.LBB24_188:
	v_mov_b32_e32 v56, 0
.LBB24_189:
	v_pk_add_f32 v[58:59], v[32:33], v[48:49]
	s_nop 0
	v_min3_f32 v57, v58, v59, v123
	v_pk_add_f32 v[58:59], v[34:35], v[50:51]
	s_nop 0
	v_min_f32_e32 v58, v58, v59
	v_min3_f32 v58, v56, v58, v57
	v_lshl_add_u64 v[56:57], v[64:65], 2, v[52:53]
	flat_store_dword v[56:57], v58
	s_or_b64 exec, exec, s[26:27]
	s_and_b64 s[34:35], s[4:5], s[18:19]
	s_and_saveexec_b64 s[26:27], s[34:35]
	s_cbranch_execz .LBB24_180
.LBB24_190:
	s_and_b64 vcc, exec, s[0:1]
	s_cbranch_vccnz .LBB24_192
; %bb.191:
	v_lshl_add_u64 v[56:57], v[66:67], 2, v[54:55]
	flat_load_dword v56, v[56:57]
	s_waitcnt vmcnt(0) lgkmcnt(0)
	v_mul_f32_e32 v56, s30, v56
	s_branch .LBB24_193
.LBB24_192:
	v_mov_b32_e32 v56, 0
.LBB24_193:
	v_pk_add_f32 v[58:59], v[28:29], v[48:49]
	s_nop 0
	v_min3_f32 v57, v58, v59, v122
	v_pk_add_f32 v[58:59], v[30:31], v[50:51]
	s_nop 0
	v_min_f32_e32 v58, v58, v59
	v_min3_f32 v58, v56, v58, v57
	v_lshl_add_u64 v[56:57], v[66:67], 2, v[52:53]
	flat_store_dword v[56:57], v58
	s_or_b64 exec, exec, s[26:27]
	s_and_b64 s[34:35], s[6:7], s[18:19]
	s_and_saveexec_b64 s[26:27], s[34:35]
	s_cbranch_execz .LBB24_181
.LBB24_194:
	s_and_b64 vcc, exec, s[0:1]
	s_cbranch_vccnz .LBB24_196
; %bb.195:
	v_lshl_add_u64 v[56:57], v[68:69], 2, v[54:55]
	flat_load_dword v56, v[56:57]
	s_waitcnt vmcnt(0) lgkmcnt(0)
	v_mul_f32_e32 v56, s30, v56
	s_branch .LBB24_197
.LBB24_196:
	v_mov_b32_e32 v56, 0
.LBB24_197:
	v_pk_add_f32 v[58:59], v[24:25], v[48:49]
	s_nop 0
	v_min3_f32 v57, v58, v59, v121
	v_pk_add_f32 v[58:59], v[26:27], v[50:51]
	s_nop 0
	v_min_f32_e32 v58, v58, v59
	v_min3_f32 v58, v56, v58, v57
	v_lshl_add_u64 v[56:57], v[68:69], 2, v[52:53]
	flat_store_dword v[56:57], v58
	s_or_b64 exec, exec, s[26:27]
	s_and_b64 s[34:35], s[8:9], s[18:19]
	s_and_saveexec_b64 s[26:27], s[34:35]
	s_cbranch_execz .LBB24_182
.LBB24_198:
	s_and_b64 vcc, exec, s[0:1]
	s_cbranch_vccnz .LBB24_200
; %bb.199:
	v_lshl_add_u64 v[56:57], v[70:71], 2, v[54:55]
	flat_load_dword v56, v[56:57]
	s_waitcnt vmcnt(0) lgkmcnt(0)
	v_mul_f32_e32 v56, s30, v56
	s_branch .LBB24_201
.LBB24_200:
	v_mov_b32_e32 v56, 0
.LBB24_201:
	v_pk_add_f32 v[58:59], v[20:21], v[48:49]
	s_nop 0
	v_min3_f32 v57, v58, v59, v120
	v_pk_add_f32 v[58:59], v[22:23], v[50:51]
	s_nop 0
	v_min_f32_e32 v58, v58, v59
	v_min3_f32 v58, v56, v58, v57
	v_lshl_add_u64 v[56:57], v[70:71], 2, v[52:53]
	flat_store_dword v[56:57], v58
	s_or_b64 exec, exec, s[26:27]
	s_and_b64 s[34:35], s[10:11], s[18:19]
	s_and_saveexec_b64 s[26:27], s[34:35]
	s_cbranch_execz .LBB24_183
.LBB24_202:
	s_and_b64 vcc, exec, s[0:1]
	s_cbranch_vccnz .LBB24_204
; %bb.203:
	v_lshl_add_u64 v[56:57], v[72:73], 2, v[54:55]
	flat_load_dword v56, v[56:57]
	s_waitcnt vmcnt(0) lgkmcnt(0)
	v_mul_f32_e32 v56, s30, v56
	s_branch .LBB24_205
.LBB24_204:
	v_mov_b32_e32 v56, 0
.LBB24_205:
	v_pk_add_f32 v[58:59], v[16:17], v[48:49]
	s_nop 0
	v_min3_f32 v57, v58, v59, v119
	v_pk_add_f32 v[58:59], v[18:19], v[50:51]
	s_nop 0
	v_min_f32_e32 v58, v58, v59
	v_min3_f32 v58, v56, v58, v57
	v_lshl_add_u64 v[56:57], v[72:73], 2, v[52:53]
	flat_store_dword v[56:57], v58
	s_or_b64 exec, exec, s[26:27]
	s_and_b64 s[34:35], s[12:13], s[18:19]
	s_and_saveexec_b64 s[26:27], s[34:35]
	s_cbranch_execz .LBB24_184
.LBB24_206:
	s_and_b64 vcc, exec, s[0:1]
	s_cbranch_vccnz .LBB24_208
; %bb.207:
	v_lshl_add_u64 v[56:57], v[74:75], 2, v[54:55]
	flat_load_dword v56, v[56:57]
	s_waitcnt vmcnt(0) lgkmcnt(0)
	v_mul_f32_e32 v56, s30, v56
	s_branch .LBB24_209
.LBB24_208:
	v_mov_b32_e32 v56, 0
.LBB24_209:
	v_pk_add_f32 v[58:59], v[12:13], v[48:49]
	s_nop 0
	v_min3_f32 v57, v58, v59, v118
	v_pk_add_f32 v[58:59], v[14:15], v[50:51]
	s_nop 0
	v_min_f32_e32 v58, v58, v59
	v_min3_f32 v58, v56, v58, v57
	v_lshl_add_u64 v[56:57], v[74:75], 2, v[52:53]
	flat_store_dword v[56:57], v58
	s_or_b64 exec, exec, s[26:27]
	s_and_b64 s[34:35], s[14:15], s[18:19]
	s_and_saveexec_b64 s[26:27], s[34:35]
	s_cbranch_execz .LBB24_185
.LBB24_210:
	s_and_b64 vcc, exec, s[0:1]
	s_cbranch_vccnz .LBB24_212
; %bb.211:
	v_lshl_add_u64 v[56:57], v[76:77], 2, v[54:55]
	flat_load_dword v56, v[56:57]
	s_waitcnt vmcnt(0) lgkmcnt(0)
	v_mul_f32_e32 v56, s30, v56
	s_branch .LBB24_213
.LBB24_212:
	v_mov_b32_e32 v56, 0
.LBB24_213:
	v_pk_add_f32 v[58:59], v[8:9], v[48:49]
	s_nop 0
	v_min3_f32 v57, v58, v59, v117
	v_pk_add_f32 v[58:59], v[10:11], v[50:51]
	s_nop 0
	v_min_f32_e32 v58, v58, v59
	v_min3_f32 v58, v56, v58, v57
	v_lshl_add_u64 v[56:57], v[76:77], 2, v[52:53]
	flat_store_dword v[56:57], v58
	s_or_b64 exec, exec, s[26:27]
	s_and_b64 s[26:27], s[16:17], s[18:19]
	s_and_saveexec_b64 s[18:19], s[26:27]
	s_cbranch_execz .LBB24_218
.LBB24_214:
	s_and_b64 vcc, exec, s[0:1]
	s_cbranch_vccnz .LBB24_216
; %bb.215:
	v_lshl_add_u64 v[54:55], v[78:79], 2, v[54:55]
	flat_load_dword v54, v[54:55]
	s_waitcnt vmcnt(0) lgkmcnt(0)
	v_mul_f32_e32 v54, s30, v54
	s_branch .LBB24_217
.LBB24_216:
	v_mov_b32_e32 v54, 0
.LBB24_217:
	v_pk_add_f32 v[48:49], v[0:1], v[48:49]
	s_nop 0
	v_min3_f32 v55, v48, v49, v116
	v_pk_add_f32 v[48:49], v[2:3], v[50:51]
	s_nop 0
	v_min_f32_e32 v48, v48, v49
	v_min3_f32 v50, v54, v48, v55
	v_lshl_add_u64 v[48:49], v[78:79], 2, v[52:53]
	flat_store_dword v[48:49], v50
.LBB24_218:
	s_or_b64 exec, exec, s[18:19]
	v_add_u32_e32 v52, 0x80, v124
	v_mad_i64_i32 v[48:49], s[26:27], v52, s29, 0
	v_cmp_gt_i32_e64 s[18:19], s21, v52
	v_lshl_add_u64 v[50:51], v[48:49], 2, s[24:25]
	v_mad_i64_i32 v[48:49], s[26:27], v52, s28, 0
	v_lshl_add_u64 v[48:49], v[48:49], 2, s[22:23]
	s_and_b64 s[34:35], s[2:3], s[18:19]
	s_and_saveexec_b64 s[26:27], s[34:35]
	s_cbranch_execnz .LBB24_226
; %bb.219:
	s_or_b64 exec, exec, s[26:27]
	s_and_b64 s[34:35], s[4:5], s[18:19]
	s_and_saveexec_b64 s[26:27], s[34:35]
	s_cbranch_execnz .LBB24_230
.LBB24_220:
	s_or_b64 exec, exec, s[26:27]
	s_and_b64 s[34:35], s[6:7], s[18:19]
	s_and_saveexec_b64 s[26:27], s[34:35]
	s_cbranch_execnz .LBB24_234
.LBB24_221:
	s_or_b64 exec, exec, s[26:27]
	s_and_b64 s[34:35], s[8:9], s[18:19]
	s_and_saveexec_b64 s[26:27], s[34:35]
	s_cbranch_execnz .LBB24_238
.LBB24_222:
	s_or_b64 exec, exec, s[26:27]
	s_and_b64 s[34:35], s[10:11], s[18:19]
	s_and_saveexec_b64 s[26:27], s[34:35]
	s_cbranch_execnz .LBB24_242
.LBB24_223:
	s_or_b64 exec, exec, s[26:27]
	s_and_b64 s[34:35], s[12:13], s[18:19]
	s_and_saveexec_b64 s[26:27], s[34:35]
	s_cbranch_execnz .LBB24_246
.LBB24_224:
	s_or_b64 exec, exec, s[26:27]
	s_and_b64 s[34:35], s[14:15], s[18:19]
	s_and_saveexec_b64 s[26:27], s[34:35]
	s_cbranch_execnz .LBB24_250
.LBB24_225:
	s_or_b64 exec, exec, s[26:27]
	s_and_b64 s[26:27], s[16:17], s[18:19]
	s_and_saveexec_b64 s[18:19], s[26:27]
	s_cbranch_execnz .LBB24_254
	s_branch .LBB24_258
.LBB24_226:
	s_and_b64 vcc, exec, s[0:1]
	s_cbranch_vccnz .LBB24_228
; %bb.227:
	v_lshl_add_u64 v[52:53], v[64:65], 2, v[50:51]
	flat_load_dword v52, v[52:53]
	s_waitcnt vmcnt(0) lgkmcnt(0)
	v_mul_f32_e32 v52, s30, v52
	s_branch .LBB24_229
.LBB24_228:
	v_mov_b32_e32 v52, 0
.LBB24_229:
	v_pk_add_f32 v[54:55], v[32:33], v[44:45]
	s_nop 0
	v_min3_f32 v53, v54, v55, v115
	v_pk_add_f32 v[54:55], v[34:35], v[46:47]
	s_nop 0
	v_min_f32_e32 v54, v54, v55
	v_min3_f32 v54, v52, v54, v53
	v_lshl_add_u64 v[52:53], v[64:65], 2, v[48:49]
	flat_store_dword v[52:53], v54
	s_or_b64 exec, exec, s[26:27]
	s_and_b64 s[34:35], s[4:5], s[18:19]
	s_and_saveexec_b64 s[26:27], s[34:35]
	s_cbranch_execz .LBB24_220
.LBB24_230:
	s_and_b64 vcc, exec, s[0:1]
	s_cbranch_vccnz .LBB24_232
; %bb.231:
	v_lshl_add_u64 v[52:53], v[66:67], 2, v[50:51]
	flat_load_dword v52, v[52:53]
	s_waitcnt vmcnt(0) lgkmcnt(0)
	v_mul_f32_e32 v52, s30, v52
	s_branch .LBB24_233
.LBB24_232:
	v_mov_b32_e32 v52, 0
.LBB24_233:
	v_pk_add_f32 v[54:55], v[28:29], v[44:45]
	s_nop 0
	v_min3_f32 v53, v54, v55, v114
	v_pk_add_f32 v[54:55], v[30:31], v[46:47]
	s_nop 0
	v_min_f32_e32 v54, v54, v55
	v_min3_f32 v54, v52, v54, v53
	v_lshl_add_u64 v[52:53], v[66:67], 2, v[48:49]
	flat_store_dword v[52:53], v54
	s_or_b64 exec, exec, s[26:27]
	s_and_b64 s[34:35], s[6:7], s[18:19]
	s_and_saveexec_b64 s[26:27], s[34:35]
	s_cbranch_execz .LBB24_221
.LBB24_234:
	s_and_b64 vcc, exec, s[0:1]
	s_cbranch_vccnz .LBB24_236
; %bb.235:
	v_lshl_add_u64 v[52:53], v[68:69], 2, v[50:51]
	flat_load_dword v52, v[52:53]
	s_waitcnt vmcnt(0) lgkmcnt(0)
	v_mul_f32_e32 v52, s30, v52
	s_branch .LBB24_237
.LBB24_236:
	v_mov_b32_e32 v52, 0
.LBB24_237:
	v_pk_add_f32 v[54:55], v[24:25], v[44:45]
	s_nop 0
	v_min3_f32 v53, v54, v55, v113
	v_pk_add_f32 v[54:55], v[26:27], v[46:47]
	s_nop 0
	v_min_f32_e32 v54, v54, v55
	v_min3_f32 v54, v52, v54, v53
	v_lshl_add_u64 v[52:53], v[68:69], 2, v[48:49]
	flat_store_dword v[52:53], v54
	s_or_b64 exec, exec, s[26:27]
	s_and_b64 s[34:35], s[8:9], s[18:19]
	s_and_saveexec_b64 s[26:27], s[34:35]
	s_cbranch_execz .LBB24_222
.LBB24_238:
	s_and_b64 vcc, exec, s[0:1]
	s_cbranch_vccnz .LBB24_240
; %bb.239:
	v_lshl_add_u64 v[52:53], v[70:71], 2, v[50:51]
	flat_load_dword v52, v[52:53]
	s_waitcnt vmcnt(0) lgkmcnt(0)
	v_mul_f32_e32 v52, s30, v52
	s_branch .LBB24_241
.LBB24_240:
	v_mov_b32_e32 v52, 0
.LBB24_241:
	v_pk_add_f32 v[54:55], v[20:21], v[44:45]
	s_nop 0
	v_min3_f32 v53, v54, v55, v112
	v_pk_add_f32 v[54:55], v[22:23], v[46:47]
	s_nop 0
	v_min_f32_e32 v54, v54, v55
	v_min3_f32 v54, v52, v54, v53
	v_lshl_add_u64 v[52:53], v[70:71], 2, v[48:49]
	flat_store_dword v[52:53], v54
	s_or_b64 exec, exec, s[26:27]
	s_and_b64 s[34:35], s[10:11], s[18:19]
	s_and_saveexec_b64 s[26:27], s[34:35]
	s_cbranch_execz .LBB24_223
.LBB24_242:
	s_and_b64 vcc, exec, s[0:1]
	s_cbranch_vccnz .LBB24_244
; %bb.243:
	v_lshl_add_u64 v[52:53], v[72:73], 2, v[50:51]
	flat_load_dword v52, v[52:53]
	s_waitcnt vmcnt(0) lgkmcnt(0)
	v_mul_f32_e32 v52, s30, v52
	s_branch .LBB24_245
.LBB24_244:
	v_mov_b32_e32 v52, 0
.LBB24_245:
	v_pk_add_f32 v[54:55], v[16:17], v[44:45]
	s_nop 0
	v_min3_f32 v53, v54, v55, v111
	v_pk_add_f32 v[54:55], v[18:19], v[46:47]
	s_nop 0
	v_min_f32_e32 v54, v54, v55
	v_min3_f32 v54, v52, v54, v53
	v_lshl_add_u64 v[52:53], v[72:73], 2, v[48:49]
	flat_store_dword v[52:53], v54
	s_or_b64 exec, exec, s[26:27]
	s_and_b64 s[34:35], s[12:13], s[18:19]
	s_and_saveexec_b64 s[26:27], s[34:35]
	s_cbranch_execz .LBB24_224
.LBB24_246:
	s_and_b64 vcc, exec, s[0:1]
	s_cbranch_vccnz .LBB24_248
; %bb.247:
	v_lshl_add_u64 v[52:53], v[74:75], 2, v[50:51]
	flat_load_dword v52, v[52:53]
	s_waitcnt vmcnt(0) lgkmcnt(0)
	v_mul_f32_e32 v52, s30, v52
	s_branch .LBB24_249
.LBB24_248:
	v_mov_b32_e32 v52, 0
.LBB24_249:
	v_pk_add_f32 v[54:55], v[12:13], v[44:45]
	s_nop 0
	v_min3_f32 v53, v54, v55, v110
	v_pk_add_f32 v[54:55], v[14:15], v[46:47]
	s_nop 0
	v_min_f32_e32 v54, v54, v55
	v_min3_f32 v54, v52, v54, v53
	v_lshl_add_u64 v[52:53], v[74:75], 2, v[48:49]
	flat_store_dword v[52:53], v54
	s_or_b64 exec, exec, s[26:27]
	s_and_b64 s[34:35], s[14:15], s[18:19]
	s_and_saveexec_b64 s[26:27], s[34:35]
	s_cbranch_execz .LBB24_225
.LBB24_250:
	s_and_b64 vcc, exec, s[0:1]
	s_cbranch_vccnz .LBB24_252
; %bb.251:
	v_lshl_add_u64 v[52:53], v[76:77], 2, v[50:51]
	flat_load_dword v52, v[52:53]
	s_waitcnt vmcnt(0) lgkmcnt(0)
	v_mul_f32_e32 v52, s30, v52
	s_branch .LBB24_253
.LBB24_252:
	v_mov_b32_e32 v52, 0
.LBB24_253:
	v_pk_add_f32 v[54:55], v[8:9], v[44:45]
	s_nop 0
	v_min3_f32 v53, v54, v55, v109
	v_pk_add_f32 v[54:55], v[10:11], v[46:47]
	s_nop 0
	v_min_f32_e32 v54, v54, v55
	v_min3_f32 v54, v52, v54, v53
	v_lshl_add_u64 v[52:53], v[76:77], 2, v[48:49]
	flat_store_dword v[52:53], v54
	s_or_b64 exec, exec, s[26:27]
	s_and_b64 s[26:27], s[16:17], s[18:19]
	s_and_saveexec_b64 s[18:19], s[26:27]
	s_cbranch_execz .LBB24_258
.LBB24_254:
	s_and_b64 vcc, exec, s[0:1]
	s_cbranch_vccnz .LBB24_256
; %bb.255:
	v_lshl_add_u64 v[50:51], v[78:79], 2, v[50:51]
	flat_load_dword v50, v[50:51]
	s_waitcnt vmcnt(0) lgkmcnt(0)
	v_mul_f32_e32 v50, s30, v50
	s_branch .LBB24_257
.LBB24_256:
	v_mov_b32_e32 v50, 0
.LBB24_257:
	v_pk_add_f32 v[44:45], v[0:1], v[44:45]
	s_nop 0
	v_min3_f32 v51, v44, v45, v108
	v_pk_add_f32 v[44:45], v[2:3], v[46:47]
	s_nop 0
	v_min_f32_e32 v44, v44, v45
	v_min3_f32 v46, v50, v44, v51
	v_lshl_add_u64 v[44:45], v[78:79], 2, v[48:49]
	flat_store_dword v[44:45], v46
.LBB24_258:
	s_or_b64 exec, exec, s[18:19]
	v_add_u32_e32 v48, 0xa0, v124
	v_mad_i64_i32 v[44:45], s[26:27], v48, s29, 0
	v_cmp_gt_i32_e64 s[18:19], s21, v48
	v_lshl_add_u64 v[46:47], v[44:45], 2, s[24:25]
	v_mad_i64_i32 v[44:45], s[26:27], v48, s28, 0
	v_lshl_add_u64 v[44:45], v[44:45], 2, s[22:23]
	s_and_b64 s[34:35], s[2:3], s[18:19]
	s_and_saveexec_b64 s[26:27], s[34:35]
	s_cbranch_execnz .LBB24_266
; %bb.259:
	s_or_b64 exec, exec, s[26:27]
	s_and_b64 s[34:35], s[4:5], s[18:19]
	s_and_saveexec_b64 s[26:27], s[34:35]
	s_cbranch_execnz .LBB24_270
.LBB24_260:
	s_or_b64 exec, exec, s[26:27]
	s_and_b64 s[34:35], s[6:7], s[18:19]
	s_and_saveexec_b64 s[26:27], s[34:35]
	s_cbranch_execnz .LBB24_274
.LBB24_261:
	s_or_b64 exec, exec, s[26:27]
	s_and_b64 s[34:35], s[8:9], s[18:19]
	s_and_saveexec_b64 s[26:27], s[34:35]
	s_cbranch_execnz .LBB24_278
.LBB24_262:
	s_or_b64 exec, exec, s[26:27]
	s_and_b64 s[34:35], s[10:11], s[18:19]
	s_and_saveexec_b64 s[26:27], s[34:35]
	s_cbranch_execnz .LBB24_282
.LBB24_263:
	s_or_b64 exec, exec, s[26:27]
	s_and_b64 s[34:35], s[12:13], s[18:19]
	s_and_saveexec_b64 s[26:27], s[34:35]
	s_cbranch_execnz .LBB24_286
.LBB24_264:
	s_or_b64 exec, exec, s[26:27]
	s_and_b64 s[34:35], s[14:15], s[18:19]
	s_and_saveexec_b64 s[26:27], s[34:35]
	s_cbranch_execnz .LBB24_290
.LBB24_265:
	s_or_b64 exec, exec, s[26:27]
	s_and_b64 s[26:27], s[16:17], s[18:19]
	s_and_saveexec_b64 s[18:19], s[26:27]
	s_cbranch_execnz .LBB24_294
	s_branch .LBB24_298
.LBB24_266:
	s_and_b64 vcc, exec, s[0:1]
	s_cbranch_vccnz .LBB24_268
; %bb.267:
	v_lshl_add_u64 v[48:49], v[64:65], 2, v[46:47]
	flat_load_dword v48, v[48:49]
	s_waitcnt vmcnt(0) lgkmcnt(0)
	v_mul_f32_e32 v48, s30, v48
	s_branch .LBB24_269
.LBB24_268:
	v_mov_b32_e32 v48, 0
.LBB24_269:
	v_pk_add_f32 v[50:51], v[32:33], v[40:41]
	s_nop 0
	v_min3_f32 v49, v50, v51, v107
	v_pk_add_f32 v[50:51], v[34:35], v[42:43]
	s_nop 0
	v_min_f32_e32 v50, v50, v51
	v_min3_f32 v50, v48, v50, v49
	v_lshl_add_u64 v[48:49], v[64:65], 2, v[44:45]
	flat_store_dword v[48:49], v50
	s_or_b64 exec, exec, s[26:27]
	s_and_b64 s[34:35], s[4:5], s[18:19]
	s_and_saveexec_b64 s[26:27], s[34:35]
	s_cbranch_execz .LBB24_260
.LBB24_270:
	s_and_b64 vcc, exec, s[0:1]
	s_cbranch_vccnz .LBB24_272
; %bb.271:
	v_lshl_add_u64 v[48:49], v[66:67], 2, v[46:47]
	flat_load_dword v48, v[48:49]
	s_waitcnt vmcnt(0) lgkmcnt(0)
	v_mul_f32_e32 v48, s30, v48
	s_branch .LBB24_273
.LBB24_272:
	v_mov_b32_e32 v48, 0
.LBB24_273:
	v_pk_add_f32 v[50:51], v[28:29], v[40:41]
	s_nop 0
	v_min3_f32 v49, v50, v51, v106
	v_pk_add_f32 v[50:51], v[30:31], v[42:43]
	s_nop 0
	v_min_f32_e32 v50, v50, v51
	v_min3_f32 v50, v48, v50, v49
	v_lshl_add_u64 v[48:49], v[66:67], 2, v[44:45]
	flat_store_dword v[48:49], v50
	s_or_b64 exec, exec, s[26:27]
	s_and_b64 s[34:35], s[6:7], s[18:19]
	s_and_saveexec_b64 s[26:27], s[34:35]
	s_cbranch_execz .LBB24_261
.LBB24_274:
	s_and_b64 vcc, exec, s[0:1]
	s_cbranch_vccnz .LBB24_276
; %bb.275:
	v_lshl_add_u64 v[48:49], v[68:69], 2, v[46:47]
	flat_load_dword v48, v[48:49]
	s_waitcnt vmcnt(0) lgkmcnt(0)
	v_mul_f32_e32 v48, s30, v48
	s_branch .LBB24_277
.LBB24_276:
	v_mov_b32_e32 v48, 0
.LBB24_277:
	v_pk_add_f32 v[50:51], v[24:25], v[40:41]
	s_nop 0
	v_min3_f32 v49, v50, v51, v105
	v_pk_add_f32 v[50:51], v[26:27], v[42:43]
	s_nop 0
	v_min_f32_e32 v50, v50, v51
	v_min3_f32 v50, v48, v50, v49
	v_lshl_add_u64 v[48:49], v[68:69], 2, v[44:45]
	flat_store_dword v[48:49], v50
	s_or_b64 exec, exec, s[26:27]
	s_and_b64 s[34:35], s[8:9], s[18:19]
	s_and_saveexec_b64 s[26:27], s[34:35]
	s_cbranch_execz .LBB24_262
.LBB24_278:
	s_and_b64 vcc, exec, s[0:1]
	s_cbranch_vccnz .LBB24_280
; %bb.279:
	v_lshl_add_u64 v[48:49], v[70:71], 2, v[46:47]
	flat_load_dword v48, v[48:49]
	s_waitcnt vmcnt(0) lgkmcnt(0)
	v_mul_f32_e32 v48, s30, v48
	s_branch .LBB24_281
.LBB24_280:
	v_mov_b32_e32 v48, 0
.LBB24_281:
	v_pk_add_f32 v[50:51], v[20:21], v[40:41]
	s_nop 0
	v_min3_f32 v49, v50, v51, v104
	v_pk_add_f32 v[50:51], v[22:23], v[42:43]
	s_nop 0
	v_min_f32_e32 v50, v50, v51
	v_min3_f32 v50, v48, v50, v49
	v_lshl_add_u64 v[48:49], v[70:71], 2, v[44:45]
	flat_store_dword v[48:49], v50
	s_or_b64 exec, exec, s[26:27]
	s_and_b64 s[34:35], s[10:11], s[18:19]
	s_and_saveexec_b64 s[26:27], s[34:35]
	s_cbranch_execz .LBB24_263
.LBB24_282:
	s_and_b64 vcc, exec, s[0:1]
	s_cbranch_vccnz .LBB24_284
; %bb.283:
	v_lshl_add_u64 v[48:49], v[72:73], 2, v[46:47]
	flat_load_dword v48, v[48:49]
	s_waitcnt vmcnt(0) lgkmcnt(0)
	v_mul_f32_e32 v48, s30, v48
	s_branch .LBB24_285
.LBB24_284:
	v_mov_b32_e32 v48, 0
.LBB24_285:
	v_pk_add_f32 v[50:51], v[16:17], v[40:41]
	s_nop 0
	v_min3_f32 v49, v50, v51, v103
	v_pk_add_f32 v[50:51], v[18:19], v[42:43]
	s_nop 0
	v_min_f32_e32 v50, v50, v51
	v_min3_f32 v50, v48, v50, v49
	v_lshl_add_u64 v[48:49], v[72:73], 2, v[44:45]
	flat_store_dword v[48:49], v50
	s_or_b64 exec, exec, s[26:27]
	s_and_b64 s[34:35], s[12:13], s[18:19]
	s_and_saveexec_b64 s[26:27], s[34:35]
	s_cbranch_execz .LBB24_264
.LBB24_286:
	s_and_b64 vcc, exec, s[0:1]
	s_cbranch_vccnz .LBB24_288
; %bb.287:
	v_lshl_add_u64 v[48:49], v[74:75], 2, v[46:47]
	flat_load_dword v48, v[48:49]
	s_waitcnt vmcnt(0) lgkmcnt(0)
	v_mul_f32_e32 v48, s30, v48
	s_branch .LBB24_289
.LBB24_288:
	v_mov_b32_e32 v48, 0
.LBB24_289:
	v_pk_add_f32 v[50:51], v[12:13], v[40:41]
	s_nop 0
	v_min3_f32 v49, v50, v51, v102
	v_pk_add_f32 v[50:51], v[14:15], v[42:43]
	s_nop 0
	v_min_f32_e32 v50, v50, v51
	v_min3_f32 v50, v48, v50, v49
	v_lshl_add_u64 v[48:49], v[74:75], 2, v[44:45]
	flat_store_dword v[48:49], v50
	s_or_b64 exec, exec, s[26:27]
	s_and_b64 s[34:35], s[14:15], s[18:19]
	s_and_saveexec_b64 s[26:27], s[34:35]
	s_cbranch_execz .LBB24_265
.LBB24_290:
	s_and_b64 vcc, exec, s[0:1]
	s_cbranch_vccnz .LBB24_292
; %bb.291:
	v_lshl_add_u64 v[48:49], v[76:77], 2, v[46:47]
	flat_load_dword v48, v[48:49]
	s_waitcnt vmcnt(0) lgkmcnt(0)
	v_mul_f32_e32 v48, s30, v48
	s_branch .LBB24_293
.LBB24_292:
	v_mov_b32_e32 v48, 0
.LBB24_293:
	v_pk_add_f32 v[50:51], v[8:9], v[40:41]
	s_nop 0
	v_min3_f32 v49, v50, v51, v101
	v_pk_add_f32 v[50:51], v[10:11], v[42:43]
	s_nop 0
	v_min_f32_e32 v50, v50, v51
	v_min3_f32 v50, v48, v50, v49
	v_lshl_add_u64 v[48:49], v[76:77], 2, v[44:45]
	flat_store_dword v[48:49], v50
	s_or_b64 exec, exec, s[26:27]
	s_and_b64 s[26:27], s[16:17], s[18:19]
	s_and_saveexec_b64 s[18:19], s[26:27]
	s_cbranch_execz .LBB24_298
.LBB24_294:
	s_and_b64 vcc, exec, s[0:1]
	s_cbranch_vccnz .LBB24_296
; %bb.295:
	v_lshl_add_u64 v[46:47], v[78:79], 2, v[46:47]
	flat_load_dword v46, v[46:47]
	s_waitcnt vmcnt(0) lgkmcnt(0)
	v_mul_f32_e32 v46, s30, v46
	s_branch .LBB24_297
.LBB24_296:
	v_mov_b32_e32 v46, 0
.LBB24_297:
	v_pk_add_f32 v[40:41], v[0:1], v[40:41]
	s_nop 0
	v_min3_f32 v47, v40, v41, v100
	v_pk_add_f32 v[40:41], v[2:3], v[42:43]
	s_nop 0
	v_min_f32_e32 v40, v40, v41
	v_min3_f32 v42, v46, v40, v47
	v_lshl_add_u64 v[40:41], v[78:79], 2, v[44:45]
	flat_store_dword v[40:41], v42
.LBB24_298:
	s_or_b64 exec, exec, s[18:19]
	v_add_u32_e32 v44, 0xc0, v124
	v_mad_i64_i32 v[40:41], s[26:27], v44, s29, 0
	v_cmp_gt_i32_e64 s[18:19], s21, v44
	v_lshl_add_u64 v[42:43], v[40:41], 2, s[24:25]
	v_mad_i64_i32 v[40:41], s[26:27], v44, s28, 0
	v_lshl_add_u64 v[40:41], v[40:41], 2, s[22:23]
	s_and_b64 s[34:35], s[2:3], s[18:19]
	s_and_saveexec_b64 s[26:27], s[34:35]
	s_cbranch_execnz .LBB24_306
; %bb.299:
	s_or_b64 exec, exec, s[26:27]
	s_and_b64 s[34:35], s[4:5], s[18:19]
	s_and_saveexec_b64 s[26:27], s[34:35]
	s_cbranch_execnz .LBB24_310
.LBB24_300:
	s_or_b64 exec, exec, s[26:27]
	s_and_b64 s[34:35], s[6:7], s[18:19]
	s_and_saveexec_b64 s[26:27], s[34:35]
	s_cbranch_execnz .LBB24_314
.LBB24_301:
	s_or_b64 exec, exec, s[26:27]
	s_and_b64 s[34:35], s[8:9], s[18:19]
	s_and_saveexec_b64 s[26:27], s[34:35]
	s_cbranch_execnz .LBB24_318
.LBB24_302:
	s_or_b64 exec, exec, s[26:27]
	s_and_b64 s[34:35], s[10:11], s[18:19]
	s_and_saveexec_b64 s[26:27], s[34:35]
	s_cbranch_execnz .LBB24_322
.LBB24_303:
	s_or_b64 exec, exec, s[26:27]
	s_and_b64 s[34:35], s[12:13], s[18:19]
	s_and_saveexec_b64 s[26:27], s[34:35]
	s_cbranch_execnz .LBB24_326
.LBB24_304:
	s_or_b64 exec, exec, s[26:27]
	s_and_b64 s[34:35], s[14:15], s[18:19]
	s_and_saveexec_b64 s[26:27], s[34:35]
	s_cbranch_execnz .LBB24_330
.LBB24_305:
	s_or_b64 exec, exec, s[26:27]
	s_and_b64 s[26:27], s[16:17], s[18:19]
	s_and_saveexec_b64 s[18:19], s[26:27]
	s_cbranch_execnz .LBB24_334
	s_branch .LBB24_338
.LBB24_306:
	s_and_b64 vcc, exec, s[0:1]
	s_cbranch_vccnz .LBB24_308
; %bb.307:
	v_lshl_add_u64 v[44:45], v[64:65], 2, v[42:43]
	flat_load_dword v44, v[44:45]
	s_waitcnt vmcnt(0) lgkmcnt(0)
	v_mul_f32_e32 v44, s30, v44
	s_branch .LBB24_309
.LBB24_308:
	v_mov_b32_e32 v44, 0
.LBB24_309:
	v_pk_add_f32 v[46:47], v[32:33], v[36:37]
	s_nop 0
	v_min3_f32 v45, v46, v47, v99
	v_pk_add_f32 v[46:47], v[34:35], v[38:39]
	s_nop 0
	v_min_f32_e32 v46, v46, v47
	v_min3_f32 v46, v44, v46, v45
	v_lshl_add_u64 v[44:45], v[64:65], 2, v[40:41]
	flat_store_dword v[44:45], v46
	s_or_b64 exec, exec, s[26:27]
	s_and_b64 s[34:35], s[4:5], s[18:19]
	s_and_saveexec_b64 s[26:27], s[34:35]
	s_cbranch_execz .LBB24_300
.LBB24_310:
	s_and_b64 vcc, exec, s[0:1]
	s_cbranch_vccnz .LBB24_312
; %bb.311:
	v_lshl_add_u64 v[44:45], v[66:67], 2, v[42:43]
	flat_load_dword v44, v[44:45]
	s_waitcnt vmcnt(0) lgkmcnt(0)
	v_mul_f32_e32 v44, s30, v44
	s_branch .LBB24_313
.LBB24_312:
	v_mov_b32_e32 v44, 0
.LBB24_313:
	v_pk_add_f32 v[46:47], v[28:29], v[36:37]
	s_nop 0
	v_min3_f32 v45, v46, v47, v98
	v_pk_add_f32 v[46:47], v[30:31], v[38:39]
	s_nop 0
	v_min_f32_e32 v46, v46, v47
	v_min3_f32 v46, v44, v46, v45
	v_lshl_add_u64 v[44:45], v[66:67], 2, v[40:41]
	flat_store_dword v[44:45], v46
	s_or_b64 exec, exec, s[26:27]
	s_and_b64 s[34:35], s[6:7], s[18:19]
	s_and_saveexec_b64 s[26:27], s[34:35]
	s_cbranch_execz .LBB24_301
.LBB24_314:
	s_and_b64 vcc, exec, s[0:1]
	s_cbranch_vccnz .LBB24_316
; %bb.315:
	v_lshl_add_u64 v[44:45], v[68:69], 2, v[42:43]
	flat_load_dword v44, v[44:45]
	s_waitcnt vmcnt(0) lgkmcnt(0)
	v_mul_f32_e32 v44, s30, v44
	s_branch .LBB24_317
.LBB24_316:
	v_mov_b32_e32 v44, 0
.LBB24_317:
	v_pk_add_f32 v[46:47], v[24:25], v[36:37]
	s_nop 0
	v_min3_f32 v45, v46, v47, v97
	v_pk_add_f32 v[46:47], v[26:27], v[38:39]
	s_nop 0
	v_min_f32_e32 v46, v46, v47
	v_min3_f32 v46, v44, v46, v45
	v_lshl_add_u64 v[44:45], v[68:69], 2, v[40:41]
	flat_store_dword v[44:45], v46
	s_or_b64 exec, exec, s[26:27]
	s_and_b64 s[34:35], s[8:9], s[18:19]
	s_and_saveexec_b64 s[26:27], s[34:35]
	s_cbranch_execz .LBB24_302
.LBB24_318:
	s_and_b64 vcc, exec, s[0:1]
	s_cbranch_vccnz .LBB24_320
; %bb.319:
	v_lshl_add_u64 v[44:45], v[70:71], 2, v[42:43]
	flat_load_dword v44, v[44:45]
	s_waitcnt vmcnt(0) lgkmcnt(0)
	v_mul_f32_e32 v44, s30, v44
	s_branch .LBB24_321
.LBB24_320:
	v_mov_b32_e32 v44, 0
.LBB24_321:
	v_pk_add_f32 v[46:47], v[20:21], v[36:37]
	s_nop 0
	v_min3_f32 v45, v46, v47, v96
	v_pk_add_f32 v[46:47], v[22:23], v[38:39]
	s_nop 0
	v_min_f32_e32 v46, v46, v47
	v_min3_f32 v46, v44, v46, v45
	v_lshl_add_u64 v[44:45], v[70:71], 2, v[40:41]
	flat_store_dword v[44:45], v46
	s_or_b64 exec, exec, s[26:27]
	s_and_b64 s[34:35], s[10:11], s[18:19]
	s_and_saveexec_b64 s[26:27], s[34:35]
	s_cbranch_execz .LBB24_303
.LBB24_322:
	s_and_b64 vcc, exec, s[0:1]
	s_cbranch_vccnz .LBB24_324
; %bb.323:
	v_lshl_add_u64 v[44:45], v[72:73], 2, v[42:43]
	flat_load_dword v44, v[44:45]
	s_waitcnt vmcnt(0) lgkmcnt(0)
	v_mul_f32_e32 v44, s30, v44
	s_branch .LBB24_325
.LBB24_324:
	v_mov_b32_e32 v44, 0
.LBB24_325:
	v_pk_add_f32 v[46:47], v[16:17], v[36:37]
	s_nop 0
	v_min3_f32 v45, v46, v47, v95
	v_pk_add_f32 v[46:47], v[18:19], v[38:39]
	s_nop 0
	v_min_f32_e32 v46, v46, v47
	v_min3_f32 v46, v44, v46, v45
	v_lshl_add_u64 v[44:45], v[72:73], 2, v[40:41]
	flat_store_dword v[44:45], v46
	s_or_b64 exec, exec, s[26:27]
	s_and_b64 s[34:35], s[12:13], s[18:19]
	s_and_saveexec_b64 s[26:27], s[34:35]
	s_cbranch_execz .LBB24_304
.LBB24_326:
	s_and_b64 vcc, exec, s[0:1]
	s_cbranch_vccnz .LBB24_328
; %bb.327:
	v_lshl_add_u64 v[44:45], v[74:75], 2, v[42:43]
	flat_load_dword v44, v[44:45]
	s_waitcnt vmcnt(0) lgkmcnt(0)
	v_mul_f32_e32 v44, s30, v44
	s_branch .LBB24_329
.LBB24_328:
	v_mov_b32_e32 v44, 0
.LBB24_329:
	v_pk_add_f32 v[46:47], v[12:13], v[36:37]
	s_nop 0
	v_min3_f32 v45, v46, v47, v94
	v_pk_add_f32 v[46:47], v[14:15], v[38:39]
	s_nop 0
	v_min_f32_e32 v46, v46, v47
	v_min3_f32 v46, v44, v46, v45
	v_lshl_add_u64 v[44:45], v[74:75], 2, v[40:41]
	flat_store_dword v[44:45], v46
	s_or_b64 exec, exec, s[26:27]
	s_and_b64 s[34:35], s[14:15], s[18:19]
	s_and_saveexec_b64 s[26:27], s[34:35]
	s_cbranch_execz .LBB24_305
.LBB24_330:
	s_and_b64 vcc, exec, s[0:1]
	s_cbranch_vccnz .LBB24_332
; %bb.331:
	v_lshl_add_u64 v[44:45], v[76:77], 2, v[42:43]
	flat_load_dword v44, v[44:45]
	s_waitcnt vmcnt(0) lgkmcnt(0)
	v_mul_f32_e32 v44, s30, v44
	s_branch .LBB24_333
.LBB24_332:
	v_mov_b32_e32 v44, 0
.LBB24_333:
	v_pk_add_f32 v[46:47], v[8:9], v[36:37]
	s_nop 0
	v_min3_f32 v45, v46, v47, v93
	v_pk_add_f32 v[46:47], v[10:11], v[38:39]
	s_nop 0
	v_min_f32_e32 v46, v46, v47
	v_min3_f32 v46, v44, v46, v45
	v_lshl_add_u64 v[44:45], v[76:77], 2, v[40:41]
	flat_store_dword v[44:45], v46
	s_or_b64 exec, exec, s[26:27]
	s_and_b64 s[26:27], s[16:17], s[18:19]
	s_and_saveexec_b64 s[18:19], s[26:27]
	s_cbranch_execz .LBB24_338
.LBB24_334:
	s_and_b64 vcc, exec, s[0:1]
	s_cbranch_vccnz .LBB24_336
; %bb.335:
	v_lshl_add_u64 v[42:43], v[78:79], 2, v[42:43]
	flat_load_dword v42, v[42:43]
	s_waitcnt vmcnt(0) lgkmcnt(0)
	v_mul_f32_e32 v42, s30, v42
	s_branch .LBB24_337
.LBB24_336:
	v_mov_b32_e32 v42, 0
.LBB24_337:
	v_pk_add_f32 v[36:37], v[0:1], v[36:37]
	s_nop 0
	v_min3_f32 v43, v36, v37, v92
	v_pk_add_f32 v[36:37], v[2:3], v[38:39]
	s_nop 0
	v_min_f32_e32 v36, v36, v37
	v_min3_f32 v38, v42, v36, v43
	v_lshl_add_u64 v[36:37], v[78:79], 2, v[40:41]
	flat_store_dword v[36:37], v38
.LBB24_338:
	s_or_b64 exec, exec, s[18:19]
	v_add_u32_e32 v40, 0xe0, v124
	v_cmp_gt_i32_e64 s[18:19], s21, v40
	v_mad_i64_i32 v[36:37], s[20:21], v40, s29, 0
	v_lshl_add_u64 v[38:39], v[36:37], 2, s[24:25]
	v_mad_i64_i32 v[36:37], s[20:21], v40, s28, 0
	v_lshl_add_u64 v[36:37], v[36:37], 2, s[22:23]
	s_and_b64 s[20:21], s[2:3], s[18:19]
	s_and_saveexec_b64 s[2:3], s[20:21]
	s_cbranch_execnz .LBB24_347
; %bb.339:
	s_or_b64 exec, exec, s[2:3]
	s_and_b64 s[4:5], s[4:5], s[18:19]
	s_and_saveexec_b64 s[2:3], s[4:5]
	s_cbranch_execnz .LBB24_351
.LBB24_340:
	s_or_b64 exec, exec, s[2:3]
	s_and_b64 s[4:5], s[6:7], s[18:19]
	s_and_saveexec_b64 s[2:3], s[4:5]
	s_cbranch_execnz .LBB24_355
.LBB24_341:
	s_or_b64 exec, exec, s[2:3]
	s_and_b64 s[4:5], s[8:9], s[18:19]
	s_and_saveexec_b64 s[2:3], s[4:5]
	s_cbranch_execnz .LBB24_359
.LBB24_342:
	s_or_b64 exec, exec, s[2:3]
	s_and_b64 s[4:5], s[10:11], s[18:19]
	s_and_saveexec_b64 s[2:3], s[4:5]
	s_cbranch_execnz .LBB24_363
.LBB24_343:
	s_or_b64 exec, exec, s[2:3]
	s_and_b64 s[4:5], s[12:13], s[18:19]
	s_and_saveexec_b64 s[2:3], s[4:5]
	s_cbranch_execnz .LBB24_367
.LBB24_344:
	s_or_b64 exec, exec, s[2:3]
	s_and_b64 s[4:5], s[14:15], s[18:19]
	s_and_saveexec_b64 s[2:3], s[4:5]
	s_cbranch_execnz .LBB24_371
.LBB24_345:
	s_or_b64 exec, exec, s[2:3]
	s_and_b64 s[2:3], s[16:17], s[18:19]
	s_and_saveexec_b64 s[4:5], s[2:3]
	s_cbranch_execnz .LBB24_375
.LBB24_346:
	s_endpgm
.LBB24_347:
	s_and_b64 vcc, exec, s[0:1]
	s_cbranch_vccnz .LBB24_349
; %bb.348:
	v_lshl_add_u64 v[40:41], v[64:65], 2, v[38:39]
	flat_load_dword v40, v[40:41]
	s_waitcnt vmcnt(0) lgkmcnt(0)
	v_mul_f32_e32 v40, s30, v40
	s_branch .LBB24_350
.LBB24_349:
	v_mov_b32_e32 v40, 0
.LBB24_350:
	v_pk_add_f32 v[32:33], v[32:33], v[4:5]
	s_nop 0
	v_min3_f32 v41, v32, v33, v91
	v_pk_add_f32 v[32:33], v[34:35], v[6:7]
	s_nop 0
	v_min_f32_e32 v32, v32, v33
	v_min3_f32 v34, v40, v32, v41
	v_lshl_add_u64 v[32:33], v[64:65], 2, v[36:37]
	flat_store_dword v[32:33], v34
	s_or_b64 exec, exec, s[2:3]
	s_and_b64 s[4:5], s[4:5], s[18:19]
	s_and_saveexec_b64 s[2:3], s[4:5]
	s_cbranch_execz .LBB24_340
.LBB24_351:
	s_and_b64 vcc, exec, s[0:1]
	s_cbranch_vccnz .LBB24_353
; %bb.352:
	v_lshl_add_u64 v[32:33], v[66:67], 2, v[38:39]
	flat_load_dword v32, v[32:33]
	s_waitcnt vmcnt(0) lgkmcnt(0)
	v_mul_f32_e32 v32, s30, v32
	s_branch .LBB24_354
.LBB24_353:
	v_mov_b32_e32 v32, 0
.LBB24_354:
	v_pk_add_f32 v[28:29], v[28:29], v[4:5]
	s_nop 0
	v_min3_f32 v33, v28, v29, v90
	v_pk_add_f32 v[28:29], v[30:31], v[6:7]
	s_nop 0
	v_min_f32_e32 v28, v28, v29
	v_min3_f32 v30, v32, v28, v33
	v_lshl_add_u64 v[28:29], v[66:67], 2, v[36:37]
	flat_store_dword v[28:29], v30
	s_or_b64 exec, exec, s[2:3]
	s_and_b64 s[4:5], s[6:7], s[18:19]
	s_and_saveexec_b64 s[2:3], s[4:5]
	s_cbranch_execz .LBB24_341
.LBB24_355:
	s_and_b64 vcc, exec, s[0:1]
	s_cbranch_vccnz .LBB24_357
; %bb.356:
	v_lshl_add_u64 v[28:29], v[68:69], 2, v[38:39]
	flat_load_dword v28, v[28:29]
	s_waitcnt vmcnt(0) lgkmcnt(0)
	v_mul_f32_e32 v28, s30, v28
	s_branch .LBB24_358
.LBB24_357:
	v_mov_b32_e32 v28, 0
.LBB24_358:
	v_pk_add_f32 v[24:25], v[24:25], v[4:5]
	s_nop 0
	v_min3_f32 v29, v24, v25, v89
	v_pk_add_f32 v[24:25], v[26:27], v[6:7]
	s_nop 0
	v_min_f32_e32 v24, v24, v25
	v_min3_f32 v26, v28, v24, v29
	v_lshl_add_u64 v[24:25], v[68:69], 2, v[36:37]
	flat_store_dword v[24:25], v26
	s_or_b64 exec, exec, s[2:3]
	s_and_b64 s[4:5], s[8:9], s[18:19]
	s_and_saveexec_b64 s[2:3], s[4:5]
	s_cbranch_execz .LBB24_342
.LBB24_359:
	s_and_b64 vcc, exec, s[0:1]
	s_cbranch_vccnz .LBB24_361
; %bb.360:
	v_lshl_add_u64 v[24:25], v[70:71], 2, v[38:39]
	flat_load_dword v24, v[24:25]
	s_waitcnt vmcnt(0) lgkmcnt(0)
	v_mul_f32_e32 v24, s30, v24
	s_branch .LBB24_362
.LBB24_361:
	v_mov_b32_e32 v24, 0
.LBB24_362:
	v_pk_add_f32 v[20:21], v[20:21], v[4:5]
	s_nop 0
	v_min3_f32 v25, v20, v21, v87
	v_pk_add_f32 v[20:21], v[22:23], v[6:7]
	s_nop 0
	v_min_f32_e32 v20, v20, v21
	v_min3_f32 v22, v24, v20, v25
	v_lshl_add_u64 v[20:21], v[70:71], 2, v[36:37]
	flat_store_dword v[20:21], v22
	s_or_b64 exec, exec, s[2:3]
	s_and_b64 s[4:5], s[10:11], s[18:19]
	s_and_saveexec_b64 s[2:3], s[4:5]
	s_cbranch_execz .LBB24_343
.LBB24_363:
	s_and_b64 vcc, exec, s[0:1]
	s_cbranch_vccnz .LBB24_365
; %bb.364:
	v_lshl_add_u64 v[20:21], v[72:73], 2, v[38:39]
	flat_load_dword v20, v[20:21]
	s_waitcnt vmcnt(0) lgkmcnt(0)
	v_mul_f32_e32 v20, s30, v20
	s_branch .LBB24_366
.LBB24_365:
	v_mov_b32_e32 v20, 0
.LBB24_366:
	v_pk_add_f32 v[16:17], v[16:17], v[4:5]
	s_nop 0
	v_min3_f32 v21, v16, v17, v86
	v_pk_add_f32 v[16:17], v[18:19], v[6:7]
	s_nop 0
	v_min_f32_e32 v16, v16, v17
	v_min3_f32 v18, v20, v16, v21
	v_lshl_add_u64 v[16:17], v[72:73], 2, v[36:37]
	flat_store_dword v[16:17], v18
	s_or_b64 exec, exec, s[2:3]
	s_and_b64 s[4:5], s[12:13], s[18:19]
	s_and_saveexec_b64 s[2:3], s[4:5]
	s_cbranch_execz .LBB24_344
.LBB24_367:
	s_and_b64 vcc, exec, s[0:1]
	s_cbranch_vccnz .LBB24_369
; %bb.368:
	v_lshl_add_u64 v[16:17], v[74:75], 2, v[38:39]
	flat_load_dword v16, v[16:17]
	s_waitcnt vmcnt(0) lgkmcnt(0)
	v_mul_f32_e32 v16, s30, v16
	s_branch .LBB24_370
.LBB24_369:
	v_mov_b32_e32 v16, 0
.LBB24_370:
	v_pk_add_f32 v[12:13], v[12:13], v[4:5]
	s_nop 0
	v_min3_f32 v17, v12, v13, v85
	v_pk_add_f32 v[12:13], v[14:15], v[6:7]
	s_nop 0
	v_min_f32_e32 v12, v12, v13
	v_min3_f32 v14, v16, v12, v17
	v_lshl_add_u64 v[12:13], v[74:75], 2, v[36:37]
	flat_store_dword v[12:13], v14
	s_or_b64 exec, exec, s[2:3]
	s_and_b64 s[4:5], s[14:15], s[18:19]
	s_and_saveexec_b64 s[2:3], s[4:5]
	s_cbranch_execz .LBB24_345
.LBB24_371:
	s_and_b64 vcc, exec, s[0:1]
	s_cbranch_vccnz .LBB24_373
; %bb.372:
	v_lshl_add_u64 v[12:13], v[76:77], 2, v[38:39]
	flat_load_dword v12, v[12:13]
	s_waitcnt vmcnt(0) lgkmcnt(0)
	v_mul_f32_e32 v12, s30, v12
	s_branch .LBB24_374
.LBB24_373:
	v_mov_b32_e32 v12, 0
.LBB24_374:
	v_pk_add_f32 v[8:9], v[8:9], v[4:5]
	s_nop 0
	v_min3_f32 v13, v8, v9, v84
	v_pk_add_f32 v[8:9], v[10:11], v[6:7]
	s_nop 0
	v_min_f32_e32 v8, v8, v9
	v_min3_f32 v10, v12, v8, v13
	v_lshl_add_u64 v[8:9], v[76:77], 2, v[36:37]
	flat_store_dword v[8:9], v10
	s_or_b64 exec, exec, s[2:3]
	s_and_b64 s[2:3], s[16:17], s[18:19]
	s_and_saveexec_b64 s[4:5], s[2:3]
	s_cbranch_execz .LBB24_346
.LBB24_375:
	s_and_b64 vcc, exec, s[0:1]
	s_cbranch_vccnz .LBB24_377
; %bb.376:
	v_lshl_add_u64 v[8:9], v[78:79], 2, v[38:39]
	flat_load_dword v8, v[8:9]
	s_waitcnt vmcnt(0) lgkmcnt(0)
	v_mul_f32_e32 v8, s30, v8
	s_branch .LBB24_378
.LBB24_377:
	v_mov_b32_e32 v8, 0
.LBB24_378:
	v_pk_add_f32 v[0:1], v[0:1], v[4:5]
	s_nop 0
	v_min3_f32 v4, v0, v1, v88
	v_pk_add_f32 v[0:1], v[2:3], v[6:7]
	s_nop 0
	v_min_f32_e32 v0, v0, v1
	v_min3_f32 v2, v8, v0, v4
	v_lshl_add_u64 v[0:1], v[78:79], 2, v[36:37]
	flat_store_dword v[0:1], v2
	s_endpgm
	.section	.rodata,"a",@progbits
	.p2align	6, 0x0
	.amdhsa_kernel _ZN12_GLOBAL__N_120geam_min_plus_kernelIf15HIP_vector_typeIfLj2EEfLi8ELi32ELi64ELi256ELi4ELi4ELi64ELi64ELi4ELc84ELc84ELb0ELb1ELb1EPKfKS4_KPfEEviiiT16_PT17_ilSA_ilS8_SA_ilPT18_ili26rocblas_geam_ex_operation_
		.amdhsa_group_segment_fixed_size 10240
		.amdhsa_private_segment_fixed_size 0
		.amdhsa_kernarg_size 136
		.amdhsa_user_sgpr_count 2
		.amdhsa_user_sgpr_dispatch_ptr 0
		.amdhsa_user_sgpr_queue_ptr 0
		.amdhsa_user_sgpr_kernarg_segment_ptr 1
		.amdhsa_user_sgpr_dispatch_id 0
		.amdhsa_user_sgpr_kernarg_preload_length 0
		.amdhsa_user_sgpr_kernarg_preload_offset 0
		.amdhsa_user_sgpr_private_segment_size 0
		.amdhsa_uses_dynamic_stack 0
		.amdhsa_enable_private_segment 0
		.amdhsa_system_sgpr_workgroup_id_x 1
		.amdhsa_system_sgpr_workgroup_id_y 0
		.amdhsa_system_sgpr_workgroup_id_z 1
		.amdhsa_system_sgpr_workgroup_info 0
		.amdhsa_system_vgpr_workitem_id 1
		.amdhsa_next_free_vgpr 157
		.amdhsa_next_free_sgpr 40
		.amdhsa_accum_offset 160
		.amdhsa_reserve_vcc 1
		.amdhsa_float_round_mode_32 0
		.amdhsa_float_round_mode_16_64 0
		.amdhsa_float_denorm_mode_32 3
		.amdhsa_float_denorm_mode_16_64 3
		.amdhsa_dx10_clamp 1
		.amdhsa_ieee_mode 1
		.amdhsa_fp16_overflow 0
		.amdhsa_tg_split 0
		.amdhsa_exception_fp_ieee_invalid_op 0
		.amdhsa_exception_fp_denorm_src 0
		.amdhsa_exception_fp_ieee_div_zero 0
		.amdhsa_exception_fp_ieee_overflow 0
		.amdhsa_exception_fp_ieee_underflow 0
		.amdhsa_exception_fp_ieee_inexact 0
		.amdhsa_exception_int_div_zero 0
	.end_amdhsa_kernel
	.section	.text._ZN12_GLOBAL__N_120geam_min_plus_kernelIf15HIP_vector_typeIfLj2EEfLi8ELi32ELi64ELi256ELi4ELi4ELi64ELi64ELi4ELc84ELc84ELb0ELb1ELb1EPKfKS4_KPfEEviiiT16_PT17_ilSA_ilS8_SA_ilPT18_ili26rocblas_geam_ex_operation_,"axG",@progbits,_ZN12_GLOBAL__N_120geam_min_plus_kernelIf15HIP_vector_typeIfLj2EEfLi8ELi32ELi64ELi256ELi4ELi4ELi64ELi64ELi4ELc84ELc84ELb0ELb1ELb1EPKfKS4_KPfEEviiiT16_PT17_ilSA_ilS8_SA_ilPT18_ili26rocblas_geam_ex_operation_,comdat
.Lfunc_end24:
	.size	_ZN12_GLOBAL__N_120geam_min_plus_kernelIf15HIP_vector_typeIfLj2EEfLi8ELi32ELi64ELi256ELi4ELi4ELi64ELi64ELi4ELc84ELc84ELb0ELb1ELb1EPKfKS4_KPfEEviiiT16_PT17_ilSA_ilS8_SA_ilPT18_ili26rocblas_geam_ex_operation_, .Lfunc_end24-_ZN12_GLOBAL__N_120geam_min_plus_kernelIf15HIP_vector_typeIfLj2EEfLi8ELi32ELi64ELi256ELi4ELi4ELi64ELi64ELi4ELc84ELc84ELb0ELb1ELb1EPKfKS4_KPfEEviiiT16_PT17_ilSA_ilS8_SA_ilPT18_ili26rocblas_geam_ex_operation_
                                        ; -- End function
	.set _ZN12_GLOBAL__N_120geam_min_plus_kernelIf15HIP_vector_typeIfLj2EEfLi8ELi32ELi64ELi256ELi4ELi4ELi64ELi64ELi4ELc84ELc84ELb0ELb1ELb1EPKfKS4_KPfEEviiiT16_PT17_ilSA_ilS8_SA_ilPT18_ili26rocblas_geam_ex_operation_.num_vgpr, 157
	.set _ZN12_GLOBAL__N_120geam_min_plus_kernelIf15HIP_vector_typeIfLj2EEfLi8ELi32ELi64ELi256ELi4ELi4ELi64ELi64ELi4ELc84ELc84ELb0ELb1ELb1EPKfKS4_KPfEEviiiT16_PT17_ilSA_ilS8_SA_ilPT18_ili26rocblas_geam_ex_operation_.num_agpr, 0
	.set _ZN12_GLOBAL__N_120geam_min_plus_kernelIf15HIP_vector_typeIfLj2EEfLi8ELi32ELi64ELi256ELi4ELi4ELi64ELi64ELi4ELc84ELc84ELb0ELb1ELb1EPKfKS4_KPfEEviiiT16_PT17_ilSA_ilS8_SA_ilPT18_ili26rocblas_geam_ex_operation_.numbered_sgpr, 40
	.set _ZN12_GLOBAL__N_120geam_min_plus_kernelIf15HIP_vector_typeIfLj2EEfLi8ELi32ELi64ELi256ELi4ELi4ELi64ELi64ELi4ELc84ELc84ELb0ELb1ELb1EPKfKS4_KPfEEviiiT16_PT17_ilSA_ilS8_SA_ilPT18_ili26rocblas_geam_ex_operation_.num_named_barrier, 0
	.set _ZN12_GLOBAL__N_120geam_min_plus_kernelIf15HIP_vector_typeIfLj2EEfLi8ELi32ELi64ELi256ELi4ELi4ELi64ELi64ELi4ELc84ELc84ELb0ELb1ELb1EPKfKS4_KPfEEviiiT16_PT17_ilSA_ilS8_SA_ilPT18_ili26rocblas_geam_ex_operation_.private_seg_size, 0
	.set _ZN12_GLOBAL__N_120geam_min_plus_kernelIf15HIP_vector_typeIfLj2EEfLi8ELi32ELi64ELi256ELi4ELi4ELi64ELi64ELi4ELc84ELc84ELb0ELb1ELb1EPKfKS4_KPfEEviiiT16_PT17_ilSA_ilS8_SA_ilPT18_ili26rocblas_geam_ex_operation_.uses_vcc, 1
	.set _ZN12_GLOBAL__N_120geam_min_plus_kernelIf15HIP_vector_typeIfLj2EEfLi8ELi32ELi64ELi256ELi4ELi4ELi64ELi64ELi4ELc84ELc84ELb0ELb1ELb1EPKfKS4_KPfEEviiiT16_PT17_ilSA_ilS8_SA_ilPT18_ili26rocblas_geam_ex_operation_.uses_flat_scratch, 0
	.set _ZN12_GLOBAL__N_120geam_min_plus_kernelIf15HIP_vector_typeIfLj2EEfLi8ELi32ELi64ELi256ELi4ELi4ELi64ELi64ELi4ELc84ELc84ELb0ELb1ELb1EPKfKS4_KPfEEviiiT16_PT17_ilSA_ilS8_SA_ilPT18_ili26rocblas_geam_ex_operation_.has_dyn_sized_stack, 0
	.set _ZN12_GLOBAL__N_120geam_min_plus_kernelIf15HIP_vector_typeIfLj2EEfLi8ELi32ELi64ELi256ELi4ELi4ELi64ELi64ELi4ELc84ELc84ELb0ELb1ELb1EPKfKS4_KPfEEviiiT16_PT17_ilSA_ilS8_SA_ilPT18_ili26rocblas_geam_ex_operation_.has_recursion, 0
	.set _ZN12_GLOBAL__N_120geam_min_plus_kernelIf15HIP_vector_typeIfLj2EEfLi8ELi32ELi64ELi256ELi4ELi4ELi64ELi64ELi4ELc84ELc84ELb0ELb1ELb1EPKfKS4_KPfEEviiiT16_PT17_ilSA_ilS8_SA_ilPT18_ili26rocblas_geam_ex_operation_.has_indirect_call, 0
	.section	.AMDGPU.csdata,"",@progbits
; Kernel info:
; codeLenInByte = 18772
; TotalNumSgprs: 46
; NumVgprs: 157
; NumAgprs: 0
; TotalNumVgprs: 157
; ScratchSize: 0
; MemoryBound: 0
; FloatMode: 240
; IeeeMode: 1
; LDSByteSize: 10240 bytes/workgroup (compile time only)
; SGPRBlocks: 5
; VGPRBlocks: 19
; NumSGPRsForWavesPerEU: 46
; NumVGPRsForWavesPerEU: 157
; AccumOffset: 160
; Occupancy: 3
; WaveLimiterHint : 1
; COMPUTE_PGM_RSRC2:SCRATCH_EN: 0
; COMPUTE_PGM_RSRC2:USER_SGPR: 2
; COMPUTE_PGM_RSRC2:TRAP_HANDLER: 0
; COMPUTE_PGM_RSRC2:TGID_X_EN: 1
; COMPUTE_PGM_RSRC2:TGID_Y_EN: 0
; COMPUTE_PGM_RSRC2:TGID_Z_EN: 1
; COMPUTE_PGM_RSRC2:TIDIG_COMP_CNT: 1
; COMPUTE_PGM_RSRC3_GFX90A:ACCUM_OFFSET: 39
; COMPUTE_PGM_RSRC3_GFX90A:TG_SPLIT: 0
	.section	.text._ZN12_GLOBAL__N_120geam_min_plus_kernelIf15HIP_vector_typeIfLj2EEfLi8ELi32ELi64ELi256ELi4ELi4ELi64ELi64ELi4ELc84ELc84ELb1ELb1ELb1EfKPKfKPfEEviiiT16_PT17_ilSA_ilS8_SA_ilPT18_ili26rocblas_geam_ex_operation_,"axG",@progbits,_ZN12_GLOBAL__N_120geam_min_plus_kernelIf15HIP_vector_typeIfLj2EEfLi8ELi32ELi64ELi256ELi4ELi4ELi64ELi64ELi4ELc84ELc84ELb1ELb1ELb1EfKPKfKPfEEviiiT16_PT17_ilSA_ilS8_SA_ilPT18_ili26rocblas_geam_ex_operation_,comdat
	.globl	_ZN12_GLOBAL__N_120geam_min_plus_kernelIf15HIP_vector_typeIfLj2EEfLi8ELi32ELi64ELi256ELi4ELi4ELi64ELi64ELi4ELc84ELc84ELb1ELb1ELb1EfKPKfKPfEEviiiT16_PT17_ilSA_ilS8_SA_ilPT18_ili26rocblas_geam_ex_operation_ ; -- Begin function _ZN12_GLOBAL__N_120geam_min_plus_kernelIf15HIP_vector_typeIfLj2EEfLi8ELi32ELi64ELi256ELi4ELi4ELi64ELi64ELi4ELc84ELc84ELb1ELb1ELb1EfKPKfKPfEEviiiT16_PT17_ilSA_ilS8_SA_ilPT18_ili26rocblas_geam_ex_operation_
	.p2align	8
	.type	_ZN12_GLOBAL__N_120geam_min_plus_kernelIf15HIP_vector_typeIfLj2EEfLi8ELi32ELi64ELi256ELi4ELi4ELi64ELi64ELi4ELc84ELc84ELb1ELb1ELb1EfKPKfKPfEEviiiT16_PT17_ilSA_ilS8_SA_ilPT18_ili26rocblas_geam_ex_operation_,@function
_ZN12_GLOBAL__N_120geam_min_plus_kernelIf15HIP_vector_typeIfLj2EEfLi8ELi32ELi64ELi256ELi4ELi4ELi64ELi64ELi4ELc84ELc84ELb1ELb1ELb1EfKPKfKPfEEviiiT16_PT17_ilSA_ilS8_SA_ilPT18_ili26rocblas_geam_ex_operation_: ; @_ZN12_GLOBAL__N_120geam_min_plus_kernelIf15HIP_vector_typeIfLj2EEfLi8ELi32ELi64ELi256ELi4ELi4ELi64ELi64ELi4ELc84ELc84ELb1ELb1ELb1EfKPKfKPfEEviiiT16_PT17_ilSA_ilS8_SA_ilPT18_ili26rocblas_geam_ex_operation_
; %bb.0:
	s_load_dwordx4 s[20:23], s[0:1], 0x0
	s_load_dwordx4 s[4:7], s[0:1], 0x20
	s_mov_b32 s8, s3
	s_mov_b32 s9, 0
	s_waitcnt lgkmcnt(0)
	v_cmp_eq_f32_e64 s[10:11], s23, 0
	s_and_b64 vcc, exec, s[10:11]
	s_cbranch_vccnz .LBB25_3
; %bb.1:
	s_load_dwordx2 s[12:13], s[0:1], 0x10
	s_lshl_b64 s[14:15], s[8:9], 3
	s_waitcnt lgkmcnt(0)
	s_add_u32 s12, s12, s14
	s_addc_u32 s13, s13, s15
	s_load_dwordx2 s[12:13], s[12:13], 0x0
	s_lshl_b64 s[4:5], s[4:5], 2
	s_waitcnt lgkmcnt(0)
	s_add_u32 s18, s12, s4
	s_addc_u32 s19, s13, s5
	s_andn2_b64 vcc, exec, s[10:11]
	s_cbranch_vccnz .LBB25_4
.LBB25_2:
	s_mov_b32 s11, 0
	s_mov_b32 s10, s8
	s_mov_b64 s[24:25], 0
	s_mov_b64 s[26:27], 0
	s_cbranch_execz .LBB25_5
	s_branch .LBB25_6
.LBB25_3:
	s_mov_b64 s[18:19], 0
	s_andn2_b64 vcc, exec, s[10:11]
	s_cbranch_vccz .LBB25_2
.LBB25_4:
	s_mov_b64 s[10:11], s[8:9]
	s_mov_b64 s[24:25], 0
	;; [unrolled: 1-line block ×3, first 2 shown]
.LBB25_5:
	s_lshl_b64 s[8:9], s[8:9], 3
	s_add_u32 s6, s6, s8
	s_load_dwordx2 s[4:5], s[0:1], 0x38
	s_addc_u32 s7, s7, s9
	s_load_dwordx2 s[6:7], s[6:7], 0x0
	s_waitcnt lgkmcnt(0)
	s_lshl_b64 s[4:5], s[4:5], 2
	s_add_u32 s26, s6, s4
	s_addc_u32 s27, s7, s5
.LBB25_6:
	s_load_dword s33, s[0:1], 0x40
	s_load_dwordx4 s[4:7], s[0:1], 0x58
	s_waitcnt lgkmcnt(0)
	v_cmp_eq_f32_e64 s[8:9], s33, 0
	v_cmp_neq_f32_e64 s[14:15], s33, 0
	s_and_b64 vcc, exec, s[8:9]
	s_cbranch_vccnz .LBB25_8
; %bb.7:
	s_load_dwordx2 s[8:9], s[0:1], 0x48
	s_lshl_b64 s[12:13], s[10:11], 3
	s_waitcnt lgkmcnt(0)
	s_add_u32 s8, s8, s12
	s_addc_u32 s9, s9, s13
	s_load_dwordx2 s[8:9], s[8:9], 0x0
	s_lshl_b64 s[4:5], s[4:5], 2
	s_waitcnt lgkmcnt(0)
	s_add_u32 s24, s8, s4
	s_addc_u32 s25, s9, s5
.LBB25_8:
	s_lshl_b64 s[4:5], s[10:11], 3
	s_add_u32 s30, s6, s4
	s_addc_u32 s31, s7, s5
	s_add_i32 s3, s20, -1
	s_ashr_i32 s4, s3, 31
	s_lshr_b32 s4, s4, 26
	s_add_i32 s3, s3, s4
	s_ashr_i32 s4, s3, 6
	s_add_i32 s5, s4, 1
	v_cvt_f32_u32_e32 v1, s5
	s_not_b32 s4, s4
	v_and_b32_e32 v74, 0x3ff, v0
	v_bfe_u32 v75, v0, 10, 10
	v_rcp_iflag_f32_e32 v1, v1
	s_load_dword s3, s[0:1], 0x18
	v_lshl_add_u32 v2, v75, 3, v74
	v_lshrrev_b32_e32 v58, 2, v2
	v_mul_f32_e32 v1, 0x4f7ffffe, v1
	v_cvt_u32_f32_e32 v1, v1
	v_and_b32_e32 v76, 3, v0
	v_cmp_gt_i32_e32 vcc, s22, v76
	v_mov_b32_e32 v4, 0x7f7fffff
	v_readfirstlane_b32 s6, v1
	s_mul_i32 s4, s4, s6
	s_mul_hi_u32 s4, s6, s4
	s_add_i32 s6, s6, s4
	s_mul_hi_u32 s4, s2, s6
	s_mul_i32 s6, s4, s5
	s_sub_i32 s6, s2, s6
	s_add_i32 s7, s4, 1
	s_sub_i32 s8, s6, s5
	s_cmp_ge_u32 s6, s5
	s_cselect_b32 s4, s7, s4
	s_cselect_b32 s6, s8, s6
	s_add_i32 s7, s4, 1
	s_cmp_ge_u32 s6, s5
	s_cselect_b32 s6, s7, s4
	s_mul_i32 s23, s6, s5
	s_sub_i32 s4, s2, s23
	s_lshl_b32 s34, s4, 6
	v_add_u32_e32 v9, s34, v58
	v_cmp_gt_i32_e64 s[4:5], s20, v9
	v_cmp_le_i32_e64 s[8:9], s20, v9
	s_and_b64 s[10:11], vcc, s[4:5]
	v_lshlrev_b32_e32 v0, 2, v76
	v_mov_b32_e32 v5, 0x7f7fffff
	s_and_saveexec_b64 s[4:5], s[10:11]
	s_cbranch_execz .LBB25_10
; %bb.9:
	s_waitcnt lgkmcnt(0)
	v_mad_i64_i32 v[6:7], s[10:11], v9, s3, 0
	v_lshl_add_u64 v[6:7], v[6:7], 2, s[18:19]
	v_mov_b32_e32 v1, 0
	v_lshl_add_u64 v[6:7], v[6:7], 0, v[0:1]
	flat_load_dword v5, v[6:7]
.LBB25_10:
	s_or_b64 exec, exec, s[4:5]
	s_load_dword s28, s[0:1], 0x30
	v_and_b32_e32 v6, 63, v2
	s_lshl_b32 s35, s6, 8
	v_lshrrev_b32_e32 v79, 6, v2
	v_or_b32_e32 v56, s35, v6
	v_cmp_le_i32_e64 s[10:11], s22, v79
	s_waitcnt lgkmcnt(0)
	v_mad_i64_i32 v[2:3], s[4:5], s28, v79, 0
	v_cmp_le_i32_e32 vcc, s21, v56
	v_lshl_add_u64 v[2:3], v[2:3], 2, s[26:27]
	s_nor_b64 s[6:7], vcc, s[10:11]
	v_ashrrev_i32_e32 v57, 31, v56
	s_and_saveexec_b64 s[4:5], s[6:7]
	s_cbranch_execz .LBB25_12
; %bb.11:
	v_lshl_add_u64 v[10:11], v[56:57], 2, v[2:3]
	flat_load_dword v4, v[10:11]
.LBB25_12:
	s_or_b64 exec, exec, s[4:5]
	v_or_b32_e32 v1, 64, v56
	v_cmp_le_i32_e64 s[12:13], s21, v1
	s_nor_b64 s[6:7], s[12:13], s[10:11]
	v_mov_b32_e32 v7, 0x7f7fffff
	v_mov_b32_e32 v8, 0x7f7fffff
	s_and_saveexec_b64 s[4:5], s[6:7]
	s_cbranch_execz .LBB25_14
; %bb.13:
	v_lshl_add_u64 v[10:11], v[56:57], 2, v[2:3]
	flat_load_dword v8, v[10:11] offset:256
.LBB25_14:
	s_or_b64 exec, exec, s[4:5]
	v_or_b32_e32 v1, 0x80, v56
	v_cmp_le_i32_e64 s[4:5], s21, v1
	s_ashr_i32 s29, s28, 31
	s_nor_b64 s[16:17], s[4:5], s[10:11]
	s_and_saveexec_b64 s[6:7], s[16:17]
	s_cbranch_execz .LBB25_16
; %bb.15:
	v_lshl_add_u64 v[10:11], v[56:57], 2, v[2:3]
	flat_load_dword v7, v[10:11] offset:512
.LBB25_16:
	s_or_b64 exec, exec, s[6:7]
	v_or_b32_e32 v1, 0xc0, v56
	v_cmp_le_i32_e64 s[6:7], s21, v1
	s_nor_b64 s[16:17], s[6:7], s[10:11]
	v_mov_b32_e32 v59, 0x7f7fffff
	v_mov_b32_e32 v10, 0x7f7fffff
	s_and_saveexec_b64 s[10:11], s[16:17]
	s_cbranch_execz .LBB25_18
; %bb.17:
	v_lshl_add_u64 v[2:3], v[56:57], 2, v[2:3]
	flat_load_dword v10, v[2:3] offset:768
.LBB25_18:
	s_or_b64 exec, exec, s[10:11]
	v_or_b32_e32 v1, 4, v76
	v_cmp_gt_i32_e64 s[10:11], s22, v1
	s_xor_b64 s[16:17], s[8:9], -1
	s_and_b64 s[10:11], s[10:11], s[16:17]
	s_and_saveexec_b64 s[8:9], s[10:11]
	s_cbranch_execz .LBB25_20
; %bb.19:
	v_mad_i64_i32 v[2:3], s[10:11], v9, s3, 0
	v_lshl_add_u64 v[2:3], v[2:3], 2, s[18:19]
	v_mov_b32_e32 v1, 0
	v_lshl_add_u64 v[2:3], v[2:3], 0, v[0:1]
	flat_load_dword v59, v[2:3] offset:16
.LBB25_20:
	s_or_b64 exec, exec, s[8:9]
	v_add_u32_e32 v1, 4, v79
	v_mad_u64_u32 v[2:3], s[10:11], s28, v1, 0
	v_mov_b32_e32 v12, v3
	v_mad_u64_u32 v[12:13], s[10:11], s29, v1, v[12:13]
	v_cmp_le_i32_e64 s[8:9], s22, v1
	v_mov_b32_e32 v3, v12
	v_lshl_add_u64 v[2:3], v[2:3], 2, s[26:27]
	s_nor_b64 s[36:37], vcc, s[8:9]
	v_mov_b32_e32 v60, 0x7f7fffff
	v_mov_b32_e32 v61, 0x7f7fffff
	s_and_saveexec_b64 s[10:11], s[36:37]
	s_cbranch_execz .LBB25_22
; %bb.21:
	v_lshl_add_u64 v[12:13], v[56:57], 2, v[2:3]
	flat_load_dword v61, v[12:13]
.LBB25_22:
	s_or_b64 exec, exec, s[10:11]
	s_nor_b64 s[36:37], s[12:13], s[8:9]
	s_and_saveexec_b64 s[10:11], s[36:37]
	s_cbranch_execz .LBB25_24
; %bb.23:
	v_lshl_add_u64 v[12:13], v[56:57], 2, v[2:3]
	flat_load_dword v60, v[12:13] offset:256
.LBB25_24:
	s_or_b64 exec, exec, s[10:11]
	s_nor_b64 s[36:37], s[4:5], s[8:9]
	v_mov_b32_e32 v62, 0x7f7fffff
	v_mov_b32_e32 v63, 0x7f7fffff
	s_and_saveexec_b64 s[10:11], s[36:37]
	s_cbranch_execz .LBB25_26
; %bb.25:
	v_lshl_add_u64 v[12:13], v[56:57], 2, v[2:3]
	flat_load_dword v63, v[12:13] offset:512
.LBB25_26:
	s_or_b64 exec, exec, s[10:11]
	s_nor_b64 s[10:11], s[6:7], s[8:9]
	s_and_saveexec_b64 s[8:9], s[10:11]
	s_cbranch_execz .LBB25_28
; %bb.27:
	v_lshl_add_u64 v[2:3], v[56:57], 2, v[2:3]
	flat_load_dword v62, v[2:3] offset:768
.LBB25_28:
	s_or_b64 exec, exec, s[8:9]
	v_lshl_or_b32 v64, v58, 4, v0
	v_lshlrev_b32_e32 v0, 4, v6
	v_lshl_add_u32 v80, v79, 2, v0
	v_lshlrev_b32_e32 v78, 4, v74
	s_load_dwordx2 s[10:11], s[30:31], 0x0
	s_waitcnt vmcnt(0)
	ds_write_b32 v64, v5 offset:8192
	s_waitcnt lgkmcnt(0)
	ds_write2st64_b32 v80, v4, v8 offset1:4
	ds_write2st64_b32 v80, v7, v10 offset0:8 offset1:12
	s_waitcnt lgkmcnt(0)
	s_barrier
	v_lshlrev_b32_e32 v77, 4, v75
	ds_read_b128 v[28:31], v78 offset:8192
	ds_read_b128 v[24:27], v78 offset:8320
	;; [unrolled: 1-line block ×8, first 2 shown]
	ds_read_b128 v[52:55], v77
	ds_read_b128 v[48:51], v77 offset:512
	ds_read_b128 v[44:47], v77 offset:1024
	;; [unrolled: 1-line block ×5, first 2 shown]
	s_waitcnt lgkmcnt(5)
	v_pk_add_f32 v[66:67], v[28:29], v[52:53]
	s_mov_b32 s8, 0x7f7fffff
	v_min3_f32 v65, v66, v67, s8
	v_pk_add_f32 v[66:67], v[24:25], v[52:53]
	s_cmp_lt_i32 s22, 9
	v_min3_f32 v68, v66, v67, s8
	v_pk_add_f32 v[66:67], v[20:21], v[52:53]
	s_nop 0
	v_min3_f32 v69, v66, v67, s8
	v_pk_add_f32 v[66:67], v[16:17], v[52:53]
	s_nop 0
	v_min3_f32 v70, v66, v67, s8
	v_pk_add_f32 v[66:67], v[12:13], v[52:53]
	s_nop 0
	v_min3_f32 v71, v66, v67, s8
	v_pk_add_f32 v[66:67], v[8:9], v[52:53]
	s_nop 0
	v_min3_f32 v72, v66, v67, s8
	v_pk_add_f32 v[66:67], v[4:5], v[52:53]
	v_pk_add_f32 v[52:53], v[0:1], v[52:53]
	v_min3_f32 v66, v66, v67, s8
	v_min3_f32 v67, v52, v53, s8
	s_waitcnt lgkmcnt(4)
	v_pk_add_f32 v[52:53], v[28:29], v[48:49]
	s_nop 0
	v_min3_f32 v73, v52, v53, s8
	v_pk_add_f32 v[52:53], v[24:25], v[48:49]
	s_nop 0
	v_min3_f32 v81, v52, v53, s8
	v_pk_add_f32 v[52:53], v[20:21], v[48:49]
	s_nop 0
	v_min3_f32 v82, v52, v53, s8
	v_pk_add_f32 v[52:53], v[16:17], v[48:49]
	s_nop 0
	v_min3_f32 v83, v52, v53, s8
	v_pk_add_f32 v[52:53], v[12:13], v[48:49]
	s_nop 0
	v_min3_f32 v84, v52, v53, s8
	v_pk_add_f32 v[52:53], v[8:9], v[48:49]
	s_nop 0
	v_min3_f32 v85, v52, v53, s8
	v_pk_add_f32 v[52:53], v[4:5], v[48:49]
	v_pk_add_f32 v[48:49], v[0:1], v[48:49]
	v_min3_f32 v86, v52, v53, s8
	v_min3_f32 v87, v48, v49, s8
	s_waitcnt lgkmcnt(3)
	v_pk_add_f32 v[48:49], v[28:29], v[44:45]
	s_nop 0
	v_min3_f32 v88, v48, v49, s8
	v_pk_add_f32 v[48:49], v[24:25], v[44:45]
	s_nop 0
	;; [unrolled: 23-line block ×5, first 2 shown]
	v_min3_f32 v149, v36, v37, s8
	v_pk_add_f32 v[36:37], v[20:21], v[32:33]
	s_nop 0
	v_min3_f32 v150, v36, v37, s8
	v_pk_add_f32 v[36:37], v[16:17], v[32:33]
	s_nop 0
	;; [unrolled: 3-line block ×11, first 2 shown]
	v_min3_f32 v142, v36, v37, v66
	v_pk_add_f32 v[36:37], v[4:5], v[32:33]
	v_pk_add_f32 v[32:33], v[0:1], v[32:33]
	v_min3_f32 v65, v36, v37, s8
	v_min3_f32 v66, v32, v33, s8
	v_pk_add_f32 v[32:33], v[2:3], v[54:55]
	ds_read_b128 v[52:55], v77 offset:3072
	v_min3_f32 v141, v32, v33, v67
	v_pk_add_f32 v[32:33], v[30:31], v[50:51]
	s_nop 0
	v_min3_f32 v140, v32, v33, v73
	v_pk_add_f32 v[32:33], v[26:27], v[50:51]
	s_nop 0
	;; [unrolled: 3-line block ×7, first 2 shown]
	v_min3_f32 v131, v32, v33, v86
	v_pk_add_f32 v[32:33], v[2:3], v[50:51]
	ds_read_b128 v[48:51], v77 offset:3584
	v_min3_f32 v136, v32, v33, v87
	v_pk_add_f32 v[32:33], v[30:31], v[46:47]
	s_waitcnt lgkmcnt(1)
	v_pk_add_f32 v[36:37], v[28:29], v[52:53]
	v_min3_f32 v134, v32, v33, v88
	v_pk_add_f32 v[32:33], v[26:27], v[46:47]
	v_min3_f32 v67, v36, v37, s8
	v_min3_f32 v132, v32, v33, v89
	v_pk_add_f32 v[32:33], v[22:23], v[46:47]
	v_pk_add_f32 v[36:37], v[24:25], v[52:53]
	v_min3_f32 v130, v32, v33, v90
	v_pk_add_f32 v[32:33], v[18:19], v[46:47]
	v_min3_f32 v68, v36, v37, s8
	v_min3_f32 v129, v32, v33, v91
	v_pk_add_f32 v[32:33], v[14:15], v[46:47]
	v_pk_add_f32 v[36:37], v[12:13], v[52:53]
	v_min3_f32 v128, v32, v33, v92
	v_pk_add_f32 v[32:33], v[10:11], v[46:47]
	s_waitcnt lgkmcnt(0)
	v_pk_add_f32 v[28:29], v[28:29], v[48:49]
	v_min3_f32 v127, v32, v33, v93
	v_pk_add_f32 v[32:33], v[6:7], v[46:47]
	v_min3_f32 v28, v28, v29, s8
	v_min3_f32 v126, v32, v33, v94
	v_pk_add_f32 v[32:33], v[20:21], v[52:53]
	v_pk_add_f32 v[24:25], v[24:25], v[48:49]
	v_min3_f32 v69, v32, v33, s8
	v_pk_add_f32 v[32:33], v[16:17], v[52:53]
	v_pk_add_f32 v[12:13], v[12:13], v[48:49]
	v_min3_f32 v70, v32, v33, s8
	v_pk_add_f32 v[32:33], v[2:3], v[46:47]
	v_min3_f32 v46, v36, v37, s8
	v_min3_f32 v125, v32, v33, v95
	v_pk_add_f32 v[32:33], v[30:31], v[42:43]
	v_pk_add_f32 v[36:37], v[8:9], v[52:53]
	v_min3_f32 v124, v32, v33, v96
	v_pk_add_f32 v[32:33], v[26:27], v[42:43]
	v_min3_f32 v36, v36, v37, s8
	;; [unrolled: 6-line block ×3, first 2 shown]
	v_min3_f32 v120, v32, v33, v99
	v_pk_add_f32 v[32:33], v[14:15], v[42:43]
	v_pk_add_f32 v[24:25], v[30:31], v[34:35]
	v_min3_f32 v119, v32, v33, v100
	v_pk_add_f32 v[32:33], v[10:11], v[42:43]
	v_pk_add_f32 v[20:21], v[20:21], v[48:49]
	v_min3_f32 v118, v32, v33, v101
	v_pk_add_f32 v[32:33], v[6:7], v[42:43]
	v_min3_f32 v12, v12, v13, s8
	v_min3_f32 v117, v32, v33, v44
	v_pk_add_f32 v[32:33], v[4:5], v[52:53]
	v_pk_add_f32 v[4:5], v[4:5], v[48:49]
	v_min3_f32 v37, v32, v33, s8
	v_pk_add_f32 v[32:33], v[0:1], v[52:53]
	v_pk_add_f32 v[0:1], v[0:1], v[48:49]
	v_min3_f32 v44, v32, v33, s8
	v_pk_add_f32 v[32:33], v[2:3], v[42:43]
	v_min3_f32 v4, v4, v5, s8
	v_min3_f32 v116, v32, v33, v45
	v_pk_add_f32 v[32:33], v[30:31], v[38:39]
	v_min3_f32 v5, v0, v1, s8
	v_min3_f32 v115, v32, v33, v102
	v_pk_add_f32 v[32:33], v[26:27], v[38:39]
	v_pk_add_f32 v[0:1], v[2:3], v[54:55]
	v_min3_f32 v114, v32, v33, v103
	v_pk_add_f32 v[32:33], v[22:23], v[38:39]
	v_min3_f32 v92, v0, v1, v44
	v_min3_f32 v113, v32, v33, v104
	v_pk_add_f32 v[32:33], v[18:19], v[38:39]
	v_pk_add_f32 v[0:1], v[30:31], v[50:51]
	v_min3_f32 v112, v32, v33, v105
	v_pk_add_f32 v[32:33], v[14:15], v[38:39]
	v_min3_f32 v13, v8, v9, s8
	v_min3_f32 v111, v32, v33, v106
	v_pk_add_f32 v[32:33], v[10:11], v[38:39]
	v_pk_add_f32 v[8:9], v[30:31], v[54:55]
	v_min3_f32 v91, v0, v1, v28
	v_pk_add_f32 v[0:1], v[26:27], v[50:51]
	v_min3_f32 v110, v32, v33, v107
	v_min3_f32 v107, v24, v25, v123
	v_pk_add_f32 v[24:25], v[26:27], v[34:35]
	v_min3_f32 v20, v20, v21, s8
	v_pk_add_f32 v[16:17], v[16:17], v[48:49]
	;; [unrolled: 2-line block ×5, first 2 shown]
	v_min3_f32 v21, v16, v17, s8
	v_min3_f32 v98, v8, v9, v68
	v_pk_add_f32 v[8:9], v[22:23], v[54:55]
	v_min3_f32 v89, v0, v1, v20
	v_pk_add_f32 v[0:1], v[18:19], v[50:51]
	;; [unrolled: 2-line block ×8, first 2 shown]
	v_pk_add_f32 v[32:33], v[6:7], v[38:39]
	v_min3_f32 v103, v24, v25, v152
	v_pk_add_f32 v[24:25], v[10:11], v[34:35]
	v_min3_f32 v95, v8, v9, v46
	;; [unrolled: 2-line block ×5, first 2 shown]
	v_pk_add_f32 v[24:25], v[6:7], v[34:35]
	v_pk_add_f32 v[16:17], v[2:3], v[34:35]
	v_min3_f32 v94, v8, v9, v36
	v_pk_add_f32 v[8:9], v[6:7], v[54:55]
	v_min3_f32 v84, v0, v1, v4
	;; [unrolled: 2-line block ×3, first 2 shown]
	v_min3_f32 v101, v24, v25, v65
	v_min3_f32 v100, v16, v17, v66
	;; [unrolled: 1-line block ×4, first 2 shown]
	ds_write_b32 v64, v59 offset:9216
	ds_write2st64_b32 v80, v61, v60 offset0:16 offset1:20
	ds_write2st64_b32 v80, v63, v62 offset0:24 offset1:28
	s_waitcnt lgkmcnt(0)
	s_barrier
	s_cbranch_scc1 .LBB25_51
; %bb.29:
	v_mov_b32_e32 v0, 0x2400
	v_lshl_add_u32 v149, v74, 4, v0
	v_mov_b32_e32 v0, 0x1000
	v_lshl_add_u32 v150, v75, 4, v0
	v_lshl_add_u32 v0, s2, 6, v58
	s_lshl_b32 s2, s23, 6
	v_subrev_u32_e32 v0, s2, v0
	v_and_b32_e32 v2, 3, v74
	v_mad_i64_i32 v[0:1], s[2:3], s3, v0, 0
	v_lshlrev_b32_e32 v2, 2, v2
	v_mov_b32_e32 v3, 0
	v_lshl_add_u64 v[0:1], v[0:1], 2, v[2:3]
	v_lshl_add_u64 v[0:1], s[18:19], 0, v[0:1]
	v_add_u32_e32 v81, 0x2000, v64
	v_add_u32_e32 v83, 0x2400, v64
	v_lshl_add_u64 v[64:65], v[0:1], 0, 32
	v_add_u32_e32 v0, 8, v79
	v_mad_i64_i32 v[0:1], s[2:3], v0, s28, 0
	v_lshlrev_b64 v[66:67], 2, v[0:1]
	v_add_u32_e32 v0, 12, v79
	v_mad_i64_i32 v[0:1], s[2:3], v0, s28, 0
	v_add_u32_e32 v82, 0x2000, v78
	v_add_u32_e32 v123, 0x1000, v80
	s_add_i32 s30, s22, -8
	v_lshl_add_u64 v[68:69], v[56:57], 2, s[26:27]
	s_lshl_b64 s[18:19], s[28:29], 5
	v_lshlrev_b64 v[70:71], 2, v[0:1]
	s_mov_b32 s23, 0
	s_branch .LBB25_31
.LBB25_30:                              ;   in Loop: Header=BB25_31 Depth=1
	s_or_b64 exec, exec, s[2:3]
	v_pk_add_f32 v[72:73], v[28:29], v[60:61]
	s_add_i32 s23, s23, 8
	v_min3_f32 v148, v72, v73, v148
	v_pk_add_f32 v[72:73], v[24:25], v[60:61]
	v_lshl_add_u64 v[64:65], v[64:65], 0, 32
	v_min3_f32 v147, v72, v73, v147
	v_pk_add_f32 v[72:73], v[20:21], v[60:61]
	s_cmp_ge_i32 s23, s30
	v_min3_f32 v146, v72, v73, v146
	v_pk_add_f32 v[72:73], v[16:17], v[60:61]
	v_lshl_add_u64 v[68:69], v[68:69], 0, s[18:19]
	v_min3_f32 v145, v72, v73, v145
	v_pk_add_f32 v[72:73], v[12:13], v[60:61]
	s_nop 0
	v_min3_f32 v144, v72, v73, v144
	v_pk_add_f32 v[72:73], v[8:9], v[60:61]
	s_nop 0
	v_min3_f32 v143, v72, v73, v143
	v_pk_add_f32 v[72:73], v[4:5], v[60:61]
	v_pk_add_f32 v[60:61], v[0:1], v[60:61]
	v_min3_f32 v72, v72, v73, v142
	v_min3_f32 v73, v60, v61, v141
	v_pk_add_f32 v[60:61], v[28:29], v[56:57]
	s_nop 0
	v_min3_f32 v140, v60, v61, v140
	v_pk_add_f32 v[60:61], v[24:25], v[56:57]
	s_nop 0
	v_min3_f32 v139, v60, v61, v139
	v_pk_add_f32 v[60:61], v[20:21], v[56:57]
	s_nop 0
	v_min3_f32 v138, v60, v61, v138
	v_pk_add_f32 v[60:61], v[16:17], v[56:57]
	s_nop 0
	v_min3_f32 v137, v60, v61, v137
	v_pk_add_f32 v[60:61], v[12:13], v[56:57]
	s_nop 0
	v_min3_f32 v135, v60, v61, v135
	v_pk_add_f32 v[60:61], v[8:9], v[56:57]
	s_nop 0
	v_min3_f32 v133, v60, v61, v133
	v_pk_add_f32 v[60:61], v[4:5], v[56:57]
	v_pk_add_f32 v[56:57], v[0:1], v[56:57]
	v_min3_f32 v60, v60, v61, v131
	v_min3_f32 v61, v56, v57, v136
	v_pk_add_f32 v[56:57], v[28:29], v[52:53]
	s_nop 0
	v_min3_f32 v131, v56, v57, v134
	v_pk_add_f32 v[56:57], v[24:25], v[52:53]
	s_nop 0
	v_min3_f32 v132, v56, v57, v132
	v_pk_add_f32 v[56:57], v[20:21], v[52:53]
	s_nop 0
	v_min3_f32 v130, v56, v57, v130
	v_pk_add_f32 v[56:57], v[16:17], v[52:53]
	s_nop 0
	;; [unrolled: 22-line block ×5, first 2 shown]
	v_min3_f32 v104, v44, v45, v104
	v_pk_add_f32 v[44:45], v[12:13], v[40:41]
	s_nop 0
	v_min3_f32 v103, v44, v45, v103
	v_pk_add_f32 v[44:45], v[8:9], v[40:41]
	s_nop 0
	v_min3_f32 v102, v44, v45, v102
	v_pk_add_f32 v[44:45], v[4:5], v[40:41]
	v_pk_add_f32 v[40:41], v[0:1], v[40:41]
	v_min3_f32 v44, v44, v45, v101
	v_min3_f32 v45, v40, v41, v100
	v_pk_add_f32 v[40:41], v[28:29], v[36:37]
	v_pk_add_f32 v[28:29], v[28:29], v[32:33]
	v_min3_f32 v99, v40, v41, v99
	v_pk_add_f32 v[40:41], v[24:25], v[36:37]
	v_pk_add_f32 v[24:25], v[24:25], v[32:33]
	;; [unrolled: 3-line block ×7, first 2 shown]
	v_pk_add_f32 v[4:5], v[4:5], v[32:33]
	v_pk_add_f32 v[0:1], v[0:1], v[32:33]
	v_min3_f32 v4, v4, v5, v84
	v_min3_f32 v5, v0, v1, v88
	v_pk_add_f32 v[0:1], v[30:31], v[62:63]
	v_min3_f32 v8, v8, v9, v85
	v_min3_f32 v84, v0, v1, v148
	;; [unrolled: 3-line block ×9, first 2 shown]
	v_pk_add_f32 v[0:1], v[30:31], v[58:59]
	s_nop 0
	v_min3_f32 v92, v0, v1, v140
	v_pk_add_f32 v[0:1], v[26:27], v[58:59]
	s_nop 0
	v_min3_f32 v93, v0, v1, v139
	;; [unrolled: 3-line block ×56, first 2 shown]
	ds_read_b128 v[0:3], v82
	ds_read_b128 v[4:7], v82 offset:128
	ds_read_b128 v[8:11], v82 offset:256
	;; [unrolled: 1-line block ×7, first 2 shown]
	ds_read_b128 v[36:39], v77
	ds_read_b128 v[40:43], v77 offset:512
	ds_read_b128 v[44:47], v77 offset:1024
	;; [unrolled: 1-line block ×7, first 2 shown]
	s_waitcnt lgkmcnt(0)
	v_pk_add_f32 v[72:73], v[0:1], v[36:37]
	s_waitcnt vmcnt(0)
	ds_write_b32 v83, v151
	ds_write2st64_b32 v123, v153, v152 offset1:4
	ds_write2st64_b32 v123, v155, v154 offset0:8 offset1:12
	v_min3_f32 v84, v72, v73, v84
	v_pk_add_f32 v[72:73], v[4:5], v[36:37]
	s_waitcnt lgkmcnt(0)
	v_min3_f32 v85, v72, v73, v85
	v_pk_add_f32 v[72:73], v[8:9], v[36:37]
	s_barrier
	v_min3_f32 v86, v72, v73, v86
	v_pk_add_f32 v[72:73], v[12:13], v[36:37]
	s_nop 0
	v_min3_f32 v87, v72, v73, v87
	v_pk_add_f32 v[72:73], v[16:17], v[36:37]
	s_nop 0
	;; [unrolled: 3-line block ×3, first 2 shown]
	v_min3_f32 v89, v72, v73, v89
	v_pk_add_f32 v[72:73], v[24:25], v[36:37]
	v_pk_add_f32 v[36:37], v[28:29], v[36:37]
	v_min3_f32 v72, v72, v73, v90
	v_min3_f32 v73, v36, v37, v91
	v_pk_add_f32 v[36:37], v[0:1], v[40:41]
	s_nop 0
	v_min3_f32 v90, v36, v37, v92
	v_pk_add_f32 v[36:37], v[4:5], v[40:41]
	s_nop 0
	;; [unrolled: 3-line block ×40, first 2 shown]
	v_min3_f32 v56, v36, v37, v138
	v_pk_add_f32 v[36:37], v[0:1], v[60:61]
	v_pk_add_f32 v[0:1], v[0:1], v[32:33]
	v_min3_f32 v57, v36, v37, v99
	v_pk_add_f32 v[36:37], v[4:5], v[60:61]
	s_nop 0
	v_min3_f32 v98, v36, v37, v98
	v_pk_add_f32 v[36:37], v[8:9], v[60:61]
	s_nop 0
	;; [unrolled: 3-line block ×7, first 2 shown]
	v_min3_f32 v36, v36, v37, v140
	v_min3_f32 v37, v0, v1, v141
	v_pk_add_f32 v[0:1], v[4:5], v[32:33]
	s_nop 0
	v_min3_f32 v4, v0, v1, v142
	v_pk_add_f32 v[0:1], v[8:9], v[32:33]
	s_nop 0
	;; [unrolled: 3-line block ×71, first 2 shown]
	v_min3_f32 v88, v0, v1, v16
	s_cbranch_scc1 .LBB25_51
.LBB25_31:                              ; =>This Inner Loop Header: Depth=1
	v_add_u32_e32 v72, s23, v76
	v_add_u32_e32 v0, 8, v72
	v_cmp_gt_i32_e64 s[2:3], s22, v0
	s_and_b64 s[8:9], s[2:3], s[16:17]
	v_mov_b32_e32 v152, 0x7f7fffff
	v_mov_b32_e32 v153, 0x7f7fffff
	s_and_saveexec_b64 s[2:3], s[8:9]
	s_cbranch_execz .LBB25_33
; %bb.32:                               ;   in Loop: Header=BB25_31 Depth=1
	flat_load_dword v153, v[64:65]
.LBB25_33:                              ;   in Loop: Header=BB25_31 Depth=1
	s_or_b64 exec, exec, s[2:3]
	v_add_u32_e32 v73, s23, v79
	v_add_u32_e32 v0, 8, v73
	v_cmp_le_i32_e64 s[8:9], s22, v0
	s_nor_b64 s[26:27], vcc, s[8:9]
	v_lshl_add_u64 v[0:1], v[68:69], 0, v[66:67]
	s_and_saveexec_b64 s[2:3], s[26:27]
	s_cbranch_execz .LBB25_35
; %bb.34:                               ;   in Loop: Header=BB25_31 Depth=1
	flat_load_dword v152, v[0:1]
.LBB25_35:                              ;   in Loop: Header=BB25_31 Depth=1
	s_or_b64 exec, exec, s[2:3]
	s_nor_b64 s[26:27], s[12:13], s[8:9]
	v_mov_b32_e32 v154, 0x7f7fffff
	v_mov_b32_e32 v155, 0x7f7fffff
	s_and_saveexec_b64 s[2:3], s[26:27]
	s_cbranch_execz .LBB25_37
; %bb.36:                               ;   in Loop: Header=BB25_31 Depth=1
	flat_load_dword v155, v[0:1] offset:256
.LBB25_37:                              ;   in Loop: Header=BB25_31 Depth=1
	s_or_b64 exec, exec, s[2:3]
	s_nor_b64 s[26:27], s[4:5], s[8:9]
	s_and_saveexec_b64 s[2:3], s[26:27]
	s_cbranch_execz .LBB25_39
; %bb.38:                               ;   in Loop: Header=BB25_31 Depth=1
	flat_load_dword v154, v[0:1] offset:512
.LBB25_39:                              ;   in Loop: Header=BB25_31 Depth=1
	s_or_b64 exec, exec, s[2:3]
	s_nor_b64 s[8:9], s[6:7], s[8:9]
	v_mov_b32_e32 v151, 0x7f7fffff
	v_mov_b32_e32 v156, 0x7f7fffff
	s_and_saveexec_b64 s[2:3], s[8:9]
	s_cbranch_execz .LBB25_41
; %bb.40:                               ;   in Loop: Header=BB25_31 Depth=1
	flat_load_dword v156, v[0:1] offset:768
.LBB25_41:                              ;   in Loop: Header=BB25_31 Depth=1
	s_or_b64 exec, exec, s[2:3]
	ds_read_b128 v[28:31], v149
	ds_read_b128 v[24:27], v149 offset:128
	ds_read_b128 v[20:23], v149 offset:256
	;; [unrolled: 1-line block ×7, first 2 shown]
	ds_read_b128 v[60:63], v150
	ds_read_b128 v[56:59], v150 offset:512
	ds_read_b128 v[52:55], v150 offset:1024
	;; [unrolled: 1-line block ×7, first 2 shown]
	v_add_u32_e32 v72, 12, v72
	v_cmp_gt_i32_e64 s[2:3], s22, v72
	s_and_b64 s[8:9], s[2:3], s[16:17]
	s_waitcnt vmcnt(0) lgkmcnt(0)
	ds_write_b32 v81, v153
	ds_write2st64_b32 v80, v152, v155 offset1:4
	ds_write2st64_b32 v80, v154, v156 offset0:8 offset1:12
	s_waitcnt lgkmcnt(0)
	s_barrier
	s_and_saveexec_b64 s[2:3], s[8:9]
	s_cbranch_execz .LBB25_43
; %bb.42:                               ;   in Loop: Header=BB25_31 Depth=1
	flat_load_dword v151, v[64:65] offset:16
.LBB25_43:                              ;   in Loop: Header=BB25_31 Depth=1
	s_or_b64 exec, exec, s[2:3]
	v_add_u32_e32 v72, 12, v73
	v_cmp_le_i32_e64 s[8:9], s22, v72
	s_nor_b64 s[26:27], vcc, s[8:9]
	v_mov_b32_e32 v152, 0x7f7fffff
	v_lshl_add_u64 v[72:73], v[68:69], 0, v[70:71]
	v_mov_b32_e32 v153, 0x7f7fffff
	s_and_saveexec_b64 s[2:3], s[26:27]
	s_cbranch_execz .LBB25_45
; %bb.44:                               ;   in Loop: Header=BB25_31 Depth=1
	flat_load_dword v153, v[72:73]
.LBB25_45:                              ;   in Loop: Header=BB25_31 Depth=1
	s_or_b64 exec, exec, s[2:3]
	s_nor_b64 s[26:27], s[12:13], s[8:9]
	s_and_saveexec_b64 s[2:3], s[26:27]
	s_cbranch_execz .LBB25_47
; %bb.46:                               ;   in Loop: Header=BB25_31 Depth=1
	flat_load_dword v152, v[72:73] offset:256
.LBB25_47:                              ;   in Loop: Header=BB25_31 Depth=1
	s_or_b64 exec, exec, s[2:3]
	s_nor_b64 s[26:27], s[4:5], s[8:9]
	v_mov_b32_e32 v154, 0x7f7fffff
	v_mov_b32_e32 v155, 0x7f7fffff
	s_and_saveexec_b64 s[2:3], s[26:27]
	s_cbranch_execz .LBB25_49
; %bb.48:                               ;   in Loop: Header=BB25_31 Depth=1
	flat_load_dword v155, v[72:73] offset:512
.LBB25_49:                              ;   in Loop: Header=BB25_31 Depth=1
	s_or_b64 exec, exec, s[2:3]
	s_nor_b64 s[8:9], s[6:7], s[8:9]
	s_and_saveexec_b64 s[2:3], s[8:9]
	s_cbranch_execz .LBB25_30
; %bb.50:                               ;   in Loop: Header=BB25_31 Depth=1
	flat_load_dword v154, v[72:73] offset:768
	s_branch .LBB25_30
.LBB25_51:
	s_load_dwordx2 s[2:3], s[0:1], 0x70
	s_load_dword s29, s[0:1], 0x50
	s_load_dword s28, s[0:1], 0x68
	ds_read_b128 v[32:35], v78 offset:9216
	ds_read_b128 v[28:31], v78 offset:9344
	;; [unrolled: 1-line block ×16, first 2 shown]
	s_waitcnt lgkmcnt(0)
	s_lshl_b64 s[0:1], s[2:3], 2
	s_add_u32 s22, s10, s0
	v_add_u32_e32 v123, s35, v75
	s_addc_u32 s23, s11, s1
	v_mad_i64_i32 v[66:67], s[0:1], v123, s29, 0
	v_add_u32_e32 v64, s34, v74
	v_lshl_add_u64 v[82:83], v[66:67], 2, s[24:25]
	v_mad_i64_i32 v[66:67], s[0:1], v123, s28, 0
	v_cmp_gt_i32_e64 s[18:19], s21, v123
	v_lshl_add_u64 v[80:81], v[66:67], 2, s[22:23]
	v_cmp_gt_i32_e64 s[2:3], s20, v64
	v_cndmask_b32_e64 v66, 0, 1, s[14:15]
	s_and_b64 s[6:7], s[2:3], s[18:19]
	v_ashrrev_i32_e32 v65, 31, v64
	v_cmp_ne_u32_e64 s[0:1], 1, v66
	s_and_saveexec_b64 s[4:5], s[6:7]
	s_cbranch_execz .LBB25_56
; %bb.52:
	s_and_b64 vcc, exec, s[0:1]
	s_cbranch_vccnz .LBB25_54
; %bb.53:
	v_lshl_add_u64 v[66:67], v[64:65], 2, v[82:83]
	flat_load_dword v66, v[66:67]
	s_waitcnt vmcnt(0) lgkmcnt(0)
	v_mul_f32_e32 v66, s33, v66
	s_branch .LBB25_55
.LBB25_54:
	v_mov_b32_e32 v66, 0
.LBB25_55:
	v_pk_add_f32 v[68:69], v[32:33], v[60:61]
	s_nop 0
	v_min3_f32 v67, v68, v69, v148
	v_pk_add_f32 v[68:69], v[34:35], v[62:63]
	s_nop 0
	v_min_f32_e32 v68, v68, v69
	v_min3_f32 v68, v66, v68, v67
	v_lshl_add_u64 v[66:67], v[64:65], 2, v[80:81]
	flat_store_dword v[66:67], v68
.LBB25_56:
	s_or_b64 exec, exec, s[4:5]
	v_add_u32_e32 v66, 8, v64
	v_cmp_gt_i32_e64 s[4:5], s20, v66
	s_and_b64 s[8:9], s[4:5], s[18:19]
	v_ashrrev_i32_e32 v67, 31, v66
	s_and_saveexec_b64 s[6:7], s[8:9]
	s_cbranch_execz .LBB25_61
; %bb.57:
	s_and_b64 vcc, exec, s[0:1]
	s_cbranch_vccnz .LBB25_59
; %bb.58:
	v_lshl_add_u64 v[68:69], v[66:67], 2, v[82:83]
	flat_load_dword v68, v[68:69]
	s_waitcnt vmcnt(0) lgkmcnt(0)
	v_mul_f32_e32 v68, s33, v68
	s_branch .LBB25_60
.LBB25_59:
	v_mov_b32_e32 v68, 0
.LBB25_60:
	v_pk_add_f32 v[70:71], v[28:29], v[60:61]
	s_nop 0
	v_min3_f32 v69, v70, v71, v147
	v_pk_add_f32 v[70:71], v[30:31], v[62:63]
	s_nop 0
	v_min_f32_e32 v70, v70, v71
	v_min3_f32 v70, v68, v70, v69
	v_lshl_add_u64 v[68:69], v[66:67], 2, v[80:81]
	flat_store_dword v[68:69], v70
.LBB25_61:
	s_or_b64 exec, exec, s[6:7]
	v_add_u32_e32 v68, 16, v64
	v_cmp_gt_i32_e64 s[6:7], s20, v68
	s_and_b64 s[10:11], s[6:7], s[18:19]
	v_ashrrev_i32_e32 v69, 31, v68
	;; [unrolled: 29-line block ×7, first 2 shown]
	s_and_saveexec_b64 s[18:19], s[26:27]
	s_cbranch_execz .LBB25_91
; %bb.87:
	s_and_b64 vcc, exec, s[0:1]
	s_cbranch_vccnz .LBB25_89
; %bb.88:
	v_lshl_add_u64 v[82:83], v[78:79], 2, v[82:83]
	flat_load_dword v82, v[82:83]
	s_waitcnt vmcnt(0) lgkmcnt(0)
	v_mul_f32_e32 v82, s33, v82
	s_branch .LBB25_90
.LBB25_89:
	v_mov_b32_e32 v82, 0
.LBB25_90:
	v_pk_add_f32 v[60:61], v[0:1], v[60:61]
	s_nop 0
	v_min3_f32 v83, v60, v61, v141
	v_pk_add_f32 v[60:61], v[2:3], v[62:63]
	s_nop 0
	v_min_f32_e32 v60, v60, v61
	v_min3_f32 v62, v82, v60, v83
	v_lshl_add_u64 v[60:61], v[78:79], 2, v[80:81]
	flat_store_dword v[60:61], v62
.LBB25_91:
	s_or_b64 exec, exec, s[18:19]
	v_add_u32_e32 v80, 32, v123
	v_mad_i64_i32 v[60:61], s[26:27], v80, s29, 0
	v_cmp_gt_i32_e64 s[18:19], s21, v80
	v_lshl_add_u64 v[62:63], v[60:61], 2, s[24:25]
	v_mad_i64_i32 v[60:61], s[26:27], v80, s28, 0
	v_lshl_add_u64 v[60:61], v[60:61], 2, s[22:23]
	s_and_b64 s[30:31], s[2:3], s[18:19]
	s_and_saveexec_b64 s[26:27], s[30:31]
	s_cbranch_execnz .LBB25_99
; %bb.92:
	s_or_b64 exec, exec, s[26:27]
	s_and_b64 s[30:31], s[4:5], s[18:19]
	s_and_saveexec_b64 s[26:27], s[30:31]
	s_cbranch_execnz .LBB25_103
.LBB25_93:
	s_or_b64 exec, exec, s[26:27]
	s_and_b64 s[30:31], s[6:7], s[18:19]
	s_and_saveexec_b64 s[26:27], s[30:31]
	s_cbranch_execnz .LBB25_107
.LBB25_94:
	s_or_b64 exec, exec, s[26:27]
	s_and_b64 s[30:31], s[8:9], s[18:19]
	s_and_saveexec_b64 s[26:27], s[30:31]
	s_cbranch_execnz .LBB25_111
.LBB25_95:
	s_or_b64 exec, exec, s[26:27]
	s_and_b64 s[30:31], s[10:11], s[18:19]
	s_and_saveexec_b64 s[26:27], s[30:31]
	s_cbranch_execnz .LBB25_115
.LBB25_96:
	s_or_b64 exec, exec, s[26:27]
	s_and_b64 s[30:31], s[12:13], s[18:19]
	s_and_saveexec_b64 s[26:27], s[30:31]
	s_cbranch_execnz .LBB25_119
.LBB25_97:
	s_or_b64 exec, exec, s[26:27]
	s_and_b64 s[30:31], s[14:15], s[18:19]
	s_and_saveexec_b64 s[26:27], s[30:31]
	s_cbranch_execnz .LBB25_123
.LBB25_98:
	s_or_b64 exec, exec, s[26:27]
	s_and_b64 s[26:27], s[16:17], s[18:19]
	s_and_saveexec_b64 s[18:19], s[26:27]
	s_cbranch_execnz .LBB25_127
	s_branch .LBB25_131
.LBB25_99:
	s_and_b64 vcc, exec, s[0:1]
	s_cbranch_vccnz .LBB25_101
; %bb.100:
	v_lshl_add_u64 v[80:81], v[64:65], 2, v[62:63]
	flat_load_dword v80, v[80:81]
	s_waitcnt vmcnt(0) lgkmcnt(0)
	v_mul_f32_e32 v80, s33, v80
	s_branch .LBB25_102
.LBB25_101:
	v_mov_b32_e32 v80, 0
.LBB25_102:
	v_pk_add_f32 v[82:83], v[32:33], v[56:57]
	s_nop 0
	v_min3_f32 v81, v82, v83, v140
	v_pk_add_f32 v[82:83], v[34:35], v[58:59]
	s_nop 0
	v_min_f32_e32 v82, v82, v83
	v_min3_f32 v82, v80, v82, v81
	v_lshl_add_u64 v[80:81], v[64:65], 2, v[60:61]
	flat_store_dword v[80:81], v82
	s_or_b64 exec, exec, s[26:27]
	s_and_b64 s[30:31], s[4:5], s[18:19]
	s_and_saveexec_b64 s[26:27], s[30:31]
	s_cbranch_execz .LBB25_93
.LBB25_103:
	s_and_b64 vcc, exec, s[0:1]
	s_cbranch_vccnz .LBB25_105
; %bb.104:
	v_lshl_add_u64 v[80:81], v[66:67], 2, v[62:63]
	flat_load_dword v80, v[80:81]
	s_waitcnt vmcnt(0) lgkmcnt(0)
	v_mul_f32_e32 v80, s33, v80
	s_branch .LBB25_106
.LBB25_105:
	v_mov_b32_e32 v80, 0
.LBB25_106:
	v_pk_add_f32 v[82:83], v[28:29], v[56:57]
	s_nop 0
	v_min3_f32 v81, v82, v83, v139
	v_pk_add_f32 v[82:83], v[30:31], v[58:59]
	s_nop 0
	v_min_f32_e32 v82, v82, v83
	v_min3_f32 v82, v80, v82, v81
	v_lshl_add_u64 v[80:81], v[66:67], 2, v[60:61]
	flat_store_dword v[80:81], v82
	s_or_b64 exec, exec, s[26:27]
	s_and_b64 s[30:31], s[6:7], s[18:19]
	s_and_saveexec_b64 s[26:27], s[30:31]
	s_cbranch_execz .LBB25_94
.LBB25_107:
	s_and_b64 vcc, exec, s[0:1]
	s_cbranch_vccnz .LBB25_109
; %bb.108:
	v_lshl_add_u64 v[80:81], v[68:69], 2, v[62:63]
	flat_load_dword v80, v[80:81]
	s_waitcnt vmcnt(0) lgkmcnt(0)
	v_mul_f32_e32 v80, s33, v80
	s_branch .LBB25_110
.LBB25_109:
	v_mov_b32_e32 v80, 0
.LBB25_110:
	v_pk_add_f32 v[82:83], v[24:25], v[56:57]
	s_nop 0
	v_min3_f32 v81, v82, v83, v138
	v_pk_add_f32 v[82:83], v[26:27], v[58:59]
	s_nop 0
	v_min_f32_e32 v82, v82, v83
	v_min3_f32 v82, v80, v82, v81
	v_lshl_add_u64 v[80:81], v[68:69], 2, v[60:61]
	flat_store_dword v[80:81], v82
	s_or_b64 exec, exec, s[26:27]
	s_and_b64 s[30:31], s[8:9], s[18:19]
	s_and_saveexec_b64 s[26:27], s[30:31]
	s_cbranch_execz .LBB25_95
.LBB25_111:
	s_and_b64 vcc, exec, s[0:1]
	s_cbranch_vccnz .LBB25_113
; %bb.112:
	v_lshl_add_u64 v[80:81], v[70:71], 2, v[62:63]
	flat_load_dword v80, v[80:81]
	s_waitcnt vmcnt(0) lgkmcnt(0)
	v_mul_f32_e32 v80, s33, v80
	s_branch .LBB25_114
.LBB25_113:
	v_mov_b32_e32 v80, 0
.LBB25_114:
	v_pk_add_f32 v[82:83], v[20:21], v[56:57]
	s_nop 0
	v_min3_f32 v81, v82, v83, v137
	v_pk_add_f32 v[82:83], v[22:23], v[58:59]
	s_nop 0
	v_min_f32_e32 v82, v82, v83
	v_min3_f32 v82, v80, v82, v81
	v_lshl_add_u64 v[80:81], v[70:71], 2, v[60:61]
	flat_store_dword v[80:81], v82
	s_or_b64 exec, exec, s[26:27]
	s_and_b64 s[30:31], s[10:11], s[18:19]
	s_and_saveexec_b64 s[26:27], s[30:31]
	s_cbranch_execz .LBB25_96
.LBB25_115:
	s_and_b64 vcc, exec, s[0:1]
	s_cbranch_vccnz .LBB25_117
; %bb.116:
	v_lshl_add_u64 v[80:81], v[72:73], 2, v[62:63]
	flat_load_dword v80, v[80:81]
	s_waitcnt vmcnt(0) lgkmcnt(0)
	v_mul_f32_e32 v80, s33, v80
	s_branch .LBB25_118
.LBB25_117:
	v_mov_b32_e32 v80, 0
.LBB25_118:
	v_pk_add_f32 v[82:83], v[16:17], v[56:57]
	s_nop 0
	v_min3_f32 v81, v82, v83, v135
	v_pk_add_f32 v[82:83], v[18:19], v[58:59]
	s_nop 0
	v_min_f32_e32 v82, v82, v83
	v_min3_f32 v82, v80, v82, v81
	v_lshl_add_u64 v[80:81], v[72:73], 2, v[60:61]
	flat_store_dword v[80:81], v82
	s_or_b64 exec, exec, s[26:27]
	s_and_b64 s[30:31], s[12:13], s[18:19]
	s_and_saveexec_b64 s[26:27], s[30:31]
	s_cbranch_execz .LBB25_97
.LBB25_119:
	s_and_b64 vcc, exec, s[0:1]
	s_cbranch_vccnz .LBB25_121
; %bb.120:
	v_lshl_add_u64 v[80:81], v[74:75], 2, v[62:63]
	flat_load_dword v80, v[80:81]
	s_waitcnt vmcnt(0) lgkmcnt(0)
	v_mul_f32_e32 v80, s33, v80
	s_branch .LBB25_122
.LBB25_121:
	v_mov_b32_e32 v80, 0
.LBB25_122:
	v_pk_add_f32 v[82:83], v[12:13], v[56:57]
	s_nop 0
	v_min3_f32 v81, v82, v83, v133
	v_pk_add_f32 v[82:83], v[14:15], v[58:59]
	s_nop 0
	v_min_f32_e32 v82, v82, v83
	v_min3_f32 v82, v80, v82, v81
	v_lshl_add_u64 v[80:81], v[74:75], 2, v[60:61]
	flat_store_dword v[80:81], v82
	s_or_b64 exec, exec, s[26:27]
	s_and_b64 s[30:31], s[14:15], s[18:19]
	s_and_saveexec_b64 s[26:27], s[30:31]
	s_cbranch_execz .LBB25_98
.LBB25_123:
	s_and_b64 vcc, exec, s[0:1]
	s_cbranch_vccnz .LBB25_125
; %bb.124:
	v_lshl_add_u64 v[80:81], v[76:77], 2, v[62:63]
	flat_load_dword v80, v[80:81]
	s_waitcnt vmcnt(0) lgkmcnt(0)
	v_mul_f32_e32 v80, s33, v80
	s_branch .LBB25_126
.LBB25_125:
	v_mov_b32_e32 v80, 0
.LBB25_126:
	v_pk_add_f32 v[82:83], v[8:9], v[56:57]
	s_nop 0
	v_min3_f32 v81, v82, v83, v131
	v_pk_add_f32 v[82:83], v[10:11], v[58:59]
	s_nop 0
	v_min_f32_e32 v82, v82, v83
	v_min3_f32 v82, v80, v82, v81
	v_lshl_add_u64 v[80:81], v[76:77], 2, v[60:61]
	flat_store_dword v[80:81], v82
	s_or_b64 exec, exec, s[26:27]
	s_and_b64 s[26:27], s[16:17], s[18:19]
	s_and_saveexec_b64 s[18:19], s[26:27]
	s_cbranch_execz .LBB25_131
.LBB25_127:
	s_and_b64 vcc, exec, s[0:1]
	s_cbranch_vccnz .LBB25_129
; %bb.128:
	v_lshl_add_u64 v[62:63], v[78:79], 2, v[62:63]
	flat_load_dword v62, v[62:63]
	s_waitcnt vmcnt(0) lgkmcnt(0)
	v_mul_f32_e32 v62, s33, v62
	s_branch .LBB25_130
.LBB25_129:
	v_mov_b32_e32 v62, 0
.LBB25_130:
	v_pk_add_f32 v[56:57], v[0:1], v[56:57]
	s_nop 0
	v_min3_f32 v63, v56, v57, v136
	v_pk_add_f32 v[56:57], v[2:3], v[58:59]
	s_nop 0
	v_min_f32_e32 v56, v56, v57
	v_min3_f32 v58, v62, v56, v63
	v_lshl_add_u64 v[56:57], v[78:79], 2, v[60:61]
	flat_store_dword v[56:57], v58
.LBB25_131:
	s_or_b64 exec, exec, s[18:19]
	v_add_u32_e32 v60, 64, v123
	v_mad_i64_i32 v[56:57], s[26:27], v60, s29, 0
	v_cmp_gt_i32_e64 s[18:19], s21, v60
	v_lshl_add_u64 v[58:59], v[56:57], 2, s[24:25]
	v_mad_i64_i32 v[56:57], s[26:27], v60, s28, 0
	v_lshl_add_u64 v[56:57], v[56:57], 2, s[22:23]
	s_and_b64 s[30:31], s[2:3], s[18:19]
	s_and_saveexec_b64 s[26:27], s[30:31]
	s_cbranch_execnz .LBB25_139
; %bb.132:
	s_or_b64 exec, exec, s[26:27]
	s_and_b64 s[30:31], s[4:5], s[18:19]
	s_and_saveexec_b64 s[26:27], s[30:31]
	s_cbranch_execnz .LBB25_143
.LBB25_133:
	s_or_b64 exec, exec, s[26:27]
	s_and_b64 s[30:31], s[6:7], s[18:19]
	s_and_saveexec_b64 s[26:27], s[30:31]
	s_cbranch_execnz .LBB25_147
.LBB25_134:
	s_or_b64 exec, exec, s[26:27]
	s_and_b64 s[30:31], s[8:9], s[18:19]
	s_and_saveexec_b64 s[26:27], s[30:31]
	s_cbranch_execnz .LBB25_151
.LBB25_135:
	s_or_b64 exec, exec, s[26:27]
	s_and_b64 s[30:31], s[10:11], s[18:19]
	s_and_saveexec_b64 s[26:27], s[30:31]
	s_cbranch_execnz .LBB25_155
.LBB25_136:
	s_or_b64 exec, exec, s[26:27]
	s_and_b64 s[30:31], s[12:13], s[18:19]
	s_and_saveexec_b64 s[26:27], s[30:31]
	s_cbranch_execnz .LBB25_159
.LBB25_137:
	s_or_b64 exec, exec, s[26:27]
	s_and_b64 s[30:31], s[14:15], s[18:19]
	s_and_saveexec_b64 s[26:27], s[30:31]
	s_cbranch_execnz .LBB25_163
.LBB25_138:
	s_or_b64 exec, exec, s[26:27]
	s_and_b64 s[26:27], s[16:17], s[18:19]
	s_and_saveexec_b64 s[18:19], s[26:27]
	s_cbranch_execnz .LBB25_167
	s_branch .LBB25_171
.LBB25_139:
	s_and_b64 vcc, exec, s[0:1]
	s_cbranch_vccnz .LBB25_141
; %bb.140:
	v_lshl_add_u64 v[60:61], v[64:65], 2, v[58:59]
	flat_load_dword v60, v[60:61]
	s_waitcnt vmcnt(0) lgkmcnt(0)
	v_mul_f32_e32 v60, s33, v60
	s_branch .LBB25_142
.LBB25_141:
	v_mov_b32_e32 v60, 0
.LBB25_142:
	v_pk_add_f32 v[62:63], v[32:33], v[52:53]
	s_nop 0
	v_min3_f32 v61, v62, v63, v134
	v_pk_add_f32 v[62:63], v[34:35], v[54:55]
	s_nop 0
	v_min_f32_e32 v62, v62, v63
	v_min3_f32 v62, v60, v62, v61
	v_lshl_add_u64 v[60:61], v[64:65], 2, v[56:57]
	flat_store_dword v[60:61], v62
	s_or_b64 exec, exec, s[26:27]
	s_and_b64 s[30:31], s[4:5], s[18:19]
	s_and_saveexec_b64 s[26:27], s[30:31]
	s_cbranch_execz .LBB25_133
.LBB25_143:
	s_and_b64 vcc, exec, s[0:1]
	s_cbranch_vccnz .LBB25_145
; %bb.144:
	v_lshl_add_u64 v[60:61], v[66:67], 2, v[58:59]
	flat_load_dword v60, v[60:61]
	s_waitcnt vmcnt(0) lgkmcnt(0)
	v_mul_f32_e32 v60, s33, v60
	s_branch .LBB25_146
.LBB25_145:
	v_mov_b32_e32 v60, 0
.LBB25_146:
	v_pk_add_f32 v[62:63], v[28:29], v[52:53]
	s_nop 0
	v_min3_f32 v61, v62, v63, v132
	v_pk_add_f32 v[62:63], v[30:31], v[54:55]
	s_nop 0
	v_min_f32_e32 v62, v62, v63
	v_min3_f32 v62, v60, v62, v61
	v_lshl_add_u64 v[60:61], v[66:67], 2, v[56:57]
	flat_store_dword v[60:61], v62
	s_or_b64 exec, exec, s[26:27]
	s_and_b64 s[30:31], s[6:7], s[18:19]
	s_and_saveexec_b64 s[26:27], s[30:31]
	s_cbranch_execz .LBB25_134
.LBB25_147:
	s_and_b64 vcc, exec, s[0:1]
	s_cbranch_vccnz .LBB25_149
; %bb.148:
	v_lshl_add_u64 v[60:61], v[68:69], 2, v[58:59]
	flat_load_dword v60, v[60:61]
	s_waitcnt vmcnt(0) lgkmcnt(0)
	v_mul_f32_e32 v60, s33, v60
	s_branch .LBB25_150
.LBB25_149:
	v_mov_b32_e32 v60, 0
.LBB25_150:
	v_pk_add_f32 v[62:63], v[24:25], v[52:53]
	s_nop 0
	v_min3_f32 v61, v62, v63, v130
	v_pk_add_f32 v[62:63], v[26:27], v[54:55]
	s_nop 0
	v_min_f32_e32 v62, v62, v63
	v_min3_f32 v62, v60, v62, v61
	v_lshl_add_u64 v[60:61], v[68:69], 2, v[56:57]
	flat_store_dword v[60:61], v62
	s_or_b64 exec, exec, s[26:27]
	s_and_b64 s[30:31], s[8:9], s[18:19]
	s_and_saveexec_b64 s[26:27], s[30:31]
	s_cbranch_execz .LBB25_135
.LBB25_151:
	s_and_b64 vcc, exec, s[0:1]
	s_cbranch_vccnz .LBB25_153
; %bb.152:
	v_lshl_add_u64 v[60:61], v[70:71], 2, v[58:59]
	flat_load_dword v60, v[60:61]
	s_waitcnt vmcnt(0) lgkmcnt(0)
	v_mul_f32_e32 v60, s33, v60
	s_branch .LBB25_154
.LBB25_153:
	v_mov_b32_e32 v60, 0
.LBB25_154:
	v_pk_add_f32 v[62:63], v[20:21], v[52:53]
	s_nop 0
	v_min3_f32 v61, v62, v63, v129
	v_pk_add_f32 v[62:63], v[22:23], v[54:55]
	s_nop 0
	v_min_f32_e32 v62, v62, v63
	v_min3_f32 v62, v60, v62, v61
	v_lshl_add_u64 v[60:61], v[70:71], 2, v[56:57]
	flat_store_dword v[60:61], v62
	s_or_b64 exec, exec, s[26:27]
	s_and_b64 s[30:31], s[10:11], s[18:19]
	s_and_saveexec_b64 s[26:27], s[30:31]
	s_cbranch_execz .LBB25_136
.LBB25_155:
	s_and_b64 vcc, exec, s[0:1]
	s_cbranch_vccnz .LBB25_157
; %bb.156:
	v_lshl_add_u64 v[60:61], v[72:73], 2, v[58:59]
	flat_load_dword v60, v[60:61]
	s_waitcnt vmcnt(0) lgkmcnt(0)
	v_mul_f32_e32 v60, s33, v60
	s_branch .LBB25_158
.LBB25_157:
	v_mov_b32_e32 v60, 0
.LBB25_158:
	v_pk_add_f32 v[62:63], v[16:17], v[52:53]
	s_nop 0
	v_min3_f32 v61, v62, v63, v128
	v_pk_add_f32 v[62:63], v[18:19], v[54:55]
	s_nop 0
	v_min_f32_e32 v62, v62, v63
	v_min3_f32 v62, v60, v62, v61
	v_lshl_add_u64 v[60:61], v[72:73], 2, v[56:57]
	flat_store_dword v[60:61], v62
	s_or_b64 exec, exec, s[26:27]
	s_and_b64 s[30:31], s[12:13], s[18:19]
	s_and_saveexec_b64 s[26:27], s[30:31]
	s_cbranch_execz .LBB25_137
.LBB25_159:
	s_and_b64 vcc, exec, s[0:1]
	s_cbranch_vccnz .LBB25_161
; %bb.160:
	v_lshl_add_u64 v[60:61], v[74:75], 2, v[58:59]
	flat_load_dword v60, v[60:61]
	s_waitcnt vmcnt(0) lgkmcnt(0)
	v_mul_f32_e32 v60, s33, v60
	s_branch .LBB25_162
.LBB25_161:
	v_mov_b32_e32 v60, 0
.LBB25_162:
	v_pk_add_f32 v[62:63], v[12:13], v[52:53]
	s_nop 0
	v_min3_f32 v61, v62, v63, v127
	v_pk_add_f32 v[62:63], v[14:15], v[54:55]
	s_nop 0
	v_min_f32_e32 v62, v62, v63
	v_min3_f32 v62, v60, v62, v61
	v_lshl_add_u64 v[60:61], v[74:75], 2, v[56:57]
	flat_store_dword v[60:61], v62
	s_or_b64 exec, exec, s[26:27]
	s_and_b64 s[30:31], s[14:15], s[18:19]
	s_and_saveexec_b64 s[26:27], s[30:31]
	s_cbranch_execz .LBB25_138
.LBB25_163:
	s_and_b64 vcc, exec, s[0:1]
	s_cbranch_vccnz .LBB25_165
; %bb.164:
	v_lshl_add_u64 v[60:61], v[76:77], 2, v[58:59]
	flat_load_dword v60, v[60:61]
	s_waitcnt vmcnt(0) lgkmcnt(0)
	v_mul_f32_e32 v60, s33, v60
	s_branch .LBB25_166
.LBB25_165:
	v_mov_b32_e32 v60, 0
.LBB25_166:
	v_pk_add_f32 v[62:63], v[8:9], v[52:53]
	s_nop 0
	v_min3_f32 v61, v62, v63, v126
	v_pk_add_f32 v[62:63], v[10:11], v[54:55]
	s_nop 0
	v_min_f32_e32 v62, v62, v63
	v_min3_f32 v62, v60, v62, v61
	v_lshl_add_u64 v[60:61], v[76:77], 2, v[56:57]
	flat_store_dword v[60:61], v62
	s_or_b64 exec, exec, s[26:27]
	s_and_b64 s[26:27], s[16:17], s[18:19]
	s_and_saveexec_b64 s[18:19], s[26:27]
	s_cbranch_execz .LBB25_171
.LBB25_167:
	s_and_b64 vcc, exec, s[0:1]
	s_cbranch_vccnz .LBB25_169
; %bb.168:
	v_lshl_add_u64 v[58:59], v[78:79], 2, v[58:59]
	flat_load_dword v58, v[58:59]
	s_waitcnt vmcnt(0) lgkmcnt(0)
	v_mul_f32_e32 v58, s33, v58
	s_branch .LBB25_170
.LBB25_169:
	v_mov_b32_e32 v58, 0
.LBB25_170:
	v_pk_add_f32 v[52:53], v[0:1], v[52:53]
	s_nop 0
	v_min3_f32 v59, v52, v53, v125
	v_pk_add_f32 v[52:53], v[2:3], v[54:55]
	s_nop 0
	v_min_f32_e32 v52, v52, v53
	v_min3_f32 v54, v58, v52, v59
	v_lshl_add_u64 v[52:53], v[78:79], 2, v[56:57]
	flat_store_dword v[52:53], v54
.LBB25_171:
	s_or_b64 exec, exec, s[18:19]
	v_add_u32_e32 v56, 0x60, v123
	v_mad_i64_i32 v[52:53], s[26:27], v56, s29, 0
	v_cmp_gt_i32_e64 s[18:19], s21, v56
	v_lshl_add_u64 v[54:55], v[52:53], 2, s[24:25]
	v_mad_i64_i32 v[52:53], s[26:27], v56, s28, 0
	v_lshl_add_u64 v[52:53], v[52:53], 2, s[22:23]
	s_and_b64 s[30:31], s[2:3], s[18:19]
	s_and_saveexec_b64 s[26:27], s[30:31]
	s_cbranch_execnz .LBB25_179
; %bb.172:
	s_or_b64 exec, exec, s[26:27]
	s_and_b64 s[30:31], s[4:5], s[18:19]
	s_and_saveexec_b64 s[26:27], s[30:31]
	s_cbranch_execnz .LBB25_183
.LBB25_173:
	s_or_b64 exec, exec, s[26:27]
	s_and_b64 s[30:31], s[6:7], s[18:19]
	s_and_saveexec_b64 s[26:27], s[30:31]
	s_cbranch_execnz .LBB25_187
.LBB25_174:
	s_or_b64 exec, exec, s[26:27]
	s_and_b64 s[30:31], s[8:9], s[18:19]
	s_and_saveexec_b64 s[26:27], s[30:31]
	s_cbranch_execnz .LBB25_191
.LBB25_175:
	s_or_b64 exec, exec, s[26:27]
	s_and_b64 s[30:31], s[10:11], s[18:19]
	s_and_saveexec_b64 s[26:27], s[30:31]
	s_cbranch_execnz .LBB25_195
.LBB25_176:
	s_or_b64 exec, exec, s[26:27]
	s_and_b64 s[30:31], s[12:13], s[18:19]
	s_and_saveexec_b64 s[26:27], s[30:31]
	s_cbranch_execnz .LBB25_199
.LBB25_177:
	s_or_b64 exec, exec, s[26:27]
	s_and_b64 s[30:31], s[14:15], s[18:19]
	s_and_saveexec_b64 s[26:27], s[30:31]
	s_cbranch_execnz .LBB25_203
.LBB25_178:
	s_or_b64 exec, exec, s[26:27]
	s_and_b64 s[26:27], s[16:17], s[18:19]
	s_and_saveexec_b64 s[18:19], s[26:27]
	s_cbranch_execnz .LBB25_207
	s_branch .LBB25_211
.LBB25_179:
	s_and_b64 vcc, exec, s[0:1]
	s_cbranch_vccnz .LBB25_181
; %bb.180:
	v_lshl_add_u64 v[56:57], v[64:65], 2, v[54:55]
	flat_load_dword v56, v[56:57]
	s_waitcnt vmcnt(0) lgkmcnt(0)
	v_mul_f32_e32 v56, s33, v56
	s_branch .LBB25_182
.LBB25_181:
	v_mov_b32_e32 v56, 0
.LBB25_182:
	v_pk_add_f32 v[58:59], v[32:33], v[48:49]
	s_nop 0
	v_min3_f32 v57, v58, v59, v124
	v_pk_add_f32 v[58:59], v[34:35], v[50:51]
	s_nop 0
	v_min_f32_e32 v58, v58, v59
	v_min3_f32 v58, v56, v58, v57
	v_lshl_add_u64 v[56:57], v[64:65], 2, v[52:53]
	flat_store_dword v[56:57], v58
	s_or_b64 exec, exec, s[26:27]
	s_and_b64 s[30:31], s[4:5], s[18:19]
	s_and_saveexec_b64 s[26:27], s[30:31]
	s_cbranch_execz .LBB25_173
.LBB25_183:
	s_and_b64 vcc, exec, s[0:1]
	s_cbranch_vccnz .LBB25_185
; %bb.184:
	v_lshl_add_u64 v[56:57], v[66:67], 2, v[54:55]
	flat_load_dword v56, v[56:57]
	s_waitcnt vmcnt(0) lgkmcnt(0)
	v_mul_f32_e32 v56, s33, v56
	s_branch .LBB25_186
.LBB25_185:
	v_mov_b32_e32 v56, 0
.LBB25_186:
	v_pk_add_f32 v[58:59], v[28:29], v[48:49]
	s_nop 0
	v_min3_f32 v57, v58, v59, v122
	v_pk_add_f32 v[58:59], v[30:31], v[50:51]
	s_nop 0
	v_min_f32_e32 v58, v58, v59
	v_min3_f32 v58, v56, v58, v57
	v_lshl_add_u64 v[56:57], v[66:67], 2, v[52:53]
	flat_store_dword v[56:57], v58
	s_or_b64 exec, exec, s[26:27]
	s_and_b64 s[30:31], s[6:7], s[18:19]
	s_and_saveexec_b64 s[26:27], s[30:31]
	s_cbranch_execz .LBB25_174
.LBB25_187:
	s_and_b64 vcc, exec, s[0:1]
	s_cbranch_vccnz .LBB25_189
; %bb.188:
	v_lshl_add_u64 v[56:57], v[68:69], 2, v[54:55]
	flat_load_dword v56, v[56:57]
	s_waitcnt vmcnt(0) lgkmcnt(0)
	v_mul_f32_e32 v56, s33, v56
	s_branch .LBB25_190
.LBB25_189:
	v_mov_b32_e32 v56, 0
.LBB25_190:
	v_pk_add_f32 v[58:59], v[24:25], v[48:49]
	s_nop 0
	v_min3_f32 v57, v58, v59, v121
	v_pk_add_f32 v[58:59], v[26:27], v[50:51]
	s_nop 0
	v_min_f32_e32 v58, v58, v59
	v_min3_f32 v58, v56, v58, v57
	v_lshl_add_u64 v[56:57], v[68:69], 2, v[52:53]
	flat_store_dword v[56:57], v58
	s_or_b64 exec, exec, s[26:27]
	s_and_b64 s[30:31], s[8:9], s[18:19]
	s_and_saveexec_b64 s[26:27], s[30:31]
	s_cbranch_execz .LBB25_175
.LBB25_191:
	s_and_b64 vcc, exec, s[0:1]
	s_cbranch_vccnz .LBB25_193
; %bb.192:
	v_lshl_add_u64 v[56:57], v[70:71], 2, v[54:55]
	flat_load_dword v56, v[56:57]
	s_waitcnt vmcnt(0) lgkmcnt(0)
	v_mul_f32_e32 v56, s33, v56
	s_branch .LBB25_194
.LBB25_193:
	v_mov_b32_e32 v56, 0
.LBB25_194:
	v_pk_add_f32 v[58:59], v[20:21], v[48:49]
	s_nop 0
	v_min3_f32 v57, v58, v59, v120
	v_pk_add_f32 v[58:59], v[22:23], v[50:51]
	s_nop 0
	v_min_f32_e32 v58, v58, v59
	v_min3_f32 v58, v56, v58, v57
	v_lshl_add_u64 v[56:57], v[70:71], 2, v[52:53]
	flat_store_dword v[56:57], v58
	s_or_b64 exec, exec, s[26:27]
	s_and_b64 s[30:31], s[10:11], s[18:19]
	s_and_saveexec_b64 s[26:27], s[30:31]
	s_cbranch_execz .LBB25_176
.LBB25_195:
	s_and_b64 vcc, exec, s[0:1]
	s_cbranch_vccnz .LBB25_197
; %bb.196:
	v_lshl_add_u64 v[56:57], v[72:73], 2, v[54:55]
	flat_load_dword v56, v[56:57]
	s_waitcnt vmcnt(0) lgkmcnt(0)
	v_mul_f32_e32 v56, s33, v56
	s_branch .LBB25_198
.LBB25_197:
	v_mov_b32_e32 v56, 0
.LBB25_198:
	v_pk_add_f32 v[58:59], v[16:17], v[48:49]
	s_nop 0
	v_min3_f32 v57, v58, v59, v119
	v_pk_add_f32 v[58:59], v[18:19], v[50:51]
	s_nop 0
	v_min_f32_e32 v58, v58, v59
	v_min3_f32 v58, v56, v58, v57
	v_lshl_add_u64 v[56:57], v[72:73], 2, v[52:53]
	flat_store_dword v[56:57], v58
	s_or_b64 exec, exec, s[26:27]
	s_and_b64 s[30:31], s[12:13], s[18:19]
	s_and_saveexec_b64 s[26:27], s[30:31]
	s_cbranch_execz .LBB25_177
.LBB25_199:
	s_and_b64 vcc, exec, s[0:1]
	s_cbranch_vccnz .LBB25_201
; %bb.200:
	v_lshl_add_u64 v[56:57], v[74:75], 2, v[54:55]
	flat_load_dword v56, v[56:57]
	s_waitcnt vmcnt(0) lgkmcnt(0)
	v_mul_f32_e32 v56, s33, v56
	s_branch .LBB25_202
.LBB25_201:
	v_mov_b32_e32 v56, 0
.LBB25_202:
	v_pk_add_f32 v[58:59], v[12:13], v[48:49]
	s_nop 0
	v_min3_f32 v57, v58, v59, v118
	v_pk_add_f32 v[58:59], v[14:15], v[50:51]
	s_nop 0
	v_min_f32_e32 v58, v58, v59
	v_min3_f32 v58, v56, v58, v57
	v_lshl_add_u64 v[56:57], v[74:75], 2, v[52:53]
	flat_store_dword v[56:57], v58
	s_or_b64 exec, exec, s[26:27]
	s_and_b64 s[30:31], s[14:15], s[18:19]
	s_and_saveexec_b64 s[26:27], s[30:31]
	s_cbranch_execz .LBB25_178
.LBB25_203:
	s_and_b64 vcc, exec, s[0:1]
	s_cbranch_vccnz .LBB25_205
; %bb.204:
	v_lshl_add_u64 v[56:57], v[76:77], 2, v[54:55]
	flat_load_dword v56, v[56:57]
	s_waitcnt vmcnt(0) lgkmcnt(0)
	v_mul_f32_e32 v56, s33, v56
	s_branch .LBB25_206
.LBB25_205:
	v_mov_b32_e32 v56, 0
.LBB25_206:
	v_pk_add_f32 v[58:59], v[8:9], v[48:49]
	s_nop 0
	v_min3_f32 v57, v58, v59, v117
	v_pk_add_f32 v[58:59], v[10:11], v[50:51]
	s_nop 0
	v_min_f32_e32 v58, v58, v59
	v_min3_f32 v58, v56, v58, v57
	v_lshl_add_u64 v[56:57], v[76:77], 2, v[52:53]
	flat_store_dword v[56:57], v58
	s_or_b64 exec, exec, s[26:27]
	s_and_b64 s[26:27], s[16:17], s[18:19]
	s_and_saveexec_b64 s[18:19], s[26:27]
	s_cbranch_execz .LBB25_211
.LBB25_207:
	s_and_b64 vcc, exec, s[0:1]
	s_cbranch_vccnz .LBB25_209
; %bb.208:
	v_lshl_add_u64 v[54:55], v[78:79], 2, v[54:55]
	flat_load_dword v54, v[54:55]
	s_waitcnt vmcnt(0) lgkmcnt(0)
	v_mul_f32_e32 v54, s33, v54
	s_branch .LBB25_210
.LBB25_209:
	v_mov_b32_e32 v54, 0
.LBB25_210:
	v_pk_add_f32 v[48:49], v[0:1], v[48:49]
	s_nop 0
	v_min3_f32 v55, v48, v49, v116
	v_pk_add_f32 v[48:49], v[2:3], v[50:51]
	s_nop 0
	v_min_f32_e32 v48, v48, v49
	v_min3_f32 v50, v54, v48, v55
	v_lshl_add_u64 v[48:49], v[78:79], 2, v[52:53]
	flat_store_dword v[48:49], v50
.LBB25_211:
	s_or_b64 exec, exec, s[18:19]
	v_add_u32_e32 v52, 0x80, v123
	v_mad_i64_i32 v[48:49], s[26:27], v52, s29, 0
	v_cmp_gt_i32_e64 s[18:19], s21, v52
	v_lshl_add_u64 v[50:51], v[48:49], 2, s[24:25]
	v_mad_i64_i32 v[48:49], s[26:27], v52, s28, 0
	v_lshl_add_u64 v[48:49], v[48:49], 2, s[22:23]
	s_and_b64 s[30:31], s[2:3], s[18:19]
	s_and_saveexec_b64 s[26:27], s[30:31]
	s_cbranch_execnz .LBB25_219
; %bb.212:
	s_or_b64 exec, exec, s[26:27]
	s_and_b64 s[30:31], s[4:5], s[18:19]
	s_and_saveexec_b64 s[26:27], s[30:31]
	s_cbranch_execnz .LBB25_223
.LBB25_213:
	s_or_b64 exec, exec, s[26:27]
	s_and_b64 s[30:31], s[6:7], s[18:19]
	s_and_saveexec_b64 s[26:27], s[30:31]
	s_cbranch_execnz .LBB25_227
.LBB25_214:
	s_or_b64 exec, exec, s[26:27]
	s_and_b64 s[30:31], s[8:9], s[18:19]
	s_and_saveexec_b64 s[26:27], s[30:31]
	s_cbranch_execnz .LBB25_231
.LBB25_215:
	s_or_b64 exec, exec, s[26:27]
	s_and_b64 s[30:31], s[10:11], s[18:19]
	s_and_saveexec_b64 s[26:27], s[30:31]
	s_cbranch_execnz .LBB25_235
.LBB25_216:
	s_or_b64 exec, exec, s[26:27]
	s_and_b64 s[30:31], s[12:13], s[18:19]
	s_and_saveexec_b64 s[26:27], s[30:31]
	s_cbranch_execnz .LBB25_239
.LBB25_217:
	s_or_b64 exec, exec, s[26:27]
	s_and_b64 s[30:31], s[14:15], s[18:19]
	s_and_saveexec_b64 s[26:27], s[30:31]
	s_cbranch_execnz .LBB25_243
.LBB25_218:
	s_or_b64 exec, exec, s[26:27]
	s_and_b64 s[26:27], s[16:17], s[18:19]
	s_and_saveexec_b64 s[18:19], s[26:27]
	s_cbranch_execnz .LBB25_247
	s_branch .LBB25_251
.LBB25_219:
	s_and_b64 vcc, exec, s[0:1]
	s_cbranch_vccnz .LBB25_221
; %bb.220:
	v_lshl_add_u64 v[52:53], v[64:65], 2, v[50:51]
	flat_load_dword v52, v[52:53]
	s_waitcnt vmcnt(0) lgkmcnt(0)
	v_mul_f32_e32 v52, s33, v52
	s_branch .LBB25_222
.LBB25_221:
	v_mov_b32_e32 v52, 0
.LBB25_222:
	v_pk_add_f32 v[54:55], v[32:33], v[44:45]
	s_nop 0
	v_min3_f32 v53, v54, v55, v115
	v_pk_add_f32 v[54:55], v[34:35], v[46:47]
	s_nop 0
	v_min_f32_e32 v54, v54, v55
	v_min3_f32 v54, v52, v54, v53
	v_lshl_add_u64 v[52:53], v[64:65], 2, v[48:49]
	flat_store_dword v[52:53], v54
	s_or_b64 exec, exec, s[26:27]
	s_and_b64 s[30:31], s[4:5], s[18:19]
	s_and_saveexec_b64 s[26:27], s[30:31]
	s_cbranch_execz .LBB25_213
.LBB25_223:
	s_and_b64 vcc, exec, s[0:1]
	s_cbranch_vccnz .LBB25_225
; %bb.224:
	v_lshl_add_u64 v[52:53], v[66:67], 2, v[50:51]
	flat_load_dword v52, v[52:53]
	s_waitcnt vmcnt(0) lgkmcnt(0)
	v_mul_f32_e32 v52, s33, v52
	s_branch .LBB25_226
.LBB25_225:
	v_mov_b32_e32 v52, 0
.LBB25_226:
	v_pk_add_f32 v[54:55], v[28:29], v[44:45]
	s_nop 0
	v_min3_f32 v53, v54, v55, v114
	v_pk_add_f32 v[54:55], v[30:31], v[46:47]
	s_nop 0
	v_min_f32_e32 v54, v54, v55
	v_min3_f32 v54, v52, v54, v53
	v_lshl_add_u64 v[52:53], v[66:67], 2, v[48:49]
	flat_store_dword v[52:53], v54
	s_or_b64 exec, exec, s[26:27]
	s_and_b64 s[30:31], s[6:7], s[18:19]
	s_and_saveexec_b64 s[26:27], s[30:31]
	s_cbranch_execz .LBB25_214
.LBB25_227:
	s_and_b64 vcc, exec, s[0:1]
	s_cbranch_vccnz .LBB25_229
; %bb.228:
	v_lshl_add_u64 v[52:53], v[68:69], 2, v[50:51]
	flat_load_dword v52, v[52:53]
	s_waitcnt vmcnt(0) lgkmcnt(0)
	v_mul_f32_e32 v52, s33, v52
	s_branch .LBB25_230
.LBB25_229:
	v_mov_b32_e32 v52, 0
.LBB25_230:
	v_pk_add_f32 v[54:55], v[24:25], v[44:45]
	s_nop 0
	v_min3_f32 v53, v54, v55, v113
	v_pk_add_f32 v[54:55], v[26:27], v[46:47]
	s_nop 0
	v_min_f32_e32 v54, v54, v55
	v_min3_f32 v54, v52, v54, v53
	v_lshl_add_u64 v[52:53], v[68:69], 2, v[48:49]
	flat_store_dword v[52:53], v54
	s_or_b64 exec, exec, s[26:27]
	s_and_b64 s[30:31], s[8:9], s[18:19]
	s_and_saveexec_b64 s[26:27], s[30:31]
	s_cbranch_execz .LBB25_215
.LBB25_231:
	s_and_b64 vcc, exec, s[0:1]
	s_cbranch_vccnz .LBB25_233
; %bb.232:
	v_lshl_add_u64 v[52:53], v[70:71], 2, v[50:51]
	flat_load_dword v52, v[52:53]
	s_waitcnt vmcnt(0) lgkmcnt(0)
	v_mul_f32_e32 v52, s33, v52
	s_branch .LBB25_234
.LBB25_233:
	v_mov_b32_e32 v52, 0
.LBB25_234:
	v_pk_add_f32 v[54:55], v[20:21], v[44:45]
	s_nop 0
	v_min3_f32 v53, v54, v55, v112
	v_pk_add_f32 v[54:55], v[22:23], v[46:47]
	s_nop 0
	v_min_f32_e32 v54, v54, v55
	v_min3_f32 v54, v52, v54, v53
	v_lshl_add_u64 v[52:53], v[70:71], 2, v[48:49]
	flat_store_dword v[52:53], v54
	s_or_b64 exec, exec, s[26:27]
	s_and_b64 s[30:31], s[10:11], s[18:19]
	s_and_saveexec_b64 s[26:27], s[30:31]
	s_cbranch_execz .LBB25_216
.LBB25_235:
	s_and_b64 vcc, exec, s[0:1]
	s_cbranch_vccnz .LBB25_237
; %bb.236:
	v_lshl_add_u64 v[52:53], v[72:73], 2, v[50:51]
	flat_load_dword v52, v[52:53]
	s_waitcnt vmcnt(0) lgkmcnt(0)
	v_mul_f32_e32 v52, s33, v52
	s_branch .LBB25_238
.LBB25_237:
	v_mov_b32_e32 v52, 0
.LBB25_238:
	v_pk_add_f32 v[54:55], v[16:17], v[44:45]
	s_nop 0
	v_min3_f32 v53, v54, v55, v111
	v_pk_add_f32 v[54:55], v[18:19], v[46:47]
	s_nop 0
	v_min_f32_e32 v54, v54, v55
	v_min3_f32 v54, v52, v54, v53
	v_lshl_add_u64 v[52:53], v[72:73], 2, v[48:49]
	flat_store_dword v[52:53], v54
	s_or_b64 exec, exec, s[26:27]
	s_and_b64 s[30:31], s[12:13], s[18:19]
	s_and_saveexec_b64 s[26:27], s[30:31]
	s_cbranch_execz .LBB25_217
.LBB25_239:
	s_and_b64 vcc, exec, s[0:1]
	s_cbranch_vccnz .LBB25_241
; %bb.240:
	v_lshl_add_u64 v[52:53], v[74:75], 2, v[50:51]
	flat_load_dword v52, v[52:53]
	s_waitcnt vmcnt(0) lgkmcnt(0)
	v_mul_f32_e32 v52, s33, v52
	s_branch .LBB25_242
.LBB25_241:
	v_mov_b32_e32 v52, 0
.LBB25_242:
	v_pk_add_f32 v[54:55], v[12:13], v[44:45]
	s_nop 0
	v_min3_f32 v53, v54, v55, v110
	v_pk_add_f32 v[54:55], v[14:15], v[46:47]
	s_nop 0
	v_min_f32_e32 v54, v54, v55
	v_min3_f32 v54, v52, v54, v53
	v_lshl_add_u64 v[52:53], v[74:75], 2, v[48:49]
	flat_store_dword v[52:53], v54
	s_or_b64 exec, exec, s[26:27]
	s_and_b64 s[30:31], s[14:15], s[18:19]
	s_and_saveexec_b64 s[26:27], s[30:31]
	s_cbranch_execz .LBB25_218
.LBB25_243:
	s_and_b64 vcc, exec, s[0:1]
	s_cbranch_vccnz .LBB25_245
; %bb.244:
	v_lshl_add_u64 v[52:53], v[76:77], 2, v[50:51]
	flat_load_dword v52, v[52:53]
	s_waitcnt vmcnt(0) lgkmcnt(0)
	v_mul_f32_e32 v52, s33, v52
	s_branch .LBB25_246
.LBB25_245:
	v_mov_b32_e32 v52, 0
.LBB25_246:
	v_pk_add_f32 v[54:55], v[8:9], v[44:45]
	s_nop 0
	v_min3_f32 v53, v54, v55, v109
	v_pk_add_f32 v[54:55], v[10:11], v[46:47]
	s_nop 0
	v_min_f32_e32 v54, v54, v55
	v_min3_f32 v54, v52, v54, v53
	v_lshl_add_u64 v[52:53], v[76:77], 2, v[48:49]
	flat_store_dword v[52:53], v54
	s_or_b64 exec, exec, s[26:27]
	s_and_b64 s[26:27], s[16:17], s[18:19]
	s_and_saveexec_b64 s[18:19], s[26:27]
	s_cbranch_execz .LBB25_251
.LBB25_247:
	s_and_b64 vcc, exec, s[0:1]
	s_cbranch_vccnz .LBB25_249
; %bb.248:
	v_lshl_add_u64 v[50:51], v[78:79], 2, v[50:51]
	flat_load_dword v50, v[50:51]
	s_waitcnt vmcnt(0) lgkmcnt(0)
	v_mul_f32_e32 v50, s33, v50
	s_branch .LBB25_250
.LBB25_249:
	v_mov_b32_e32 v50, 0
.LBB25_250:
	v_pk_add_f32 v[44:45], v[0:1], v[44:45]
	s_nop 0
	v_min3_f32 v51, v44, v45, v108
	v_pk_add_f32 v[44:45], v[2:3], v[46:47]
	s_nop 0
	v_min_f32_e32 v44, v44, v45
	v_min3_f32 v46, v50, v44, v51
	v_lshl_add_u64 v[44:45], v[78:79], 2, v[48:49]
	flat_store_dword v[44:45], v46
.LBB25_251:
	s_or_b64 exec, exec, s[18:19]
	v_add_u32_e32 v48, 0xa0, v123
	v_mad_i64_i32 v[44:45], s[26:27], v48, s29, 0
	v_cmp_gt_i32_e64 s[18:19], s21, v48
	v_lshl_add_u64 v[46:47], v[44:45], 2, s[24:25]
	v_mad_i64_i32 v[44:45], s[26:27], v48, s28, 0
	v_lshl_add_u64 v[44:45], v[44:45], 2, s[22:23]
	s_and_b64 s[30:31], s[2:3], s[18:19]
	s_and_saveexec_b64 s[26:27], s[30:31]
	s_cbranch_execnz .LBB25_259
; %bb.252:
	s_or_b64 exec, exec, s[26:27]
	s_and_b64 s[30:31], s[4:5], s[18:19]
	s_and_saveexec_b64 s[26:27], s[30:31]
	s_cbranch_execnz .LBB25_263
.LBB25_253:
	s_or_b64 exec, exec, s[26:27]
	s_and_b64 s[30:31], s[6:7], s[18:19]
	s_and_saveexec_b64 s[26:27], s[30:31]
	s_cbranch_execnz .LBB25_267
.LBB25_254:
	s_or_b64 exec, exec, s[26:27]
	s_and_b64 s[30:31], s[8:9], s[18:19]
	s_and_saveexec_b64 s[26:27], s[30:31]
	s_cbranch_execnz .LBB25_271
.LBB25_255:
	s_or_b64 exec, exec, s[26:27]
	s_and_b64 s[30:31], s[10:11], s[18:19]
	s_and_saveexec_b64 s[26:27], s[30:31]
	s_cbranch_execnz .LBB25_275
.LBB25_256:
	s_or_b64 exec, exec, s[26:27]
	s_and_b64 s[30:31], s[12:13], s[18:19]
	s_and_saveexec_b64 s[26:27], s[30:31]
	s_cbranch_execnz .LBB25_279
.LBB25_257:
	s_or_b64 exec, exec, s[26:27]
	s_and_b64 s[30:31], s[14:15], s[18:19]
	s_and_saveexec_b64 s[26:27], s[30:31]
	s_cbranch_execnz .LBB25_283
.LBB25_258:
	s_or_b64 exec, exec, s[26:27]
	s_and_b64 s[26:27], s[16:17], s[18:19]
	s_and_saveexec_b64 s[18:19], s[26:27]
	s_cbranch_execnz .LBB25_287
	s_branch .LBB25_291
.LBB25_259:
	s_and_b64 vcc, exec, s[0:1]
	s_cbranch_vccnz .LBB25_261
; %bb.260:
	v_lshl_add_u64 v[48:49], v[64:65], 2, v[46:47]
	flat_load_dword v48, v[48:49]
	s_waitcnt vmcnt(0) lgkmcnt(0)
	v_mul_f32_e32 v48, s33, v48
	s_branch .LBB25_262
.LBB25_261:
	v_mov_b32_e32 v48, 0
.LBB25_262:
	v_pk_add_f32 v[50:51], v[32:33], v[40:41]
	s_nop 0
	v_min3_f32 v49, v50, v51, v107
	v_pk_add_f32 v[50:51], v[34:35], v[42:43]
	s_nop 0
	v_min_f32_e32 v50, v50, v51
	v_min3_f32 v50, v48, v50, v49
	v_lshl_add_u64 v[48:49], v[64:65], 2, v[44:45]
	flat_store_dword v[48:49], v50
	s_or_b64 exec, exec, s[26:27]
	s_and_b64 s[30:31], s[4:5], s[18:19]
	s_and_saveexec_b64 s[26:27], s[30:31]
	s_cbranch_execz .LBB25_253
.LBB25_263:
	s_and_b64 vcc, exec, s[0:1]
	s_cbranch_vccnz .LBB25_265
; %bb.264:
	v_lshl_add_u64 v[48:49], v[66:67], 2, v[46:47]
	flat_load_dword v48, v[48:49]
	s_waitcnt vmcnt(0) lgkmcnt(0)
	v_mul_f32_e32 v48, s33, v48
	s_branch .LBB25_266
.LBB25_265:
	v_mov_b32_e32 v48, 0
.LBB25_266:
	v_pk_add_f32 v[50:51], v[28:29], v[40:41]
	s_nop 0
	v_min3_f32 v49, v50, v51, v106
	v_pk_add_f32 v[50:51], v[30:31], v[42:43]
	s_nop 0
	v_min_f32_e32 v50, v50, v51
	v_min3_f32 v50, v48, v50, v49
	v_lshl_add_u64 v[48:49], v[66:67], 2, v[44:45]
	flat_store_dword v[48:49], v50
	s_or_b64 exec, exec, s[26:27]
	s_and_b64 s[30:31], s[6:7], s[18:19]
	s_and_saveexec_b64 s[26:27], s[30:31]
	s_cbranch_execz .LBB25_254
.LBB25_267:
	s_and_b64 vcc, exec, s[0:1]
	s_cbranch_vccnz .LBB25_269
; %bb.268:
	v_lshl_add_u64 v[48:49], v[68:69], 2, v[46:47]
	flat_load_dword v48, v[48:49]
	s_waitcnt vmcnt(0) lgkmcnt(0)
	v_mul_f32_e32 v48, s33, v48
	s_branch .LBB25_270
.LBB25_269:
	v_mov_b32_e32 v48, 0
.LBB25_270:
	v_pk_add_f32 v[50:51], v[24:25], v[40:41]
	s_nop 0
	v_min3_f32 v49, v50, v51, v105
	v_pk_add_f32 v[50:51], v[26:27], v[42:43]
	s_nop 0
	v_min_f32_e32 v50, v50, v51
	v_min3_f32 v50, v48, v50, v49
	v_lshl_add_u64 v[48:49], v[68:69], 2, v[44:45]
	flat_store_dword v[48:49], v50
	s_or_b64 exec, exec, s[26:27]
	s_and_b64 s[30:31], s[8:9], s[18:19]
	s_and_saveexec_b64 s[26:27], s[30:31]
	s_cbranch_execz .LBB25_255
.LBB25_271:
	s_and_b64 vcc, exec, s[0:1]
	s_cbranch_vccnz .LBB25_273
; %bb.272:
	v_lshl_add_u64 v[48:49], v[70:71], 2, v[46:47]
	flat_load_dword v48, v[48:49]
	s_waitcnt vmcnt(0) lgkmcnt(0)
	v_mul_f32_e32 v48, s33, v48
	s_branch .LBB25_274
.LBB25_273:
	v_mov_b32_e32 v48, 0
.LBB25_274:
	v_pk_add_f32 v[50:51], v[20:21], v[40:41]
	s_nop 0
	v_min3_f32 v49, v50, v51, v104
	v_pk_add_f32 v[50:51], v[22:23], v[42:43]
	s_nop 0
	v_min_f32_e32 v50, v50, v51
	v_min3_f32 v50, v48, v50, v49
	v_lshl_add_u64 v[48:49], v[70:71], 2, v[44:45]
	flat_store_dword v[48:49], v50
	s_or_b64 exec, exec, s[26:27]
	s_and_b64 s[30:31], s[10:11], s[18:19]
	s_and_saveexec_b64 s[26:27], s[30:31]
	s_cbranch_execz .LBB25_256
.LBB25_275:
	s_and_b64 vcc, exec, s[0:1]
	s_cbranch_vccnz .LBB25_277
; %bb.276:
	v_lshl_add_u64 v[48:49], v[72:73], 2, v[46:47]
	flat_load_dword v48, v[48:49]
	s_waitcnt vmcnt(0) lgkmcnt(0)
	v_mul_f32_e32 v48, s33, v48
	s_branch .LBB25_278
.LBB25_277:
	v_mov_b32_e32 v48, 0
.LBB25_278:
	v_pk_add_f32 v[50:51], v[16:17], v[40:41]
	s_nop 0
	v_min3_f32 v49, v50, v51, v103
	v_pk_add_f32 v[50:51], v[18:19], v[42:43]
	s_nop 0
	v_min_f32_e32 v50, v50, v51
	v_min3_f32 v50, v48, v50, v49
	v_lshl_add_u64 v[48:49], v[72:73], 2, v[44:45]
	flat_store_dword v[48:49], v50
	s_or_b64 exec, exec, s[26:27]
	s_and_b64 s[30:31], s[12:13], s[18:19]
	s_and_saveexec_b64 s[26:27], s[30:31]
	s_cbranch_execz .LBB25_257
.LBB25_279:
	s_and_b64 vcc, exec, s[0:1]
	s_cbranch_vccnz .LBB25_281
; %bb.280:
	v_lshl_add_u64 v[48:49], v[74:75], 2, v[46:47]
	flat_load_dword v48, v[48:49]
	s_waitcnt vmcnt(0) lgkmcnt(0)
	v_mul_f32_e32 v48, s33, v48
	s_branch .LBB25_282
.LBB25_281:
	v_mov_b32_e32 v48, 0
.LBB25_282:
	v_pk_add_f32 v[50:51], v[12:13], v[40:41]
	s_nop 0
	v_min3_f32 v49, v50, v51, v102
	v_pk_add_f32 v[50:51], v[14:15], v[42:43]
	s_nop 0
	v_min_f32_e32 v50, v50, v51
	v_min3_f32 v50, v48, v50, v49
	v_lshl_add_u64 v[48:49], v[74:75], 2, v[44:45]
	flat_store_dword v[48:49], v50
	s_or_b64 exec, exec, s[26:27]
	s_and_b64 s[30:31], s[14:15], s[18:19]
	s_and_saveexec_b64 s[26:27], s[30:31]
	s_cbranch_execz .LBB25_258
.LBB25_283:
	s_and_b64 vcc, exec, s[0:1]
	s_cbranch_vccnz .LBB25_285
; %bb.284:
	v_lshl_add_u64 v[48:49], v[76:77], 2, v[46:47]
	flat_load_dword v48, v[48:49]
	s_waitcnt vmcnt(0) lgkmcnt(0)
	v_mul_f32_e32 v48, s33, v48
	s_branch .LBB25_286
.LBB25_285:
	v_mov_b32_e32 v48, 0
.LBB25_286:
	v_pk_add_f32 v[50:51], v[8:9], v[40:41]
	s_nop 0
	v_min3_f32 v49, v50, v51, v101
	v_pk_add_f32 v[50:51], v[10:11], v[42:43]
	s_nop 0
	v_min_f32_e32 v50, v50, v51
	v_min3_f32 v50, v48, v50, v49
	v_lshl_add_u64 v[48:49], v[76:77], 2, v[44:45]
	flat_store_dword v[48:49], v50
	s_or_b64 exec, exec, s[26:27]
	s_and_b64 s[26:27], s[16:17], s[18:19]
	s_and_saveexec_b64 s[18:19], s[26:27]
	s_cbranch_execz .LBB25_291
.LBB25_287:
	s_and_b64 vcc, exec, s[0:1]
	s_cbranch_vccnz .LBB25_289
; %bb.288:
	v_lshl_add_u64 v[46:47], v[78:79], 2, v[46:47]
	flat_load_dword v46, v[46:47]
	s_waitcnt vmcnt(0) lgkmcnt(0)
	v_mul_f32_e32 v46, s33, v46
	s_branch .LBB25_290
.LBB25_289:
	v_mov_b32_e32 v46, 0
.LBB25_290:
	v_pk_add_f32 v[40:41], v[0:1], v[40:41]
	s_nop 0
	v_min3_f32 v47, v40, v41, v100
	v_pk_add_f32 v[40:41], v[2:3], v[42:43]
	s_nop 0
	v_min_f32_e32 v40, v40, v41
	v_min3_f32 v42, v46, v40, v47
	v_lshl_add_u64 v[40:41], v[78:79], 2, v[44:45]
	flat_store_dword v[40:41], v42
.LBB25_291:
	s_or_b64 exec, exec, s[18:19]
	v_add_u32_e32 v44, 0xc0, v123
	v_mad_i64_i32 v[40:41], s[26:27], v44, s29, 0
	v_cmp_gt_i32_e64 s[18:19], s21, v44
	v_lshl_add_u64 v[42:43], v[40:41], 2, s[24:25]
	v_mad_i64_i32 v[40:41], s[26:27], v44, s28, 0
	v_lshl_add_u64 v[40:41], v[40:41], 2, s[22:23]
	s_and_b64 s[30:31], s[2:3], s[18:19]
	s_and_saveexec_b64 s[26:27], s[30:31]
	s_cbranch_execnz .LBB25_299
; %bb.292:
	s_or_b64 exec, exec, s[26:27]
	s_and_b64 s[30:31], s[4:5], s[18:19]
	s_and_saveexec_b64 s[26:27], s[30:31]
	s_cbranch_execnz .LBB25_303
.LBB25_293:
	s_or_b64 exec, exec, s[26:27]
	s_and_b64 s[30:31], s[6:7], s[18:19]
	s_and_saveexec_b64 s[26:27], s[30:31]
	s_cbranch_execnz .LBB25_307
.LBB25_294:
	s_or_b64 exec, exec, s[26:27]
	s_and_b64 s[30:31], s[8:9], s[18:19]
	s_and_saveexec_b64 s[26:27], s[30:31]
	s_cbranch_execnz .LBB25_311
.LBB25_295:
	s_or_b64 exec, exec, s[26:27]
	s_and_b64 s[30:31], s[10:11], s[18:19]
	s_and_saveexec_b64 s[26:27], s[30:31]
	s_cbranch_execnz .LBB25_315
.LBB25_296:
	s_or_b64 exec, exec, s[26:27]
	s_and_b64 s[30:31], s[12:13], s[18:19]
	s_and_saveexec_b64 s[26:27], s[30:31]
	s_cbranch_execnz .LBB25_319
.LBB25_297:
	s_or_b64 exec, exec, s[26:27]
	s_and_b64 s[30:31], s[14:15], s[18:19]
	s_and_saveexec_b64 s[26:27], s[30:31]
	s_cbranch_execnz .LBB25_323
.LBB25_298:
	s_or_b64 exec, exec, s[26:27]
	s_and_b64 s[26:27], s[16:17], s[18:19]
	s_and_saveexec_b64 s[18:19], s[26:27]
	s_cbranch_execnz .LBB25_327
	s_branch .LBB25_331
.LBB25_299:
	s_and_b64 vcc, exec, s[0:1]
	s_cbranch_vccnz .LBB25_301
; %bb.300:
	v_lshl_add_u64 v[44:45], v[64:65], 2, v[42:43]
	flat_load_dword v44, v[44:45]
	s_waitcnt vmcnt(0) lgkmcnt(0)
	v_mul_f32_e32 v44, s33, v44
	s_branch .LBB25_302
.LBB25_301:
	v_mov_b32_e32 v44, 0
.LBB25_302:
	v_pk_add_f32 v[46:47], v[32:33], v[36:37]
	s_nop 0
	v_min3_f32 v45, v46, v47, v99
	v_pk_add_f32 v[46:47], v[34:35], v[38:39]
	s_nop 0
	v_min_f32_e32 v46, v46, v47
	v_min3_f32 v46, v44, v46, v45
	v_lshl_add_u64 v[44:45], v[64:65], 2, v[40:41]
	flat_store_dword v[44:45], v46
	s_or_b64 exec, exec, s[26:27]
	s_and_b64 s[30:31], s[4:5], s[18:19]
	s_and_saveexec_b64 s[26:27], s[30:31]
	s_cbranch_execz .LBB25_293
.LBB25_303:
	s_and_b64 vcc, exec, s[0:1]
	s_cbranch_vccnz .LBB25_305
; %bb.304:
	v_lshl_add_u64 v[44:45], v[66:67], 2, v[42:43]
	flat_load_dword v44, v[44:45]
	s_waitcnt vmcnt(0) lgkmcnt(0)
	v_mul_f32_e32 v44, s33, v44
	s_branch .LBB25_306
.LBB25_305:
	v_mov_b32_e32 v44, 0
.LBB25_306:
	v_pk_add_f32 v[46:47], v[28:29], v[36:37]
	s_nop 0
	v_min3_f32 v45, v46, v47, v98
	v_pk_add_f32 v[46:47], v[30:31], v[38:39]
	s_nop 0
	v_min_f32_e32 v46, v46, v47
	v_min3_f32 v46, v44, v46, v45
	v_lshl_add_u64 v[44:45], v[66:67], 2, v[40:41]
	flat_store_dword v[44:45], v46
	s_or_b64 exec, exec, s[26:27]
	s_and_b64 s[30:31], s[6:7], s[18:19]
	s_and_saveexec_b64 s[26:27], s[30:31]
	s_cbranch_execz .LBB25_294
.LBB25_307:
	s_and_b64 vcc, exec, s[0:1]
	s_cbranch_vccnz .LBB25_309
; %bb.308:
	v_lshl_add_u64 v[44:45], v[68:69], 2, v[42:43]
	flat_load_dword v44, v[44:45]
	s_waitcnt vmcnt(0) lgkmcnt(0)
	v_mul_f32_e32 v44, s33, v44
	s_branch .LBB25_310
.LBB25_309:
	v_mov_b32_e32 v44, 0
.LBB25_310:
	v_pk_add_f32 v[46:47], v[24:25], v[36:37]
	s_nop 0
	v_min3_f32 v45, v46, v47, v97
	v_pk_add_f32 v[46:47], v[26:27], v[38:39]
	s_nop 0
	v_min_f32_e32 v46, v46, v47
	v_min3_f32 v46, v44, v46, v45
	v_lshl_add_u64 v[44:45], v[68:69], 2, v[40:41]
	flat_store_dword v[44:45], v46
	s_or_b64 exec, exec, s[26:27]
	s_and_b64 s[30:31], s[8:9], s[18:19]
	s_and_saveexec_b64 s[26:27], s[30:31]
	s_cbranch_execz .LBB25_295
.LBB25_311:
	s_and_b64 vcc, exec, s[0:1]
	s_cbranch_vccnz .LBB25_313
; %bb.312:
	v_lshl_add_u64 v[44:45], v[70:71], 2, v[42:43]
	flat_load_dword v44, v[44:45]
	s_waitcnt vmcnt(0) lgkmcnt(0)
	v_mul_f32_e32 v44, s33, v44
	s_branch .LBB25_314
.LBB25_313:
	v_mov_b32_e32 v44, 0
.LBB25_314:
	v_pk_add_f32 v[46:47], v[20:21], v[36:37]
	s_nop 0
	v_min3_f32 v45, v46, v47, v96
	v_pk_add_f32 v[46:47], v[22:23], v[38:39]
	s_nop 0
	v_min_f32_e32 v46, v46, v47
	v_min3_f32 v46, v44, v46, v45
	v_lshl_add_u64 v[44:45], v[70:71], 2, v[40:41]
	flat_store_dword v[44:45], v46
	s_or_b64 exec, exec, s[26:27]
	s_and_b64 s[30:31], s[10:11], s[18:19]
	s_and_saveexec_b64 s[26:27], s[30:31]
	s_cbranch_execz .LBB25_296
.LBB25_315:
	s_and_b64 vcc, exec, s[0:1]
	s_cbranch_vccnz .LBB25_317
; %bb.316:
	v_lshl_add_u64 v[44:45], v[72:73], 2, v[42:43]
	flat_load_dword v44, v[44:45]
	s_waitcnt vmcnt(0) lgkmcnt(0)
	v_mul_f32_e32 v44, s33, v44
	s_branch .LBB25_318
.LBB25_317:
	v_mov_b32_e32 v44, 0
.LBB25_318:
	v_pk_add_f32 v[46:47], v[16:17], v[36:37]
	s_nop 0
	v_min3_f32 v45, v46, v47, v95
	v_pk_add_f32 v[46:47], v[18:19], v[38:39]
	s_nop 0
	v_min_f32_e32 v46, v46, v47
	v_min3_f32 v46, v44, v46, v45
	v_lshl_add_u64 v[44:45], v[72:73], 2, v[40:41]
	flat_store_dword v[44:45], v46
	s_or_b64 exec, exec, s[26:27]
	s_and_b64 s[30:31], s[12:13], s[18:19]
	s_and_saveexec_b64 s[26:27], s[30:31]
	s_cbranch_execz .LBB25_297
.LBB25_319:
	s_and_b64 vcc, exec, s[0:1]
	s_cbranch_vccnz .LBB25_321
; %bb.320:
	v_lshl_add_u64 v[44:45], v[74:75], 2, v[42:43]
	flat_load_dword v44, v[44:45]
	s_waitcnt vmcnt(0) lgkmcnt(0)
	v_mul_f32_e32 v44, s33, v44
	s_branch .LBB25_322
.LBB25_321:
	v_mov_b32_e32 v44, 0
.LBB25_322:
	v_pk_add_f32 v[46:47], v[12:13], v[36:37]
	s_nop 0
	v_min3_f32 v45, v46, v47, v94
	v_pk_add_f32 v[46:47], v[14:15], v[38:39]
	s_nop 0
	v_min_f32_e32 v46, v46, v47
	v_min3_f32 v46, v44, v46, v45
	v_lshl_add_u64 v[44:45], v[74:75], 2, v[40:41]
	flat_store_dword v[44:45], v46
	s_or_b64 exec, exec, s[26:27]
	s_and_b64 s[30:31], s[14:15], s[18:19]
	s_and_saveexec_b64 s[26:27], s[30:31]
	s_cbranch_execz .LBB25_298
.LBB25_323:
	s_and_b64 vcc, exec, s[0:1]
	s_cbranch_vccnz .LBB25_325
; %bb.324:
	v_lshl_add_u64 v[44:45], v[76:77], 2, v[42:43]
	flat_load_dword v44, v[44:45]
	s_waitcnt vmcnt(0) lgkmcnt(0)
	v_mul_f32_e32 v44, s33, v44
	s_branch .LBB25_326
.LBB25_325:
	v_mov_b32_e32 v44, 0
.LBB25_326:
	v_pk_add_f32 v[46:47], v[8:9], v[36:37]
	s_nop 0
	v_min3_f32 v45, v46, v47, v93
	v_pk_add_f32 v[46:47], v[10:11], v[38:39]
	s_nop 0
	v_min_f32_e32 v46, v46, v47
	v_min3_f32 v46, v44, v46, v45
	v_lshl_add_u64 v[44:45], v[76:77], 2, v[40:41]
	flat_store_dword v[44:45], v46
	s_or_b64 exec, exec, s[26:27]
	s_and_b64 s[26:27], s[16:17], s[18:19]
	s_and_saveexec_b64 s[18:19], s[26:27]
	s_cbranch_execz .LBB25_331
.LBB25_327:
	s_and_b64 vcc, exec, s[0:1]
	s_cbranch_vccnz .LBB25_329
; %bb.328:
	v_lshl_add_u64 v[42:43], v[78:79], 2, v[42:43]
	flat_load_dword v42, v[42:43]
	s_waitcnt vmcnt(0) lgkmcnt(0)
	v_mul_f32_e32 v42, s33, v42
	s_branch .LBB25_330
.LBB25_329:
	v_mov_b32_e32 v42, 0
.LBB25_330:
	v_pk_add_f32 v[36:37], v[0:1], v[36:37]
	s_nop 0
	v_min3_f32 v43, v36, v37, v92
	v_pk_add_f32 v[36:37], v[2:3], v[38:39]
	s_nop 0
	v_min_f32_e32 v36, v36, v37
	v_min3_f32 v38, v42, v36, v43
	v_lshl_add_u64 v[36:37], v[78:79], 2, v[40:41]
	flat_store_dword v[36:37], v38
.LBB25_331:
	s_or_b64 exec, exec, s[18:19]
	v_add_u32_e32 v40, 0xe0, v123
	v_cmp_gt_i32_e64 s[18:19], s21, v40
	v_mad_i64_i32 v[36:37], s[20:21], v40, s29, 0
	v_lshl_add_u64 v[38:39], v[36:37], 2, s[24:25]
	v_mad_i64_i32 v[36:37], s[20:21], v40, s28, 0
	v_lshl_add_u64 v[36:37], v[36:37], 2, s[22:23]
	s_and_b64 s[20:21], s[2:3], s[18:19]
	s_and_saveexec_b64 s[2:3], s[20:21]
	s_cbranch_execnz .LBB25_340
; %bb.332:
	s_or_b64 exec, exec, s[2:3]
	s_and_b64 s[4:5], s[4:5], s[18:19]
	s_and_saveexec_b64 s[2:3], s[4:5]
	s_cbranch_execnz .LBB25_344
.LBB25_333:
	s_or_b64 exec, exec, s[2:3]
	s_and_b64 s[4:5], s[6:7], s[18:19]
	s_and_saveexec_b64 s[2:3], s[4:5]
	s_cbranch_execnz .LBB25_348
.LBB25_334:
	s_or_b64 exec, exec, s[2:3]
	s_and_b64 s[4:5], s[8:9], s[18:19]
	s_and_saveexec_b64 s[2:3], s[4:5]
	s_cbranch_execnz .LBB25_352
.LBB25_335:
	s_or_b64 exec, exec, s[2:3]
	s_and_b64 s[4:5], s[10:11], s[18:19]
	s_and_saveexec_b64 s[2:3], s[4:5]
	s_cbranch_execnz .LBB25_356
.LBB25_336:
	s_or_b64 exec, exec, s[2:3]
	s_and_b64 s[4:5], s[12:13], s[18:19]
	s_and_saveexec_b64 s[2:3], s[4:5]
	s_cbranch_execnz .LBB25_360
.LBB25_337:
	s_or_b64 exec, exec, s[2:3]
	s_and_b64 s[4:5], s[14:15], s[18:19]
	s_and_saveexec_b64 s[2:3], s[4:5]
	s_cbranch_execnz .LBB25_364
.LBB25_338:
	s_or_b64 exec, exec, s[2:3]
	s_and_b64 s[2:3], s[16:17], s[18:19]
	s_and_saveexec_b64 s[4:5], s[2:3]
	s_cbranch_execnz .LBB25_368
.LBB25_339:
	s_endpgm
.LBB25_340:
	s_and_b64 vcc, exec, s[0:1]
	s_cbranch_vccnz .LBB25_342
; %bb.341:
	v_lshl_add_u64 v[40:41], v[64:65], 2, v[38:39]
	flat_load_dword v40, v[40:41]
	s_waitcnt vmcnt(0) lgkmcnt(0)
	v_mul_f32_e32 v40, s33, v40
	s_branch .LBB25_343
.LBB25_342:
	v_mov_b32_e32 v40, 0
.LBB25_343:
	v_pk_add_f32 v[32:33], v[32:33], v[4:5]
	s_nop 0
	v_min3_f32 v41, v32, v33, v91
	v_pk_add_f32 v[32:33], v[34:35], v[6:7]
	s_nop 0
	v_min_f32_e32 v32, v32, v33
	v_min3_f32 v34, v40, v32, v41
	v_lshl_add_u64 v[32:33], v[64:65], 2, v[36:37]
	flat_store_dword v[32:33], v34
	s_or_b64 exec, exec, s[2:3]
	s_and_b64 s[4:5], s[4:5], s[18:19]
	s_and_saveexec_b64 s[2:3], s[4:5]
	s_cbranch_execz .LBB25_333
.LBB25_344:
	s_and_b64 vcc, exec, s[0:1]
	s_cbranch_vccnz .LBB25_346
; %bb.345:
	v_lshl_add_u64 v[32:33], v[66:67], 2, v[38:39]
	flat_load_dword v32, v[32:33]
	s_waitcnt vmcnt(0) lgkmcnt(0)
	v_mul_f32_e32 v32, s33, v32
	s_branch .LBB25_347
.LBB25_346:
	v_mov_b32_e32 v32, 0
.LBB25_347:
	v_pk_add_f32 v[28:29], v[28:29], v[4:5]
	s_nop 0
	v_min3_f32 v33, v28, v29, v90
	v_pk_add_f32 v[28:29], v[30:31], v[6:7]
	s_nop 0
	v_min_f32_e32 v28, v28, v29
	v_min3_f32 v30, v32, v28, v33
	v_lshl_add_u64 v[28:29], v[66:67], 2, v[36:37]
	flat_store_dword v[28:29], v30
	s_or_b64 exec, exec, s[2:3]
	s_and_b64 s[4:5], s[6:7], s[18:19]
	s_and_saveexec_b64 s[2:3], s[4:5]
	s_cbranch_execz .LBB25_334
.LBB25_348:
	s_and_b64 vcc, exec, s[0:1]
	s_cbranch_vccnz .LBB25_350
; %bb.349:
	v_lshl_add_u64 v[28:29], v[68:69], 2, v[38:39]
	flat_load_dword v28, v[28:29]
	s_waitcnt vmcnt(0) lgkmcnt(0)
	v_mul_f32_e32 v28, s33, v28
	s_branch .LBB25_351
.LBB25_350:
	v_mov_b32_e32 v28, 0
.LBB25_351:
	v_pk_add_f32 v[24:25], v[24:25], v[4:5]
	s_nop 0
	v_min3_f32 v29, v24, v25, v89
	v_pk_add_f32 v[24:25], v[26:27], v[6:7]
	s_nop 0
	v_min_f32_e32 v24, v24, v25
	v_min3_f32 v26, v28, v24, v29
	v_lshl_add_u64 v[24:25], v[68:69], 2, v[36:37]
	flat_store_dword v[24:25], v26
	s_or_b64 exec, exec, s[2:3]
	s_and_b64 s[4:5], s[8:9], s[18:19]
	s_and_saveexec_b64 s[2:3], s[4:5]
	s_cbranch_execz .LBB25_335
.LBB25_352:
	s_and_b64 vcc, exec, s[0:1]
	s_cbranch_vccnz .LBB25_354
; %bb.353:
	v_lshl_add_u64 v[24:25], v[70:71], 2, v[38:39]
	flat_load_dword v24, v[24:25]
	s_waitcnt vmcnt(0) lgkmcnt(0)
	v_mul_f32_e32 v24, s33, v24
	s_branch .LBB25_355
.LBB25_354:
	v_mov_b32_e32 v24, 0
.LBB25_355:
	v_pk_add_f32 v[20:21], v[20:21], v[4:5]
	s_nop 0
	v_min3_f32 v25, v20, v21, v87
	v_pk_add_f32 v[20:21], v[22:23], v[6:7]
	s_nop 0
	v_min_f32_e32 v20, v20, v21
	v_min3_f32 v22, v24, v20, v25
	v_lshl_add_u64 v[20:21], v[70:71], 2, v[36:37]
	flat_store_dword v[20:21], v22
	s_or_b64 exec, exec, s[2:3]
	s_and_b64 s[4:5], s[10:11], s[18:19]
	s_and_saveexec_b64 s[2:3], s[4:5]
	s_cbranch_execz .LBB25_336
.LBB25_356:
	s_and_b64 vcc, exec, s[0:1]
	s_cbranch_vccnz .LBB25_358
; %bb.357:
	v_lshl_add_u64 v[20:21], v[72:73], 2, v[38:39]
	flat_load_dword v20, v[20:21]
	s_waitcnt vmcnt(0) lgkmcnt(0)
	v_mul_f32_e32 v20, s33, v20
	s_branch .LBB25_359
.LBB25_358:
	v_mov_b32_e32 v20, 0
.LBB25_359:
	v_pk_add_f32 v[16:17], v[16:17], v[4:5]
	s_nop 0
	v_min3_f32 v21, v16, v17, v86
	v_pk_add_f32 v[16:17], v[18:19], v[6:7]
	s_nop 0
	v_min_f32_e32 v16, v16, v17
	v_min3_f32 v18, v20, v16, v21
	v_lshl_add_u64 v[16:17], v[72:73], 2, v[36:37]
	flat_store_dword v[16:17], v18
	s_or_b64 exec, exec, s[2:3]
	s_and_b64 s[4:5], s[12:13], s[18:19]
	s_and_saveexec_b64 s[2:3], s[4:5]
	s_cbranch_execz .LBB25_337
.LBB25_360:
	s_and_b64 vcc, exec, s[0:1]
	s_cbranch_vccnz .LBB25_362
; %bb.361:
	v_lshl_add_u64 v[16:17], v[74:75], 2, v[38:39]
	flat_load_dword v16, v[16:17]
	s_waitcnt vmcnt(0) lgkmcnt(0)
	v_mul_f32_e32 v16, s33, v16
	s_branch .LBB25_363
.LBB25_362:
	v_mov_b32_e32 v16, 0
.LBB25_363:
	v_pk_add_f32 v[12:13], v[12:13], v[4:5]
	s_nop 0
	v_min3_f32 v17, v12, v13, v85
	v_pk_add_f32 v[12:13], v[14:15], v[6:7]
	s_nop 0
	v_min_f32_e32 v12, v12, v13
	v_min3_f32 v14, v16, v12, v17
	v_lshl_add_u64 v[12:13], v[74:75], 2, v[36:37]
	flat_store_dword v[12:13], v14
	s_or_b64 exec, exec, s[2:3]
	s_and_b64 s[4:5], s[14:15], s[18:19]
	s_and_saveexec_b64 s[2:3], s[4:5]
	s_cbranch_execz .LBB25_338
.LBB25_364:
	s_and_b64 vcc, exec, s[0:1]
	s_cbranch_vccnz .LBB25_366
; %bb.365:
	v_lshl_add_u64 v[12:13], v[76:77], 2, v[38:39]
	flat_load_dword v12, v[12:13]
	s_waitcnt vmcnt(0) lgkmcnt(0)
	v_mul_f32_e32 v12, s33, v12
	s_branch .LBB25_367
.LBB25_366:
	v_mov_b32_e32 v12, 0
.LBB25_367:
	v_pk_add_f32 v[8:9], v[8:9], v[4:5]
	s_nop 0
	v_min3_f32 v13, v8, v9, v84
	v_pk_add_f32 v[8:9], v[10:11], v[6:7]
	s_nop 0
	v_min_f32_e32 v8, v8, v9
	v_min3_f32 v10, v12, v8, v13
	v_lshl_add_u64 v[8:9], v[76:77], 2, v[36:37]
	flat_store_dword v[8:9], v10
	s_or_b64 exec, exec, s[2:3]
	s_and_b64 s[2:3], s[16:17], s[18:19]
	s_and_saveexec_b64 s[4:5], s[2:3]
	s_cbranch_execz .LBB25_339
.LBB25_368:
	s_and_b64 vcc, exec, s[0:1]
	s_cbranch_vccnz .LBB25_370
; %bb.369:
	v_lshl_add_u64 v[8:9], v[78:79], 2, v[38:39]
	flat_load_dword v8, v[8:9]
	s_waitcnt vmcnt(0) lgkmcnt(0)
	v_mul_f32_e32 v8, s33, v8
	s_branch .LBB25_371
.LBB25_370:
	v_mov_b32_e32 v8, 0
.LBB25_371:
	v_pk_add_f32 v[0:1], v[0:1], v[4:5]
	s_nop 0
	v_min3_f32 v4, v0, v1, v88
	v_pk_add_f32 v[0:1], v[2:3], v[6:7]
	s_nop 0
	v_min_f32_e32 v0, v0, v1
	v_min3_f32 v2, v8, v0, v4
	v_lshl_add_u64 v[0:1], v[78:79], 2, v[36:37]
	flat_store_dword v[0:1], v2
	s_endpgm
	.section	.rodata,"a",@progbits
	.p2align	6, 0x0
	.amdhsa_kernel _ZN12_GLOBAL__N_120geam_min_plus_kernelIf15HIP_vector_typeIfLj2EEfLi8ELi32ELi64ELi256ELi4ELi4ELi64ELi64ELi4ELc84ELc84ELb1ELb1ELb1EfKPKfKPfEEviiiT16_PT17_ilSA_ilS8_SA_ilPT18_ili26rocblas_geam_ex_operation_
		.amdhsa_group_segment_fixed_size 10240
		.amdhsa_private_segment_fixed_size 0
		.amdhsa_kernarg_size 128
		.amdhsa_user_sgpr_count 2
		.amdhsa_user_sgpr_dispatch_ptr 0
		.amdhsa_user_sgpr_queue_ptr 0
		.amdhsa_user_sgpr_kernarg_segment_ptr 1
		.amdhsa_user_sgpr_dispatch_id 0
		.amdhsa_user_sgpr_kernarg_preload_length 0
		.amdhsa_user_sgpr_kernarg_preload_offset 0
		.amdhsa_user_sgpr_private_segment_size 0
		.amdhsa_uses_dynamic_stack 0
		.amdhsa_enable_private_segment 0
		.amdhsa_system_sgpr_workgroup_id_x 1
		.amdhsa_system_sgpr_workgroup_id_y 0
		.amdhsa_system_sgpr_workgroup_id_z 1
		.amdhsa_system_sgpr_workgroup_info 0
		.amdhsa_system_vgpr_workitem_id 1
		.amdhsa_next_free_vgpr 161
		.amdhsa_next_free_sgpr 38
		.amdhsa_accum_offset 164
		.amdhsa_reserve_vcc 1
		.amdhsa_float_round_mode_32 0
		.amdhsa_float_round_mode_16_64 0
		.amdhsa_float_denorm_mode_32 3
		.amdhsa_float_denorm_mode_16_64 3
		.amdhsa_dx10_clamp 1
		.amdhsa_ieee_mode 1
		.amdhsa_fp16_overflow 0
		.amdhsa_tg_split 0
		.amdhsa_exception_fp_ieee_invalid_op 0
		.amdhsa_exception_fp_denorm_src 0
		.amdhsa_exception_fp_ieee_div_zero 0
		.amdhsa_exception_fp_ieee_overflow 0
		.amdhsa_exception_fp_ieee_underflow 0
		.amdhsa_exception_fp_ieee_inexact 0
		.amdhsa_exception_int_div_zero 0
	.end_amdhsa_kernel
	.section	.text._ZN12_GLOBAL__N_120geam_min_plus_kernelIf15HIP_vector_typeIfLj2EEfLi8ELi32ELi64ELi256ELi4ELi4ELi64ELi64ELi4ELc84ELc84ELb1ELb1ELb1EfKPKfKPfEEviiiT16_PT17_ilSA_ilS8_SA_ilPT18_ili26rocblas_geam_ex_operation_,"axG",@progbits,_ZN12_GLOBAL__N_120geam_min_plus_kernelIf15HIP_vector_typeIfLj2EEfLi8ELi32ELi64ELi256ELi4ELi4ELi64ELi64ELi4ELc84ELc84ELb1ELb1ELb1EfKPKfKPfEEviiiT16_PT17_ilSA_ilS8_SA_ilPT18_ili26rocblas_geam_ex_operation_,comdat
.Lfunc_end25:
	.size	_ZN12_GLOBAL__N_120geam_min_plus_kernelIf15HIP_vector_typeIfLj2EEfLi8ELi32ELi64ELi256ELi4ELi4ELi64ELi64ELi4ELc84ELc84ELb1ELb1ELb1EfKPKfKPfEEviiiT16_PT17_ilSA_ilS8_SA_ilPT18_ili26rocblas_geam_ex_operation_, .Lfunc_end25-_ZN12_GLOBAL__N_120geam_min_plus_kernelIf15HIP_vector_typeIfLj2EEfLi8ELi32ELi64ELi256ELi4ELi4ELi64ELi64ELi4ELc84ELc84ELb1ELb1ELb1EfKPKfKPfEEviiiT16_PT17_ilSA_ilS8_SA_ilPT18_ili26rocblas_geam_ex_operation_
                                        ; -- End function
	.set _ZN12_GLOBAL__N_120geam_min_plus_kernelIf15HIP_vector_typeIfLj2EEfLi8ELi32ELi64ELi256ELi4ELi4ELi64ELi64ELi4ELc84ELc84ELb1ELb1ELb1EfKPKfKPfEEviiiT16_PT17_ilSA_ilS8_SA_ilPT18_ili26rocblas_geam_ex_operation_.num_vgpr, 161
	.set _ZN12_GLOBAL__N_120geam_min_plus_kernelIf15HIP_vector_typeIfLj2EEfLi8ELi32ELi64ELi256ELi4ELi4ELi64ELi64ELi4ELc84ELc84ELb1ELb1ELb1EfKPKfKPfEEviiiT16_PT17_ilSA_ilS8_SA_ilPT18_ili26rocblas_geam_ex_operation_.num_agpr, 0
	.set _ZN12_GLOBAL__N_120geam_min_plus_kernelIf15HIP_vector_typeIfLj2EEfLi8ELi32ELi64ELi256ELi4ELi4ELi64ELi64ELi4ELc84ELc84ELb1ELb1ELb1EfKPKfKPfEEviiiT16_PT17_ilSA_ilS8_SA_ilPT18_ili26rocblas_geam_ex_operation_.numbered_sgpr, 38
	.set _ZN12_GLOBAL__N_120geam_min_plus_kernelIf15HIP_vector_typeIfLj2EEfLi8ELi32ELi64ELi256ELi4ELi4ELi64ELi64ELi4ELc84ELc84ELb1ELb1ELb1EfKPKfKPfEEviiiT16_PT17_ilSA_ilS8_SA_ilPT18_ili26rocblas_geam_ex_operation_.num_named_barrier, 0
	.set _ZN12_GLOBAL__N_120geam_min_plus_kernelIf15HIP_vector_typeIfLj2EEfLi8ELi32ELi64ELi256ELi4ELi4ELi64ELi64ELi4ELc84ELc84ELb1ELb1ELb1EfKPKfKPfEEviiiT16_PT17_ilSA_ilS8_SA_ilPT18_ili26rocblas_geam_ex_operation_.private_seg_size, 0
	.set _ZN12_GLOBAL__N_120geam_min_plus_kernelIf15HIP_vector_typeIfLj2EEfLi8ELi32ELi64ELi256ELi4ELi4ELi64ELi64ELi4ELc84ELc84ELb1ELb1ELb1EfKPKfKPfEEviiiT16_PT17_ilSA_ilS8_SA_ilPT18_ili26rocblas_geam_ex_operation_.uses_vcc, 1
	.set _ZN12_GLOBAL__N_120geam_min_plus_kernelIf15HIP_vector_typeIfLj2EEfLi8ELi32ELi64ELi256ELi4ELi4ELi64ELi64ELi4ELc84ELc84ELb1ELb1ELb1EfKPKfKPfEEviiiT16_PT17_ilSA_ilS8_SA_ilPT18_ili26rocblas_geam_ex_operation_.uses_flat_scratch, 0
	.set _ZN12_GLOBAL__N_120geam_min_plus_kernelIf15HIP_vector_typeIfLj2EEfLi8ELi32ELi64ELi256ELi4ELi4ELi64ELi64ELi4ELc84ELc84ELb1ELb1ELb1EfKPKfKPfEEviiiT16_PT17_ilSA_ilS8_SA_ilPT18_ili26rocblas_geam_ex_operation_.has_dyn_sized_stack, 0
	.set _ZN12_GLOBAL__N_120geam_min_plus_kernelIf15HIP_vector_typeIfLj2EEfLi8ELi32ELi64ELi256ELi4ELi4ELi64ELi64ELi4ELc84ELc84ELb1ELb1ELb1EfKPKfKPfEEviiiT16_PT17_ilSA_ilS8_SA_ilPT18_ili26rocblas_geam_ex_operation_.has_recursion, 0
	.set _ZN12_GLOBAL__N_120geam_min_plus_kernelIf15HIP_vector_typeIfLj2EEfLi8ELi32ELi64ELi256ELi4ELi4ELi64ELi64ELi4ELc84ELc84ELb1ELb1ELb1EfKPKfKPfEEviiiT16_PT17_ilSA_ilS8_SA_ilPT18_ili26rocblas_geam_ex_operation_.has_indirect_call, 0
	.section	.AMDGPU.csdata,"",@progbits
; Kernel info:
; codeLenInByte = 18416
; TotalNumSgprs: 44
; NumVgprs: 161
; NumAgprs: 0
; TotalNumVgprs: 161
; ScratchSize: 0
; MemoryBound: 0
; FloatMode: 240
; IeeeMode: 1
; LDSByteSize: 10240 bytes/workgroup (compile time only)
; SGPRBlocks: 5
; VGPRBlocks: 20
; NumSGPRsForWavesPerEU: 44
; NumVGPRsForWavesPerEU: 161
; AccumOffset: 164
; Occupancy: 3
; WaveLimiterHint : 1
; COMPUTE_PGM_RSRC2:SCRATCH_EN: 0
; COMPUTE_PGM_RSRC2:USER_SGPR: 2
; COMPUTE_PGM_RSRC2:TRAP_HANDLER: 0
; COMPUTE_PGM_RSRC2:TGID_X_EN: 1
; COMPUTE_PGM_RSRC2:TGID_Y_EN: 0
; COMPUTE_PGM_RSRC2:TGID_Z_EN: 1
; COMPUTE_PGM_RSRC2:TIDIG_COMP_CNT: 1
; COMPUTE_PGM_RSRC3_GFX90A:ACCUM_OFFSET: 40
; COMPUTE_PGM_RSRC3_GFX90A:TG_SPLIT: 0
	.section	.text._ZN12_GLOBAL__N_120geam_min_plus_kernelIf15HIP_vector_typeIfLj2EEfLi8ELi32ELi64ELi256ELi4ELi4ELi64ELi64ELi4ELc84ELc84ELb0ELb1ELb1EfKPKfKPfEEviiiT16_PT17_ilSA_ilS8_SA_ilPT18_ili26rocblas_geam_ex_operation_,"axG",@progbits,_ZN12_GLOBAL__N_120geam_min_plus_kernelIf15HIP_vector_typeIfLj2EEfLi8ELi32ELi64ELi256ELi4ELi4ELi64ELi64ELi4ELc84ELc84ELb0ELb1ELb1EfKPKfKPfEEviiiT16_PT17_ilSA_ilS8_SA_ilPT18_ili26rocblas_geam_ex_operation_,comdat
	.globl	_ZN12_GLOBAL__N_120geam_min_plus_kernelIf15HIP_vector_typeIfLj2EEfLi8ELi32ELi64ELi256ELi4ELi4ELi64ELi64ELi4ELc84ELc84ELb0ELb1ELb1EfKPKfKPfEEviiiT16_PT17_ilSA_ilS8_SA_ilPT18_ili26rocblas_geam_ex_operation_ ; -- Begin function _ZN12_GLOBAL__N_120geam_min_plus_kernelIf15HIP_vector_typeIfLj2EEfLi8ELi32ELi64ELi256ELi4ELi4ELi64ELi64ELi4ELc84ELc84ELb0ELb1ELb1EfKPKfKPfEEviiiT16_PT17_ilSA_ilS8_SA_ilPT18_ili26rocblas_geam_ex_operation_
	.p2align	8
	.type	_ZN12_GLOBAL__N_120geam_min_plus_kernelIf15HIP_vector_typeIfLj2EEfLi8ELi32ELi64ELi256ELi4ELi4ELi64ELi64ELi4ELc84ELc84ELb0ELb1ELb1EfKPKfKPfEEviiiT16_PT17_ilSA_ilS8_SA_ilPT18_ili26rocblas_geam_ex_operation_,@function
_ZN12_GLOBAL__N_120geam_min_plus_kernelIf15HIP_vector_typeIfLj2EEfLi8ELi32ELi64ELi256ELi4ELi4ELi64ELi64ELi4ELc84ELc84ELb0ELb1ELb1EfKPKfKPfEEviiiT16_PT17_ilSA_ilS8_SA_ilPT18_ili26rocblas_geam_ex_operation_: ; @_ZN12_GLOBAL__N_120geam_min_plus_kernelIf15HIP_vector_typeIfLj2EEfLi8ELi32ELi64ELi256ELi4ELi4ELi64ELi64ELi4ELc84ELc84ELb0ELb1ELb1EfKPKfKPfEEviiiT16_PT17_ilSA_ilS8_SA_ilPT18_ili26rocblas_geam_ex_operation_
; %bb.0:
	s_load_dwordx4 s[20:23], s[0:1], 0x0
	s_load_dwordx4 s[4:7], s[0:1], 0x20
	s_mov_b32 s8, s3
	s_mov_b32 s9, 0
	s_waitcnt lgkmcnt(0)
	v_cmp_eq_f32_e64 s[10:11], s23, 0
	s_and_b64 vcc, exec, s[10:11]
	s_cbranch_vccnz .LBB26_3
; %bb.1:
	s_load_dwordx2 s[12:13], s[0:1], 0x10
	s_lshl_b64 s[14:15], s[8:9], 3
	s_waitcnt lgkmcnt(0)
	s_add_u32 s12, s12, s14
	s_addc_u32 s13, s13, s15
	s_load_dwordx2 s[12:13], s[12:13], 0x0
	s_lshl_b64 s[4:5], s[4:5], 2
	s_waitcnt lgkmcnt(0)
	s_add_u32 s28, s12, s4
	s_addc_u32 s29, s13, s5
	s_andn2_b64 vcc, exec, s[10:11]
	s_cbranch_vccnz .LBB26_4
.LBB26_2:
	s_mov_b32 s11, 0
	s_mov_b32 s10, s8
	s_mov_b64 s[24:25], 0
	s_mov_b64 s[16:17], 0
	s_cbranch_execz .LBB26_5
	s_branch .LBB26_6
.LBB26_3:
	s_mov_b64 s[28:29], 0
	s_andn2_b64 vcc, exec, s[10:11]
	s_cbranch_vccz .LBB26_2
.LBB26_4:
	s_mov_b64 s[10:11], s[8:9]
	s_mov_b64 s[24:25], 0
	;; [unrolled: 1-line block ×3, first 2 shown]
.LBB26_5:
	s_lshl_b64 s[8:9], s[8:9], 3
	s_add_u32 s6, s6, s8
	s_load_dwordx2 s[4:5], s[0:1], 0x38
	s_addc_u32 s7, s7, s9
	s_load_dwordx2 s[6:7], s[6:7], 0x0
	s_waitcnt lgkmcnt(0)
	s_lshl_b64 s[4:5], s[4:5], 2
	s_add_u32 s16, s6, s4
	s_addc_u32 s17, s7, s5
.LBB26_6:
	s_load_dword s30, s[0:1], 0x40
	s_load_dwordx4 s[4:7], s[0:1], 0x58
	s_waitcnt lgkmcnt(0)
	v_cmp_eq_f32_e64 s[8:9], s30, 0
	v_cmp_neq_f32_e64 s[14:15], s30, 0
	s_and_b64 vcc, exec, s[8:9]
	s_cbranch_vccnz .LBB26_8
; %bb.7:
	s_load_dwordx2 s[8:9], s[0:1], 0x48
	s_lshl_b64 s[12:13], s[10:11], 3
	s_waitcnt lgkmcnt(0)
	s_add_u32 s8, s8, s12
	s_addc_u32 s9, s9, s13
	s_load_dwordx2 s[8:9], s[8:9], 0x0
	s_lshl_b64 s[4:5], s[4:5], 2
	s_waitcnt lgkmcnt(0)
	s_add_u32 s24, s8, s4
	s_addc_u32 s25, s9, s5
.LBB26_8:
	s_lshl_b64 s[4:5], s[10:11], 3
	s_add_u32 s26, s6, s4
	s_addc_u32 s27, s7, s5
	s_add_i32 s3, s20, -1
	s_ashr_i32 s4, s3, 31
	s_lshr_b32 s4, s4, 26
	s_add_i32 s3, s3, s4
	s_ashr_i32 s3, s3, 6
	s_add_i32 s4, s3, 1
	v_cvt_f32_u32_e32 v1, s4
	s_not_b32 s3, s3
	v_and_b32_e32 v70, 0x3ff, v0
	v_bfe_u32 v71, v0, 10, 10
	v_rcp_iflag_f32_e32 v1, v1
	v_and_b32_e32 v72, 3, v0
	v_lshl_add_u32 v0, v71, 3, v70
	s_load_dword s35, s[0:1], 0x18
	v_mul_f32_e32 v1, 0x4f7ffffe, v1
	v_cvt_u32_f32_e32 v1, v1
	v_lshrrev_b32_e32 v2, 2, v0
	v_cmp_eq_f32_e64 s[18:19], s23, 0
                                        ; implicit-def: $vgpr3
	v_readfirstlane_b32 s5, v1
	s_mul_i32 s3, s3, s5
	s_mul_hi_u32 s3, s5, s3
	s_add_i32 s5, s5, s3
	s_mul_hi_u32 s3, s2, s5
	s_mul_i32 s5, s3, s4
	s_sub_i32 s5, s2, s5
	s_add_i32 s6, s3, 1
	s_sub_i32 s7, s5, s4
	s_cmp_ge_u32 s5, s4
	s_cselect_b32 s3, s6, s3
	s_cselect_b32 s5, s7, s5
	s_add_i32 s6, s3, 1
	s_cmp_ge_u32 s5, s4
	s_cselect_b32 s6, s6, s3
	s_mul_i32 s3, s6, s4
	s_sub_i32 s2, s2, s3
	s_lshl_b32 s31, s2, 6
	v_add_u32_e32 v56, s31, v2
	v_cmp_le_i32_e64 s[2:3], s22, v72
	v_cmp_le_i32_e32 vcc, s20, v56
	s_or_b64 s[2:3], s[2:3], vcc
	s_nor_b64 s[4:5], s[18:19], s[2:3]
                                        ; implicit-def: $sgpr7
	s_and_saveexec_b64 s[8:9], s[4:5]
	s_xor_b64 s[4:5], exec, s[8:9]
	s_cbranch_execz .LBB26_10
; %bb.9:
	s_add_i32 s7, s22, -1
	s_waitcnt lgkmcnt(0)
	v_mad_i64_i32 v[4:5], s[8:9], v56, s35, 0
	v_min_u32_e32 v1, s7, v72
	v_lshl_add_u64 v[4:5], v[4:5], 2, s[28:29]
	v_lshlrev_b32_e32 v6, 2, v1
	v_mov_b32_e32 v7, 0
	v_lshl_add_u64 v[4:5], v[4:5], 0, v[6:7]
	flat_load_dword v1, v[4:5]
	s_waitcnt vmcnt(0) lgkmcnt(0)
	v_mul_f32_e32 v3, s23, v1
.LBB26_10:
	s_or_saveexec_b64 s[4:5], s[4:5]
	v_mov_b32_e32 v1, s7
	s_xor_b64 exec, exec, s[4:5]
; %bb.11:
	v_mov_b32_e32 v1, 0x7f7fffff
	v_cndmask_b32_e64 v3, 0, v1, s[2:3]
	s_add_i32 s2, s22, -1
	v_mov_b32_e32 v1, s2
; %bb.12:
	s_or_b64 exec, exec, s[4:5]
	s_load_dword s34, s[0:1], 0x30
	v_lshrrev_b32_e32 v73, 6, v0
	v_and_b32_e32 v4, 63, v0
	s_lshl_b32 s33, s6, 8
	v_min_i32_e32 v0, v73, v1
	v_or_b32_e32 v64, s33, v4
	s_waitcnt lgkmcnt(0)
	v_mad_i64_i32 v[0:1], s[2:3], v0, s34, 0
	v_cmp_le_i32_e64 s[10:11], s22, v73
	v_cmp_le_i32_e64 s[2:3], s21, v64
	v_mov_b32_e32 v6, 0x7f7fffff
	s_or_b64 s[4:5], s[2:3], s[10:11]
	v_lshl_add_u64 v[0:1], v[0:1], 2, s[16:17]
	v_cndmask_b32_e64 v5, 0, v6, s[4:5]
	s_nor_b64 s[6:7], s[18:19], s[4:5]
	v_ashrrev_i32_e32 v65, 31, v64
	s_and_saveexec_b64 s[4:5], s[6:7]
	s_cbranch_execz .LBB26_14
; %bb.13:
	v_lshl_add_u64 v[8:9], v[64:65], 2, v[0:1]
	flat_load_dword v5, v[8:9]
	s_waitcnt vmcnt(0) lgkmcnt(0)
	v_mul_f32_e32 v5, s23, v5
.LBB26_14:
	s_or_b64 exec, exec, s[4:5]
	v_or_b32_e32 v7, 64, v64
	v_cmp_le_i32_e64 s[4:5], s21, v7
	s_or_b64 s[6:7], s[4:5], s[10:11]
	v_cndmask_b32_e64 v6, 0, v6, s[6:7]
	s_nor_b64 s[8:9], s[18:19], s[6:7]
	s_and_saveexec_b64 s[6:7], s[8:9]
	s_cbranch_execz .LBB26_16
; %bb.15:
	v_lshl_add_u64 v[6:7], v[64:65], 2, v[0:1]
	flat_load_dword v6, v[6:7] offset:256
	s_waitcnt vmcnt(0) lgkmcnt(0)
	v_mul_f32_e32 v6, s23, v6
.LBB26_16:
	s_or_b64 exec, exec, s[6:7]
	v_or_b32_e32 v7, 0x80, v64
	v_cmp_le_i32_e64 s[6:7], s21, v7
	v_mov_b32_e32 v8, 0x7f7fffff
	s_or_b64 s[8:9], s[6:7], s[10:11]
	v_cndmask_b32_e64 v7, 0, v8, s[8:9]
	s_nor_b64 s[12:13], s[18:19], s[8:9]
	s_and_saveexec_b64 s[8:9], s[12:13]
	s_cbranch_execz .LBB26_18
; %bb.17:
	v_lshl_add_u64 v[10:11], v[64:65], 2, v[0:1]
	flat_load_dword v7, v[10:11] offset:512
	s_waitcnt vmcnt(0) lgkmcnt(0)
	v_mul_f32_e32 v7, s23, v7
.LBB26_18:
	s_or_b64 exec, exec, s[8:9]
	v_or_b32_e32 v9, 0xc0, v64
	v_cmp_le_i32_e64 s[8:9], s21, v9
	s_or_b64 s[10:11], s[8:9], s[10:11]
	v_cndmask_b32_e64 v8, 0, v8, s[10:11]
	s_nor_b64 s[12:13], s[18:19], s[10:11]
	s_and_saveexec_b64 s[10:11], s[12:13]
	s_cbranch_execz .LBB26_20
; %bb.19:
	v_lshl_add_u64 v[0:1], v[64:65], 2, v[0:1]
	flat_load_dword v0, v[0:1] offset:768
	s_waitcnt vmcnt(0) lgkmcnt(0)
	v_mul_f32_e32 v8, s23, v0
.LBB26_20:
	s_or_b64 exec, exec, s[10:11]
	v_or_b32_e32 v0, 4, v72
	v_cmp_le_i32_e64 s[10:11], s22, v0
	s_or_b64 s[10:11], s[10:11], vcc
	s_nor_b64 s[12:13], s[18:19], s[10:11]
                                        ; implicit-def: $vgpr57
                                        ; implicit-def: $sgpr36
	s_and_saveexec_b64 s[38:39], s[12:13]
	s_xor_b64 s[12:13], exec, s[38:39]
	s_cbranch_execz .LBB26_22
; %bb.21:
	v_mad_i64_i32 v[10:11], s[36:37], v56, s35, 0
	s_add_i32 s36, s22, -1
	s_nop 0
	v_min_u32_e32 v0, s36, v0
	v_lshl_add_u64 v[10:11], v[10:11], 2, s[28:29]
	v_lshlrev_b32_e32 v0, 2, v0
	v_mov_b32_e32 v1, 0
	v_lshl_add_u64 v[0:1], v[10:11], 0, v[0:1]
	flat_load_dword v0, v[0:1]
	s_waitcnt vmcnt(0) lgkmcnt(0)
	v_mul_f32_e32 v57, s23, v0
.LBB26_22:
	s_or_saveexec_b64 s[12:13], s[12:13]
	v_mov_b32_e32 v0, s36
	s_xor_b64 exec, exec, s[12:13]
; %bb.23:
	v_mov_b32_e32 v0, 0x7f7fffff
	v_cndmask_b32_e64 v57, 0, v0, s[10:11]
	s_add_i32 s10, s22, -1
	v_mov_b32_e32 v0, s10
; %bb.24:
	s_or_b64 exec, exec, s[12:13]
	v_add_u32_e32 v1, 4, v73
	v_min_i32_e32 v0, v1, v0
	v_cmp_le_i32_e64 s[10:11], s22, v1
	v_mad_i64_i32 v[0:1], s[12:13], v0, s34, 0
	v_mov_b32_e32 v9, 0x7f7fffff
	s_or_b64 s[12:13], s[2:3], s[10:11]
	v_lshl_add_u64 v[0:1], v[0:1], 2, s[16:17]
	v_cndmask_b32_e64 v58, 0, v9, s[12:13]
	s_nor_b64 s[36:37], s[18:19], s[12:13]
	s_and_saveexec_b64 s[12:13], s[36:37]
	s_cbranch_execz .LBB26_26
; %bb.25:
	v_lshl_add_u64 v[10:11], v[64:65], 2, v[0:1]
	flat_load_dword v10, v[10:11]
	s_waitcnt vmcnt(0) lgkmcnt(0)
	v_mul_f32_e32 v58, s23, v10
.LBB26_26:
	s_or_b64 exec, exec, s[12:13]
	s_or_b64 s[12:13], s[4:5], s[10:11]
	v_cndmask_b32_e64 v59, 0, v9, s[12:13]
	s_nor_b64 s[36:37], s[18:19], s[12:13]
	s_and_saveexec_b64 s[12:13], s[36:37]
	s_cbranch_execz .LBB26_28
; %bb.27:
	v_lshl_add_u64 v[10:11], v[64:65], 2, v[0:1]
	flat_load_dword v9, v[10:11] offset:256
	s_waitcnt vmcnt(0) lgkmcnt(0)
	v_mul_f32_e32 v59, s23, v9
.LBB26_28:
	s_or_b64 exec, exec, s[12:13]
	v_mov_b32_e32 v9, 0x7f7fffff
	s_or_b64 s[12:13], s[6:7], s[10:11]
	v_cndmask_b32_e64 v60, 0, v9, s[12:13]
	s_nor_b64 s[36:37], s[18:19], s[12:13]
	s_and_saveexec_b64 s[12:13], s[36:37]
	s_cbranch_execz .LBB26_30
; %bb.29:
	v_lshl_add_u64 v[10:11], v[64:65], 2, v[0:1]
	flat_load_dword v10, v[10:11] offset:512
	s_waitcnt vmcnt(0) lgkmcnt(0)
	v_mul_f32_e32 v60, s23, v10
.LBB26_30:
	s_or_b64 exec, exec, s[12:13]
	s_or_b64 s[10:11], s[8:9], s[10:11]
	v_cndmask_b32_e64 v61, 0, v9, s[10:11]
	s_nor_b64 s[36:37], s[18:19], s[10:11]
	s_mov_b32 s12, 0x7f7fffff
	s_and_saveexec_b64 s[10:11], s[36:37]
	s_cbranch_execz .LBB26_32
; %bb.31:
	v_lshl_add_u64 v[0:1], v[64:65], 2, v[0:1]
	flat_load_dword v0, v[0:1] offset:768
	s_waitcnt vmcnt(0) lgkmcnt(0)
	v_mul_f32_e32 v61, s23, v0
.LBB26_32:
	s_or_b64 exec, exec, s[10:11]
	v_lshlrev_b32_e32 v0, 2, v72
	v_lshl_or_b32 v62, v2, 4, v0
	v_lshlrev_b32_e32 v0, 4, v4
	v_lshl_add_u32 v76, v73, 2, v0
	v_lshlrev_b32_e32 v75, 4, v70
	s_load_dwordx2 s[26:27], s[26:27], 0x0
	ds_write_b32 v62, v3 offset:8192
	ds_write2st64_b32 v76, v5, v6 offset1:4
	ds_write2st64_b32 v76, v7, v8 offset0:8 offset1:12
	s_waitcnt lgkmcnt(0)
	s_barrier
	v_lshlrev_b32_e32 v74, 4, v71
	ds_read_b128 v[28:31], v75 offset:8192
	ds_read_b128 v[24:27], v75 offset:8320
	;; [unrolled: 1-line block ×8, first 2 shown]
	ds_read_b128 v[52:55], v74
	ds_read_b128 v[48:51], v74 offset:512
	ds_read_b128 v[44:47], v74 offset:1024
	;; [unrolled: 1-line block ×5, first 2 shown]
	s_waitcnt lgkmcnt(5)
	v_pk_add_f32 v[66:67], v[28:29], v[52:53]
	s_cmp_lt_i32 s22, 9
	v_min3_f32 v63, v66, v67, s12
	v_pk_add_f32 v[66:67], v[24:25], v[52:53]
	s_nop 0
	v_min3_f32 v68, v66, v67, s12
	v_pk_add_f32 v[66:67], v[20:21], v[52:53]
	s_nop 0
	v_min3_f32 v69, v66, v67, s12
	v_pk_add_f32 v[66:67], v[16:17], v[52:53]
	s_nop 0
	v_min3_f32 v77, v66, v67, s12
	v_pk_add_f32 v[66:67], v[12:13], v[52:53]
	s_nop 0
	v_min3_f32 v78, v66, v67, s12
	v_pk_add_f32 v[66:67], v[8:9], v[52:53]
	s_nop 0
	v_min3_f32 v80, v66, v67, s12
	v_pk_add_f32 v[66:67], v[4:5], v[52:53]
	v_pk_add_f32 v[52:53], v[0:1], v[52:53]
	v_min3_f32 v66, v66, v67, s12
	v_min3_f32 v67, v52, v53, s12
	s_waitcnt lgkmcnt(4)
	v_pk_add_f32 v[52:53], v[28:29], v[48:49]
	s_nop 0
	v_min3_f32 v81, v52, v53, s12
	v_pk_add_f32 v[52:53], v[24:25], v[48:49]
	s_nop 0
	v_min3_f32 v82, v52, v53, s12
	v_pk_add_f32 v[52:53], v[20:21], v[48:49]
	s_nop 0
	v_min3_f32 v83, v52, v53, s12
	v_pk_add_f32 v[52:53], v[16:17], v[48:49]
	s_nop 0
	v_min3_f32 v84, v52, v53, s12
	v_pk_add_f32 v[52:53], v[12:13], v[48:49]
	s_nop 0
	v_min3_f32 v85, v52, v53, s12
	v_pk_add_f32 v[52:53], v[8:9], v[48:49]
	s_nop 0
	v_min3_f32 v86, v52, v53, s12
	v_pk_add_f32 v[52:53], v[4:5], v[48:49]
	v_pk_add_f32 v[48:49], v[0:1], v[48:49]
	v_min3_f32 v87, v52, v53, s12
	v_min3_f32 v88, v48, v49, s12
	s_waitcnt lgkmcnt(3)
	v_pk_add_f32 v[48:49], v[28:29], v[44:45]
	s_nop 0
	;; [unrolled: 23-line block ×5, first 2 shown]
	v_min3_f32 v124, v36, v37, s12
	v_pk_add_f32 v[36:37], v[24:25], v[32:33]
	s_nop 0
	v_min3_f32 v146, v36, v37, s12
	v_pk_add_f32 v[36:37], v[20:21], v[32:33]
	s_nop 0
	;; [unrolled: 3-line block ×12, first 2 shown]
	v_min3_f32 v78, v36, v37, v66
	v_pk_add_f32 v[36:37], v[4:5], v[32:33]
	v_pk_add_f32 v[32:33], v[0:1], v[32:33]
	v_min3_f32 v63, v36, v37, s12
	v_min3_f32 v66, v32, v33, s12
	v_pk_add_f32 v[32:33], v[2:3], v[54:55]
	ds_read_b128 v[52:55], v74 offset:3072
	v_min3_f32 v141, v32, v33, v67
	v_pk_add_f32 v[32:33], v[30:31], v[50:51]
	s_nop 0
	v_min3_f32 v140, v32, v33, v81
	v_pk_add_f32 v[32:33], v[26:27], v[50:51]
	s_nop 0
	;; [unrolled: 3-line block ×7, first 2 shown]
	v_min3_f32 v131, v32, v33, v87
	v_pk_add_f32 v[32:33], v[2:3], v[50:51]
	ds_read_b128 v[48:51], v74 offset:3584
	v_min3_f32 v136, v32, v33, v88
	v_pk_add_f32 v[32:33], v[30:31], v[46:47]
	s_waitcnt lgkmcnt(1)
	v_pk_add_f32 v[36:37], v[28:29], v[52:53]
	v_min3_f32 v134, v32, v33, v89
	v_pk_add_f32 v[32:33], v[26:27], v[46:47]
	v_min3_f32 v67, v36, v37, s12
	v_min3_f32 v132, v32, v33, v90
	v_pk_add_f32 v[32:33], v[22:23], v[46:47]
	v_pk_add_f32 v[36:37], v[24:25], v[52:53]
	v_min3_f32 v130, v32, v33, v91
	v_pk_add_f32 v[32:33], v[18:19], v[46:47]
	v_min3_f32 v68, v36, v37, s12
	v_min3_f32 v129, v32, v33, v92
	v_pk_add_f32 v[32:33], v[14:15], v[46:47]
	v_pk_add_f32 v[36:37], v[12:13], v[52:53]
	v_min3_f32 v128, v32, v33, v93
	v_pk_add_f32 v[32:33], v[10:11], v[46:47]
	s_waitcnt lgkmcnt(0)
	v_pk_add_f32 v[28:29], v[28:29], v[48:49]
	v_min3_f32 v127, v32, v33, v94
	v_pk_add_f32 v[32:33], v[6:7], v[46:47]
	v_min3_f32 v28, v28, v29, s12
	v_min3_f32 v126, v32, v33, v95
	v_pk_add_f32 v[32:33], v[20:21], v[52:53]
	v_pk_add_f32 v[24:25], v[24:25], v[48:49]
	v_min3_f32 v69, v32, v33, s12
	v_pk_add_f32 v[32:33], v[16:17], v[52:53]
	v_pk_add_f32 v[12:13], v[12:13], v[48:49]
	v_min3_f32 v80, v32, v33, s12
	v_pk_add_f32 v[32:33], v[2:3], v[46:47]
	v_min3_f32 v46, v36, v37, s12
	v_min3_f32 v125, v32, v33, v96
	v_pk_add_f32 v[32:33], v[30:31], v[42:43]
	v_pk_add_f32 v[36:37], v[8:9], v[52:53]
	v_min3_f32 v123, v32, v33, v97
	v_pk_add_f32 v[32:33], v[26:27], v[42:43]
	v_min3_f32 v36, v36, v37, s12
	;; [unrolled: 6-line block ×3, first 2 shown]
	v_min3_f32 v120, v32, v33, v100
	v_pk_add_f32 v[32:33], v[14:15], v[42:43]
	v_pk_add_f32 v[24:25], v[30:31], v[34:35]
	v_min3_f32 v119, v32, v33, v101
	v_pk_add_f32 v[32:33], v[10:11], v[42:43]
	v_pk_add_f32 v[20:21], v[20:21], v[48:49]
	v_min3_f32 v118, v32, v33, v102
	v_pk_add_f32 v[32:33], v[6:7], v[42:43]
	v_min3_f32 v12, v12, v13, s12
	v_min3_f32 v117, v32, v33, v44
	v_pk_add_f32 v[32:33], v[4:5], v[52:53]
	v_pk_add_f32 v[4:5], v[4:5], v[48:49]
	v_min3_f32 v37, v32, v33, s12
	v_pk_add_f32 v[32:33], v[0:1], v[52:53]
	v_pk_add_f32 v[0:1], v[0:1], v[48:49]
	v_min3_f32 v44, v32, v33, s12
	v_pk_add_f32 v[32:33], v[2:3], v[42:43]
	v_min3_f32 v4, v4, v5, s12
	v_min3_f32 v116, v32, v33, v45
	v_pk_add_f32 v[32:33], v[30:31], v[38:39]
	v_min3_f32 v5, v0, v1, s12
	v_min3_f32 v115, v32, v33, v103
	v_pk_add_f32 v[32:33], v[26:27], v[38:39]
	v_pk_add_f32 v[0:1], v[2:3], v[54:55]
	v_min3_f32 v114, v32, v33, v104
	v_pk_add_f32 v[32:33], v[22:23], v[38:39]
	v_min3_f32 v92, v0, v1, v44
	v_min3_f32 v113, v32, v33, v105
	v_pk_add_f32 v[32:33], v[18:19], v[38:39]
	v_pk_add_f32 v[0:1], v[30:31], v[50:51]
	v_min3_f32 v112, v32, v33, v106
	v_pk_add_f32 v[32:33], v[14:15], v[38:39]
	v_min3_f32 v13, v8, v9, s12
	;; [unrolled: 2-line block ×4, first 2 shown]
	v_min3_f32 v107, v24, v25, v124
	v_pk_add_f32 v[24:25], v[26:27], v[34:35]
	v_min3_f32 v20, v20, v21, s12
	v_pk_add_f32 v[16:17], v[16:17], v[48:49]
	;; [unrolled: 2-line block ×5, first 2 shown]
	v_min3_f32 v21, v16, v17, s12
	v_min3_f32 v98, v8, v9, v68
	v_pk_add_f32 v[8:9], v[22:23], v[54:55]
	v_min3_f32 v89, v0, v1, v20
	v_pk_add_f32 v[0:1], v[18:19], v[50:51]
	;; [unrolled: 2-line block ×5, first 2 shown]
	v_pk_add_f32 v[32:33], v[10:11], v[38:39]
	v_min3_f32 v104, v24, v25, v148
	v_pk_add_f32 v[24:25], v[14:15], v[34:35]
	v_min3_f32 v96, v8, v9, v80
	;; [unrolled: 2-line block ×9, first 2 shown]
	v_pk_add_f32 v[24:25], v[6:7], v[34:35]
	v_pk_add_f32 v[16:17], v[2:3], v[34:35]
	v_min3_f32 v94, v8, v9, v36
	v_pk_add_f32 v[8:9], v[6:7], v[54:55]
	v_min3_f32 v84, v0, v1, v4
	;; [unrolled: 2-line block ×3, first 2 shown]
	v_min3_f32 v101, v24, v25, v63
	v_min3_f32 v100, v16, v17, v66
	;; [unrolled: 1-line block ×4, first 2 shown]
	ds_write_b32 v62, v57 offset:9216
	ds_write2st64_b32 v76, v58, v59 offset0:16 offset1:20
	ds_write2st64_b32 v76, v60, v61 offset0:24 offset1:28
	s_waitcnt lgkmcnt(0)
	s_barrier
	s_cbranch_scc1 .LBB26_59
; %bb.33:
	v_mov_b32_e32 v0, 0x2400
	v_lshl_add_u32 v124, v70, 4, v0
	v_mov_b32_e32 v0, 0x1000
	v_and_b32_e32 v2, 3, v70
	v_lshl_add_u32 v146, v71, 4, v0
	v_mad_i64_i32 v[0:1], s[10:11], s35, v56, 0
	v_lshlrev_b32_e32 v2, 2, v2
	v_mov_b32_e32 v3, 0
	v_lshl_add_u64 v[0:1], v[0:1], 2, v[2:3]
	v_lshl_add_u64 v[0:1], s[28:29], 0, v[0:1]
	v_add_u32_e32 v80, 0x2000, v62
	v_add_u32_e32 v81, 0x2000, v75
	;; [unrolled: 1-line block ×4, first 2 shown]
	s_add_i32 s36, s22, -8
	s_add_i32 s37, s22, -1
	v_lshl_add_u64 v[66:67], v[0:1], 0, 48
	s_mov_b32 s35, 0
	v_mov_b32_e32 v147, 0x7f7fffff
	s_branch .LBB26_35
.LBB26_34:                              ;   in Loop: Header=BB26_35 Depth=1
	s_or_b64 exec, exec, s[10:11]
	v_pk_add_f32 v[68:69], v[28:29], v[60:61]
	s_add_i32 s35, s35, 8
	v_min3_f32 v145, v68, v69, v145
	v_pk_add_f32 v[68:69], v[24:25], v[60:61]
	s_cmp_ge_i32 s35, s36
	v_min3_f32 v144, v68, v69, v144
	v_pk_add_f32 v[68:69], v[20:21], v[60:61]
	v_lshl_add_u64 v[66:67], v[66:67], 0, 32
	v_min3_f32 v143, v68, v69, v143
	v_pk_add_f32 v[68:69], v[16:17], v[60:61]
	s_nop 0
	v_min3_f32 v142, v68, v69, v142
	v_pk_add_f32 v[68:69], v[12:13], v[60:61]
	s_nop 0
	v_min3_f32 v79, v68, v69, v79
	v_pk_add_f32 v[68:69], v[8:9], v[60:61]
	s_nop 0
	v_min3_f32 v77, v68, v69, v77
	v_pk_add_f32 v[68:69], v[4:5], v[60:61]
	v_pk_add_f32 v[60:61], v[0:1], v[60:61]
	v_min3_f32 v68, v68, v69, v78
	v_min3_f32 v69, v60, v61, v141
	v_pk_add_f32 v[60:61], v[28:29], v[56:57]
	s_nop 0
	v_min3_f32 v78, v60, v61, v140
	v_pk_add_f32 v[60:61], v[24:25], v[56:57]
	s_nop 0
	v_min3_f32 v139, v60, v61, v139
	v_pk_add_f32 v[60:61], v[20:21], v[56:57]
	s_nop 0
	v_min3_f32 v138, v60, v61, v138
	v_pk_add_f32 v[60:61], v[16:17], v[56:57]
	s_nop 0
	v_min3_f32 v137, v60, v61, v137
	v_pk_add_f32 v[60:61], v[12:13], v[56:57]
	s_nop 0
	v_min3_f32 v135, v60, v61, v135
	v_pk_add_f32 v[60:61], v[8:9], v[56:57]
	s_nop 0
	v_min3_f32 v133, v60, v61, v133
	v_pk_add_f32 v[60:61], v[4:5], v[56:57]
	v_pk_add_f32 v[56:57], v[0:1], v[56:57]
	v_min3_f32 v60, v60, v61, v131
	v_min3_f32 v61, v56, v57, v136
	v_pk_add_f32 v[56:57], v[28:29], v[52:53]
	s_nop 0
	v_min3_f32 v131, v56, v57, v134
	v_pk_add_f32 v[56:57], v[24:25], v[52:53]
	s_nop 0
	v_min3_f32 v132, v56, v57, v132
	v_pk_add_f32 v[56:57], v[20:21], v[52:53]
	s_nop 0
	;; [unrolled: 22-line block ×5, first 2 shown]
	v_min3_f32 v105, v44, v45, v105
	v_pk_add_f32 v[44:45], v[16:17], v[40:41]
	s_nop 0
	v_min3_f32 v104, v44, v45, v104
	v_pk_add_f32 v[44:45], v[12:13], v[40:41]
	s_nop 0
	;; [unrolled: 3-line block ×3, first 2 shown]
	v_min3_f32 v102, v44, v45, v102
	v_pk_add_f32 v[44:45], v[4:5], v[40:41]
	v_pk_add_f32 v[40:41], v[0:1], v[40:41]
	v_min3_f32 v44, v44, v45, v101
	v_min3_f32 v45, v40, v41, v100
	v_pk_add_f32 v[40:41], v[28:29], v[36:37]
	v_pk_add_f32 v[28:29], v[28:29], v[32:33]
	v_min3_f32 v99, v40, v41, v99
	v_pk_add_f32 v[40:41], v[24:25], v[36:37]
	v_pk_add_f32 v[24:25], v[24:25], v[32:33]
	;; [unrolled: 3-line block ×7, first 2 shown]
	v_pk_add_f32 v[4:5], v[4:5], v[32:33]
	v_pk_add_f32 v[0:1], v[0:1], v[32:33]
	v_min3_f32 v4, v4, v5, v84
	v_min3_f32 v5, v0, v1, v88
	v_pk_add_f32 v[0:1], v[30:31], v[62:63]
	v_min3_f32 v8, v8, v9, v85
	v_min3_f32 v84, v0, v1, v145
	;; [unrolled: 3-line block ×9, first 2 shown]
	v_pk_add_f32 v[0:1], v[30:31], v[58:59]
	s_nop 0
	v_min3_f32 v78, v0, v1, v78
	v_pk_add_f32 v[0:1], v[26:27], v[58:59]
	s_nop 0
	v_min3_f32 v90, v0, v1, v139
	;; [unrolled: 3-line block ×56, first 2 shown]
	ds_read_b128 v[0:3], v81
	ds_read_b128 v[4:7], v81 offset:128
	ds_read_b128 v[8:11], v81 offset:256
	;; [unrolled: 1-line block ×7, first 2 shown]
	ds_read_b128 v[36:39], v74
	ds_read_b128 v[40:43], v74 offset:512
	ds_read_b128 v[44:47], v74 offset:1024
	;; [unrolled: 1-line block ×7, first 2 shown]
	s_waitcnt lgkmcnt(7)
	v_pk_add_f32 v[68:69], v[0:1], v[36:37]
	ds_write_b32 v82, v148
	ds_write2st64_b32 v83, v149, v150 offset1:4
	ds_write2st64_b32 v83, v151, v152 offset0:8 offset1:12
	v_min3_f32 v84, v68, v69, v84
	v_pk_add_f32 v[68:69], v[4:5], v[36:37]
	s_waitcnt lgkmcnt(0)
	v_min3_f32 v85, v68, v69, v85
	v_pk_add_f32 v[68:69], v[8:9], v[36:37]
	s_barrier
	v_min3_f32 v86, v68, v69, v86
	v_pk_add_f32 v[68:69], v[12:13], v[36:37]
	s_nop 0
	v_min3_f32 v87, v68, v69, v87
	v_pk_add_f32 v[68:69], v[16:17], v[36:37]
	s_nop 0
	;; [unrolled: 3-line block ×3, first 2 shown]
	v_min3_f32 v77, v68, v69, v77
	v_pk_add_f32 v[68:69], v[24:25], v[36:37]
	v_pk_add_f32 v[36:37], v[28:29], v[36:37]
	v_min3_f32 v68, v68, v69, v88
	v_min3_f32 v69, v36, v37, v89
	v_pk_add_f32 v[36:37], v[0:1], v[40:41]
	s_nop 0
	v_min3_f32 v88, v36, v37, v78
	v_pk_add_f32 v[36:37], v[4:5], v[40:41]
	s_nop 0
	;; [unrolled: 3-line block ×40, first 2 shown]
	v_min3_f32 v56, v36, v37, v135
	v_pk_add_f32 v[36:37], v[0:1], v[60:61]
	v_pk_add_f32 v[0:1], v[0:1], v[32:33]
	v_min3_f32 v57, v36, v37, v99
	v_pk_add_f32 v[36:37], v[4:5], v[60:61]
	s_nop 0
	v_min3_f32 v98, v36, v37, v98
	v_pk_add_f32 v[36:37], v[8:9], v[60:61]
	s_nop 0
	;; [unrolled: 3-line block ×7, first 2 shown]
	v_min3_f32 v36, v36, v37, v137
	v_min3_f32 v37, v0, v1, v138
	v_pk_add_f32 v[0:1], v[4:5], v[32:33]
	s_nop 0
	v_min3_f32 v4, v0, v1, v139
	v_pk_add_f32 v[0:1], v[8:9], v[32:33]
	s_nop 0
	;; [unrolled: 3-line block ×71, first 2 shown]
	v_min3_f32 v88, v0, v1, v16
	s_cbranch_scc1 .LBB26_59
.LBB26_35:                              ; =>This Inner Loop Header: Depth=1
	v_add_u32_e32 v68, s35, v72
	v_add_u32_e32 v0, 8, v68
	v_cmp_le_i32_e64 s[10:11], s22, v0
	s_or_b64 s[10:11], s[10:11], vcc
	s_nor_b64 s[12:13], s[18:19], s[10:11]
                                        ; implicit-def: $vgpr148
	s_and_saveexec_b64 s[28:29], s[12:13]
	s_xor_b64 s[28:29], exec, s[28:29]
	s_cbranch_execz .LBB26_37
; %bb.36:                               ;   in Loop: Header=BB26_35 Depth=1
	v_add_co_u32_e64 v0, s[12:13], -16, v66
	s_nop 1
	v_addc_co_u32_e64 v1, s[12:13], -1, v67, s[12:13]
	flat_load_dword v0, v[0:1]
	s_waitcnt vmcnt(0) lgkmcnt(0)
	v_mul_f32_e32 v148, s23, v0
.LBB26_37:                              ;   in Loop: Header=BB26_35 Depth=1
	s_andn2_saveexec_b64 s[12:13], s[28:29]
; %bb.38:                               ;   in Loop: Header=BB26_35 Depth=1
	v_cndmask_b32_e64 v148, 0, v147, s[10:11]
; %bb.39:                               ;   in Loop: Header=BB26_35 Depth=1
	s_or_b64 exec, exec, s[12:13]
	v_add_u32_e32 v69, s35, v73
	v_add_u32_e32 v0, 8, v69
	v_cmp_le_i32_e64 s[10:11], s22, v0
	v_min_i32_e32 v0, s37, v0
	v_mad_i64_i32 v[0:1], s[12:13], v0, s34, 0
	v_lshl_add_u64 v[0:1], v[0:1], 2, s[16:17]
	s_or_b64 s[12:13], s[2:3], s[10:11]
	v_cndmask_b32_e64 v149, 0, v147, s[12:13]
	s_nor_b64 s[28:29], s[18:19], s[12:13]
	v_lshl_add_u64 v[0:1], v[64:65], 2, v[0:1]
	s_and_saveexec_b64 s[12:13], s[28:29]
	s_cbranch_execz .LBB26_41
; %bb.40:                               ;   in Loop: Header=BB26_35 Depth=1
	flat_load_dword v2, v[0:1]
	s_waitcnt vmcnt(0) lgkmcnt(0)
	v_mul_f32_e32 v149, s23, v2
.LBB26_41:                              ;   in Loop: Header=BB26_35 Depth=1
	s_or_b64 exec, exec, s[12:13]
	s_or_b64 s[12:13], s[4:5], s[10:11]
	v_cndmask_b32_e64 v150, 0, v147, s[12:13]
	s_nor_b64 s[28:29], s[18:19], s[12:13]
	s_and_saveexec_b64 s[12:13], s[28:29]
	s_cbranch_execz .LBB26_43
; %bb.42:                               ;   in Loop: Header=BB26_35 Depth=1
	flat_load_dword v2, v[0:1] offset:256
	s_waitcnt vmcnt(0) lgkmcnt(0)
	v_mul_f32_e32 v150, s23, v2
.LBB26_43:                              ;   in Loop: Header=BB26_35 Depth=1
	s_or_b64 exec, exec, s[12:13]
	s_or_b64 s[12:13], s[6:7], s[10:11]
	v_cndmask_b32_e64 v151, 0, v147, s[12:13]
	s_nor_b64 s[28:29], s[18:19], s[12:13]
	s_and_saveexec_b64 s[12:13], s[28:29]
	s_cbranch_execz .LBB26_45
; %bb.44:                               ;   in Loop: Header=BB26_35 Depth=1
	flat_load_dword v2, v[0:1] offset:512
	s_waitcnt vmcnt(0) lgkmcnt(0)
	v_mul_f32_e32 v151, s23, v2
.LBB26_45:                              ;   in Loop: Header=BB26_35 Depth=1
	;; [unrolled: 11-line block ×3, first 2 shown]
	s_or_b64 exec, exec, s[10:11]
	ds_read_b128 v[28:31], v124
	ds_read_b128 v[24:27], v124 offset:128
	ds_read_b128 v[20:23], v124 offset:256
	;; [unrolled: 1-line block ×7, first 2 shown]
	ds_read_b128 v[60:63], v146
	ds_read_b128 v[56:59], v146 offset:512
	ds_read_b128 v[52:55], v146 offset:1024
	;; [unrolled: 1-line block ×7, first 2 shown]
	v_add_u32_e32 v68, 12, v68
	v_cmp_le_i32_e64 s[10:11], s22, v68
	s_or_b64 s[10:11], s[10:11], vcc
	s_nor_b64 s[12:13], s[18:19], s[10:11]
	ds_write_b32 v80, v148
	ds_write2st64_b32 v76, v149, v150 offset1:4
	ds_write2st64_b32 v76, v151, v152 offset0:8 offset1:12
	s_waitcnt lgkmcnt(0)
	s_barrier
                                        ; implicit-def: $vgpr148
	s_and_saveexec_b64 s[28:29], s[12:13]
	s_xor_b64 s[12:13], exec, s[28:29]
	s_cbranch_execz .LBB26_49
; %bb.48:                               ;   in Loop: Header=BB26_35 Depth=1
	flat_load_dword v68, v[66:67]
	s_waitcnt vmcnt(0) lgkmcnt(0)
	v_mul_f32_e32 v148, s23, v68
.LBB26_49:                              ;   in Loop: Header=BB26_35 Depth=1
	s_andn2_saveexec_b64 s[12:13], s[12:13]
; %bb.50:                               ;   in Loop: Header=BB26_35 Depth=1
	v_cndmask_b32_e64 v148, 0, v147, s[10:11]
; %bb.51:                               ;   in Loop: Header=BB26_35 Depth=1
	s_or_b64 exec, exec, s[12:13]
	v_add_u32_e32 v68, 12, v69
	v_cmp_le_i32_e64 s[10:11], s22, v68
	v_min_i32_e32 v68, s37, v68
	v_mad_i64_i32 v[68:69], s[12:13], v68, s34, 0
	v_lshl_add_u64 v[68:69], v[68:69], 2, s[16:17]
	s_or_b64 s[12:13], s[2:3], s[10:11]
	v_cndmask_b32_e64 v149, 0, v147, s[12:13]
	s_nor_b64 s[28:29], s[18:19], s[12:13]
	v_lshl_add_u64 v[68:69], v[64:65], 2, v[68:69]
	s_and_saveexec_b64 s[12:13], s[28:29]
	s_cbranch_execz .LBB26_53
; %bb.52:                               ;   in Loop: Header=BB26_35 Depth=1
	flat_load_dword v149, v[68:69]
	s_waitcnt vmcnt(0) lgkmcnt(0)
	v_mul_f32_e32 v149, s23, v149
.LBB26_53:                              ;   in Loop: Header=BB26_35 Depth=1
	s_or_b64 exec, exec, s[12:13]
	s_or_b64 s[12:13], s[4:5], s[10:11]
	v_cndmask_b32_e64 v150, 0, v147, s[12:13]
	s_nor_b64 s[28:29], s[18:19], s[12:13]
	s_and_saveexec_b64 s[12:13], s[28:29]
	s_cbranch_execz .LBB26_55
; %bb.54:                               ;   in Loop: Header=BB26_35 Depth=1
	flat_load_dword v150, v[68:69] offset:256
	s_waitcnt vmcnt(0) lgkmcnt(0)
	v_mul_f32_e32 v150, s23, v150
.LBB26_55:                              ;   in Loop: Header=BB26_35 Depth=1
	s_or_b64 exec, exec, s[12:13]
	s_or_b64 s[12:13], s[6:7], s[10:11]
	v_cndmask_b32_e64 v151, 0, v147, s[12:13]
	s_nor_b64 s[28:29], s[18:19], s[12:13]
	s_and_saveexec_b64 s[12:13], s[28:29]
	s_cbranch_execz .LBB26_57
; %bb.56:                               ;   in Loop: Header=BB26_35 Depth=1
	flat_load_dword v151, v[68:69] offset:512
	s_waitcnt vmcnt(0) lgkmcnt(0)
	v_mul_f32_e32 v151, s23, v151
.LBB26_57:                              ;   in Loop: Header=BB26_35 Depth=1
	s_or_b64 exec, exec, s[12:13]
	s_or_b64 s[10:11], s[8:9], s[10:11]
	v_cndmask_b32_e64 v152, 0, v147, s[10:11]
	s_nor_b64 s[12:13], s[18:19], s[10:11]
	s_and_saveexec_b64 s[10:11], s[12:13]
	s_cbranch_execz .LBB26_34
; %bb.58:                               ;   in Loop: Header=BB26_35 Depth=1
	flat_load_dword v68, v[68:69] offset:768
	s_waitcnt vmcnt(0) lgkmcnt(0)
	v_mul_f32_e32 v152, s23, v68
	s_branch .LBB26_34
.LBB26_59:
	s_load_dwordx2 s[2:3], s[0:1], 0x70
	s_load_dword s29, s[0:1], 0x50
	s_load_dword s28, s[0:1], 0x68
	ds_read_b128 v[32:35], v75 offset:9216
	ds_read_b128 v[28:31], v75 offset:9344
	;; [unrolled: 1-line block ×16, first 2 shown]
	s_waitcnt lgkmcnt(0)
	s_lshl_b64 s[0:1], s[2:3], 2
	s_add_u32 s22, s26, s0
	v_add_u32_e32 v124, s33, v71
	s_addc_u32 s23, s27, s1
	v_mad_i64_i32 v[66:67], s[0:1], v124, s29, 0
	v_add_u32_e32 v64, s31, v70
	v_lshl_add_u64 v[82:83], v[66:67], 2, s[24:25]
	v_mad_i64_i32 v[66:67], s[0:1], v124, s28, 0
	v_cmp_gt_i32_e64 s[18:19], s21, v124
	v_lshl_add_u64 v[80:81], v[66:67], 2, s[22:23]
	v_cmp_gt_i32_e64 s[2:3], s20, v64
	v_cndmask_b32_e64 v66, 0, 1, s[14:15]
	s_and_b64 s[6:7], s[2:3], s[18:19]
	v_ashrrev_i32_e32 v65, 31, v64
	v_cmp_ne_u32_e64 s[0:1], 1, v66
	s_and_saveexec_b64 s[4:5], s[6:7]
	s_cbranch_execz .LBB26_64
; %bb.60:
	s_and_b64 vcc, exec, s[0:1]
	s_cbranch_vccnz .LBB26_62
; %bb.61:
	v_lshl_add_u64 v[66:67], v[64:65], 2, v[82:83]
	flat_load_dword v66, v[66:67]
	s_waitcnt vmcnt(0) lgkmcnt(0)
	v_mul_f32_e32 v66, s30, v66
	s_branch .LBB26_63
.LBB26_62:
	v_mov_b32_e32 v66, 0
.LBB26_63:
	v_pk_add_f32 v[68:69], v[32:33], v[60:61]
	s_nop 0
	v_min3_f32 v67, v68, v69, v145
	v_pk_add_f32 v[68:69], v[34:35], v[62:63]
	s_nop 0
	v_min_f32_e32 v68, v68, v69
	v_min3_f32 v68, v66, v68, v67
	v_lshl_add_u64 v[66:67], v[64:65], 2, v[80:81]
	flat_store_dword v[66:67], v68
.LBB26_64:
	s_or_b64 exec, exec, s[4:5]
	v_add_u32_e32 v66, 8, v64
	v_cmp_gt_i32_e64 s[4:5], s20, v66
	s_and_b64 s[8:9], s[4:5], s[18:19]
	v_ashrrev_i32_e32 v67, 31, v66
	s_and_saveexec_b64 s[6:7], s[8:9]
	s_cbranch_execz .LBB26_69
; %bb.65:
	s_and_b64 vcc, exec, s[0:1]
	s_cbranch_vccnz .LBB26_67
; %bb.66:
	v_lshl_add_u64 v[68:69], v[66:67], 2, v[82:83]
	flat_load_dword v68, v[68:69]
	s_waitcnt vmcnt(0) lgkmcnt(0)
	v_mul_f32_e32 v68, s30, v68
	s_branch .LBB26_68
.LBB26_67:
	v_mov_b32_e32 v68, 0
.LBB26_68:
	v_pk_add_f32 v[70:71], v[28:29], v[60:61]
	s_nop 0
	v_min3_f32 v69, v70, v71, v144
	v_pk_add_f32 v[70:71], v[30:31], v[62:63]
	s_nop 0
	v_min_f32_e32 v70, v70, v71
	v_min3_f32 v70, v68, v70, v69
	v_lshl_add_u64 v[68:69], v[66:67], 2, v[80:81]
	flat_store_dword v[68:69], v70
.LBB26_69:
	s_or_b64 exec, exec, s[6:7]
	v_add_u32_e32 v68, 16, v64
	v_cmp_gt_i32_e64 s[6:7], s20, v68
	s_and_b64 s[10:11], s[6:7], s[18:19]
	v_ashrrev_i32_e32 v69, 31, v68
	;; [unrolled: 29-line block ×7, first 2 shown]
	s_and_saveexec_b64 s[18:19], s[26:27]
	s_cbranch_execz .LBB26_99
; %bb.95:
	s_and_b64 vcc, exec, s[0:1]
	s_cbranch_vccnz .LBB26_97
; %bb.96:
	v_lshl_add_u64 v[82:83], v[78:79], 2, v[82:83]
	flat_load_dword v82, v[82:83]
	s_waitcnt vmcnt(0) lgkmcnt(0)
	v_mul_f32_e32 v82, s30, v82
	s_branch .LBB26_98
.LBB26_97:
	v_mov_b32_e32 v82, 0
.LBB26_98:
	v_pk_add_f32 v[60:61], v[0:1], v[60:61]
	s_nop 0
	v_min3_f32 v83, v60, v61, v141
	v_pk_add_f32 v[60:61], v[2:3], v[62:63]
	s_nop 0
	v_min_f32_e32 v60, v60, v61
	v_min3_f32 v62, v82, v60, v83
	v_lshl_add_u64 v[60:61], v[78:79], 2, v[80:81]
	flat_store_dword v[60:61], v62
.LBB26_99:
	s_or_b64 exec, exec, s[18:19]
	v_add_u32_e32 v80, 32, v124
	v_mad_i64_i32 v[60:61], s[26:27], v80, s29, 0
	v_cmp_gt_i32_e64 s[18:19], s21, v80
	v_lshl_add_u64 v[62:63], v[60:61], 2, s[24:25]
	v_mad_i64_i32 v[60:61], s[26:27], v80, s28, 0
	v_lshl_add_u64 v[60:61], v[60:61], 2, s[22:23]
	s_and_b64 s[34:35], s[2:3], s[18:19]
	s_and_saveexec_b64 s[26:27], s[34:35]
	s_cbranch_execnz .LBB26_107
; %bb.100:
	s_or_b64 exec, exec, s[26:27]
	s_and_b64 s[34:35], s[4:5], s[18:19]
	s_and_saveexec_b64 s[26:27], s[34:35]
	s_cbranch_execnz .LBB26_111
.LBB26_101:
	s_or_b64 exec, exec, s[26:27]
	s_and_b64 s[34:35], s[6:7], s[18:19]
	s_and_saveexec_b64 s[26:27], s[34:35]
	s_cbranch_execnz .LBB26_115
.LBB26_102:
	s_or_b64 exec, exec, s[26:27]
	s_and_b64 s[34:35], s[8:9], s[18:19]
	s_and_saveexec_b64 s[26:27], s[34:35]
	s_cbranch_execnz .LBB26_119
.LBB26_103:
	s_or_b64 exec, exec, s[26:27]
	s_and_b64 s[34:35], s[10:11], s[18:19]
	s_and_saveexec_b64 s[26:27], s[34:35]
	s_cbranch_execnz .LBB26_123
.LBB26_104:
	s_or_b64 exec, exec, s[26:27]
	s_and_b64 s[34:35], s[12:13], s[18:19]
	s_and_saveexec_b64 s[26:27], s[34:35]
	s_cbranch_execnz .LBB26_127
.LBB26_105:
	s_or_b64 exec, exec, s[26:27]
	s_and_b64 s[34:35], s[14:15], s[18:19]
	s_and_saveexec_b64 s[26:27], s[34:35]
	s_cbranch_execnz .LBB26_131
.LBB26_106:
	s_or_b64 exec, exec, s[26:27]
	s_and_b64 s[26:27], s[16:17], s[18:19]
	s_and_saveexec_b64 s[18:19], s[26:27]
	s_cbranch_execnz .LBB26_135
	s_branch .LBB26_139
.LBB26_107:
	s_and_b64 vcc, exec, s[0:1]
	s_cbranch_vccnz .LBB26_109
; %bb.108:
	v_lshl_add_u64 v[80:81], v[64:65], 2, v[62:63]
	flat_load_dword v80, v[80:81]
	s_waitcnt vmcnt(0) lgkmcnt(0)
	v_mul_f32_e32 v80, s30, v80
	s_branch .LBB26_110
.LBB26_109:
	v_mov_b32_e32 v80, 0
.LBB26_110:
	v_pk_add_f32 v[82:83], v[32:33], v[56:57]
	s_nop 0
	v_min3_f32 v81, v82, v83, v140
	v_pk_add_f32 v[82:83], v[34:35], v[58:59]
	s_nop 0
	v_min_f32_e32 v82, v82, v83
	v_min3_f32 v82, v80, v82, v81
	v_lshl_add_u64 v[80:81], v[64:65], 2, v[60:61]
	flat_store_dword v[80:81], v82
	s_or_b64 exec, exec, s[26:27]
	s_and_b64 s[34:35], s[4:5], s[18:19]
	s_and_saveexec_b64 s[26:27], s[34:35]
	s_cbranch_execz .LBB26_101
.LBB26_111:
	s_and_b64 vcc, exec, s[0:1]
	s_cbranch_vccnz .LBB26_113
; %bb.112:
	v_lshl_add_u64 v[80:81], v[66:67], 2, v[62:63]
	flat_load_dword v80, v[80:81]
	s_waitcnt vmcnt(0) lgkmcnt(0)
	v_mul_f32_e32 v80, s30, v80
	s_branch .LBB26_114
.LBB26_113:
	v_mov_b32_e32 v80, 0
.LBB26_114:
	v_pk_add_f32 v[82:83], v[28:29], v[56:57]
	s_nop 0
	v_min3_f32 v81, v82, v83, v139
	v_pk_add_f32 v[82:83], v[30:31], v[58:59]
	s_nop 0
	v_min_f32_e32 v82, v82, v83
	v_min3_f32 v82, v80, v82, v81
	v_lshl_add_u64 v[80:81], v[66:67], 2, v[60:61]
	flat_store_dword v[80:81], v82
	s_or_b64 exec, exec, s[26:27]
	s_and_b64 s[34:35], s[6:7], s[18:19]
	s_and_saveexec_b64 s[26:27], s[34:35]
	s_cbranch_execz .LBB26_102
.LBB26_115:
	s_and_b64 vcc, exec, s[0:1]
	s_cbranch_vccnz .LBB26_117
; %bb.116:
	v_lshl_add_u64 v[80:81], v[68:69], 2, v[62:63]
	flat_load_dword v80, v[80:81]
	s_waitcnt vmcnt(0) lgkmcnt(0)
	v_mul_f32_e32 v80, s30, v80
	s_branch .LBB26_118
.LBB26_117:
	v_mov_b32_e32 v80, 0
.LBB26_118:
	v_pk_add_f32 v[82:83], v[24:25], v[56:57]
	s_nop 0
	v_min3_f32 v81, v82, v83, v138
	v_pk_add_f32 v[82:83], v[26:27], v[58:59]
	s_nop 0
	v_min_f32_e32 v82, v82, v83
	v_min3_f32 v82, v80, v82, v81
	v_lshl_add_u64 v[80:81], v[68:69], 2, v[60:61]
	flat_store_dword v[80:81], v82
	s_or_b64 exec, exec, s[26:27]
	s_and_b64 s[34:35], s[8:9], s[18:19]
	s_and_saveexec_b64 s[26:27], s[34:35]
	s_cbranch_execz .LBB26_103
.LBB26_119:
	s_and_b64 vcc, exec, s[0:1]
	s_cbranch_vccnz .LBB26_121
; %bb.120:
	v_lshl_add_u64 v[80:81], v[70:71], 2, v[62:63]
	flat_load_dword v80, v[80:81]
	s_waitcnt vmcnt(0) lgkmcnt(0)
	v_mul_f32_e32 v80, s30, v80
	s_branch .LBB26_122
.LBB26_121:
	v_mov_b32_e32 v80, 0
.LBB26_122:
	v_pk_add_f32 v[82:83], v[20:21], v[56:57]
	s_nop 0
	v_min3_f32 v81, v82, v83, v137
	v_pk_add_f32 v[82:83], v[22:23], v[58:59]
	s_nop 0
	v_min_f32_e32 v82, v82, v83
	v_min3_f32 v82, v80, v82, v81
	v_lshl_add_u64 v[80:81], v[70:71], 2, v[60:61]
	flat_store_dword v[80:81], v82
	s_or_b64 exec, exec, s[26:27]
	s_and_b64 s[34:35], s[10:11], s[18:19]
	s_and_saveexec_b64 s[26:27], s[34:35]
	s_cbranch_execz .LBB26_104
.LBB26_123:
	s_and_b64 vcc, exec, s[0:1]
	s_cbranch_vccnz .LBB26_125
; %bb.124:
	v_lshl_add_u64 v[80:81], v[72:73], 2, v[62:63]
	flat_load_dword v80, v[80:81]
	s_waitcnt vmcnt(0) lgkmcnt(0)
	v_mul_f32_e32 v80, s30, v80
	s_branch .LBB26_126
.LBB26_125:
	v_mov_b32_e32 v80, 0
.LBB26_126:
	v_pk_add_f32 v[82:83], v[16:17], v[56:57]
	s_nop 0
	v_min3_f32 v81, v82, v83, v135
	v_pk_add_f32 v[82:83], v[18:19], v[58:59]
	s_nop 0
	v_min_f32_e32 v82, v82, v83
	v_min3_f32 v82, v80, v82, v81
	v_lshl_add_u64 v[80:81], v[72:73], 2, v[60:61]
	flat_store_dword v[80:81], v82
	s_or_b64 exec, exec, s[26:27]
	s_and_b64 s[34:35], s[12:13], s[18:19]
	s_and_saveexec_b64 s[26:27], s[34:35]
	s_cbranch_execz .LBB26_105
.LBB26_127:
	s_and_b64 vcc, exec, s[0:1]
	s_cbranch_vccnz .LBB26_129
; %bb.128:
	v_lshl_add_u64 v[80:81], v[74:75], 2, v[62:63]
	flat_load_dword v80, v[80:81]
	s_waitcnt vmcnt(0) lgkmcnt(0)
	v_mul_f32_e32 v80, s30, v80
	s_branch .LBB26_130
.LBB26_129:
	v_mov_b32_e32 v80, 0
.LBB26_130:
	v_pk_add_f32 v[82:83], v[12:13], v[56:57]
	s_nop 0
	v_min3_f32 v81, v82, v83, v133
	v_pk_add_f32 v[82:83], v[14:15], v[58:59]
	s_nop 0
	v_min_f32_e32 v82, v82, v83
	v_min3_f32 v82, v80, v82, v81
	v_lshl_add_u64 v[80:81], v[74:75], 2, v[60:61]
	flat_store_dword v[80:81], v82
	s_or_b64 exec, exec, s[26:27]
	s_and_b64 s[34:35], s[14:15], s[18:19]
	s_and_saveexec_b64 s[26:27], s[34:35]
	s_cbranch_execz .LBB26_106
.LBB26_131:
	s_and_b64 vcc, exec, s[0:1]
	s_cbranch_vccnz .LBB26_133
; %bb.132:
	v_lshl_add_u64 v[80:81], v[76:77], 2, v[62:63]
	flat_load_dword v80, v[80:81]
	s_waitcnt vmcnt(0) lgkmcnt(0)
	v_mul_f32_e32 v80, s30, v80
	s_branch .LBB26_134
.LBB26_133:
	v_mov_b32_e32 v80, 0
.LBB26_134:
	v_pk_add_f32 v[82:83], v[8:9], v[56:57]
	s_nop 0
	v_min3_f32 v81, v82, v83, v131
	v_pk_add_f32 v[82:83], v[10:11], v[58:59]
	s_nop 0
	v_min_f32_e32 v82, v82, v83
	v_min3_f32 v82, v80, v82, v81
	v_lshl_add_u64 v[80:81], v[76:77], 2, v[60:61]
	flat_store_dword v[80:81], v82
	s_or_b64 exec, exec, s[26:27]
	s_and_b64 s[26:27], s[16:17], s[18:19]
	s_and_saveexec_b64 s[18:19], s[26:27]
	s_cbranch_execz .LBB26_139
.LBB26_135:
	s_and_b64 vcc, exec, s[0:1]
	s_cbranch_vccnz .LBB26_137
; %bb.136:
	v_lshl_add_u64 v[62:63], v[78:79], 2, v[62:63]
	flat_load_dword v62, v[62:63]
	s_waitcnt vmcnt(0) lgkmcnt(0)
	v_mul_f32_e32 v62, s30, v62
	s_branch .LBB26_138
.LBB26_137:
	v_mov_b32_e32 v62, 0
.LBB26_138:
	v_pk_add_f32 v[56:57], v[0:1], v[56:57]
	s_nop 0
	v_min3_f32 v63, v56, v57, v136
	v_pk_add_f32 v[56:57], v[2:3], v[58:59]
	s_nop 0
	v_min_f32_e32 v56, v56, v57
	v_min3_f32 v58, v62, v56, v63
	v_lshl_add_u64 v[56:57], v[78:79], 2, v[60:61]
	flat_store_dword v[56:57], v58
.LBB26_139:
	s_or_b64 exec, exec, s[18:19]
	v_add_u32_e32 v60, 64, v124
	v_mad_i64_i32 v[56:57], s[26:27], v60, s29, 0
	v_cmp_gt_i32_e64 s[18:19], s21, v60
	v_lshl_add_u64 v[58:59], v[56:57], 2, s[24:25]
	v_mad_i64_i32 v[56:57], s[26:27], v60, s28, 0
	v_lshl_add_u64 v[56:57], v[56:57], 2, s[22:23]
	s_and_b64 s[34:35], s[2:3], s[18:19]
	s_and_saveexec_b64 s[26:27], s[34:35]
	s_cbranch_execnz .LBB26_147
; %bb.140:
	s_or_b64 exec, exec, s[26:27]
	s_and_b64 s[34:35], s[4:5], s[18:19]
	s_and_saveexec_b64 s[26:27], s[34:35]
	s_cbranch_execnz .LBB26_151
.LBB26_141:
	s_or_b64 exec, exec, s[26:27]
	s_and_b64 s[34:35], s[6:7], s[18:19]
	s_and_saveexec_b64 s[26:27], s[34:35]
	s_cbranch_execnz .LBB26_155
.LBB26_142:
	s_or_b64 exec, exec, s[26:27]
	s_and_b64 s[34:35], s[8:9], s[18:19]
	s_and_saveexec_b64 s[26:27], s[34:35]
	s_cbranch_execnz .LBB26_159
.LBB26_143:
	s_or_b64 exec, exec, s[26:27]
	s_and_b64 s[34:35], s[10:11], s[18:19]
	s_and_saveexec_b64 s[26:27], s[34:35]
	s_cbranch_execnz .LBB26_163
.LBB26_144:
	s_or_b64 exec, exec, s[26:27]
	s_and_b64 s[34:35], s[12:13], s[18:19]
	s_and_saveexec_b64 s[26:27], s[34:35]
	s_cbranch_execnz .LBB26_167
.LBB26_145:
	s_or_b64 exec, exec, s[26:27]
	s_and_b64 s[34:35], s[14:15], s[18:19]
	s_and_saveexec_b64 s[26:27], s[34:35]
	s_cbranch_execnz .LBB26_171
.LBB26_146:
	s_or_b64 exec, exec, s[26:27]
	s_and_b64 s[26:27], s[16:17], s[18:19]
	s_and_saveexec_b64 s[18:19], s[26:27]
	s_cbranch_execnz .LBB26_175
	s_branch .LBB26_179
.LBB26_147:
	s_and_b64 vcc, exec, s[0:1]
	s_cbranch_vccnz .LBB26_149
; %bb.148:
	v_lshl_add_u64 v[60:61], v[64:65], 2, v[58:59]
	flat_load_dword v60, v[60:61]
	s_waitcnt vmcnt(0) lgkmcnt(0)
	v_mul_f32_e32 v60, s30, v60
	s_branch .LBB26_150
.LBB26_149:
	v_mov_b32_e32 v60, 0
.LBB26_150:
	v_pk_add_f32 v[62:63], v[32:33], v[52:53]
	s_nop 0
	v_min3_f32 v61, v62, v63, v134
	v_pk_add_f32 v[62:63], v[34:35], v[54:55]
	s_nop 0
	v_min_f32_e32 v62, v62, v63
	v_min3_f32 v62, v60, v62, v61
	v_lshl_add_u64 v[60:61], v[64:65], 2, v[56:57]
	flat_store_dword v[60:61], v62
	s_or_b64 exec, exec, s[26:27]
	s_and_b64 s[34:35], s[4:5], s[18:19]
	s_and_saveexec_b64 s[26:27], s[34:35]
	s_cbranch_execz .LBB26_141
.LBB26_151:
	s_and_b64 vcc, exec, s[0:1]
	s_cbranch_vccnz .LBB26_153
; %bb.152:
	v_lshl_add_u64 v[60:61], v[66:67], 2, v[58:59]
	flat_load_dword v60, v[60:61]
	s_waitcnt vmcnt(0) lgkmcnt(0)
	v_mul_f32_e32 v60, s30, v60
	s_branch .LBB26_154
.LBB26_153:
	v_mov_b32_e32 v60, 0
.LBB26_154:
	v_pk_add_f32 v[62:63], v[28:29], v[52:53]
	s_nop 0
	v_min3_f32 v61, v62, v63, v132
	v_pk_add_f32 v[62:63], v[30:31], v[54:55]
	s_nop 0
	v_min_f32_e32 v62, v62, v63
	v_min3_f32 v62, v60, v62, v61
	v_lshl_add_u64 v[60:61], v[66:67], 2, v[56:57]
	flat_store_dword v[60:61], v62
	s_or_b64 exec, exec, s[26:27]
	s_and_b64 s[34:35], s[6:7], s[18:19]
	s_and_saveexec_b64 s[26:27], s[34:35]
	s_cbranch_execz .LBB26_142
.LBB26_155:
	s_and_b64 vcc, exec, s[0:1]
	s_cbranch_vccnz .LBB26_157
; %bb.156:
	v_lshl_add_u64 v[60:61], v[68:69], 2, v[58:59]
	flat_load_dword v60, v[60:61]
	s_waitcnt vmcnt(0) lgkmcnt(0)
	v_mul_f32_e32 v60, s30, v60
	s_branch .LBB26_158
.LBB26_157:
	v_mov_b32_e32 v60, 0
.LBB26_158:
	v_pk_add_f32 v[62:63], v[24:25], v[52:53]
	s_nop 0
	v_min3_f32 v61, v62, v63, v130
	v_pk_add_f32 v[62:63], v[26:27], v[54:55]
	s_nop 0
	v_min_f32_e32 v62, v62, v63
	v_min3_f32 v62, v60, v62, v61
	v_lshl_add_u64 v[60:61], v[68:69], 2, v[56:57]
	flat_store_dword v[60:61], v62
	s_or_b64 exec, exec, s[26:27]
	s_and_b64 s[34:35], s[8:9], s[18:19]
	s_and_saveexec_b64 s[26:27], s[34:35]
	s_cbranch_execz .LBB26_143
.LBB26_159:
	s_and_b64 vcc, exec, s[0:1]
	s_cbranch_vccnz .LBB26_161
; %bb.160:
	v_lshl_add_u64 v[60:61], v[70:71], 2, v[58:59]
	flat_load_dword v60, v[60:61]
	s_waitcnt vmcnt(0) lgkmcnt(0)
	v_mul_f32_e32 v60, s30, v60
	s_branch .LBB26_162
.LBB26_161:
	v_mov_b32_e32 v60, 0
.LBB26_162:
	v_pk_add_f32 v[62:63], v[20:21], v[52:53]
	s_nop 0
	v_min3_f32 v61, v62, v63, v129
	v_pk_add_f32 v[62:63], v[22:23], v[54:55]
	s_nop 0
	v_min_f32_e32 v62, v62, v63
	v_min3_f32 v62, v60, v62, v61
	v_lshl_add_u64 v[60:61], v[70:71], 2, v[56:57]
	flat_store_dword v[60:61], v62
	s_or_b64 exec, exec, s[26:27]
	s_and_b64 s[34:35], s[10:11], s[18:19]
	s_and_saveexec_b64 s[26:27], s[34:35]
	s_cbranch_execz .LBB26_144
.LBB26_163:
	s_and_b64 vcc, exec, s[0:1]
	s_cbranch_vccnz .LBB26_165
; %bb.164:
	v_lshl_add_u64 v[60:61], v[72:73], 2, v[58:59]
	flat_load_dword v60, v[60:61]
	s_waitcnt vmcnt(0) lgkmcnt(0)
	v_mul_f32_e32 v60, s30, v60
	s_branch .LBB26_166
.LBB26_165:
	v_mov_b32_e32 v60, 0
.LBB26_166:
	v_pk_add_f32 v[62:63], v[16:17], v[52:53]
	s_nop 0
	v_min3_f32 v61, v62, v63, v128
	v_pk_add_f32 v[62:63], v[18:19], v[54:55]
	s_nop 0
	v_min_f32_e32 v62, v62, v63
	v_min3_f32 v62, v60, v62, v61
	v_lshl_add_u64 v[60:61], v[72:73], 2, v[56:57]
	flat_store_dword v[60:61], v62
	s_or_b64 exec, exec, s[26:27]
	s_and_b64 s[34:35], s[12:13], s[18:19]
	s_and_saveexec_b64 s[26:27], s[34:35]
	s_cbranch_execz .LBB26_145
.LBB26_167:
	s_and_b64 vcc, exec, s[0:1]
	s_cbranch_vccnz .LBB26_169
; %bb.168:
	v_lshl_add_u64 v[60:61], v[74:75], 2, v[58:59]
	flat_load_dword v60, v[60:61]
	s_waitcnt vmcnt(0) lgkmcnt(0)
	v_mul_f32_e32 v60, s30, v60
	s_branch .LBB26_170
.LBB26_169:
	v_mov_b32_e32 v60, 0
.LBB26_170:
	v_pk_add_f32 v[62:63], v[12:13], v[52:53]
	s_nop 0
	v_min3_f32 v61, v62, v63, v127
	v_pk_add_f32 v[62:63], v[14:15], v[54:55]
	s_nop 0
	v_min_f32_e32 v62, v62, v63
	v_min3_f32 v62, v60, v62, v61
	v_lshl_add_u64 v[60:61], v[74:75], 2, v[56:57]
	flat_store_dword v[60:61], v62
	s_or_b64 exec, exec, s[26:27]
	s_and_b64 s[34:35], s[14:15], s[18:19]
	s_and_saveexec_b64 s[26:27], s[34:35]
	s_cbranch_execz .LBB26_146
.LBB26_171:
	s_and_b64 vcc, exec, s[0:1]
	s_cbranch_vccnz .LBB26_173
; %bb.172:
	v_lshl_add_u64 v[60:61], v[76:77], 2, v[58:59]
	flat_load_dword v60, v[60:61]
	s_waitcnt vmcnt(0) lgkmcnt(0)
	v_mul_f32_e32 v60, s30, v60
	s_branch .LBB26_174
.LBB26_173:
	v_mov_b32_e32 v60, 0
.LBB26_174:
	v_pk_add_f32 v[62:63], v[8:9], v[52:53]
	s_nop 0
	v_min3_f32 v61, v62, v63, v126
	v_pk_add_f32 v[62:63], v[10:11], v[54:55]
	s_nop 0
	v_min_f32_e32 v62, v62, v63
	v_min3_f32 v62, v60, v62, v61
	v_lshl_add_u64 v[60:61], v[76:77], 2, v[56:57]
	flat_store_dword v[60:61], v62
	s_or_b64 exec, exec, s[26:27]
	s_and_b64 s[26:27], s[16:17], s[18:19]
	s_and_saveexec_b64 s[18:19], s[26:27]
	s_cbranch_execz .LBB26_179
.LBB26_175:
	s_and_b64 vcc, exec, s[0:1]
	s_cbranch_vccnz .LBB26_177
; %bb.176:
	v_lshl_add_u64 v[58:59], v[78:79], 2, v[58:59]
	flat_load_dword v58, v[58:59]
	s_waitcnt vmcnt(0) lgkmcnt(0)
	v_mul_f32_e32 v58, s30, v58
	s_branch .LBB26_178
.LBB26_177:
	v_mov_b32_e32 v58, 0
.LBB26_178:
	v_pk_add_f32 v[52:53], v[0:1], v[52:53]
	s_nop 0
	v_min3_f32 v59, v52, v53, v125
	v_pk_add_f32 v[52:53], v[2:3], v[54:55]
	s_nop 0
	v_min_f32_e32 v52, v52, v53
	v_min3_f32 v54, v58, v52, v59
	v_lshl_add_u64 v[52:53], v[78:79], 2, v[56:57]
	flat_store_dword v[52:53], v54
.LBB26_179:
	s_or_b64 exec, exec, s[18:19]
	v_add_u32_e32 v56, 0x60, v124
	v_mad_i64_i32 v[52:53], s[26:27], v56, s29, 0
	v_cmp_gt_i32_e64 s[18:19], s21, v56
	v_lshl_add_u64 v[54:55], v[52:53], 2, s[24:25]
	v_mad_i64_i32 v[52:53], s[26:27], v56, s28, 0
	v_lshl_add_u64 v[52:53], v[52:53], 2, s[22:23]
	s_and_b64 s[34:35], s[2:3], s[18:19]
	s_and_saveexec_b64 s[26:27], s[34:35]
	s_cbranch_execnz .LBB26_187
; %bb.180:
	s_or_b64 exec, exec, s[26:27]
	s_and_b64 s[34:35], s[4:5], s[18:19]
	s_and_saveexec_b64 s[26:27], s[34:35]
	s_cbranch_execnz .LBB26_191
.LBB26_181:
	s_or_b64 exec, exec, s[26:27]
	s_and_b64 s[34:35], s[6:7], s[18:19]
	s_and_saveexec_b64 s[26:27], s[34:35]
	s_cbranch_execnz .LBB26_195
.LBB26_182:
	s_or_b64 exec, exec, s[26:27]
	s_and_b64 s[34:35], s[8:9], s[18:19]
	s_and_saveexec_b64 s[26:27], s[34:35]
	s_cbranch_execnz .LBB26_199
.LBB26_183:
	s_or_b64 exec, exec, s[26:27]
	s_and_b64 s[34:35], s[10:11], s[18:19]
	s_and_saveexec_b64 s[26:27], s[34:35]
	s_cbranch_execnz .LBB26_203
.LBB26_184:
	s_or_b64 exec, exec, s[26:27]
	s_and_b64 s[34:35], s[12:13], s[18:19]
	s_and_saveexec_b64 s[26:27], s[34:35]
	s_cbranch_execnz .LBB26_207
.LBB26_185:
	s_or_b64 exec, exec, s[26:27]
	s_and_b64 s[34:35], s[14:15], s[18:19]
	s_and_saveexec_b64 s[26:27], s[34:35]
	s_cbranch_execnz .LBB26_211
.LBB26_186:
	s_or_b64 exec, exec, s[26:27]
	s_and_b64 s[26:27], s[16:17], s[18:19]
	s_and_saveexec_b64 s[18:19], s[26:27]
	s_cbranch_execnz .LBB26_215
	s_branch .LBB26_219
.LBB26_187:
	s_and_b64 vcc, exec, s[0:1]
	s_cbranch_vccnz .LBB26_189
; %bb.188:
	v_lshl_add_u64 v[56:57], v[64:65], 2, v[54:55]
	flat_load_dword v56, v[56:57]
	s_waitcnt vmcnt(0) lgkmcnt(0)
	v_mul_f32_e32 v56, s30, v56
	s_branch .LBB26_190
.LBB26_189:
	v_mov_b32_e32 v56, 0
.LBB26_190:
	v_pk_add_f32 v[58:59], v[32:33], v[48:49]
	s_nop 0
	v_min3_f32 v57, v58, v59, v123
	v_pk_add_f32 v[58:59], v[34:35], v[50:51]
	s_nop 0
	v_min_f32_e32 v58, v58, v59
	v_min3_f32 v58, v56, v58, v57
	v_lshl_add_u64 v[56:57], v[64:65], 2, v[52:53]
	flat_store_dword v[56:57], v58
	s_or_b64 exec, exec, s[26:27]
	s_and_b64 s[34:35], s[4:5], s[18:19]
	s_and_saveexec_b64 s[26:27], s[34:35]
	s_cbranch_execz .LBB26_181
.LBB26_191:
	s_and_b64 vcc, exec, s[0:1]
	s_cbranch_vccnz .LBB26_193
; %bb.192:
	v_lshl_add_u64 v[56:57], v[66:67], 2, v[54:55]
	flat_load_dword v56, v[56:57]
	s_waitcnt vmcnt(0) lgkmcnt(0)
	v_mul_f32_e32 v56, s30, v56
	s_branch .LBB26_194
.LBB26_193:
	v_mov_b32_e32 v56, 0
.LBB26_194:
	v_pk_add_f32 v[58:59], v[28:29], v[48:49]
	s_nop 0
	v_min3_f32 v57, v58, v59, v122
	v_pk_add_f32 v[58:59], v[30:31], v[50:51]
	s_nop 0
	v_min_f32_e32 v58, v58, v59
	v_min3_f32 v58, v56, v58, v57
	v_lshl_add_u64 v[56:57], v[66:67], 2, v[52:53]
	flat_store_dword v[56:57], v58
	s_or_b64 exec, exec, s[26:27]
	s_and_b64 s[34:35], s[6:7], s[18:19]
	s_and_saveexec_b64 s[26:27], s[34:35]
	s_cbranch_execz .LBB26_182
.LBB26_195:
	s_and_b64 vcc, exec, s[0:1]
	s_cbranch_vccnz .LBB26_197
; %bb.196:
	v_lshl_add_u64 v[56:57], v[68:69], 2, v[54:55]
	flat_load_dword v56, v[56:57]
	s_waitcnt vmcnt(0) lgkmcnt(0)
	v_mul_f32_e32 v56, s30, v56
	s_branch .LBB26_198
.LBB26_197:
	v_mov_b32_e32 v56, 0
.LBB26_198:
	v_pk_add_f32 v[58:59], v[24:25], v[48:49]
	s_nop 0
	v_min3_f32 v57, v58, v59, v121
	v_pk_add_f32 v[58:59], v[26:27], v[50:51]
	s_nop 0
	v_min_f32_e32 v58, v58, v59
	v_min3_f32 v58, v56, v58, v57
	v_lshl_add_u64 v[56:57], v[68:69], 2, v[52:53]
	flat_store_dword v[56:57], v58
	s_or_b64 exec, exec, s[26:27]
	s_and_b64 s[34:35], s[8:9], s[18:19]
	s_and_saveexec_b64 s[26:27], s[34:35]
	s_cbranch_execz .LBB26_183
.LBB26_199:
	s_and_b64 vcc, exec, s[0:1]
	s_cbranch_vccnz .LBB26_201
; %bb.200:
	v_lshl_add_u64 v[56:57], v[70:71], 2, v[54:55]
	flat_load_dword v56, v[56:57]
	s_waitcnt vmcnt(0) lgkmcnt(0)
	v_mul_f32_e32 v56, s30, v56
	s_branch .LBB26_202
.LBB26_201:
	v_mov_b32_e32 v56, 0
.LBB26_202:
	v_pk_add_f32 v[58:59], v[20:21], v[48:49]
	s_nop 0
	v_min3_f32 v57, v58, v59, v120
	v_pk_add_f32 v[58:59], v[22:23], v[50:51]
	s_nop 0
	v_min_f32_e32 v58, v58, v59
	v_min3_f32 v58, v56, v58, v57
	v_lshl_add_u64 v[56:57], v[70:71], 2, v[52:53]
	flat_store_dword v[56:57], v58
	s_or_b64 exec, exec, s[26:27]
	s_and_b64 s[34:35], s[10:11], s[18:19]
	s_and_saveexec_b64 s[26:27], s[34:35]
	s_cbranch_execz .LBB26_184
.LBB26_203:
	s_and_b64 vcc, exec, s[0:1]
	s_cbranch_vccnz .LBB26_205
; %bb.204:
	v_lshl_add_u64 v[56:57], v[72:73], 2, v[54:55]
	flat_load_dword v56, v[56:57]
	s_waitcnt vmcnt(0) lgkmcnt(0)
	v_mul_f32_e32 v56, s30, v56
	s_branch .LBB26_206
.LBB26_205:
	v_mov_b32_e32 v56, 0
.LBB26_206:
	v_pk_add_f32 v[58:59], v[16:17], v[48:49]
	s_nop 0
	v_min3_f32 v57, v58, v59, v119
	v_pk_add_f32 v[58:59], v[18:19], v[50:51]
	s_nop 0
	v_min_f32_e32 v58, v58, v59
	v_min3_f32 v58, v56, v58, v57
	v_lshl_add_u64 v[56:57], v[72:73], 2, v[52:53]
	flat_store_dword v[56:57], v58
	s_or_b64 exec, exec, s[26:27]
	s_and_b64 s[34:35], s[12:13], s[18:19]
	s_and_saveexec_b64 s[26:27], s[34:35]
	s_cbranch_execz .LBB26_185
.LBB26_207:
	s_and_b64 vcc, exec, s[0:1]
	s_cbranch_vccnz .LBB26_209
; %bb.208:
	v_lshl_add_u64 v[56:57], v[74:75], 2, v[54:55]
	flat_load_dword v56, v[56:57]
	s_waitcnt vmcnt(0) lgkmcnt(0)
	v_mul_f32_e32 v56, s30, v56
	s_branch .LBB26_210
.LBB26_209:
	v_mov_b32_e32 v56, 0
.LBB26_210:
	v_pk_add_f32 v[58:59], v[12:13], v[48:49]
	s_nop 0
	v_min3_f32 v57, v58, v59, v118
	v_pk_add_f32 v[58:59], v[14:15], v[50:51]
	s_nop 0
	v_min_f32_e32 v58, v58, v59
	v_min3_f32 v58, v56, v58, v57
	v_lshl_add_u64 v[56:57], v[74:75], 2, v[52:53]
	flat_store_dword v[56:57], v58
	s_or_b64 exec, exec, s[26:27]
	s_and_b64 s[34:35], s[14:15], s[18:19]
	s_and_saveexec_b64 s[26:27], s[34:35]
	s_cbranch_execz .LBB26_186
.LBB26_211:
	s_and_b64 vcc, exec, s[0:1]
	s_cbranch_vccnz .LBB26_213
; %bb.212:
	v_lshl_add_u64 v[56:57], v[76:77], 2, v[54:55]
	flat_load_dword v56, v[56:57]
	s_waitcnt vmcnt(0) lgkmcnt(0)
	v_mul_f32_e32 v56, s30, v56
	s_branch .LBB26_214
.LBB26_213:
	v_mov_b32_e32 v56, 0
.LBB26_214:
	v_pk_add_f32 v[58:59], v[8:9], v[48:49]
	s_nop 0
	v_min3_f32 v57, v58, v59, v117
	v_pk_add_f32 v[58:59], v[10:11], v[50:51]
	s_nop 0
	v_min_f32_e32 v58, v58, v59
	v_min3_f32 v58, v56, v58, v57
	v_lshl_add_u64 v[56:57], v[76:77], 2, v[52:53]
	flat_store_dword v[56:57], v58
	s_or_b64 exec, exec, s[26:27]
	s_and_b64 s[26:27], s[16:17], s[18:19]
	s_and_saveexec_b64 s[18:19], s[26:27]
	s_cbranch_execz .LBB26_219
.LBB26_215:
	s_and_b64 vcc, exec, s[0:1]
	s_cbranch_vccnz .LBB26_217
; %bb.216:
	v_lshl_add_u64 v[54:55], v[78:79], 2, v[54:55]
	flat_load_dword v54, v[54:55]
	s_waitcnt vmcnt(0) lgkmcnt(0)
	v_mul_f32_e32 v54, s30, v54
	s_branch .LBB26_218
.LBB26_217:
	v_mov_b32_e32 v54, 0
.LBB26_218:
	v_pk_add_f32 v[48:49], v[0:1], v[48:49]
	s_nop 0
	v_min3_f32 v55, v48, v49, v116
	v_pk_add_f32 v[48:49], v[2:3], v[50:51]
	s_nop 0
	v_min_f32_e32 v48, v48, v49
	v_min3_f32 v50, v54, v48, v55
	v_lshl_add_u64 v[48:49], v[78:79], 2, v[52:53]
	flat_store_dword v[48:49], v50
.LBB26_219:
	s_or_b64 exec, exec, s[18:19]
	v_add_u32_e32 v52, 0x80, v124
	v_mad_i64_i32 v[48:49], s[26:27], v52, s29, 0
	v_cmp_gt_i32_e64 s[18:19], s21, v52
	v_lshl_add_u64 v[50:51], v[48:49], 2, s[24:25]
	v_mad_i64_i32 v[48:49], s[26:27], v52, s28, 0
	v_lshl_add_u64 v[48:49], v[48:49], 2, s[22:23]
	s_and_b64 s[34:35], s[2:3], s[18:19]
	s_and_saveexec_b64 s[26:27], s[34:35]
	s_cbranch_execnz .LBB26_227
; %bb.220:
	s_or_b64 exec, exec, s[26:27]
	s_and_b64 s[34:35], s[4:5], s[18:19]
	s_and_saveexec_b64 s[26:27], s[34:35]
	s_cbranch_execnz .LBB26_231
.LBB26_221:
	s_or_b64 exec, exec, s[26:27]
	s_and_b64 s[34:35], s[6:7], s[18:19]
	s_and_saveexec_b64 s[26:27], s[34:35]
	s_cbranch_execnz .LBB26_235
.LBB26_222:
	s_or_b64 exec, exec, s[26:27]
	s_and_b64 s[34:35], s[8:9], s[18:19]
	s_and_saveexec_b64 s[26:27], s[34:35]
	s_cbranch_execnz .LBB26_239
.LBB26_223:
	s_or_b64 exec, exec, s[26:27]
	s_and_b64 s[34:35], s[10:11], s[18:19]
	s_and_saveexec_b64 s[26:27], s[34:35]
	s_cbranch_execnz .LBB26_243
.LBB26_224:
	s_or_b64 exec, exec, s[26:27]
	s_and_b64 s[34:35], s[12:13], s[18:19]
	s_and_saveexec_b64 s[26:27], s[34:35]
	s_cbranch_execnz .LBB26_247
.LBB26_225:
	s_or_b64 exec, exec, s[26:27]
	s_and_b64 s[34:35], s[14:15], s[18:19]
	s_and_saveexec_b64 s[26:27], s[34:35]
	s_cbranch_execnz .LBB26_251
.LBB26_226:
	s_or_b64 exec, exec, s[26:27]
	s_and_b64 s[26:27], s[16:17], s[18:19]
	s_and_saveexec_b64 s[18:19], s[26:27]
	s_cbranch_execnz .LBB26_255
	s_branch .LBB26_259
.LBB26_227:
	s_and_b64 vcc, exec, s[0:1]
	s_cbranch_vccnz .LBB26_229
; %bb.228:
	v_lshl_add_u64 v[52:53], v[64:65], 2, v[50:51]
	flat_load_dword v52, v[52:53]
	s_waitcnt vmcnt(0) lgkmcnt(0)
	v_mul_f32_e32 v52, s30, v52
	s_branch .LBB26_230
.LBB26_229:
	v_mov_b32_e32 v52, 0
.LBB26_230:
	v_pk_add_f32 v[54:55], v[32:33], v[44:45]
	s_nop 0
	v_min3_f32 v53, v54, v55, v115
	v_pk_add_f32 v[54:55], v[34:35], v[46:47]
	s_nop 0
	v_min_f32_e32 v54, v54, v55
	v_min3_f32 v54, v52, v54, v53
	v_lshl_add_u64 v[52:53], v[64:65], 2, v[48:49]
	flat_store_dword v[52:53], v54
	s_or_b64 exec, exec, s[26:27]
	s_and_b64 s[34:35], s[4:5], s[18:19]
	s_and_saveexec_b64 s[26:27], s[34:35]
	s_cbranch_execz .LBB26_221
.LBB26_231:
	s_and_b64 vcc, exec, s[0:1]
	s_cbranch_vccnz .LBB26_233
; %bb.232:
	v_lshl_add_u64 v[52:53], v[66:67], 2, v[50:51]
	flat_load_dword v52, v[52:53]
	s_waitcnt vmcnt(0) lgkmcnt(0)
	v_mul_f32_e32 v52, s30, v52
	s_branch .LBB26_234
.LBB26_233:
	v_mov_b32_e32 v52, 0
.LBB26_234:
	v_pk_add_f32 v[54:55], v[28:29], v[44:45]
	s_nop 0
	v_min3_f32 v53, v54, v55, v114
	v_pk_add_f32 v[54:55], v[30:31], v[46:47]
	s_nop 0
	v_min_f32_e32 v54, v54, v55
	v_min3_f32 v54, v52, v54, v53
	v_lshl_add_u64 v[52:53], v[66:67], 2, v[48:49]
	flat_store_dword v[52:53], v54
	s_or_b64 exec, exec, s[26:27]
	s_and_b64 s[34:35], s[6:7], s[18:19]
	s_and_saveexec_b64 s[26:27], s[34:35]
	s_cbranch_execz .LBB26_222
.LBB26_235:
	s_and_b64 vcc, exec, s[0:1]
	s_cbranch_vccnz .LBB26_237
; %bb.236:
	v_lshl_add_u64 v[52:53], v[68:69], 2, v[50:51]
	flat_load_dword v52, v[52:53]
	s_waitcnt vmcnt(0) lgkmcnt(0)
	v_mul_f32_e32 v52, s30, v52
	s_branch .LBB26_238
.LBB26_237:
	v_mov_b32_e32 v52, 0
.LBB26_238:
	v_pk_add_f32 v[54:55], v[24:25], v[44:45]
	s_nop 0
	v_min3_f32 v53, v54, v55, v113
	v_pk_add_f32 v[54:55], v[26:27], v[46:47]
	s_nop 0
	v_min_f32_e32 v54, v54, v55
	v_min3_f32 v54, v52, v54, v53
	v_lshl_add_u64 v[52:53], v[68:69], 2, v[48:49]
	flat_store_dword v[52:53], v54
	s_or_b64 exec, exec, s[26:27]
	s_and_b64 s[34:35], s[8:9], s[18:19]
	s_and_saveexec_b64 s[26:27], s[34:35]
	s_cbranch_execz .LBB26_223
.LBB26_239:
	s_and_b64 vcc, exec, s[0:1]
	s_cbranch_vccnz .LBB26_241
; %bb.240:
	v_lshl_add_u64 v[52:53], v[70:71], 2, v[50:51]
	flat_load_dword v52, v[52:53]
	s_waitcnt vmcnt(0) lgkmcnt(0)
	v_mul_f32_e32 v52, s30, v52
	s_branch .LBB26_242
.LBB26_241:
	v_mov_b32_e32 v52, 0
.LBB26_242:
	v_pk_add_f32 v[54:55], v[20:21], v[44:45]
	s_nop 0
	v_min3_f32 v53, v54, v55, v112
	v_pk_add_f32 v[54:55], v[22:23], v[46:47]
	s_nop 0
	v_min_f32_e32 v54, v54, v55
	v_min3_f32 v54, v52, v54, v53
	v_lshl_add_u64 v[52:53], v[70:71], 2, v[48:49]
	flat_store_dword v[52:53], v54
	s_or_b64 exec, exec, s[26:27]
	s_and_b64 s[34:35], s[10:11], s[18:19]
	s_and_saveexec_b64 s[26:27], s[34:35]
	s_cbranch_execz .LBB26_224
.LBB26_243:
	s_and_b64 vcc, exec, s[0:1]
	s_cbranch_vccnz .LBB26_245
; %bb.244:
	v_lshl_add_u64 v[52:53], v[72:73], 2, v[50:51]
	flat_load_dword v52, v[52:53]
	s_waitcnt vmcnt(0) lgkmcnt(0)
	v_mul_f32_e32 v52, s30, v52
	s_branch .LBB26_246
.LBB26_245:
	v_mov_b32_e32 v52, 0
.LBB26_246:
	v_pk_add_f32 v[54:55], v[16:17], v[44:45]
	s_nop 0
	v_min3_f32 v53, v54, v55, v111
	v_pk_add_f32 v[54:55], v[18:19], v[46:47]
	s_nop 0
	v_min_f32_e32 v54, v54, v55
	v_min3_f32 v54, v52, v54, v53
	v_lshl_add_u64 v[52:53], v[72:73], 2, v[48:49]
	flat_store_dword v[52:53], v54
	s_or_b64 exec, exec, s[26:27]
	s_and_b64 s[34:35], s[12:13], s[18:19]
	s_and_saveexec_b64 s[26:27], s[34:35]
	s_cbranch_execz .LBB26_225
.LBB26_247:
	s_and_b64 vcc, exec, s[0:1]
	s_cbranch_vccnz .LBB26_249
; %bb.248:
	v_lshl_add_u64 v[52:53], v[74:75], 2, v[50:51]
	flat_load_dword v52, v[52:53]
	s_waitcnt vmcnt(0) lgkmcnt(0)
	v_mul_f32_e32 v52, s30, v52
	s_branch .LBB26_250
.LBB26_249:
	v_mov_b32_e32 v52, 0
.LBB26_250:
	v_pk_add_f32 v[54:55], v[12:13], v[44:45]
	s_nop 0
	v_min3_f32 v53, v54, v55, v110
	v_pk_add_f32 v[54:55], v[14:15], v[46:47]
	s_nop 0
	v_min_f32_e32 v54, v54, v55
	v_min3_f32 v54, v52, v54, v53
	v_lshl_add_u64 v[52:53], v[74:75], 2, v[48:49]
	flat_store_dword v[52:53], v54
	s_or_b64 exec, exec, s[26:27]
	s_and_b64 s[34:35], s[14:15], s[18:19]
	s_and_saveexec_b64 s[26:27], s[34:35]
	s_cbranch_execz .LBB26_226
.LBB26_251:
	s_and_b64 vcc, exec, s[0:1]
	s_cbranch_vccnz .LBB26_253
; %bb.252:
	v_lshl_add_u64 v[52:53], v[76:77], 2, v[50:51]
	flat_load_dword v52, v[52:53]
	s_waitcnt vmcnt(0) lgkmcnt(0)
	v_mul_f32_e32 v52, s30, v52
	s_branch .LBB26_254
.LBB26_253:
	v_mov_b32_e32 v52, 0
.LBB26_254:
	v_pk_add_f32 v[54:55], v[8:9], v[44:45]
	s_nop 0
	v_min3_f32 v53, v54, v55, v109
	v_pk_add_f32 v[54:55], v[10:11], v[46:47]
	s_nop 0
	v_min_f32_e32 v54, v54, v55
	v_min3_f32 v54, v52, v54, v53
	v_lshl_add_u64 v[52:53], v[76:77], 2, v[48:49]
	flat_store_dword v[52:53], v54
	s_or_b64 exec, exec, s[26:27]
	s_and_b64 s[26:27], s[16:17], s[18:19]
	s_and_saveexec_b64 s[18:19], s[26:27]
	s_cbranch_execz .LBB26_259
.LBB26_255:
	s_and_b64 vcc, exec, s[0:1]
	s_cbranch_vccnz .LBB26_257
; %bb.256:
	v_lshl_add_u64 v[50:51], v[78:79], 2, v[50:51]
	flat_load_dword v50, v[50:51]
	s_waitcnt vmcnt(0) lgkmcnt(0)
	v_mul_f32_e32 v50, s30, v50
	s_branch .LBB26_258
.LBB26_257:
	v_mov_b32_e32 v50, 0
.LBB26_258:
	v_pk_add_f32 v[44:45], v[0:1], v[44:45]
	s_nop 0
	v_min3_f32 v51, v44, v45, v108
	v_pk_add_f32 v[44:45], v[2:3], v[46:47]
	s_nop 0
	v_min_f32_e32 v44, v44, v45
	v_min3_f32 v46, v50, v44, v51
	v_lshl_add_u64 v[44:45], v[78:79], 2, v[48:49]
	flat_store_dword v[44:45], v46
.LBB26_259:
	s_or_b64 exec, exec, s[18:19]
	v_add_u32_e32 v48, 0xa0, v124
	v_mad_i64_i32 v[44:45], s[26:27], v48, s29, 0
	v_cmp_gt_i32_e64 s[18:19], s21, v48
	v_lshl_add_u64 v[46:47], v[44:45], 2, s[24:25]
	v_mad_i64_i32 v[44:45], s[26:27], v48, s28, 0
	v_lshl_add_u64 v[44:45], v[44:45], 2, s[22:23]
	s_and_b64 s[34:35], s[2:3], s[18:19]
	s_and_saveexec_b64 s[26:27], s[34:35]
	s_cbranch_execnz .LBB26_267
; %bb.260:
	s_or_b64 exec, exec, s[26:27]
	s_and_b64 s[34:35], s[4:5], s[18:19]
	s_and_saveexec_b64 s[26:27], s[34:35]
	s_cbranch_execnz .LBB26_271
.LBB26_261:
	s_or_b64 exec, exec, s[26:27]
	s_and_b64 s[34:35], s[6:7], s[18:19]
	s_and_saveexec_b64 s[26:27], s[34:35]
	s_cbranch_execnz .LBB26_275
.LBB26_262:
	s_or_b64 exec, exec, s[26:27]
	s_and_b64 s[34:35], s[8:9], s[18:19]
	s_and_saveexec_b64 s[26:27], s[34:35]
	s_cbranch_execnz .LBB26_279
.LBB26_263:
	s_or_b64 exec, exec, s[26:27]
	s_and_b64 s[34:35], s[10:11], s[18:19]
	s_and_saveexec_b64 s[26:27], s[34:35]
	s_cbranch_execnz .LBB26_283
.LBB26_264:
	s_or_b64 exec, exec, s[26:27]
	s_and_b64 s[34:35], s[12:13], s[18:19]
	s_and_saveexec_b64 s[26:27], s[34:35]
	s_cbranch_execnz .LBB26_287
.LBB26_265:
	s_or_b64 exec, exec, s[26:27]
	s_and_b64 s[34:35], s[14:15], s[18:19]
	s_and_saveexec_b64 s[26:27], s[34:35]
	s_cbranch_execnz .LBB26_291
.LBB26_266:
	s_or_b64 exec, exec, s[26:27]
	s_and_b64 s[26:27], s[16:17], s[18:19]
	s_and_saveexec_b64 s[18:19], s[26:27]
	s_cbranch_execnz .LBB26_295
	s_branch .LBB26_299
.LBB26_267:
	s_and_b64 vcc, exec, s[0:1]
	s_cbranch_vccnz .LBB26_269
; %bb.268:
	v_lshl_add_u64 v[48:49], v[64:65], 2, v[46:47]
	flat_load_dword v48, v[48:49]
	s_waitcnt vmcnt(0) lgkmcnt(0)
	v_mul_f32_e32 v48, s30, v48
	s_branch .LBB26_270
.LBB26_269:
	v_mov_b32_e32 v48, 0
.LBB26_270:
	v_pk_add_f32 v[50:51], v[32:33], v[40:41]
	s_nop 0
	v_min3_f32 v49, v50, v51, v107
	v_pk_add_f32 v[50:51], v[34:35], v[42:43]
	s_nop 0
	v_min_f32_e32 v50, v50, v51
	v_min3_f32 v50, v48, v50, v49
	v_lshl_add_u64 v[48:49], v[64:65], 2, v[44:45]
	flat_store_dword v[48:49], v50
	s_or_b64 exec, exec, s[26:27]
	s_and_b64 s[34:35], s[4:5], s[18:19]
	s_and_saveexec_b64 s[26:27], s[34:35]
	s_cbranch_execz .LBB26_261
.LBB26_271:
	s_and_b64 vcc, exec, s[0:1]
	s_cbranch_vccnz .LBB26_273
; %bb.272:
	v_lshl_add_u64 v[48:49], v[66:67], 2, v[46:47]
	flat_load_dword v48, v[48:49]
	s_waitcnt vmcnt(0) lgkmcnt(0)
	v_mul_f32_e32 v48, s30, v48
	s_branch .LBB26_274
.LBB26_273:
	v_mov_b32_e32 v48, 0
.LBB26_274:
	v_pk_add_f32 v[50:51], v[28:29], v[40:41]
	s_nop 0
	v_min3_f32 v49, v50, v51, v106
	v_pk_add_f32 v[50:51], v[30:31], v[42:43]
	s_nop 0
	v_min_f32_e32 v50, v50, v51
	v_min3_f32 v50, v48, v50, v49
	v_lshl_add_u64 v[48:49], v[66:67], 2, v[44:45]
	flat_store_dword v[48:49], v50
	s_or_b64 exec, exec, s[26:27]
	s_and_b64 s[34:35], s[6:7], s[18:19]
	s_and_saveexec_b64 s[26:27], s[34:35]
	s_cbranch_execz .LBB26_262
.LBB26_275:
	s_and_b64 vcc, exec, s[0:1]
	s_cbranch_vccnz .LBB26_277
; %bb.276:
	v_lshl_add_u64 v[48:49], v[68:69], 2, v[46:47]
	flat_load_dword v48, v[48:49]
	s_waitcnt vmcnt(0) lgkmcnt(0)
	v_mul_f32_e32 v48, s30, v48
	s_branch .LBB26_278
.LBB26_277:
	v_mov_b32_e32 v48, 0
.LBB26_278:
	v_pk_add_f32 v[50:51], v[24:25], v[40:41]
	s_nop 0
	v_min3_f32 v49, v50, v51, v105
	v_pk_add_f32 v[50:51], v[26:27], v[42:43]
	s_nop 0
	v_min_f32_e32 v50, v50, v51
	v_min3_f32 v50, v48, v50, v49
	v_lshl_add_u64 v[48:49], v[68:69], 2, v[44:45]
	flat_store_dword v[48:49], v50
	s_or_b64 exec, exec, s[26:27]
	s_and_b64 s[34:35], s[8:9], s[18:19]
	s_and_saveexec_b64 s[26:27], s[34:35]
	s_cbranch_execz .LBB26_263
.LBB26_279:
	s_and_b64 vcc, exec, s[0:1]
	s_cbranch_vccnz .LBB26_281
; %bb.280:
	v_lshl_add_u64 v[48:49], v[70:71], 2, v[46:47]
	flat_load_dword v48, v[48:49]
	s_waitcnt vmcnt(0) lgkmcnt(0)
	v_mul_f32_e32 v48, s30, v48
	s_branch .LBB26_282
.LBB26_281:
	v_mov_b32_e32 v48, 0
.LBB26_282:
	v_pk_add_f32 v[50:51], v[20:21], v[40:41]
	s_nop 0
	v_min3_f32 v49, v50, v51, v104
	v_pk_add_f32 v[50:51], v[22:23], v[42:43]
	s_nop 0
	v_min_f32_e32 v50, v50, v51
	v_min3_f32 v50, v48, v50, v49
	v_lshl_add_u64 v[48:49], v[70:71], 2, v[44:45]
	flat_store_dword v[48:49], v50
	s_or_b64 exec, exec, s[26:27]
	s_and_b64 s[34:35], s[10:11], s[18:19]
	s_and_saveexec_b64 s[26:27], s[34:35]
	s_cbranch_execz .LBB26_264
.LBB26_283:
	s_and_b64 vcc, exec, s[0:1]
	s_cbranch_vccnz .LBB26_285
; %bb.284:
	v_lshl_add_u64 v[48:49], v[72:73], 2, v[46:47]
	flat_load_dword v48, v[48:49]
	s_waitcnt vmcnt(0) lgkmcnt(0)
	v_mul_f32_e32 v48, s30, v48
	s_branch .LBB26_286
.LBB26_285:
	v_mov_b32_e32 v48, 0
.LBB26_286:
	v_pk_add_f32 v[50:51], v[16:17], v[40:41]
	s_nop 0
	v_min3_f32 v49, v50, v51, v103
	v_pk_add_f32 v[50:51], v[18:19], v[42:43]
	s_nop 0
	v_min_f32_e32 v50, v50, v51
	v_min3_f32 v50, v48, v50, v49
	v_lshl_add_u64 v[48:49], v[72:73], 2, v[44:45]
	flat_store_dword v[48:49], v50
	s_or_b64 exec, exec, s[26:27]
	s_and_b64 s[34:35], s[12:13], s[18:19]
	s_and_saveexec_b64 s[26:27], s[34:35]
	s_cbranch_execz .LBB26_265
.LBB26_287:
	s_and_b64 vcc, exec, s[0:1]
	s_cbranch_vccnz .LBB26_289
; %bb.288:
	v_lshl_add_u64 v[48:49], v[74:75], 2, v[46:47]
	flat_load_dword v48, v[48:49]
	s_waitcnt vmcnt(0) lgkmcnt(0)
	v_mul_f32_e32 v48, s30, v48
	s_branch .LBB26_290
.LBB26_289:
	v_mov_b32_e32 v48, 0
.LBB26_290:
	v_pk_add_f32 v[50:51], v[12:13], v[40:41]
	s_nop 0
	v_min3_f32 v49, v50, v51, v102
	v_pk_add_f32 v[50:51], v[14:15], v[42:43]
	s_nop 0
	v_min_f32_e32 v50, v50, v51
	v_min3_f32 v50, v48, v50, v49
	v_lshl_add_u64 v[48:49], v[74:75], 2, v[44:45]
	flat_store_dword v[48:49], v50
	s_or_b64 exec, exec, s[26:27]
	s_and_b64 s[34:35], s[14:15], s[18:19]
	s_and_saveexec_b64 s[26:27], s[34:35]
	s_cbranch_execz .LBB26_266
.LBB26_291:
	s_and_b64 vcc, exec, s[0:1]
	s_cbranch_vccnz .LBB26_293
; %bb.292:
	v_lshl_add_u64 v[48:49], v[76:77], 2, v[46:47]
	flat_load_dword v48, v[48:49]
	s_waitcnt vmcnt(0) lgkmcnt(0)
	v_mul_f32_e32 v48, s30, v48
	s_branch .LBB26_294
.LBB26_293:
	v_mov_b32_e32 v48, 0
.LBB26_294:
	v_pk_add_f32 v[50:51], v[8:9], v[40:41]
	s_nop 0
	v_min3_f32 v49, v50, v51, v101
	v_pk_add_f32 v[50:51], v[10:11], v[42:43]
	s_nop 0
	v_min_f32_e32 v50, v50, v51
	v_min3_f32 v50, v48, v50, v49
	v_lshl_add_u64 v[48:49], v[76:77], 2, v[44:45]
	flat_store_dword v[48:49], v50
	s_or_b64 exec, exec, s[26:27]
	s_and_b64 s[26:27], s[16:17], s[18:19]
	s_and_saveexec_b64 s[18:19], s[26:27]
	s_cbranch_execz .LBB26_299
.LBB26_295:
	s_and_b64 vcc, exec, s[0:1]
	s_cbranch_vccnz .LBB26_297
; %bb.296:
	v_lshl_add_u64 v[46:47], v[78:79], 2, v[46:47]
	flat_load_dword v46, v[46:47]
	s_waitcnt vmcnt(0) lgkmcnt(0)
	v_mul_f32_e32 v46, s30, v46
	s_branch .LBB26_298
.LBB26_297:
	v_mov_b32_e32 v46, 0
.LBB26_298:
	v_pk_add_f32 v[40:41], v[0:1], v[40:41]
	s_nop 0
	v_min3_f32 v47, v40, v41, v100
	v_pk_add_f32 v[40:41], v[2:3], v[42:43]
	s_nop 0
	v_min_f32_e32 v40, v40, v41
	v_min3_f32 v42, v46, v40, v47
	v_lshl_add_u64 v[40:41], v[78:79], 2, v[44:45]
	flat_store_dword v[40:41], v42
.LBB26_299:
	s_or_b64 exec, exec, s[18:19]
	v_add_u32_e32 v44, 0xc0, v124
	v_mad_i64_i32 v[40:41], s[26:27], v44, s29, 0
	v_cmp_gt_i32_e64 s[18:19], s21, v44
	v_lshl_add_u64 v[42:43], v[40:41], 2, s[24:25]
	v_mad_i64_i32 v[40:41], s[26:27], v44, s28, 0
	v_lshl_add_u64 v[40:41], v[40:41], 2, s[22:23]
	s_and_b64 s[34:35], s[2:3], s[18:19]
	s_and_saveexec_b64 s[26:27], s[34:35]
	s_cbranch_execnz .LBB26_307
; %bb.300:
	s_or_b64 exec, exec, s[26:27]
	s_and_b64 s[34:35], s[4:5], s[18:19]
	s_and_saveexec_b64 s[26:27], s[34:35]
	s_cbranch_execnz .LBB26_311
.LBB26_301:
	s_or_b64 exec, exec, s[26:27]
	s_and_b64 s[34:35], s[6:7], s[18:19]
	s_and_saveexec_b64 s[26:27], s[34:35]
	s_cbranch_execnz .LBB26_315
.LBB26_302:
	s_or_b64 exec, exec, s[26:27]
	s_and_b64 s[34:35], s[8:9], s[18:19]
	s_and_saveexec_b64 s[26:27], s[34:35]
	s_cbranch_execnz .LBB26_319
.LBB26_303:
	s_or_b64 exec, exec, s[26:27]
	s_and_b64 s[34:35], s[10:11], s[18:19]
	s_and_saveexec_b64 s[26:27], s[34:35]
	s_cbranch_execnz .LBB26_323
.LBB26_304:
	s_or_b64 exec, exec, s[26:27]
	s_and_b64 s[34:35], s[12:13], s[18:19]
	s_and_saveexec_b64 s[26:27], s[34:35]
	s_cbranch_execnz .LBB26_327
.LBB26_305:
	s_or_b64 exec, exec, s[26:27]
	s_and_b64 s[34:35], s[14:15], s[18:19]
	s_and_saveexec_b64 s[26:27], s[34:35]
	s_cbranch_execnz .LBB26_331
.LBB26_306:
	s_or_b64 exec, exec, s[26:27]
	s_and_b64 s[26:27], s[16:17], s[18:19]
	s_and_saveexec_b64 s[18:19], s[26:27]
	s_cbranch_execnz .LBB26_335
	s_branch .LBB26_339
.LBB26_307:
	s_and_b64 vcc, exec, s[0:1]
	s_cbranch_vccnz .LBB26_309
; %bb.308:
	v_lshl_add_u64 v[44:45], v[64:65], 2, v[42:43]
	flat_load_dword v44, v[44:45]
	s_waitcnt vmcnt(0) lgkmcnt(0)
	v_mul_f32_e32 v44, s30, v44
	s_branch .LBB26_310
.LBB26_309:
	v_mov_b32_e32 v44, 0
.LBB26_310:
	v_pk_add_f32 v[46:47], v[32:33], v[36:37]
	s_nop 0
	v_min3_f32 v45, v46, v47, v99
	v_pk_add_f32 v[46:47], v[34:35], v[38:39]
	s_nop 0
	v_min_f32_e32 v46, v46, v47
	v_min3_f32 v46, v44, v46, v45
	v_lshl_add_u64 v[44:45], v[64:65], 2, v[40:41]
	flat_store_dword v[44:45], v46
	s_or_b64 exec, exec, s[26:27]
	s_and_b64 s[34:35], s[4:5], s[18:19]
	s_and_saveexec_b64 s[26:27], s[34:35]
	s_cbranch_execz .LBB26_301
.LBB26_311:
	s_and_b64 vcc, exec, s[0:1]
	s_cbranch_vccnz .LBB26_313
; %bb.312:
	v_lshl_add_u64 v[44:45], v[66:67], 2, v[42:43]
	flat_load_dword v44, v[44:45]
	s_waitcnt vmcnt(0) lgkmcnt(0)
	v_mul_f32_e32 v44, s30, v44
	s_branch .LBB26_314
.LBB26_313:
	v_mov_b32_e32 v44, 0
.LBB26_314:
	v_pk_add_f32 v[46:47], v[28:29], v[36:37]
	s_nop 0
	v_min3_f32 v45, v46, v47, v98
	v_pk_add_f32 v[46:47], v[30:31], v[38:39]
	s_nop 0
	v_min_f32_e32 v46, v46, v47
	v_min3_f32 v46, v44, v46, v45
	v_lshl_add_u64 v[44:45], v[66:67], 2, v[40:41]
	flat_store_dword v[44:45], v46
	s_or_b64 exec, exec, s[26:27]
	s_and_b64 s[34:35], s[6:7], s[18:19]
	s_and_saveexec_b64 s[26:27], s[34:35]
	s_cbranch_execz .LBB26_302
.LBB26_315:
	s_and_b64 vcc, exec, s[0:1]
	s_cbranch_vccnz .LBB26_317
; %bb.316:
	v_lshl_add_u64 v[44:45], v[68:69], 2, v[42:43]
	flat_load_dword v44, v[44:45]
	s_waitcnt vmcnt(0) lgkmcnt(0)
	v_mul_f32_e32 v44, s30, v44
	s_branch .LBB26_318
.LBB26_317:
	v_mov_b32_e32 v44, 0
.LBB26_318:
	v_pk_add_f32 v[46:47], v[24:25], v[36:37]
	s_nop 0
	v_min3_f32 v45, v46, v47, v97
	v_pk_add_f32 v[46:47], v[26:27], v[38:39]
	s_nop 0
	v_min_f32_e32 v46, v46, v47
	v_min3_f32 v46, v44, v46, v45
	v_lshl_add_u64 v[44:45], v[68:69], 2, v[40:41]
	flat_store_dword v[44:45], v46
	s_or_b64 exec, exec, s[26:27]
	s_and_b64 s[34:35], s[8:9], s[18:19]
	s_and_saveexec_b64 s[26:27], s[34:35]
	s_cbranch_execz .LBB26_303
.LBB26_319:
	s_and_b64 vcc, exec, s[0:1]
	s_cbranch_vccnz .LBB26_321
; %bb.320:
	v_lshl_add_u64 v[44:45], v[70:71], 2, v[42:43]
	flat_load_dword v44, v[44:45]
	s_waitcnt vmcnt(0) lgkmcnt(0)
	v_mul_f32_e32 v44, s30, v44
	s_branch .LBB26_322
.LBB26_321:
	v_mov_b32_e32 v44, 0
.LBB26_322:
	v_pk_add_f32 v[46:47], v[20:21], v[36:37]
	s_nop 0
	v_min3_f32 v45, v46, v47, v96
	v_pk_add_f32 v[46:47], v[22:23], v[38:39]
	s_nop 0
	v_min_f32_e32 v46, v46, v47
	v_min3_f32 v46, v44, v46, v45
	v_lshl_add_u64 v[44:45], v[70:71], 2, v[40:41]
	flat_store_dword v[44:45], v46
	s_or_b64 exec, exec, s[26:27]
	s_and_b64 s[34:35], s[10:11], s[18:19]
	s_and_saveexec_b64 s[26:27], s[34:35]
	s_cbranch_execz .LBB26_304
.LBB26_323:
	s_and_b64 vcc, exec, s[0:1]
	s_cbranch_vccnz .LBB26_325
; %bb.324:
	v_lshl_add_u64 v[44:45], v[72:73], 2, v[42:43]
	flat_load_dword v44, v[44:45]
	s_waitcnt vmcnt(0) lgkmcnt(0)
	v_mul_f32_e32 v44, s30, v44
	s_branch .LBB26_326
.LBB26_325:
	v_mov_b32_e32 v44, 0
.LBB26_326:
	v_pk_add_f32 v[46:47], v[16:17], v[36:37]
	s_nop 0
	v_min3_f32 v45, v46, v47, v95
	v_pk_add_f32 v[46:47], v[18:19], v[38:39]
	s_nop 0
	v_min_f32_e32 v46, v46, v47
	v_min3_f32 v46, v44, v46, v45
	v_lshl_add_u64 v[44:45], v[72:73], 2, v[40:41]
	flat_store_dword v[44:45], v46
	s_or_b64 exec, exec, s[26:27]
	s_and_b64 s[34:35], s[12:13], s[18:19]
	s_and_saveexec_b64 s[26:27], s[34:35]
	s_cbranch_execz .LBB26_305
.LBB26_327:
	s_and_b64 vcc, exec, s[0:1]
	s_cbranch_vccnz .LBB26_329
; %bb.328:
	v_lshl_add_u64 v[44:45], v[74:75], 2, v[42:43]
	flat_load_dword v44, v[44:45]
	s_waitcnt vmcnt(0) lgkmcnt(0)
	v_mul_f32_e32 v44, s30, v44
	s_branch .LBB26_330
.LBB26_329:
	v_mov_b32_e32 v44, 0
.LBB26_330:
	v_pk_add_f32 v[46:47], v[12:13], v[36:37]
	s_nop 0
	v_min3_f32 v45, v46, v47, v94
	v_pk_add_f32 v[46:47], v[14:15], v[38:39]
	s_nop 0
	v_min_f32_e32 v46, v46, v47
	v_min3_f32 v46, v44, v46, v45
	v_lshl_add_u64 v[44:45], v[74:75], 2, v[40:41]
	flat_store_dword v[44:45], v46
	s_or_b64 exec, exec, s[26:27]
	s_and_b64 s[34:35], s[14:15], s[18:19]
	s_and_saveexec_b64 s[26:27], s[34:35]
	s_cbranch_execz .LBB26_306
.LBB26_331:
	s_and_b64 vcc, exec, s[0:1]
	s_cbranch_vccnz .LBB26_333
; %bb.332:
	v_lshl_add_u64 v[44:45], v[76:77], 2, v[42:43]
	flat_load_dword v44, v[44:45]
	s_waitcnt vmcnt(0) lgkmcnt(0)
	v_mul_f32_e32 v44, s30, v44
	s_branch .LBB26_334
.LBB26_333:
	v_mov_b32_e32 v44, 0
.LBB26_334:
	v_pk_add_f32 v[46:47], v[8:9], v[36:37]
	s_nop 0
	v_min3_f32 v45, v46, v47, v93
	v_pk_add_f32 v[46:47], v[10:11], v[38:39]
	s_nop 0
	v_min_f32_e32 v46, v46, v47
	v_min3_f32 v46, v44, v46, v45
	v_lshl_add_u64 v[44:45], v[76:77], 2, v[40:41]
	flat_store_dword v[44:45], v46
	s_or_b64 exec, exec, s[26:27]
	s_and_b64 s[26:27], s[16:17], s[18:19]
	s_and_saveexec_b64 s[18:19], s[26:27]
	s_cbranch_execz .LBB26_339
.LBB26_335:
	s_and_b64 vcc, exec, s[0:1]
	s_cbranch_vccnz .LBB26_337
; %bb.336:
	v_lshl_add_u64 v[42:43], v[78:79], 2, v[42:43]
	flat_load_dword v42, v[42:43]
	s_waitcnt vmcnt(0) lgkmcnt(0)
	v_mul_f32_e32 v42, s30, v42
	s_branch .LBB26_338
.LBB26_337:
	v_mov_b32_e32 v42, 0
.LBB26_338:
	v_pk_add_f32 v[36:37], v[0:1], v[36:37]
	s_nop 0
	v_min3_f32 v43, v36, v37, v92
	v_pk_add_f32 v[36:37], v[2:3], v[38:39]
	s_nop 0
	v_min_f32_e32 v36, v36, v37
	v_min3_f32 v38, v42, v36, v43
	v_lshl_add_u64 v[36:37], v[78:79], 2, v[40:41]
	flat_store_dword v[36:37], v38
.LBB26_339:
	s_or_b64 exec, exec, s[18:19]
	v_add_u32_e32 v40, 0xe0, v124
	v_cmp_gt_i32_e64 s[18:19], s21, v40
	v_mad_i64_i32 v[36:37], s[20:21], v40, s29, 0
	v_lshl_add_u64 v[38:39], v[36:37], 2, s[24:25]
	v_mad_i64_i32 v[36:37], s[20:21], v40, s28, 0
	v_lshl_add_u64 v[36:37], v[36:37], 2, s[22:23]
	s_and_b64 s[20:21], s[2:3], s[18:19]
	s_and_saveexec_b64 s[2:3], s[20:21]
	s_cbranch_execnz .LBB26_348
; %bb.340:
	s_or_b64 exec, exec, s[2:3]
	s_and_b64 s[4:5], s[4:5], s[18:19]
	s_and_saveexec_b64 s[2:3], s[4:5]
	s_cbranch_execnz .LBB26_352
.LBB26_341:
	s_or_b64 exec, exec, s[2:3]
	s_and_b64 s[4:5], s[6:7], s[18:19]
	s_and_saveexec_b64 s[2:3], s[4:5]
	s_cbranch_execnz .LBB26_356
.LBB26_342:
	s_or_b64 exec, exec, s[2:3]
	s_and_b64 s[4:5], s[8:9], s[18:19]
	s_and_saveexec_b64 s[2:3], s[4:5]
	s_cbranch_execnz .LBB26_360
.LBB26_343:
	s_or_b64 exec, exec, s[2:3]
	s_and_b64 s[4:5], s[10:11], s[18:19]
	s_and_saveexec_b64 s[2:3], s[4:5]
	s_cbranch_execnz .LBB26_364
.LBB26_344:
	s_or_b64 exec, exec, s[2:3]
	s_and_b64 s[4:5], s[12:13], s[18:19]
	s_and_saveexec_b64 s[2:3], s[4:5]
	s_cbranch_execnz .LBB26_368
.LBB26_345:
	s_or_b64 exec, exec, s[2:3]
	s_and_b64 s[4:5], s[14:15], s[18:19]
	s_and_saveexec_b64 s[2:3], s[4:5]
	s_cbranch_execnz .LBB26_372
.LBB26_346:
	s_or_b64 exec, exec, s[2:3]
	s_and_b64 s[2:3], s[16:17], s[18:19]
	s_and_saveexec_b64 s[4:5], s[2:3]
	s_cbranch_execnz .LBB26_376
.LBB26_347:
	s_endpgm
.LBB26_348:
	s_and_b64 vcc, exec, s[0:1]
	s_cbranch_vccnz .LBB26_350
; %bb.349:
	v_lshl_add_u64 v[40:41], v[64:65], 2, v[38:39]
	flat_load_dword v40, v[40:41]
	s_waitcnt vmcnt(0) lgkmcnt(0)
	v_mul_f32_e32 v40, s30, v40
	s_branch .LBB26_351
.LBB26_350:
	v_mov_b32_e32 v40, 0
.LBB26_351:
	v_pk_add_f32 v[32:33], v[32:33], v[4:5]
	s_nop 0
	v_min3_f32 v41, v32, v33, v91
	v_pk_add_f32 v[32:33], v[34:35], v[6:7]
	s_nop 0
	v_min_f32_e32 v32, v32, v33
	v_min3_f32 v34, v40, v32, v41
	v_lshl_add_u64 v[32:33], v[64:65], 2, v[36:37]
	flat_store_dword v[32:33], v34
	s_or_b64 exec, exec, s[2:3]
	s_and_b64 s[4:5], s[4:5], s[18:19]
	s_and_saveexec_b64 s[2:3], s[4:5]
	s_cbranch_execz .LBB26_341
.LBB26_352:
	s_and_b64 vcc, exec, s[0:1]
	s_cbranch_vccnz .LBB26_354
; %bb.353:
	v_lshl_add_u64 v[32:33], v[66:67], 2, v[38:39]
	flat_load_dword v32, v[32:33]
	s_waitcnt vmcnt(0) lgkmcnt(0)
	v_mul_f32_e32 v32, s30, v32
	s_branch .LBB26_355
.LBB26_354:
	v_mov_b32_e32 v32, 0
.LBB26_355:
	v_pk_add_f32 v[28:29], v[28:29], v[4:5]
	s_nop 0
	v_min3_f32 v33, v28, v29, v90
	v_pk_add_f32 v[28:29], v[30:31], v[6:7]
	s_nop 0
	v_min_f32_e32 v28, v28, v29
	v_min3_f32 v30, v32, v28, v33
	v_lshl_add_u64 v[28:29], v[66:67], 2, v[36:37]
	flat_store_dword v[28:29], v30
	s_or_b64 exec, exec, s[2:3]
	s_and_b64 s[4:5], s[6:7], s[18:19]
	s_and_saveexec_b64 s[2:3], s[4:5]
	s_cbranch_execz .LBB26_342
.LBB26_356:
	s_and_b64 vcc, exec, s[0:1]
	s_cbranch_vccnz .LBB26_358
; %bb.357:
	v_lshl_add_u64 v[28:29], v[68:69], 2, v[38:39]
	flat_load_dword v28, v[28:29]
	s_waitcnt vmcnt(0) lgkmcnt(0)
	v_mul_f32_e32 v28, s30, v28
	s_branch .LBB26_359
.LBB26_358:
	v_mov_b32_e32 v28, 0
.LBB26_359:
	v_pk_add_f32 v[24:25], v[24:25], v[4:5]
	s_nop 0
	v_min3_f32 v29, v24, v25, v89
	v_pk_add_f32 v[24:25], v[26:27], v[6:7]
	s_nop 0
	v_min_f32_e32 v24, v24, v25
	v_min3_f32 v26, v28, v24, v29
	v_lshl_add_u64 v[24:25], v[68:69], 2, v[36:37]
	flat_store_dword v[24:25], v26
	s_or_b64 exec, exec, s[2:3]
	s_and_b64 s[4:5], s[8:9], s[18:19]
	s_and_saveexec_b64 s[2:3], s[4:5]
	s_cbranch_execz .LBB26_343
.LBB26_360:
	s_and_b64 vcc, exec, s[0:1]
	s_cbranch_vccnz .LBB26_362
; %bb.361:
	v_lshl_add_u64 v[24:25], v[70:71], 2, v[38:39]
	flat_load_dword v24, v[24:25]
	s_waitcnt vmcnt(0) lgkmcnt(0)
	v_mul_f32_e32 v24, s30, v24
	s_branch .LBB26_363
.LBB26_362:
	v_mov_b32_e32 v24, 0
.LBB26_363:
	v_pk_add_f32 v[20:21], v[20:21], v[4:5]
	s_nop 0
	v_min3_f32 v25, v20, v21, v87
	v_pk_add_f32 v[20:21], v[22:23], v[6:7]
	s_nop 0
	v_min_f32_e32 v20, v20, v21
	v_min3_f32 v22, v24, v20, v25
	v_lshl_add_u64 v[20:21], v[70:71], 2, v[36:37]
	flat_store_dword v[20:21], v22
	s_or_b64 exec, exec, s[2:3]
	s_and_b64 s[4:5], s[10:11], s[18:19]
	s_and_saveexec_b64 s[2:3], s[4:5]
	s_cbranch_execz .LBB26_344
.LBB26_364:
	s_and_b64 vcc, exec, s[0:1]
	s_cbranch_vccnz .LBB26_366
; %bb.365:
	v_lshl_add_u64 v[20:21], v[72:73], 2, v[38:39]
	flat_load_dword v20, v[20:21]
	s_waitcnt vmcnt(0) lgkmcnt(0)
	v_mul_f32_e32 v20, s30, v20
	s_branch .LBB26_367
.LBB26_366:
	v_mov_b32_e32 v20, 0
.LBB26_367:
	v_pk_add_f32 v[16:17], v[16:17], v[4:5]
	s_nop 0
	v_min3_f32 v21, v16, v17, v86
	v_pk_add_f32 v[16:17], v[18:19], v[6:7]
	s_nop 0
	v_min_f32_e32 v16, v16, v17
	v_min3_f32 v18, v20, v16, v21
	v_lshl_add_u64 v[16:17], v[72:73], 2, v[36:37]
	flat_store_dword v[16:17], v18
	s_or_b64 exec, exec, s[2:3]
	s_and_b64 s[4:5], s[12:13], s[18:19]
	s_and_saveexec_b64 s[2:3], s[4:5]
	s_cbranch_execz .LBB26_345
.LBB26_368:
	s_and_b64 vcc, exec, s[0:1]
	s_cbranch_vccnz .LBB26_370
; %bb.369:
	v_lshl_add_u64 v[16:17], v[74:75], 2, v[38:39]
	flat_load_dword v16, v[16:17]
	s_waitcnt vmcnt(0) lgkmcnt(0)
	v_mul_f32_e32 v16, s30, v16
	s_branch .LBB26_371
.LBB26_370:
	v_mov_b32_e32 v16, 0
.LBB26_371:
	v_pk_add_f32 v[12:13], v[12:13], v[4:5]
	s_nop 0
	v_min3_f32 v17, v12, v13, v85
	v_pk_add_f32 v[12:13], v[14:15], v[6:7]
	s_nop 0
	v_min_f32_e32 v12, v12, v13
	v_min3_f32 v14, v16, v12, v17
	v_lshl_add_u64 v[12:13], v[74:75], 2, v[36:37]
	flat_store_dword v[12:13], v14
	s_or_b64 exec, exec, s[2:3]
	s_and_b64 s[4:5], s[14:15], s[18:19]
	s_and_saveexec_b64 s[2:3], s[4:5]
	s_cbranch_execz .LBB26_346
.LBB26_372:
	s_and_b64 vcc, exec, s[0:1]
	s_cbranch_vccnz .LBB26_374
; %bb.373:
	v_lshl_add_u64 v[12:13], v[76:77], 2, v[38:39]
	flat_load_dword v12, v[12:13]
	s_waitcnt vmcnt(0) lgkmcnt(0)
	v_mul_f32_e32 v12, s30, v12
	s_branch .LBB26_375
.LBB26_374:
	v_mov_b32_e32 v12, 0
.LBB26_375:
	v_pk_add_f32 v[8:9], v[8:9], v[4:5]
	s_nop 0
	v_min3_f32 v13, v8, v9, v84
	v_pk_add_f32 v[8:9], v[10:11], v[6:7]
	s_nop 0
	v_min_f32_e32 v8, v8, v9
	v_min3_f32 v10, v12, v8, v13
	v_lshl_add_u64 v[8:9], v[76:77], 2, v[36:37]
	flat_store_dword v[8:9], v10
	s_or_b64 exec, exec, s[2:3]
	s_and_b64 s[2:3], s[16:17], s[18:19]
	s_and_saveexec_b64 s[4:5], s[2:3]
	s_cbranch_execz .LBB26_347
.LBB26_376:
	s_and_b64 vcc, exec, s[0:1]
	s_cbranch_vccnz .LBB26_378
; %bb.377:
	v_lshl_add_u64 v[8:9], v[78:79], 2, v[38:39]
	flat_load_dword v8, v[8:9]
	s_waitcnt vmcnt(0) lgkmcnt(0)
	v_mul_f32_e32 v8, s30, v8
	s_branch .LBB26_379
.LBB26_378:
	v_mov_b32_e32 v8, 0
.LBB26_379:
	v_pk_add_f32 v[0:1], v[0:1], v[4:5]
	s_nop 0
	v_min3_f32 v4, v0, v1, v88
	v_pk_add_f32 v[0:1], v[2:3], v[6:7]
	s_nop 0
	v_min_f32_e32 v0, v0, v1
	v_min3_f32 v2, v8, v0, v4
	v_lshl_add_u64 v[0:1], v[78:79], 2, v[36:37]
	flat_store_dword v[0:1], v2
	s_endpgm
	.section	.rodata,"a",@progbits
	.p2align	6, 0x0
	.amdhsa_kernel _ZN12_GLOBAL__N_120geam_min_plus_kernelIf15HIP_vector_typeIfLj2EEfLi8ELi32ELi64ELi256ELi4ELi4ELi64ELi64ELi4ELc84ELc84ELb0ELb1ELb1EfKPKfKPfEEviiiT16_PT17_ilSA_ilS8_SA_ilPT18_ili26rocblas_geam_ex_operation_
		.amdhsa_group_segment_fixed_size 10240
		.amdhsa_private_segment_fixed_size 0
		.amdhsa_kernarg_size 128
		.amdhsa_user_sgpr_count 2
		.amdhsa_user_sgpr_dispatch_ptr 0
		.amdhsa_user_sgpr_queue_ptr 0
		.amdhsa_user_sgpr_kernarg_segment_ptr 1
		.amdhsa_user_sgpr_dispatch_id 0
		.amdhsa_user_sgpr_kernarg_preload_length 0
		.amdhsa_user_sgpr_kernarg_preload_offset 0
		.amdhsa_user_sgpr_private_segment_size 0
		.amdhsa_uses_dynamic_stack 0
		.amdhsa_enable_private_segment 0
		.amdhsa_system_sgpr_workgroup_id_x 1
		.amdhsa_system_sgpr_workgroup_id_y 0
		.amdhsa_system_sgpr_workgroup_id_z 1
		.amdhsa_system_sgpr_workgroup_info 0
		.amdhsa_system_vgpr_workitem_id 1
		.amdhsa_next_free_vgpr 157
		.amdhsa_next_free_sgpr 40
		.amdhsa_accum_offset 160
		.amdhsa_reserve_vcc 1
		.amdhsa_float_round_mode_32 0
		.amdhsa_float_round_mode_16_64 0
		.amdhsa_float_denorm_mode_32 3
		.amdhsa_float_denorm_mode_16_64 3
		.amdhsa_dx10_clamp 1
		.amdhsa_ieee_mode 1
		.amdhsa_fp16_overflow 0
		.amdhsa_tg_split 0
		.amdhsa_exception_fp_ieee_invalid_op 0
		.amdhsa_exception_fp_denorm_src 0
		.amdhsa_exception_fp_ieee_div_zero 0
		.amdhsa_exception_fp_ieee_overflow 0
		.amdhsa_exception_fp_ieee_underflow 0
		.amdhsa_exception_fp_ieee_inexact 0
		.amdhsa_exception_int_div_zero 0
	.end_amdhsa_kernel
	.section	.text._ZN12_GLOBAL__N_120geam_min_plus_kernelIf15HIP_vector_typeIfLj2EEfLi8ELi32ELi64ELi256ELi4ELi4ELi64ELi64ELi4ELc84ELc84ELb0ELb1ELb1EfKPKfKPfEEviiiT16_PT17_ilSA_ilS8_SA_ilPT18_ili26rocblas_geam_ex_operation_,"axG",@progbits,_ZN12_GLOBAL__N_120geam_min_plus_kernelIf15HIP_vector_typeIfLj2EEfLi8ELi32ELi64ELi256ELi4ELi4ELi64ELi64ELi4ELc84ELc84ELb0ELb1ELb1EfKPKfKPfEEviiiT16_PT17_ilSA_ilS8_SA_ilPT18_ili26rocblas_geam_ex_operation_,comdat
.Lfunc_end26:
	.size	_ZN12_GLOBAL__N_120geam_min_plus_kernelIf15HIP_vector_typeIfLj2EEfLi8ELi32ELi64ELi256ELi4ELi4ELi64ELi64ELi4ELc84ELc84ELb0ELb1ELb1EfKPKfKPfEEviiiT16_PT17_ilSA_ilS8_SA_ilPT18_ili26rocblas_geam_ex_operation_, .Lfunc_end26-_ZN12_GLOBAL__N_120geam_min_plus_kernelIf15HIP_vector_typeIfLj2EEfLi8ELi32ELi64ELi256ELi4ELi4ELi64ELi64ELi4ELc84ELc84ELb0ELb1ELb1EfKPKfKPfEEviiiT16_PT17_ilSA_ilS8_SA_ilPT18_ili26rocblas_geam_ex_operation_
                                        ; -- End function
	.set _ZN12_GLOBAL__N_120geam_min_plus_kernelIf15HIP_vector_typeIfLj2EEfLi8ELi32ELi64ELi256ELi4ELi4ELi64ELi64ELi4ELc84ELc84ELb0ELb1ELb1EfKPKfKPfEEviiiT16_PT17_ilSA_ilS8_SA_ilPT18_ili26rocblas_geam_ex_operation_.num_vgpr, 157
	.set _ZN12_GLOBAL__N_120geam_min_plus_kernelIf15HIP_vector_typeIfLj2EEfLi8ELi32ELi64ELi256ELi4ELi4ELi64ELi64ELi4ELc84ELc84ELb0ELb1ELb1EfKPKfKPfEEviiiT16_PT17_ilSA_ilS8_SA_ilPT18_ili26rocblas_geam_ex_operation_.num_agpr, 0
	.set _ZN12_GLOBAL__N_120geam_min_plus_kernelIf15HIP_vector_typeIfLj2EEfLi8ELi32ELi64ELi256ELi4ELi4ELi64ELi64ELi4ELc84ELc84ELb0ELb1ELb1EfKPKfKPfEEviiiT16_PT17_ilSA_ilS8_SA_ilPT18_ili26rocblas_geam_ex_operation_.numbered_sgpr, 40
	.set _ZN12_GLOBAL__N_120geam_min_plus_kernelIf15HIP_vector_typeIfLj2EEfLi8ELi32ELi64ELi256ELi4ELi4ELi64ELi64ELi4ELc84ELc84ELb0ELb1ELb1EfKPKfKPfEEviiiT16_PT17_ilSA_ilS8_SA_ilPT18_ili26rocblas_geam_ex_operation_.num_named_barrier, 0
	.set _ZN12_GLOBAL__N_120geam_min_plus_kernelIf15HIP_vector_typeIfLj2EEfLi8ELi32ELi64ELi256ELi4ELi4ELi64ELi64ELi4ELc84ELc84ELb0ELb1ELb1EfKPKfKPfEEviiiT16_PT17_ilSA_ilS8_SA_ilPT18_ili26rocblas_geam_ex_operation_.private_seg_size, 0
	.set _ZN12_GLOBAL__N_120geam_min_plus_kernelIf15HIP_vector_typeIfLj2EEfLi8ELi32ELi64ELi256ELi4ELi4ELi64ELi64ELi4ELc84ELc84ELb0ELb1ELb1EfKPKfKPfEEviiiT16_PT17_ilSA_ilS8_SA_ilPT18_ili26rocblas_geam_ex_operation_.uses_vcc, 1
	.set _ZN12_GLOBAL__N_120geam_min_plus_kernelIf15HIP_vector_typeIfLj2EEfLi8ELi32ELi64ELi256ELi4ELi4ELi64ELi64ELi4ELc84ELc84ELb0ELb1ELb1EfKPKfKPfEEviiiT16_PT17_ilSA_ilS8_SA_ilPT18_ili26rocblas_geam_ex_operation_.uses_flat_scratch, 0
	.set _ZN12_GLOBAL__N_120geam_min_plus_kernelIf15HIP_vector_typeIfLj2EEfLi8ELi32ELi64ELi256ELi4ELi4ELi64ELi64ELi4ELc84ELc84ELb0ELb1ELb1EfKPKfKPfEEviiiT16_PT17_ilSA_ilS8_SA_ilPT18_ili26rocblas_geam_ex_operation_.has_dyn_sized_stack, 0
	.set _ZN12_GLOBAL__N_120geam_min_plus_kernelIf15HIP_vector_typeIfLj2EEfLi8ELi32ELi64ELi256ELi4ELi4ELi64ELi64ELi4ELc84ELc84ELb0ELb1ELb1EfKPKfKPfEEviiiT16_PT17_ilSA_ilS8_SA_ilPT18_ili26rocblas_geam_ex_operation_.has_recursion, 0
	.set _ZN12_GLOBAL__N_120geam_min_plus_kernelIf15HIP_vector_typeIfLj2EEfLi8ELi32ELi64ELi256ELi4ELi4ELi64ELi64ELi4ELc84ELc84ELb0ELb1ELb1EfKPKfKPfEEviiiT16_PT17_ilSA_ilS8_SA_ilPT18_ili26rocblas_geam_ex_operation_.has_indirect_call, 0
	.section	.AMDGPU.csdata,"",@progbits
; Kernel info:
; codeLenInByte = 18772
; TotalNumSgprs: 46
; NumVgprs: 157
; NumAgprs: 0
; TotalNumVgprs: 157
; ScratchSize: 0
; MemoryBound: 0
; FloatMode: 240
; IeeeMode: 1
; LDSByteSize: 10240 bytes/workgroup (compile time only)
; SGPRBlocks: 5
; VGPRBlocks: 19
; NumSGPRsForWavesPerEU: 46
; NumVGPRsForWavesPerEU: 157
; AccumOffset: 160
; Occupancy: 3
; WaveLimiterHint : 1
; COMPUTE_PGM_RSRC2:SCRATCH_EN: 0
; COMPUTE_PGM_RSRC2:USER_SGPR: 2
; COMPUTE_PGM_RSRC2:TRAP_HANDLER: 0
; COMPUTE_PGM_RSRC2:TGID_X_EN: 1
; COMPUTE_PGM_RSRC2:TGID_Y_EN: 0
; COMPUTE_PGM_RSRC2:TGID_Z_EN: 1
; COMPUTE_PGM_RSRC2:TIDIG_COMP_CNT: 1
; COMPUTE_PGM_RSRC3_GFX90A:ACCUM_OFFSET: 39
; COMPUTE_PGM_RSRC3_GFX90A:TG_SPLIT: 0
	.section	.text._ZN12_GLOBAL__N_120geam_min_plus_kernelIf15HIP_vector_typeIfLj2EES2_Li8ELi32ELi64ELi128ELi4ELi64ELi4ELi4ELi64ELc78ELc78ELb0ELb0ELb0EPKfKS4_KPfEEviiiT16_PT17_ilSA_ilS8_SA_ilPT18_ili26rocblas_geam_ex_operation_,"axG",@progbits,_ZN12_GLOBAL__N_120geam_min_plus_kernelIf15HIP_vector_typeIfLj2EES2_Li8ELi32ELi64ELi128ELi4ELi64ELi4ELi4ELi64ELc78ELc78ELb0ELb0ELb0EPKfKS4_KPfEEviiiT16_PT17_ilSA_ilS8_SA_ilPT18_ili26rocblas_geam_ex_operation_,comdat
	.globl	_ZN12_GLOBAL__N_120geam_min_plus_kernelIf15HIP_vector_typeIfLj2EES2_Li8ELi32ELi64ELi128ELi4ELi64ELi4ELi4ELi64ELc78ELc78ELb0ELb0ELb0EPKfKS4_KPfEEviiiT16_PT17_ilSA_ilS8_SA_ilPT18_ili26rocblas_geam_ex_operation_ ; -- Begin function _ZN12_GLOBAL__N_120geam_min_plus_kernelIf15HIP_vector_typeIfLj2EES2_Li8ELi32ELi64ELi128ELi4ELi64ELi4ELi4ELi64ELc78ELc78ELb0ELb0ELb0EPKfKS4_KPfEEviiiT16_PT17_ilSA_ilS8_SA_ilPT18_ili26rocblas_geam_ex_operation_
	.p2align	8
	.type	_ZN12_GLOBAL__N_120geam_min_plus_kernelIf15HIP_vector_typeIfLj2EES2_Li8ELi32ELi64ELi128ELi4ELi64ELi4ELi4ELi64ELc78ELc78ELb0ELb0ELb0EPKfKS4_KPfEEviiiT16_PT17_ilSA_ilS8_SA_ilPT18_ili26rocblas_geam_ex_operation_,@function
_ZN12_GLOBAL__N_120geam_min_plus_kernelIf15HIP_vector_typeIfLj2EES2_Li8ELi32ELi64ELi128ELi4ELi64ELi4ELi4ELi64ELc78ELc78ELb0ELb0ELb0EPKfKS4_KPfEEviiiT16_PT17_ilSA_ilS8_SA_ilPT18_ili26rocblas_geam_ex_operation_: ; @_ZN12_GLOBAL__N_120geam_min_plus_kernelIf15HIP_vector_typeIfLj2EES2_Li8ELi32ELi64ELi128ELi4ELi64ELi4ELi4ELi64ELc78ELc78ELb0ELb0ELb0EPKfKS4_KPfEEviiiT16_PT17_ilSA_ilS8_SA_ilPT18_ili26rocblas_geam_ex_operation_
; %bb.0:
	s_load_dwordx4 s[4:7], s[0:1], 0x10
	s_load_dwordx4 s[12:15], s[0:1], 0x28
	;; [unrolled: 1-line block ×3, first 2 shown]
	s_mov_b32 s22, s3
	s_mov_b32 s23, 0
	s_lshl_b64 s[18:19], s[22:23], 2
	s_waitcnt lgkmcnt(0)
	s_add_u32 s4, s4, s18
	s_addc_u32 s5, s5, s19
	s_load_dword s16, s[4:5], 0x0
	s_load_dwordx2 s[24:25], s[0:1], 0x50
	s_add_u32 s10, s10, s18
	s_addc_u32 s11, s11, s19
	s_mov_b64 s[18:19], 0
	s_waitcnt lgkmcnt(0)
	v_cmp_eq_f32_e64 s[4:5], s16, 0
	s_and_b64 s[4:5], exec, s[4:5]
	v_cmp_neq_f32_e64 s[26:27], s16, 0
	s_mov_b64 s[20:21], 0
	s_mov_b64 vcc, s[4:5]
	s_cbranch_vccnz .LBB27_2
; %bb.1:
	s_lshl_b64 s[20:21], s[22:23], 3
	s_add_u32 s6, s6, s20
	s_addc_u32 s7, s7, s21
	s_load_dwordx2 s[6:7], s[6:7], 0x0
	s_lshl_b64 s[12:13], s[12:13], 2
	s_waitcnt lgkmcnt(0)
	s_add_u32 s20, s6, s12
	s_addc_u32 s21, s7, s13
.LBB27_2:
	s_load_dword s28, s[10:11], 0x0
	v_cndmask_b32_e64 v1, 0, 1, s[26:27]
	v_cmp_ne_u32_e64 s[6:7], 1, v1
	s_andn2_b64 vcc, exec, s[26:27]
	s_cbranch_vccnz .LBB27_4
; %bb.3:
	s_lshl_b64 s[10:11], s[22:23], 3
	s_add_u32 s10, s14, s10
	s_addc_u32 s11, s15, s11
	s_load_dwordx2 s[10:11], s[10:11], 0x0
	s_lshl_b64 s[8:9], s[8:9], 2
	s_waitcnt lgkmcnt(0)
	s_add_u32 s18, s10, s8
	s_addc_u32 s19, s11, s9
.LBB27_4:
	s_load_dwordx4 s[12:15], s[0:1], 0x60
	s_waitcnt lgkmcnt(0)
	v_cmp_eq_f32_e64 s[8:9], s28, 0
	s_and_b64 s[8:9], exec, s[8:9]
	s_mov_b64 vcc, s[8:9]
	s_cbranch_vccnz .LBB27_6
; %bb.5:
	s_lshl_b64 s[10:11], s[22:23], 3
	s_add_u32 s10, s24, s10
	s_addc_u32 s11, s25, s11
	s_load_dwordx2 s[10:11], s[10:11], 0x0
	s_lshl_b64 s[12:13], s[12:13], 2
	s_waitcnt lgkmcnt(0)
	s_add_u32 s10, s10, s12
	s_addc_u32 s11, s11, s13
	s_branch .LBB27_7
.LBB27_6:
	s_mov_b64 s[10:11], 0
.LBB27_7:
	s_load_dword s24, s[0:1], 0x20
	s_load_dword s3, s[0:1], 0x0
	;; [unrolled: 1-line block ×3, first 2 shown]
	s_lshl_b64 s[12:13], s[22:23], 3
	v_and_b32_e32 v80, 0x3ff, v0
	s_waitcnt lgkmcnt(0)
	s_ashr_i32 s22, s24, 31
	s_add_u32 s12, s14, s12
	s_addc_u32 s13, s15, s13
	s_add_i32 s3, s3, -1
	s_ashr_i32 s14, s3, 31
	s_lshr_b32 s14, s14, 26
	s_add_i32 s3, s3, s14
	s_ashr_i32 s3, s3, 6
	s_add_i32 s14, s3, 1
	v_cvt_f32_u32_e32 v1, s14
	s_not_b32 s3, s3
	v_bfe_u32 v81, v0, 10, 10
	v_and_b32_e32 v82, 3, v0
	v_rcp_iflag_f32_e32 v1, v1
	v_lshl_add_u32 v0, v81, 3, v80
	v_and_b32_e32 v2, 63, v0
	v_lshrrev_b32_e32 v76, 2, v0
	v_mul_f32_e32 v1, 0x4f7ffffe, v1
	v_cvt_u32_f32_e32 v1, v1
	v_lshrrev_b32_e32 v83, 6, v0
	v_mov_b32_e32 v77, 0
	v_lshlrev_b32_e32 v70, 2, v82
	v_readfirstlane_b32 s15, v1
	s_mul_i32 s3, s3, s15
	s_mul_hi_u32 s3, s15, s3
	s_add_i32 s15, s15, s3
	s_mul_hi_u32 s3, s2, s15
	s_mul_i32 s15, s3, s14
	s_sub_i32 s15, s2, s15
	s_add_i32 s23, s3, 1
	s_sub_i32 s25, s15, s14
	s_cmp_ge_u32 s15, s14
	s_cselect_b32 s3, s23, s3
	s_cselect_b32 s15, s25, s15
	s_add_i32 s23, s3, 1
	s_cmp_ge_u32 s15, s14
	s_cselect_b32 s3, s23, s3
	s_mul_i32 s14, s3, s14
	s_sub_i32 s2, s2, s14
	s_lshl_b32 s14, s2, 6
	s_lshl_b32 s15, s3, 7
	v_or_b32_e32 v68, s14, v2
	v_add_u32_e32 v74, s15, v76
	s_and_b64 vcc, exec, s[6:7]
	v_ashrrev_i32_e32 v69, 31, v68
	v_add_u32_e32 v75, 64, v74
	v_mov_b32_e32 v3, 0
	v_mov_b32_e32 v0, 0
	;; [unrolled: 1-line block ×3, first 2 shown]
	s_cbranch_vccnz .LBB27_9
; %bb.8:
	v_mad_i64_i32 v[0:1], s[2:3], s24, v83, 0
	v_mov_b32_e32 v71, 0
	v_lshl_add_u64 v[0:1], v[0:1], 2, s[20:21]
	v_lshl_add_u64 v[4:5], s[18:19], 0, v[70:71]
	v_mad_i64_i32 v[6:7], s[2:3], v74, s17, 0
	v_lshl_add_u64 v[0:1], v[68:69], 2, v[0:1]
	v_lshl_add_u64 v[6:7], v[6:7], 2, v[4:5]
	v_mad_i64_i32 v[8:9], s[2:3], v75, s17, 0
	flat_load_dword v0, v[0:1]
	v_lshl_add_u64 v[4:5], v[8:9], 2, v[4:5]
	flat_load_dword v3, v[6:7]
	flat_load_dword v1, v[4:5]
	s_waitcnt vmcnt(0) lgkmcnt(0)
	v_mul_f32_e32 v3, s16, v3
	v_pk_mul_f32 v[0:1], s[16:17], v[0:1] op_sel_hi:[0,1]
.LBB27_9:
	s_load_dwordx2 s[2:3], s[12:13], 0x0
	s_and_b64 vcc, exec, s[6:7]
	v_add_u32_e32 v84, 4, v83
	v_mov_b32_e32 v72, 0
	v_mov_b32_e32 v73, 0
	s_cbranch_vccnz .LBB27_11
; %bb.10:
	v_mad_i64_i32 v[4:5], s[6:7], s24, v84, 0
	v_mov_b32_e32 v71, 0
	v_lshl_add_u64 v[4:5], v[4:5], 2, s[20:21]
	v_lshl_add_u64 v[6:7], s[18:19], 0, v[70:71]
	v_mad_i64_i32 v[8:9], s[6:7], v74, s17, 0
	v_lshl_add_u64 v[4:5], v[68:69], 2, v[4:5]
	v_lshl_add_u64 v[8:9], v[8:9], 2, v[6:7]
	v_mad_i64_i32 v[10:11], s[6:7], v75, s17, 0
	flat_load_dword v4, v[4:5]
	v_lshl_add_u64 v[6:7], v[10:11], 2, v[6:7]
	flat_load_dword v10, v[8:9] offset:16
	flat_load_dword v5, v[6:7] offset:16
	s_waitcnt vmcnt(0) lgkmcnt(0)
	v_mul_f32_e32 v77, s16, v10
	v_pk_mul_f32 v[72:73], s[16:17], v[4:5] op_sel_hi:[0,1]
.LBB27_11:
	v_lshlrev_b32_e32 v2, 4, v2
	v_lshl_add_u32 v71, v83, 2, v2
	ds_write_b32 v71, v0 offset:4096
	v_lshlrev_b32_e32 v0, 4, v76
	v_lshl_or_b32 v85, v82, 2, v0
	v_mov_b32_e32 v0, 0x1000
	v_mov_b32_e32 v66, 0
	v_cmp_neq_f32_e64 s[6:7], s28, 0
	v_lshl_add_u32 v86, v80, 4, v0
	s_mov_b32 s23, 0
	s_mov_b64 s[12:13], -1
	v_mov_b32_e32 v67, v66
	v_mov_b32_e32 v64, v66
	;; [unrolled: 1-line block ×63, first 2 shown]
	v_or_b32_e32 v87, 0x1000, v71
	v_lshlrev_b32_e32 v88, 4, v81
	ds_write2st64_b32 v85, v3, v1 offset1:4
	s_waitcnt lgkmcnt(0)
	s_barrier
.LBB27_12:                              ; =>This Inner Loop Header: Depth=1
	v_cndmask_b32_e64 v0, 0, 1, s[12:13]
	s_lshl_b32 s12, s23, 2
	v_cmp_ne_u32_e32 vcc, 1, v0
	v_add_u32_e32 v0, s12, v86
	ds_read2_b64 v[90:93], v0 offset1:16
	ds_read2_b64 v[94:97], v0 offset0:32 offset1:48
	ds_read2_b64 v[98:101], v0 offset0:64 offset1:80
	;; [unrolled: 1-line block ×3, first 2 shown]
	v_add_u32_e32 v0, s12, v88
	ds_read2st64_b64 v[106:109], v0 offset1:1
	ds_read2st64_b64 v[0:3], v0 offset0:2 offset1:3
	s_waitcnt lgkmcnt(5)
	v_max_f32_e32 v90, v90, v90
	v_max_f32_e32 v91, v91, v91
	;; [unrolled: 1-line block ×3, first 2 shown]
	s_waitcnt lgkmcnt(1)
	v_max_f32_e32 v89, v106, v106
	v_max_f32_e32 v106, v107, v107
	v_min_f32_e32 v78, v90, v89
	v_min_f32_e32 v79, v91, v106
	v_max_f32_e32 v93, v93, v93
	v_pk_add_f32 v[66:67], v[78:79], v[66:67]
	v_min_f32_e32 v78, v92, v89
	v_min_f32_e32 v79, v93, v106
	v_max_f32_e32 v94, v94, v94
	v_max_f32_e32 v95, v95, v95
	v_pk_add_f32 v[64:65], v[78:79], v[64:65]
	v_min_f32_e32 v78, v94, v89
	v_min_f32_e32 v79, v95, v106
	v_max_f32_e32 v96, v96, v96
	;; [unrolled: 5-line block ×6, first 2 shown]
	v_pk_add_f32 v[54:55], v[78:79], v[54:55]
	v_min_f32_e32 v78, v104, v89
	v_max_f32_e32 v89, v105, v105
	v_min_f32_e32 v79, v89, v106
	v_max_f32_e32 v105, v108, v108
	v_max_f32_e32 v106, v109, v109
	v_pk_add_f32 v[52:53], v[78:79], v[52:53]
	v_min_f32_e32 v78, v90, v105
	v_min_f32_e32 v79, v91, v106
	v_pk_add_f32 v[50:51], v[78:79], v[50:51]
	v_min_f32_e32 v78, v92, v105
	v_min_f32_e32 v79, v93, v106
	;; [unrolled: 3-line block ×8, first 2 shown]
	v_pk_add_f32 v[36:37], v[78:79], v[36:37]
	s_waitcnt lgkmcnt(0)
	v_max_f32_e32 v78, v0, v0
	v_max_f32_e32 v79, v1, v1
	v_min_f32_e32 v0, v90, v78
	v_min_f32_e32 v1, v91, v79
	v_pk_add_f32 v[34:35], v[0:1], v[34:35]
	v_min_f32_e32 v0, v92, v78
	v_min_f32_e32 v1, v93, v79
	v_pk_add_f32 v[32:33], v[0:1], v[32:33]
	;; [unrolled: 3-line block ×7, first 2 shown]
	v_min_f32_e32 v0, v104, v78
	v_min_f32_e32 v1, v89, v79
	v_max_f32_e32 v2, v2, v2
	v_max_f32_e32 v3, v3, v3
	v_pk_add_f32 v[20:21], v[0:1], v[20:21]
	v_min_f32_e32 v0, v90, v2
	v_min_f32_e32 v1, v91, v3
	v_pk_add_f32 v[18:19], v[0:1], v[18:19]
	v_min_f32_e32 v0, v92, v2
	v_min_f32_e32 v1, v93, v3
	;; [unrolled: 3-line block ×8, first 2 shown]
	v_pk_add_f32 v[4:5], v[0:1], v[4:5]
	s_mov_b64 s[12:13], 0
	s_mov_b32 s23, 2
	s_cbranch_vccz .LBB27_12
; %bb.13:
	s_load_dword s23, s[0:1], 0x8
	v_lshl_or_b32 v0, v76, 4, v70
	ds_write_b32 v71, v72 offset:5120
	ds_write2st64_b32 v0, v77, v73 offset0:8 offset1:12
	s_waitcnt lgkmcnt(0)
	s_cmp_lt_i32 s23, 9
	s_barrier
	s_cbranch_scc1 .LBB27_28
; %bb.14:
	v_add_u32_e32 v90, 0x800, v0
	v_mov_b32_e32 v0, 0x1400
	v_lshl_add_u32 v91, v80, 4, v0
	v_mov_b32_e32 v0, 0x800
	v_add_u32_e32 v89, 0x1400, v71
	s_add_i32 s23, s23, -8
	v_lshl_add_u64 v[68:69], v[68:69], 2, s[20:21]
	v_mad_i64_i32 v[70:71], s[12:13], v74, s17, 0
	v_mad_i64_i32 v[72:73], s[12:13], v75, s17, 0
	v_lshl_add_u32 v92, v81, 4, v0
	s_mov_b32 s17, s16
	s_mov_b32 s20, 8
	;; [unrolled: 1-line block ×3, first 2 shown]
	v_mov_b32_e32 v75, 0
.LBB27_15:                              ; =>This Loop Header: Depth=1
                                        ;     Child Loop BB27_20 Depth 2
                                        ;     Child Loop BB27_26 Depth 2
	s_mov_b64 s[12:13], -1
	s_mov_b64 vcc, s[4:5]
                                        ; implicit-def: $vgpr76_vgpr77
	s_cbranch_vccz .LBB27_17
; %bb.16:                               ;   in Loop: Header=BB27_15 Depth=1
	v_mov_b32_e32 v76, v75
	s_mov_b64 s[12:13], 0
.LBB27_17:                              ;   in Loop: Header=BB27_15 Depth=1
	v_mov_b32_e32 v78, 0
	s_andn2_b64 vcc, exec, s[12:13]
	v_mov_b32_e32 v79, 0
	s_cbranch_vccnz .LBB27_19
; %bb.18:                               ;   in Loop: Header=BB27_15 Depth=1
	v_add_u32_e32 v3, s20, v83
	v_mad_u64_u32 v[0:1], s[12:13], v3, s24, 0
	v_mov_b32_e32 v2, v1
	v_mad_u64_u32 v[2:3], s[12:13], v3, s22, v[2:3]
	v_or_b32_e32 v74, s20, v82
	v_mov_b32_e32 v1, v2
	v_lshl_add_u64 v[2:3], v[74:75], 2, s[18:19]
	v_lshl_add_u64 v[0:1], v[0:1], 2, v[68:69]
	;; [unrolled: 1-line block ×3, first 2 shown]
	flat_load_dword v0, v[0:1]
	v_lshl_add_u64 v[2:3], v[72:73], 2, v[2:3]
	flat_load_dword v74, v[76:77]
	flat_load_dword v1, v[2:3]
	s_waitcnt vmcnt(0) lgkmcnt(0)
	v_mul_f32_e32 v76, s16, v74
	v_pk_mul_f32 v[78:79], s[16:17], v[0:1]
.LBB27_19:                              ;   in Loop: Header=BB27_15 Depth=1
	s_mov_b32 s25, 0
	s_mov_b64 s[12:13], -1
.LBB27_20:                              ;   Parent Loop BB27_15 Depth=1
                                        ; =>  This Inner Loop Header: Depth=2
	v_cndmask_b32_e64 v0, 0, 1, s[12:13]
	s_lshl_b32 s12, s25, 2
	v_cmp_ne_u32_e32 vcc, 1, v0
	v_add_u32_e32 v0, s12, v91
	ds_read2_b64 v[94:97], v0 offset1:16
	ds_read2_b64 v[98:101], v0 offset0:32 offset1:48
	ds_read2_b64 v[102:105], v0 offset0:64 offset1:80
	;; [unrolled: 1-line block ×3, first 2 shown]
	v_add_u32_e32 v0, s12, v92
	ds_read2st64_b64 v[110:113], v0 offset1:1
	ds_read2st64_b64 v[0:3], v0 offset0:2 offset1:3
	s_waitcnt lgkmcnt(5)
	v_max_f32_e32 v77, v94, v94
	v_max_f32_e32 v96, v96, v96
	;; [unrolled: 1-line block ×3, first 2 shown]
	s_waitcnt lgkmcnt(1)
	v_max_f32_e32 v74, v110, v110
	v_max_f32_e32 v93, v111, v111
	;; [unrolled: 1-line block ×3, first 2 shown]
	v_min_f32_e32 v94, v77, v74
	v_min_f32_e32 v95, v110, v93
	v_pk_add_f32 v[66:67], v[94:95], v[66:67]
	v_min_f32_e32 v94, v96, v74
	v_min_f32_e32 v95, v97, v93
	v_max_f32_e32 v98, v98, v98
	v_max_f32_e32 v99, v99, v99
	v_pk_add_f32 v[64:65], v[94:95], v[64:65]
	v_min_f32_e32 v94, v98, v74
	v_min_f32_e32 v95, v99, v93
	v_max_f32_e32 v100, v100, v100
	v_max_f32_e32 v101, v101, v101
	;; [unrolled: 5-line block ×5, first 2 shown]
	v_pk_add_f32 v[56:57], v[94:95], v[56:57]
	v_min_f32_e32 v94, v106, v74
	v_min_f32_e32 v95, v107, v93
	v_max_f32_e32 v108, v108, v108
	v_pk_add_f32 v[54:55], v[94:95], v[54:55]
	v_min_f32_e32 v94, v108, v74
	v_max_f32_e32 v74, v109, v109
	v_min_f32_e32 v95, v74, v93
	v_max_f32_e32 v93, v112, v112
	v_max_f32_e32 v109, v113, v113
	v_pk_add_f32 v[52:53], v[94:95], v[52:53]
	v_min_f32_e32 v94, v77, v93
	v_min_f32_e32 v95, v110, v109
	v_pk_add_f32 v[50:51], v[94:95], v[50:51]
	v_min_f32_e32 v94, v96, v93
	v_min_f32_e32 v95, v97, v109
	v_pk_add_f32 v[48:49], v[94:95], v[48:49]
	v_min_f32_e32 v94, v98, v93
	v_min_f32_e32 v95, v99, v109
	v_pk_add_f32 v[46:47], v[94:95], v[46:47]
	v_min_f32_e32 v94, v100, v93
	v_min_f32_e32 v95, v101, v109
	v_pk_add_f32 v[44:45], v[94:95], v[44:45]
	v_min_f32_e32 v94, v102, v93
	v_min_f32_e32 v95, v103, v109
	v_pk_add_f32 v[42:43], v[94:95], v[42:43]
	v_min_f32_e32 v94, v104, v93
	v_min_f32_e32 v95, v105, v109
	v_pk_add_f32 v[40:41], v[94:95], v[40:41]
	v_min_f32_e32 v94, v106, v93
	v_min_f32_e32 v95, v107, v109
	v_pk_add_f32 v[38:39], v[94:95], v[38:39]
	v_min_f32_e32 v94, v108, v93
	v_min_f32_e32 v95, v74, v109
	v_pk_add_f32 v[36:37], v[94:95], v[36:37]
	s_waitcnt lgkmcnt(0)
	v_max_f32_e32 v93, v0, v0
	v_max_f32_e32 v94, v1, v1
	v_min_f32_e32 v0, v77, v93
	v_min_f32_e32 v1, v110, v94
	v_pk_add_f32 v[34:35], v[0:1], v[34:35]
	v_min_f32_e32 v0, v96, v93
	v_min_f32_e32 v1, v97, v94
	v_pk_add_f32 v[32:33], v[0:1], v[32:33]
	;; [unrolled: 3-line block ×7, first 2 shown]
	v_min_f32_e32 v0, v108, v93
	v_min_f32_e32 v1, v74, v94
	v_max_f32_e32 v2, v2, v2
	v_max_f32_e32 v3, v3, v3
	v_pk_add_f32 v[20:21], v[0:1], v[20:21]
	v_min_f32_e32 v0, v77, v2
	v_min_f32_e32 v1, v110, v3
	v_pk_add_f32 v[18:19], v[0:1], v[18:19]
	v_min_f32_e32 v0, v96, v2
	v_min_f32_e32 v1, v97, v3
	;; [unrolled: 3-line block ×8, first 2 shown]
	v_pk_add_f32 v[4:5], v[0:1], v[4:5]
	s_mov_b64 s[12:13], 0
	s_mov_b32 s25, 2
	s_cbranch_vccz .LBB27_20
; %bb.21:                               ;   in Loop: Header=BB27_15 Depth=1
	s_mov_b64 s[12:13], -1
	s_mov_b64 vcc, s[4:5]
	ds_write_b32 v87, v78
	ds_write2st64_b32 v85, v76, v79 offset1:4
	s_waitcnt lgkmcnt(0)
	s_barrier
                                        ; implicit-def: $vgpr76_vgpr77
	s_cbranch_vccz .LBB27_23
; %bb.22:                               ;   in Loop: Header=BB27_15 Depth=1
	v_mov_b32_e32 v76, v75
	s_mov_b64 s[12:13], 0
.LBB27_23:                              ;   in Loop: Header=BB27_15 Depth=1
	v_mov_b32_e32 v78, 0
	s_andn2_b64 vcc, exec, s[12:13]
	v_mov_b32_e32 v79, 0
	s_cbranch_vccnz .LBB27_25
; %bb.24:                               ;   in Loop: Header=BB27_15 Depth=1
	v_add_u32_e32 v3, s20, v84
	v_mad_u64_u32 v[0:1], s[12:13], v3, s24, 0
	v_mov_b32_e32 v2, v1
	v_mad_u64_u32 v[2:3], s[12:13], v3, s22, v[2:3]
	v_or_b32_e32 v74, s20, v82
	v_mov_b32_e32 v1, v2
	v_lshl_add_u64 v[2:3], v[74:75], 2, s[18:19]
	v_lshl_add_u64 v[0:1], v[0:1], 2, v[68:69]
	;; [unrolled: 1-line block ×3, first 2 shown]
	flat_load_dword v0, v[0:1]
	v_lshl_add_u64 v[2:3], v[72:73], 2, v[2:3]
	flat_load_dword v74, v[76:77] offset:16
	flat_load_dword v1, v[2:3] offset:16
	s_waitcnt vmcnt(0) lgkmcnt(0)
	v_mul_f32_e32 v76, s16, v74
	v_pk_mul_f32 v[78:79], s[16:17], v[0:1]
.LBB27_25:                              ;   in Loop: Header=BB27_15 Depth=1
	s_mov_b32 s25, 0
	s_mov_b64 s[12:13], -1
.LBB27_26:                              ;   Parent Loop BB27_15 Depth=1
                                        ; =>  This Inner Loop Header: Depth=2
	v_cndmask_b32_e64 v0, 0, 1, s[12:13]
	s_lshl_b32 s12, s25, 2
	v_cmp_ne_u32_e32 vcc, 1, v0
	v_add_u32_e32 v0, s12, v86
	ds_read2_b64 v[94:97], v0 offset1:16
	ds_read2_b64 v[98:101], v0 offset0:32 offset1:48
	ds_read2_b64 v[102:105], v0 offset0:64 offset1:80
	;; [unrolled: 1-line block ×3, first 2 shown]
	v_add_u32_e32 v0, s12, v88
	ds_read2st64_b64 v[110:113], v0 offset1:1
	ds_read2st64_b64 v[0:3], v0 offset0:2 offset1:3
	s_waitcnt lgkmcnt(5)
	v_max_f32_e32 v77, v94, v94
	v_max_f32_e32 v96, v96, v96
	;; [unrolled: 1-line block ×3, first 2 shown]
	s_waitcnt lgkmcnt(1)
	v_max_f32_e32 v74, v110, v110
	v_max_f32_e32 v93, v111, v111
	;; [unrolled: 1-line block ×3, first 2 shown]
	v_min_f32_e32 v94, v77, v74
	v_min_f32_e32 v95, v110, v93
	v_pk_add_f32 v[66:67], v[94:95], v[66:67]
	v_min_f32_e32 v94, v96, v74
	v_min_f32_e32 v95, v97, v93
	v_max_f32_e32 v98, v98, v98
	v_max_f32_e32 v99, v99, v99
	v_pk_add_f32 v[64:65], v[94:95], v[64:65]
	v_min_f32_e32 v94, v98, v74
	v_min_f32_e32 v95, v99, v93
	v_max_f32_e32 v100, v100, v100
	v_max_f32_e32 v101, v101, v101
	;; [unrolled: 5-line block ×5, first 2 shown]
	v_pk_add_f32 v[56:57], v[94:95], v[56:57]
	v_min_f32_e32 v94, v106, v74
	v_min_f32_e32 v95, v107, v93
	v_max_f32_e32 v108, v108, v108
	v_pk_add_f32 v[54:55], v[94:95], v[54:55]
	v_min_f32_e32 v94, v108, v74
	v_max_f32_e32 v74, v109, v109
	v_min_f32_e32 v95, v74, v93
	v_max_f32_e32 v93, v112, v112
	v_max_f32_e32 v109, v113, v113
	v_pk_add_f32 v[52:53], v[94:95], v[52:53]
	v_min_f32_e32 v94, v77, v93
	v_min_f32_e32 v95, v110, v109
	v_pk_add_f32 v[50:51], v[94:95], v[50:51]
	v_min_f32_e32 v94, v96, v93
	v_min_f32_e32 v95, v97, v109
	;; [unrolled: 3-line block ×8, first 2 shown]
	v_pk_add_f32 v[36:37], v[94:95], v[36:37]
	s_waitcnt lgkmcnt(0)
	v_max_f32_e32 v93, v0, v0
	v_max_f32_e32 v94, v1, v1
	v_min_f32_e32 v0, v77, v93
	v_min_f32_e32 v1, v110, v94
	v_pk_add_f32 v[34:35], v[0:1], v[34:35]
	v_min_f32_e32 v0, v96, v93
	v_min_f32_e32 v1, v97, v94
	v_pk_add_f32 v[32:33], v[0:1], v[32:33]
	;; [unrolled: 3-line block ×7, first 2 shown]
	v_min_f32_e32 v0, v108, v93
	v_min_f32_e32 v1, v74, v94
	v_max_f32_e32 v2, v2, v2
	v_max_f32_e32 v3, v3, v3
	v_pk_add_f32 v[20:21], v[0:1], v[20:21]
	v_min_f32_e32 v0, v77, v2
	v_min_f32_e32 v1, v110, v3
	v_pk_add_f32 v[18:19], v[0:1], v[18:19]
	v_min_f32_e32 v0, v96, v2
	v_min_f32_e32 v1, v97, v3
	;; [unrolled: 3-line block ×8, first 2 shown]
	v_pk_add_f32 v[4:5], v[0:1], v[4:5]
	s_mov_b64 s[12:13], 0
	s_mov_b32 s25, 2
	s_cbranch_vccz .LBB27_26
; %bb.27:                               ;   in Loop: Header=BB27_15 Depth=1
	s_add_i32 s20, s20, 8
	s_add_i32 s21, s21, 8
	s_cmp_ge_i32 s21, s23
	ds_write_b32 v89, v78
	ds_write2st64_b32 v90, v76, v79 offset1:4
	s_waitcnt lgkmcnt(0)
	s_barrier
	s_cbranch_scc0 .LBB27_15
.LBB27_28:
	v_mov_b32_e32 v0, 0x1400
	v_lshl_add_u32 v68, v80, 4, v0
	v_mov_b32_e32 v0, 0x800
	v_lshl_add_u32 v69, v81, 4, v0
	s_mov_b32 s12, 0
	s_mov_b64 s[4:5], -1
.LBB27_29:                              ; =>This Inner Loop Header: Depth=1
	v_cndmask_b32_e64 v0, 0, 1, s[4:5]
	s_lshl_b32 s4, s12, 2
	v_cmp_ne_u32_e32 vcc, 1, v0
	v_add_u32_e32 v0, s4, v68
	ds_read2_b64 v[70:73], v0 offset1:16
	ds_read2_b64 v[74:77], v0 offset0:32 offset1:48
	ds_read2_b64 v[82:85], v0 offset0:64 offset1:80
	;; [unrolled: 1-line block ×3, first 2 shown]
	v_add_u32_e32 v0, s4, v69
	ds_read2st64_b64 v[90:93], v0 offset1:1
	ds_read2st64_b64 v[0:3], v0 offset0:2 offset1:3
	s_waitcnt lgkmcnt(5)
	v_max_f32_e32 v79, v70, v70
	v_max_f32_e32 v72, v72, v72
	;; [unrolled: 1-line block ×3, first 2 shown]
	s_waitcnt lgkmcnt(1)
	v_max_f32_e32 v78, v90, v90
	v_max_f32_e32 v90, v91, v91
	;; [unrolled: 1-line block ×3, first 2 shown]
	v_min_f32_e32 v70, v79, v78
	v_min_f32_e32 v71, v91, v90
	v_pk_add_f32 v[66:67], v[70:71], v[66:67]
	v_min_f32_e32 v70, v72, v78
	v_min_f32_e32 v71, v73, v90
	v_max_f32_e32 v74, v74, v74
	v_max_f32_e32 v75, v75, v75
	v_pk_add_f32 v[64:65], v[70:71], v[64:65]
	v_min_f32_e32 v70, v74, v78
	v_min_f32_e32 v71, v75, v90
	v_max_f32_e32 v76, v76, v76
	v_max_f32_e32 v77, v77, v77
	;; [unrolled: 5-line block ×5, first 2 shown]
	v_pk_add_f32 v[56:57], v[70:71], v[56:57]
	v_min_f32_e32 v70, v86, v78
	v_min_f32_e32 v71, v87, v90
	v_max_f32_e32 v88, v88, v88
	v_pk_add_f32 v[54:55], v[70:71], v[54:55]
	v_min_f32_e32 v70, v88, v78
	v_max_f32_e32 v78, v89, v89
	v_min_f32_e32 v71, v78, v90
	v_max_f32_e32 v89, v92, v92
	v_max_f32_e32 v90, v93, v93
	v_pk_add_f32 v[52:53], v[70:71], v[52:53]
	v_min_f32_e32 v70, v79, v89
	v_min_f32_e32 v71, v91, v90
	v_pk_add_f32 v[50:51], v[70:71], v[50:51]
	v_min_f32_e32 v70, v72, v89
	v_min_f32_e32 v71, v73, v90
	;; [unrolled: 3-line block ×8, first 2 shown]
	v_pk_add_f32 v[36:37], v[70:71], v[36:37]
	s_waitcnt lgkmcnt(0)
	v_max_f32_e32 v70, v0, v0
	v_max_f32_e32 v71, v1, v1
	v_min_f32_e32 v0, v79, v70
	v_min_f32_e32 v1, v91, v71
	v_pk_add_f32 v[34:35], v[0:1], v[34:35]
	v_min_f32_e32 v0, v72, v70
	v_min_f32_e32 v1, v73, v71
	v_pk_add_f32 v[32:33], v[0:1], v[32:33]
	;; [unrolled: 3-line block ×7, first 2 shown]
	v_min_f32_e32 v0, v88, v70
	v_min_f32_e32 v1, v78, v71
	v_max_f32_e32 v2, v2, v2
	v_max_f32_e32 v3, v3, v3
	v_pk_add_f32 v[20:21], v[0:1], v[20:21]
	v_min_f32_e32 v0, v79, v2
	v_min_f32_e32 v1, v91, v3
	v_pk_add_f32 v[18:19], v[0:1], v[18:19]
	v_min_f32_e32 v0, v72, v2
	v_min_f32_e32 v1, v73, v3
	;; [unrolled: 3-line block ×8, first 2 shown]
	v_pk_add_f32 v[4:5], v[0:1], v[4:5]
	s_mov_b64 s[4:5], 0
	s_mov_b32 s12, 2
	s_cbranch_vccz .LBB27_29
; %bb.30:
	s_load_dword s12, s[0:1], 0x58
	v_add_u32_e32 v72, s15, v81
	v_add_u32_e32 v0, s14, v80
	v_ashrrev_i32_e32 v1, 31, v0
	v_mov_b32_e32 v73, 0
	s_waitcnt lgkmcnt(0)
	v_mad_i64_i32 v[2:3], s[4:5], v72, s12, 0
	v_lshl_add_u64 v[68:69], v[2:3], 2, s[10:11]
	v_cndmask_b32_e64 v2, 0, 1, s[6:7]
	v_cmp_ne_u32_e64 s[4:5], 1, v2
	s_andn2_b64 vcc, exec, s[6:7]
	v_mov_b32_e32 v74, 0
	s_cbranch_vccnz .LBB27_32
; %bb.31:
	v_lshl_add_u64 v[2:3], v[0:1], 2, v[68:69]
	flat_load_dword v2, v[2:3]
	s_waitcnt vmcnt(0) lgkmcnt(0)
	v_mul_f32_e32 v74, s28, v2
.LBB27_32:
	s_load_dwordx2 s[14:15], s[0:1], 0x78
	s_load_dword s6, s[0:1], 0x70
	v_add_u32_e32 v2, 8, v0
	v_add_f32_e32 v66, v66, v67
	v_ashrrev_i32_e32 v3, 31, v2
	s_waitcnt lgkmcnt(0)
	s_lshl_b64 s[0:1], s[14:15], 2
	s_add_u32 s0, s2, s0
	s_addc_u32 s1, s3, s1
	v_mad_i64_i32 v[70:71], s[2:3], v72, s6, 0
	v_lshl_add_u64 v[70:71], v[70:71], 2, s[0:1]
	v_add_f32_e32 v74, v66, v74
	v_lshl_add_u64 v[66:67], v[0:1], 2, v[70:71]
	s_and_b64 vcc, exec, s[4:5]
	flat_store_dword v[66:67], v74
	s_cbranch_vccnz .LBB27_34
; %bb.33:
	v_lshl_add_u64 v[66:67], v[2:3], 2, v[68:69]
	flat_load_dword v66, v[66:67]
	s_waitcnt vmcnt(0) lgkmcnt(0)
	v_mul_f32_e32 v73, s28, v66
.LBB27_34:
	v_add_f32_e32 v66, v64, v65
	v_add_u32_e32 v64, 16, v0
	v_add_f32_e32 v73, v66, v73
	v_lshl_add_u64 v[66:67], v[2:3], 2, v[70:71]
	v_ashrrev_i32_e32 v65, 31, v64
	flat_store_dword v[66:67], v73
	v_mov_b32_e32 v66, 0
	s_and_b64 vcc, exec, s[4:5]
	v_mov_b32_e32 v67, 0
	s_cbranch_vccnz .LBB27_36
; %bb.35:
	v_lshl_add_u64 v[74:75], v[64:65], 2, v[68:69]
	flat_load_dword v67, v[74:75]
	s_waitcnt vmcnt(0) lgkmcnt(0)
	v_mul_f32_e32 v67, s28, v67
.LBB27_36:
	v_add_f32_e32 v73, v62, v63
	v_add_u32_e32 v62, 24, v0
	v_ashrrev_i32_e32 v63, 31, v62
	v_add_f32_e32 v67, v73, v67
	v_lshl_add_u64 v[74:75], v[64:65], 2, v[70:71]
	s_and_b64 vcc, exec, s[4:5]
	flat_store_dword v[74:75], v67
	s_cbranch_vccnz .LBB27_38
; %bb.37:
	v_lshl_add_u64 v[66:67], v[62:63], 2, v[68:69]
	flat_load_dword v66, v[66:67]
	s_waitcnt vmcnt(0) lgkmcnt(0)
	v_mul_f32_e32 v66, s28, v66
.LBB27_38:
	v_add_f32_e32 v67, v60, v61
	v_add_u32_e32 v60, 32, v0
	v_add_f32_e32 v73, v67, v66
	v_lshl_add_u64 v[66:67], v[62:63], 2, v[70:71]
	v_ashrrev_i32_e32 v61, 31, v60
	flat_store_dword v[66:67], v73
	v_mov_b32_e32 v66, 0
	s_and_b64 vcc, exec, s[4:5]
	v_mov_b32_e32 v67, 0
	s_cbranch_vccnz .LBB27_40
; %bb.39:
	v_lshl_add_u64 v[74:75], v[60:61], 2, v[68:69]
	flat_load_dword v67, v[74:75]
	s_waitcnt vmcnt(0) lgkmcnt(0)
	v_mul_f32_e32 v67, s28, v67
.LBB27_40:
	v_add_f32_e32 v73, v58, v59
	v_add_u32_e32 v58, 40, v0
	v_ashrrev_i32_e32 v59, 31, v58
	;; [unrolled: 30-line block ×3, first 2 shown]
	v_add_f32_e32 v67, v73, v67
	v_lshl_add_u64 v[74:75], v[56:57], 2, v[70:71]
	s_and_b64 vcc, exec, s[4:5]
	flat_store_dword v[74:75], v67
	s_cbranch_vccnz .LBB27_46
; %bb.45:
	v_lshl_add_u64 v[66:67], v[54:55], 2, v[68:69]
	flat_load_dword v66, v[66:67]
	s_waitcnt vmcnt(0) lgkmcnt(0)
	v_mul_f32_e32 v66, s28, v66
.LBB27_46:
	v_add_f32_e32 v52, v52, v53
	v_add_f32_e32 v66, v52, v66
	v_lshl_add_u64 v[52:53], v[54:55], 2, v[70:71]
	flat_store_dword v[52:53], v66
	v_add_u32_e32 v66, 32, v72
	v_mad_i64_i32 v[52:53], s[2:3], v66, s12, 0
	v_lshl_add_u64 v[52:53], v[52:53], 2, s[10:11]
	v_mov_b32_e32 v68, 0
	s_and_b64 vcc, exec, s[4:5]
	v_mov_b32_e32 v69, 0
	s_cbranch_vccnz .LBB27_48
; %bb.47:
	v_lshl_add_u64 v[70:71], v[0:1], 2, v[52:53]
	flat_load_dword v67, v[70:71]
	s_waitcnt vmcnt(0) lgkmcnt(0)
	v_mul_f32_e32 v69, s28, v67
.LBB27_48:
	v_mad_i64_i32 v[66:67], s[2:3], v66, s6, 0
	v_lshl_add_u64 v[66:67], v[66:67], 2, s[0:1]
	v_add_f32_e32 v50, v50, v51
	v_add_f32_e32 v69, v50, v69
	v_lshl_add_u64 v[50:51], v[0:1], 2, v[66:67]
	s_and_b64 vcc, exec, s[4:5]
	flat_store_dword v[50:51], v69
	s_cbranch_vccnz .LBB27_50
; %bb.49:
	v_lshl_add_u64 v[50:51], v[2:3], 2, v[52:53]
	flat_load_dword v50, v[50:51]
	s_waitcnt vmcnt(0) lgkmcnt(0)
	v_mul_f32_e32 v68, s28, v50
.LBB27_50:
	v_add_f32_e32 v48, v48, v49
	v_add_f32_e32 v50, v48, v68
	v_lshl_add_u64 v[48:49], v[2:3], 2, v[66:67]
	flat_store_dword v[48:49], v50
	v_mov_b32_e32 v48, 0
	s_and_b64 vcc, exec, s[4:5]
	v_mov_b32_e32 v49, 0
	s_cbranch_vccnz .LBB27_52
; %bb.51:
	v_lshl_add_u64 v[50:51], v[64:65], 2, v[52:53]
	flat_load_dword v49, v[50:51]
	s_waitcnt vmcnt(0) lgkmcnt(0)
	v_mul_f32_e32 v49, s28, v49
.LBB27_52:
	v_add_f32_e32 v46, v46, v47
	v_add_f32_e32 v49, v46, v49
	v_lshl_add_u64 v[46:47], v[64:65], 2, v[66:67]
	s_and_b64 vcc, exec, s[4:5]
	flat_store_dword v[46:47], v49
	s_cbranch_vccnz .LBB27_54
; %bb.53:
	v_lshl_add_u64 v[46:47], v[62:63], 2, v[52:53]
	flat_load_dword v46, v[46:47]
	s_waitcnt vmcnt(0) lgkmcnt(0)
	v_mul_f32_e32 v48, s28, v46
.LBB27_54:
	v_add_f32_e32 v44, v44, v45
	v_add_f32_e32 v46, v44, v48
	v_lshl_add_u64 v[44:45], v[62:63], 2, v[66:67]
	flat_store_dword v[44:45], v46
	v_mov_b32_e32 v44, 0
	s_and_b64 vcc, exec, s[4:5]
	v_mov_b32_e32 v45, 0
	s_cbranch_vccnz .LBB27_56
; %bb.55:
	v_lshl_add_u64 v[46:47], v[60:61], 2, v[52:53]
	flat_load_dword v45, v[46:47]
	s_waitcnt vmcnt(0) lgkmcnt(0)
	v_mul_f32_e32 v45, s28, v45
.LBB27_56:
	;; [unrolled: 26-line block ×3, first 2 shown]
	v_add_f32_e32 v38, v38, v39
	v_add_f32_e32 v41, v38, v41
	v_lshl_add_u64 v[38:39], v[56:57], 2, v[66:67]
	s_and_b64 vcc, exec, s[4:5]
	flat_store_dword v[38:39], v41
	s_cbranch_vccnz .LBB27_62
; %bb.61:
	v_lshl_add_u64 v[38:39], v[54:55], 2, v[52:53]
	flat_load_dword v38, v[38:39]
	s_waitcnt vmcnt(0) lgkmcnt(0)
	v_mul_f32_e32 v40, s28, v38
.LBB27_62:
	v_add_f32_e32 v36, v36, v37
	v_add_f32_e32 v38, v36, v40
	v_lshl_add_u64 v[36:37], v[54:55], 2, v[66:67]
	flat_store_dword v[36:37], v38
	v_add_u32_e32 v38, 64, v72
	v_mad_i64_i32 v[36:37], s[2:3], v38, s12, 0
	v_lshl_add_u64 v[36:37], v[36:37], 2, s[10:11]
	v_mov_b32_e32 v40, 0
	s_and_b64 vcc, exec, s[4:5]
	v_mov_b32_e32 v41, 0
	s_cbranch_vccnz .LBB27_64
; %bb.63:
	v_lshl_add_u64 v[42:43], v[0:1], 2, v[36:37]
	flat_load_dword v39, v[42:43]
	s_waitcnt vmcnt(0) lgkmcnt(0)
	v_mul_f32_e32 v41, s28, v39
.LBB27_64:
	v_mad_i64_i32 v[38:39], s[2:3], v38, s6, 0
	v_lshl_add_u64 v[38:39], v[38:39], 2, s[0:1]
	v_add_f32_e32 v34, v34, v35
	v_add_f32_e32 v41, v34, v41
	v_lshl_add_u64 v[34:35], v[0:1], 2, v[38:39]
	s_and_b64 vcc, exec, s[4:5]
	flat_store_dword v[34:35], v41
	s_cbranch_vccnz .LBB27_66
; %bb.65:
	v_lshl_add_u64 v[34:35], v[2:3], 2, v[36:37]
	flat_load_dword v34, v[34:35]
	s_waitcnt vmcnt(0) lgkmcnt(0)
	v_mul_f32_e32 v40, s28, v34
.LBB27_66:
	v_add_f32_e32 v32, v32, v33
	v_add_f32_e32 v34, v32, v40
	v_lshl_add_u64 v[32:33], v[2:3], 2, v[38:39]
	flat_store_dword v[32:33], v34
	v_mov_b32_e32 v32, 0
	s_and_b64 vcc, exec, s[4:5]
	v_mov_b32_e32 v33, 0
	s_cbranch_vccnz .LBB27_68
; %bb.67:
	v_lshl_add_u64 v[34:35], v[64:65], 2, v[36:37]
	flat_load_dword v33, v[34:35]
	s_waitcnt vmcnt(0) lgkmcnt(0)
	v_mul_f32_e32 v33, s28, v33
.LBB27_68:
	v_add_f32_e32 v30, v30, v31
	v_add_f32_e32 v33, v30, v33
	v_lshl_add_u64 v[30:31], v[64:65], 2, v[38:39]
	s_and_b64 vcc, exec, s[4:5]
	flat_store_dword v[30:31], v33
	s_cbranch_vccnz .LBB27_70
; %bb.69:
	v_lshl_add_u64 v[30:31], v[62:63], 2, v[36:37]
	flat_load_dword v30, v[30:31]
	s_waitcnt vmcnt(0) lgkmcnt(0)
	v_mul_f32_e32 v32, s28, v30
.LBB27_70:
	v_add_f32_e32 v28, v28, v29
	v_add_f32_e32 v30, v28, v32
	v_lshl_add_u64 v[28:29], v[62:63], 2, v[38:39]
	flat_store_dword v[28:29], v30
	v_mov_b32_e32 v28, 0
	s_and_b64 vcc, exec, s[4:5]
	v_mov_b32_e32 v29, 0
	s_cbranch_vccnz .LBB27_72
; %bb.71:
	v_lshl_add_u64 v[30:31], v[60:61], 2, v[36:37]
	flat_load_dword v29, v[30:31]
	s_waitcnt vmcnt(0) lgkmcnt(0)
	v_mul_f32_e32 v29, s28, v29
.LBB27_72:
	;; [unrolled: 26-line block ×3, first 2 shown]
	v_add_f32_e32 v22, v22, v23
	v_add_f32_e32 v25, v22, v25
	v_lshl_add_u64 v[22:23], v[56:57], 2, v[38:39]
	s_and_b64 vcc, exec, s[4:5]
	flat_store_dword v[22:23], v25
	s_cbranch_vccnz .LBB27_78
; %bb.77:
	v_lshl_add_u64 v[22:23], v[54:55], 2, v[36:37]
	flat_load_dword v22, v[22:23]
	s_waitcnt vmcnt(0) lgkmcnt(0)
	v_mul_f32_e32 v24, s28, v22
.LBB27_78:
	v_add_f32_e32 v20, v20, v21
	v_add_f32_e32 v22, v20, v24
	v_lshl_add_u64 v[20:21], v[54:55], 2, v[38:39]
	flat_store_dword v[20:21], v22
	v_add_u32_e32 v22, 0x60, v72
	v_mad_i64_i32 v[20:21], s[2:3], v22, s12, 0
	v_lshl_add_u64 v[20:21], v[20:21], 2, s[10:11]
	v_mov_b32_e32 v24, 0
	s_and_b64 vcc, exec, s[4:5]
	v_mov_b32_e32 v25, 0
	s_cbranch_vccnz .LBB27_80
; %bb.79:
	v_lshl_add_u64 v[26:27], v[0:1], 2, v[20:21]
	flat_load_dword v23, v[26:27]
	s_waitcnt vmcnt(0) lgkmcnt(0)
	v_mul_f32_e32 v25, s28, v23
.LBB27_80:
	v_mad_i64_i32 v[22:23], s[2:3], v22, s6, 0
	v_lshl_add_u64 v[22:23], v[22:23], 2, s[0:1]
	v_add_f32_e32 v18, v18, v19
	v_add_f32_e32 v18, v18, v25
	v_lshl_add_u64 v[0:1], v[0:1], 2, v[22:23]
	s_and_b64 vcc, exec, s[4:5]
	flat_store_dword v[0:1], v18
	s_cbranch_vccnz .LBB27_82
; %bb.81:
	v_lshl_add_u64 v[0:1], v[2:3], 2, v[20:21]
	flat_load_dword v0, v[0:1]
	s_waitcnt vmcnt(0) lgkmcnt(0)
	v_mul_f32_e32 v24, s28, v0
.LBB27_82:
	v_add_f32_e32 v0, v16, v17
	v_add_f32_e32 v16, v0, v24
	v_lshl_add_u64 v[0:1], v[2:3], 2, v[22:23]
	flat_store_dword v[0:1], v16
	v_mov_b32_e32 v0, 0
	s_and_b64 vcc, exec, s[4:5]
	v_mov_b32_e32 v1, 0
	s_cbranch_vccnz .LBB27_84
; %bb.83:
	v_lshl_add_u64 v[2:3], v[64:65], 2, v[20:21]
	flat_load_dword v1, v[2:3]
	s_waitcnt vmcnt(0) lgkmcnt(0)
	v_mul_f32_e32 v1, s28, v1
.LBB27_84:
	v_add_f32_e32 v2, v14, v15
	v_add_f32_e32 v1, v2, v1
	v_lshl_add_u64 v[2:3], v[64:65], 2, v[22:23]
	s_and_b64 vcc, exec, s[4:5]
	flat_store_dword v[2:3], v1
	s_cbranch_vccnz .LBB27_86
; %bb.85:
	v_lshl_add_u64 v[0:1], v[62:63], 2, v[20:21]
	flat_load_dword v0, v[0:1]
	s_waitcnt vmcnt(0) lgkmcnt(0)
	v_mul_f32_e32 v0, s28, v0
.LBB27_86:
	v_add_f32_e32 v1, v12, v13
	v_add_f32_e32 v2, v1, v0
	v_lshl_add_u64 v[0:1], v[62:63], 2, v[22:23]
	flat_store_dword v[0:1], v2
	v_mov_b32_e32 v0, 0
	s_and_b64 vcc, exec, s[4:5]
	v_mov_b32_e32 v1, 0
	s_cbranch_vccnz .LBB27_88
; %bb.87:
	v_lshl_add_u64 v[2:3], v[60:61], 2, v[20:21]
	flat_load_dword v1, v[2:3]
	s_waitcnt vmcnt(0) lgkmcnt(0)
	v_mul_f32_e32 v1, s28, v1
.LBB27_88:
	v_add_f32_e32 v2, v10, v11
	v_add_f32_e32 v1, v2, v1
	v_lshl_add_u64 v[2:3], v[60:61], 2, v[22:23]
	s_and_b64 vcc, exec, s[4:5]
	flat_store_dword v[2:3], v1
	s_cbranch_vccnz .LBB27_90
; %bb.89:
	v_lshl_add_u64 v[0:1], v[58:59], 2, v[20:21]
	flat_load_dword v0, v[0:1]
	s_waitcnt vmcnt(0) lgkmcnt(0)
	v_mul_f32_e32 v0, s28, v0
.LBB27_90:
	v_add_f32_e32 v1, v8, v9
	v_add_f32_e32 v2, v1, v0
	v_lshl_add_u64 v[0:1], v[58:59], 2, v[22:23]
	flat_store_dword v[0:1], v2
	v_add_f32_e32 v0, v6, v7
	s_mov_b64 s[0:1], -1
	s_mov_b64 vcc, s[8:9]
	s_cbranch_vccz .LBB27_92
; %bb.91:
	v_add_f32_e32 v1, 0, v0
	v_lshl_add_u64 v[2:3], v[56:57], 2, v[22:23]
	flat_store_dword v[2:3], v1
	s_mov_b64 s[0:1], 0
.LBB27_92:
	s_andn2_b64 vcc, exec, s[0:1]
	v_mov_b32_e32 v1, 0
	s_cbranch_vccnz .LBB27_94
; %bb.93:
	v_lshlrev_b64 v[2:3], 2, v[56:57]
	v_lshl_add_u64 v[6:7], v[20:21], 0, v[2:3]
	flat_load_dword v1, v[6:7]
	v_lshl_add_u64 v[2:3], v[22:23], 0, v[2:3]
	s_waitcnt vmcnt(0) lgkmcnt(0)
	v_fmac_f32_e32 v0, s28, v1
	flat_store_dword v[2:3], v0
	v_lshl_add_u64 v[0:1], v[54:55], 2, v[20:21]
	flat_load_dword v0, v[0:1]
	s_waitcnt vmcnt(0) lgkmcnt(0)
	v_mul_f32_e32 v1, s28, v0
.LBB27_94:
	v_add_f32_e32 v0, v4, v5
	v_add_f32_e32 v2, v0, v1
	v_lshl_add_u64 v[0:1], v[54:55], 2, v[22:23]
	flat_store_dword v[0:1], v2
	s_endpgm
	.section	.rodata,"a",@progbits
	.p2align	6, 0x0
	.amdhsa_kernel _ZN12_GLOBAL__N_120geam_min_plus_kernelIf15HIP_vector_typeIfLj2EES2_Li8ELi32ELi64ELi128ELi4ELi64ELi4ELi4ELi64ELc78ELc78ELb0ELb0ELb0EPKfKS4_KPfEEviiiT16_PT17_ilSA_ilS8_SA_ilPT18_ili26rocblas_geam_ex_operation_
		.amdhsa_group_segment_fixed_size 6144
		.amdhsa_private_segment_fixed_size 0
		.amdhsa_kernarg_size 136
		.amdhsa_user_sgpr_count 2
		.amdhsa_user_sgpr_dispatch_ptr 0
		.amdhsa_user_sgpr_queue_ptr 0
		.amdhsa_user_sgpr_kernarg_segment_ptr 1
		.amdhsa_user_sgpr_dispatch_id 0
		.amdhsa_user_sgpr_kernarg_preload_length 0
		.amdhsa_user_sgpr_kernarg_preload_offset 0
		.amdhsa_user_sgpr_private_segment_size 0
		.amdhsa_uses_dynamic_stack 0
		.amdhsa_enable_private_segment 0
		.amdhsa_system_sgpr_workgroup_id_x 1
		.amdhsa_system_sgpr_workgroup_id_y 0
		.amdhsa_system_sgpr_workgroup_id_z 1
		.amdhsa_system_sgpr_workgroup_info 0
		.amdhsa_system_vgpr_workitem_id 1
		.amdhsa_next_free_vgpr 114
		.amdhsa_next_free_sgpr 29
		.amdhsa_accum_offset 116
		.amdhsa_reserve_vcc 1
		.amdhsa_float_round_mode_32 0
		.amdhsa_float_round_mode_16_64 0
		.amdhsa_float_denorm_mode_32 3
		.amdhsa_float_denorm_mode_16_64 3
		.amdhsa_dx10_clamp 1
		.amdhsa_ieee_mode 1
		.amdhsa_fp16_overflow 0
		.amdhsa_tg_split 0
		.amdhsa_exception_fp_ieee_invalid_op 0
		.amdhsa_exception_fp_denorm_src 0
		.amdhsa_exception_fp_ieee_div_zero 0
		.amdhsa_exception_fp_ieee_overflow 0
		.amdhsa_exception_fp_ieee_underflow 0
		.amdhsa_exception_fp_ieee_inexact 0
		.amdhsa_exception_int_div_zero 0
	.end_amdhsa_kernel
	.section	.text._ZN12_GLOBAL__N_120geam_min_plus_kernelIf15HIP_vector_typeIfLj2EES2_Li8ELi32ELi64ELi128ELi4ELi64ELi4ELi4ELi64ELc78ELc78ELb0ELb0ELb0EPKfKS4_KPfEEviiiT16_PT17_ilSA_ilS8_SA_ilPT18_ili26rocblas_geam_ex_operation_,"axG",@progbits,_ZN12_GLOBAL__N_120geam_min_plus_kernelIf15HIP_vector_typeIfLj2EES2_Li8ELi32ELi64ELi128ELi4ELi64ELi4ELi4ELi64ELc78ELc78ELb0ELb0ELb0EPKfKS4_KPfEEviiiT16_PT17_ilSA_ilS8_SA_ilPT18_ili26rocblas_geam_ex_operation_,comdat
.Lfunc_end27:
	.size	_ZN12_GLOBAL__N_120geam_min_plus_kernelIf15HIP_vector_typeIfLj2EES2_Li8ELi32ELi64ELi128ELi4ELi64ELi4ELi4ELi64ELc78ELc78ELb0ELb0ELb0EPKfKS4_KPfEEviiiT16_PT17_ilSA_ilS8_SA_ilPT18_ili26rocblas_geam_ex_operation_, .Lfunc_end27-_ZN12_GLOBAL__N_120geam_min_plus_kernelIf15HIP_vector_typeIfLj2EES2_Li8ELi32ELi64ELi128ELi4ELi64ELi4ELi4ELi64ELc78ELc78ELb0ELb0ELb0EPKfKS4_KPfEEviiiT16_PT17_ilSA_ilS8_SA_ilPT18_ili26rocblas_geam_ex_operation_
                                        ; -- End function
	.set _ZN12_GLOBAL__N_120geam_min_plus_kernelIf15HIP_vector_typeIfLj2EES2_Li8ELi32ELi64ELi128ELi4ELi64ELi4ELi4ELi64ELc78ELc78ELb0ELb0ELb0EPKfKS4_KPfEEviiiT16_PT17_ilSA_ilS8_SA_ilPT18_ili26rocblas_geam_ex_operation_.num_vgpr, 114
	.set _ZN12_GLOBAL__N_120geam_min_plus_kernelIf15HIP_vector_typeIfLj2EES2_Li8ELi32ELi64ELi128ELi4ELi64ELi4ELi4ELi64ELc78ELc78ELb0ELb0ELb0EPKfKS4_KPfEEviiiT16_PT17_ilSA_ilS8_SA_ilPT18_ili26rocblas_geam_ex_operation_.num_agpr, 0
	.set _ZN12_GLOBAL__N_120geam_min_plus_kernelIf15HIP_vector_typeIfLj2EES2_Li8ELi32ELi64ELi128ELi4ELi64ELi4ELi4ELi64ELc78ELc78ELb0ELb0ELb0EPKfKS4_KPfEEviiiT16_PT17_ilSA_ilS8_SA_ilPT18_ili26rocblas_geam_ex_operation_.numbered_sgpr, 29
	.set _ZN12_GLOBAL__N_120geam_min_plus_kernelIf15HIP_vector_typeIfLj2EES2_Li8ELi32ELi64ELi128ELi4ELi64ELi4ELi4ELi64ELc78ELc78ELb0ELb0ELb0EPKfKS4_KPfEEviiiT16_PT17_ilSA_ilS8_SA_ilPT18_ili26rocblas_geam_ex_operation_.num_named_barrier, 0
	.set _ZN12_GLOBAL__N_120geam_min_plus_kernelIf15HIP_vector_typeIfLj2EES2_Li8ELi32ELi64ELi128ELi4ELi64ELi4ELi4ELi64ELc78ELc78ELb0ELb0ELb0EPKfKS4_KPfEEviiiT16_PT17_ilSA_ilS8_SA_ilPT18_ili26rocblas_geam_ex_operation_.private_seg_size, 0
	.set _ZN12_GLOBAL__N_120geam_min_plus_kernelIf15HIP_vector_typeIfLj2EES2_Li8ELi32ELi64ELi128ELi4ELi64ELi4ELi4ELi64ELc78ELc78ELb0ELb0ELb0EPKfKS4_KPfEEviiiT16_PT17_ilSA_ilS8_SA_ilPT18_ili26rocblas_geam_ex_operation_.uses_vcc, 1
	.set _ZN12_GLOBAL__N_120geam_min_plus_kernelIf15HIP_vector_typeIfLj2EES2_Li8ELi32ELi64ELi128ELi4ELi64ELi4ELi4ELi64ELc78ELc78ELb0ELb0ELb0EPKfKS4_KPfEEviiiT16_PT17_ilSA_ilS8_SA_ilPT18_ili26rocblas_geam_ex_operation_.uses_flat_scratch, 0
	.set _ZN12_GLOBAL__N_120geam_min_plus_kernelIf15HIP_vector_typeIfLj2EES2_Li8ELi32ELi64ELi128ELi4ELi64ELi4ELi4ELi64ELc78ELc78ELb0ELb0ELb0EPKfKS4_KPfEEviiiT16_PT17_ilSA_ilS8_SA_ilPT18_ili26rocblas_geam_ex_operation_.has_dyn_sized_stack, 0
	.set _ZN12_GLOBAL__N_120geam_min_plus_kernelIf15HIP_vector_typeIfLj2EES2_Li8ELi32ELi64ELi128ELi4ELi64ELi4ELi4ELi64ELc78ELc78ELb0ELb0ELb0EPKfKS4_KPfEEviiiT16_PT17_ilSA_ilS8_SA_ilPT18_ili26rocblas_geam_ex_operation_.has_recursion, 0
	.set _ZN12_GLOBAL__N_120geam_min_plus_kernelIf15HIP_vector_typeIfLj2EES2_Li8ELi32ELi64ELi128ELi4ELi64ELi4ELi4ELi64ELc78ELc78ELb0ELb0ELb0EPKfKS4_KPfEEviiiT16_PT17_ilSA_ilS8_SA_ilPT18_ili26rocblas_geam_ex_operation_.has_indirect_call, 0
	.section	.AMDGPU.csdata,"",@progbits
; Kernel info:
; codeLenInByte = 6716
; TotalNumSgprs: 35
; NumVgprs: 114
; NumAgprs: 0
; TotalNumVgprs: 114
; ScratchSize: 0
; MemoryBound: 0
; FloatMode: 240
; IeeeMode: 1
; LDSByteSize: 6144 bytes/workgroup (compile time only)
; SGPRBlocks: 4
; VGPRBlocks: 14
; NumSGPRsForWavesPerEU: 35
; NumVGPRsForWavesPerEU: 114
; AccumOffset: 116
; Occupancy: 4
; WaveLimiterHint : 1
; COMPUTE_PGM_RSRC2:SCRATCH_EN: 0
; COMPUTE_PGM_RSRC2:USER_SGPR: 2
; COMPUTE_PGM_RSRC2:TRAP_HANDLER: 0
; COMPUTE_PGM_RSRC2:TGID_X_EN: 1
; COMPUTE_PGM_RSRC2:TGID_Y_EN: 0
; COMPUTE_PGM_RSRC2:TGID_Z_EN: 1
; COMPUTE_PGM_RSRC2:TIDIG_COMP_CNT: 1
; COMPUTE_PGM_RSRC3_GFX90A:ACCUM_OFFSET: 28
; COMPUTE_PGM_RSRC3_GFX90A:TG_SPLIT: 0
	.section	.text._ZN12_GLOBAL__N_120geam_min_plus_kernelIf15HIP_vector_typeIfLj2EES2_Li8ELi32ELi64ELi128ELi4ELi64ELi4ELi4ELi64ELc78ELc78ELb1ELb0ELb0EfKPKfKPfEEviiiT16_PT17_ilSA_ilS8_SA_ilPT18_ili26rocblas_geam_ex_operation_,"axG",@progbits,_ZN12_GLOBAL__N_120geam_min_plus_kernelIf15HIP_vector_typeIfLj2EES2_Li8ELi32ELi64ELi128ELi4ELi64ELi4ELi4ELi64ELc78ELc78ELb1ELb0ELb0EfKPKfKPfEEviiiT16_PT17_ilSA_ilS8_SA_ilPT18_ili26rocblas_geam_ex_operation_,comdat
	.globl	_ZN12_GLOBAL__N_120geam_min_plus_kernelIf15HIP_vector_typeIfLj2EES2_Li8ELi32ELi64ELi128ELi4ELi64ELi4ELi4ELi64ELc78ELc78ELb1ELb0ELb0EfKPKfKPfEEviiiT16_PT17_ilSA_ilS8_SA_ilPT18_ili26rocblas_geam_ex_operation_ ; -- Begin function _ZN12_GLOBAL__N_120geam_min_plus_kernelIf15HIP_vector_typeIfLj2EES2_Li8ELi32ELi64ELi128ELi4ELi64ELi4ELi4ELi64ELc78ELc78ELb1ELb0ELb0EfKPKfKPfEEviiiT16_PT17_ilSA_ilS8_SA_ilPT18_ili26rocblas_geam_ex_operation_
	.p2align	8
	.type	_ZN12_GLOBAL__N_120geam_min_plus_kernelIf15HIP_vector_typeIfLj2EES2_Li8ELi32ELi64ELi128ELi4ELi64ELi4ELi4ELi64ELc78ELc78ELb1ELb0ELb0EfKPKfKPfEEviiiT16_PT17_ilSA_ilS8_SA_ilPT18_ili26rocblas_geam_ex_operation_,@function
_ZN12_GLOBAL__N_120geam_min_plus_kernelIf15HIP_vector_typeIfLj2EES2_Li8ELi32ELi64ELi128ELi4ELi64ELi4ELi4ELi64ELc78ELc78ELb1ELb0ELb0EfKPKfKPfEEviiiT16_PT17_ilSA_ilS8_SA_ilPT18_ili26rocblas_geam_ex_operation_: ; @_ZN12_GLOBAL__N_120geam_min_plus_kernelIf15HIP_vector_typeIfLj2EES2_Li8ELi32ELi64ELi128ELi4ELi64ELi4ELi4ELi64ELc78ELc78ELb1ELb0ELb0EfKPKfKPfEEviiiT16_PT17_ilSA_ilS8_SA_ilPT18_ili26rocblas_geam_ex_operation_
; %bb.0:
	s_load_dwordx2 s[14:15], s[0:1], 0x8
	s_load_dwordx4 s[4:7], s[0:1], 0x20
	s_mov_b32 s8, s3
	s_mov_b32 s9, 0
	s_waitcnt lgkmcnt(0)
	v_cmp_eq_f32_e64 s[10:11], s15, 0
	s_and_b64 vcc, exec, s[10:11]
	s_cbranch_vccnz .LBB28_3
; %bb.1:
	s_load_dwordx2 s[12:13], s[0:1], 0x10
	s_lshl_b64 s[16:17], s[8:9], 3
	s_waitcnt lgkmcnt(0)
	s_add_u32 s12, s12, s16
	s_addc_u32 s13, s13, s17
	s_load_dwordx2 s[12:13], s[12:13], 0x0
	s_lshl_b64 s[4:5], s[4:5], 2
	s_waitcnt lgkmcnt(0)
	s_add_u32 s16, s12, s4
	s_addc_u32 s17, s13, s5
	s_andn2_b64 vcc, exec, s[10:11]
	s_cbranch_vccnz .LBB28_4
.LBB28_2:
	s_mov_b32 s19, 0
	s_mov_b32 s18, s8
	s_mov_b64 s[12:13], 0
	s_mov_b64 s[4:5], 0
	s_cbranch_execz .LBB28_5
	s_branch .LBB28_6
.LBB28_3:
	s_mov_b64 s[16:17], 0
	s_andn2_b64 vcc, exec, s[10:11]
	s_cbranch_vccz .LBB28_2
.LBB28_4:
	s_mov_b64 s[18:19], s[8:9]
	s_mov_b64 s[12:13], 0
	;; [unrolled: 1-line block ×3, first 2 shown]
.LBB28_5:
	s_lshl_b64 s[8:9], s[8:9], 3
	s_add_u32 s6, s6, s8
	s_load_dwordx2 s[4:5], s[0:1], 0x38
	s_addc_u32 s7, s7, s9
	s_load_dwordx2 s[6:7], s[6:7], 0x0
	s_waitcnt lgkmcnt(0)
	s_lshl_b64 s[4:5], s[4:5], 2
	s_add_u32 s4, s6, s4
	s_addc_u32 s5, s7, s5
.LBB28_6:
	s_load_dword s15, s[0:1], 0x40
	s_load_dwordx4 s[8:11], s[0:1], 0x58
	s_mov_b32 s22, 0
	s_waitcnt lgkmcnt(0)
	v_cmp_eq_f32_e64 s[6:7], s15, 0
	s_and_b64 s[6:7], exec, s[6:7]
	s_mov_b64 vcc, s[6:7]
	s_cbranch_vccnz .LBB28_8
; %bb.7:
	s_load_dwordx2 s[12:13], s[0:1], 0x48
	s_lshl_b64 s[20:21], s[18:19], 3
	s_waitcnt lgkmcnt(0)
	s_add_u32 s12, s12, s20
	s_addc_u32 s13, s13, s21
	s_load_dwordx2 s[12:13], s[12:13], 0x0
	s_lshl_b64 s[8:9], s[8:9], 2
	s_waitcnt lgkmcnt(0)
	s_add_u32 s12, s12, s8
	s_addc_u32 s13, s13, s9
.LBB28_8:
	s_load_dword s20, s[0:1], 0x18
	s_load_dword s23, s[0:1], 0x30
	;; [unrolled: 1-line block ×3, first 2 shown]
	s_lshl_b64 s[8:9], s[18:19], 3
	v_and_b32_e32 v80, 0x3ff, v0
	s_waitcnt lgkmcnt(0)
	s_ashr_i32 s21, s20, 31
	s_add_u32 s8, s10, s8
	s_addc_u32 s9, s11, s9
	s_add_i32 s3, s3, -1
	s_ashr_i32 s10, s3, 31
	s_lshr_b32 s10, s10, 26
	s_add_i32 s3, s3, s10
	s_ashr_i32 s3, s3, 6
	s_add_i32 s10, s3, 1
	v_cvt_f32_u32_e32 v1, s10
	s_not_b32 s3, s3
	v_bfe_u32 v81, v0, 10, 10
	v_and_b32_e32 v82, 3, v0
	v_rcp_iflag_f32_e32 v1, v1
	v_lshl_add_u32 v0, v81, 3, v80
	v_lshrrev_b32_e32 v9, 2, v0
	v_and_b32_e32 v8, 63, v0
	v_mul_f32_e32 v1, 0x4f7ffffe, v1
	v_cvt_u32_f32_e32 v1, v1
	v_lshrrev_b32_e32 v83, 6, v0
	v_lshlrev_b32_e32 v60, 2, v82
	v_mov_b32_e32 v61, 0
	v_readfirstlane_b32 s11, v1
	s_mul_i32 s3, s3, s11
	s_mul_hi_u32 s3, s11, s3
	s_add_i32 s11, s11, s3
	s_mul_hi_u32 s3, s2, s11
	s_mul_i32 s11, s3, s10
	s_sub_i32 s11, s2, s11
	s_add_i32 s18, s3, 1
	s_sub_i32 s19, s11, s10
	s_cmp_ge_u32 s11, s10
	s_cselect_b32 s3, s18, s3
	s_cselect_b32 s11, s19, s11
	s_add_i32 s18, s3, 1
	s_cmp_ge_u32 s11, s10
	s_cselect_b32 s3, s18, s3
	s_mul_i32 s10, s3, s10
	s_sub_i32 s2, s2, s10
	s_lshl_b32 s19, s3, 7
	s_lshl_b32 s18, s2, 6
	v_add_u32_e32 v4, s19, v9
	v_or_b32_e32 v72, s18, v8
	v_mad_i64_i32 v[68:69], s[2:3], v4, s23, 0
	v_add_u32_e32 v4, 64, v4
	v_mad_i64_i32 v[70:71], s[2:3], v4, s23, 0
	v_mad_i64_i32 v[4:5], s[2:3], s20, v83, 0
	v_ashrrev_i32_e32 v73, 31, v72
	v_lshl_add_u64 v[0:1], s[4:5], 0, v[60:61]
	v_lshl_add_u64 v[4:5], v[4:5], 2, s[16:17]
	v_lshlrev_b64 v[6:7], 2, v[72:73]
	v_lshl_add_u64 v[2:3], v[68:69], 2, v[0:1]
	v_lshl_add_u64 v[4:5], v[4:5], 0, v[6:7]
	v_add_u32_e32 v84, 4, v83
	v_lshl_add_u64 v[0:1], v[70:71], 2, v[0:1]
	flat_load_dword v10, v[2:3]
	flat_load_dword v11, v[0:1]
	;; [unrolled: 1-line block ×3, first 2 shown]
	v_mad_i64_i32 v[4:5], s[2:3], s20, v84, 0
	v_lshl_add_u64 v[4:5], v[4:5], 2, s[16:17]
	flat_load_dword v74, v[0:1] offset:16
	flat_load_dword v75, v[2:3] offset:16
	v_lshl_add_u64 v[0:1], v[4:5], 0, v[6:7]
	flat_load_dword v76, v[0:1]
	s_load_dwordx2 s[8:9], s[8:9], 0x0
	v_mov_b32_e32 v0, 0x1000
	v_lshl_add_u32 v85, v80, 4, v0
	v_lshlrev_b32_e32 v0, 4, v8
	v_lshl_or_b32 v86, v9, 4, v60
	v_lshl_add_u32 v77, v83, 2, v0
	v_cmp_neq_f32_e64 s[2:3], s15, 0
	s_mov_b64 s[10:11], -1
	v_mov_b32_e32 v66, v61
	v_mov_b32_e32 v67, v61
	;; [unrolled: 1-line block ×46, first 2 shown]
	s_waitcnt vmcnt(0) lgkmcnt(0)
	ds_write2st64_b32 v86, v10, v11 offset1:4
	ds_write_b32 v77, v12 offset:4096
	v_mov_b32_e32 v21, v61
	v_mov_b32_e32 v18, v61
	;; [unrolled: 1-line block ×17, first 2 shown]
	v_or_b32_e32 v87, 0x1000, v77
	v_lshlrev_b32_e32 v88, 4, v81
	s_waitcnt lgkmcnt(0)
	s_barrier
.LBB28_9:                               ; =>This Inner Loop Header: Depth=1
	v_cndmask_b32_e64 v0, 0, 1, s[10:11]
	s_lshl_b32 s10, s22, 2
	v_cmp_ne_u32_e32 vcc, 1, v0
	v_add_u32_e32 v0, s10, v85
	ds_read2_b64 v[90:93], v0 offset1:16
	ds_read2_b64 v[94:97], v0 offset0:32 offset1:48
	ds_read2_b64 v[98:101], v0 offset0:64 offset1:80
	ds_read2_b64 v[102:105], v0 offset0:96 offset1:112
	v_add_u32_e32 v0, s10, v88
	ds_read2st64_b64 v[106:109], v0 offset1:1
	ds_read2st64_b64 v[0:3], v0 offset0:2 offset1:3
	s_waitcnt lgkmcnt(5)
	v_max_f32_e32 v90, v90, v90
	v_max_f32_e32 v91, v91, v91
	;; [unrolled: 1-line block ×3, first 2 shown]
	s_waitcnt lgkmcnt(1)
	v_max_f32_e32 v89, v106, v106
	v_max_f32_e32 v106, v107, v107
	v_min_f32_e32 v78, v90, v89
	v_min_f32_e32 v79, v91, v106
	v_max_f32_e32 v93, v93, v93
	v_pk_add_f32 v[60:61], v[78:79], v[60:61]
	v_min_f32_e32 v78, v92, v89
	v_min_f32_e32 v79, v93, v106
	v_max_f32_e32 v94, v94, v94
	v_max_f32_e32 v95, v95, v95
	v_pk_add_f32 v[66:67], v[78:79], v[66:67]
	v_min_f32_e32 v78, v94, v89
	v_min_f32_e32 v79, v95, v106
	v_max_f32_e32 v96, v96, v96
	;; [unrolled: 5-line block ×6, first 2 shown]
	v_pk_add_f32 v[54:55], v[78:79], v[54:55]
	v_min_f32_e32 v78, v104, v89
	v_max_f32_e32 v89, v105, v105
	v_min_f32_e32 v79, v89, v106
	v_max_f32_e32 v105, v108, v108
	v_max_f32_e32 v106, v109, v109
	v_pk_add_f32 v[52:53], v[78:79], v[52:53]
	v_min_f32_e32 v78, v90, v105
	v_min_f32_e32 v79, v91, v106
	v_pk_add_f32 v[50:51], v[78:79], v[50:51]
	v_min_f32_e32 v78, v92, v105
	v_min_f32_e32 v79, v93, v106
	;; [unrolled: 3-line block ×8, first 2 shown]
	v_pk_add_f32 v[36:37], v[78:79], v[36:37]
	s_waitcnt lgkmcnt(0)
	v_max_f32_e32 v78, v0, v0
	v_max_f32_e32 v79, v1, v1
	v_min_f32_e32 v0, v90, v78
	v_min_f32_e32 v1, v91, v79
	v_pk_add_f32 v[34:35], v[0:1], v[34:35]
	v_min_f32_e32 v0, v92, v78
	v_min_f32_e32 v1, v93, v79
	v_pk_add_f32 v[32:33], v[0:1], v[32:33]
	;; [unrolled: 3-line block ×7, first 2 shown]
	v_min_f32_e32 v0, v104, v78
	v_min_f32_e32 v1, v89, v79
	v_max_f32_e32 v2, v2, v2
	v_max_f32_e32 v3, v3, v3
	v_pk_add_f32 v[20:21], v[0:1], v[20:21]
	v_min_f32_e32 v0, v90, v2
	v_min_f32_e32 v1, v91, v3
	v_pk_add_f32 v[18:19], v[0:1], v[18:19]
	v_min_f32_e32 v0, v92, v2
	v_min_f32_e32 v1, v93, v3
	;; [unrolled: 3-line block ×8, first 2 shown]
	v_pk_add_f32 v[4:5], v[0:1], v[4:5]
	s_mov_b64 s[10:11], 0
	s_mov_b32 s22, 2
	s_cbranch_vccz .LBB28_9
; %bb.10:
	s_cmp_lt_i32 s14, 9
	ds_write_b32 v77, v76 offset:5120
	ds_write2st64_b32 v86, v75, v74 offset0:8 offset1:12
	s_waitcnt lgkmcnt(0)
	s_barrier
	s_cbranch_scc1 .LBB28_17
; %bb.11:
	v_mov_b32_e32 v0, 0x1400
	v_lshl_add_u32 v91, v80, 4, v0
	v_mov_b32_e32 v0, 0x800
	v_add_u32_e32 v89, 0x1400, v77
	v_add_u32_e32 v90, 0x800, v86
	s_add_i32 s14, s14, -8
	v_lshl_add_u64 v[72:73], v[72:73], 2, s[16:17]
	v_lshl_add_u32 v92, v81, 4, v0
	s_mov_b32 s16, 8
	s_mov_b32 s17, 0
	v_mov_b32_e32 v75, 0
.LBB28_12:                              ; =>This Loop Header: Depth=1
                                        ;     Child Loop BB28_13 Depth 2
                                        ;     Child Loop BB28_15 Depth 2
	v_add_u32_e32 v3, s16, v83
	v_mad_u64_u32 v[0:1], s[10:11], v3, s20, 0
	v_mov_b32_e32 v2, v1
	v_mad_u64_u32 v[2:3], s[10:11], v3, s21, v[2:3]
	v_mov_b32_e32 v1, v2
	v_lshl_add_u64 v[0:1], v[0:1], 2, v[72:73]
	v_or_b32_e32 v74, s16, v82
	flat_load_dword v93, v[0:1]
	v_lshl_add_u64 v[0:1], v[74:75], 2, s[4:5]
	v_lshl_add_u64 v[76:77], v[68:69], 2, v[0:1]
	;; [unrolled: 1-line block ×3, first 2 shown]
	flat_load_dword v74, v[76:77]
	flat_load_dword v94, v[78:79]
	s_mov_b64 s[10:11], -1
	s_mov_b32 s22, 0
.LBB28_13:                              ;   Parent Loop BB28_12 Depth=1
                                        ; =>  This Inner Loop Header: Depth=2
	v_cndmask_b32_e64 v0, 0, 1, s[10:11]
	s_lshl_b32 s10, s22, 2
	v_cmp_ne_u32_e32 vcc, 1, v0
	v_add_u32_e32 v0, s10, v91
	ds_read2_b64 v[96:99], v0 offset1:16
	ds_read2_b64 v[100:103], v0 offset0:32 offset1:48
	ds_read2_b64 v[104:107], v0 offset0:64 offset1:80
	;; [unrolled: 1-line block ×3, first 2 shown]
	v_add_u32_e32 v0, s10, v92
	ds_read2st64_b64 v[112:115], v0 offset1:1
	ds_read2st64_b64 v[0:3], v0 offset0:2 offset1:3
	s_waitcnt lgkmcnt(0)
	v_max_f32_e32 v116, v97, v97
	v_max_f32_e32 v98, v98, v98
	;; [unrolled: 1-line block ×6, first 2 shown]
	v_min_f32_e32 v96, v112, v95
	v_min_f32_e32 v97, v116, v113
	v_pk_add_f32 v[60:61], v[96:97], v[60:61]
	v_min_f32_e32 v96, v98, v95
	v_min_f32_e32 v97, v99, v113
	v_max_f32_e32 v100, v100, v100
	v_max_f32_e32 v101, v101, v101
	v_pk_add_f32 v[66:67], v[96:97], v[66:67]
	v_min_f32_e32 v96, v100, v95
	v_min_f32_e32 v97, v101, v113
	v_max_f32_e32 v102, v102, v102
	v_max_f32_e32 v103, v103, v103
	;; [unrolled: 5-line block ×5, first 2 shown]
	v_pk_add_f32 v[56:57], v[96:97], v[56:57]
	v_min_f32_e32 v96, v108, v95
	v_min_f32_e32 v97, v109, v113
	v_max_f32_e32 v110, v110, v110
	v_pk_add_f32 v[54:55], v[96:97], v[54:55]
	v_min_f32_e32 v96, v110, v95
	v_max_f32_e32 v95, v111, v111
	v_min_f32_e32 v97, v95, v113
	v_max_f32_e32 v111, v114, v114
	v_max_f32_e32 v113, v115, v115
	v_pk_add_f32 v[52:53], v[96:97], v[52:53]
	v_min_f32_e32 v96, v112, v111
	v_min_f32_e32 v97, v116, v113
	v_pk_add_f32 v[50:51], v[96:97], v[50:51]
	v_min_f32_e32 v96, v98, v111
	v_min_f32_e32 v97, v99, v113
	v_pk_add_f32 v[48:49], v[96:97], v[48:49]
	v_min_f32_e32 v96, v100, v111
	v_min_f32_e32 v97, v101, v113
	v_pk_add_f32 v[46:47], v[96:97], v[46:47]
	v_min_f32_e32 v96, v102, v111
	v_min_f32_e32 v97, v103, v113
	v_pk_add_f32 v[44:45], v[96:97], v[44:45]
	v_min_f32_e32 v96, v104, v111
	v_min_f32_e32 v97, v105, v113
	v_pk_add_f32 v[42:43], v[96:97], v[42:43]
	v_min_f32_e32 v96, v106, v111
	v_min_f32_e32 v97, v107, v113
	v_pk_add_f32 v[40:41], v[96:97], v[40:41]
	v_min_f32_e32 v96, v108, v111
	v_min_f32_e32 v97, v109, v113
	v_pk_add_f32 v[38:39], v[96:97], v[38:39]
	v_min_f32_e32 v96, v110, v111
	v_min_f32_e32 v97, v95, v113
	v_pk_add_f32 v[36:37], v[96:97], v[36:37]
	v_max_f32_e32 v96, v0, v0
	v_max_f32_e32 v97, v1, v1
	v_min_f32_e32 v0, v112, v96
	v_min_f32_e32 v1, v116, v97
	v_pk_add_f32 v[34:35], v[0:1], v[34:35]
	v_min_f32_e32 v0, v98, v96
	v_min_f32_e32 v1, v99, v97
	v_pk_add_f32 v[32:33], v[0:1], v[32:33]
	;; [unrolled: 3-line block ×7, first 2 shown]
	v_min_f32_e32 v0, v110, v96
	v_min_f32_e32 v1, v95, v97
	v_max_f32_e32 v2, v2, v2
	v_max_f32_e32 v3, v3, v3
	v_pk_add_f32 v[20:21], v[0:1], v[20:21]
	v_min_f32_e32 v0, v112, v2
	v_min_f32_e32 v1, v116, v3
	v_pk_add_f32 v[18:19], v[0:1], v[18:19]
	v_min_f32_e32 v0, v98, v2
	v_min_f32_e32 v1, v99, v3
	;; [unrolled: 3-line block ×8, first 2 shown]
	v_pk_add_f32 v[4:5], v[0:1], v[4:5]
	s_mov_b64 s[10:11], 0
	s_mov_b32 s22, 2
	s_cbranch_vccz .LBB28_13
; %bb.14:                               ;   in Loop: Header=BB28_12 Depth=1
	v_add_u32_e32 v3, s16, v84
	v_mad_u64_u32 v[0:1], s[10:11], v3, s20, 0
	v_mov_b32_e32 v2, v1
	v_mad_u64_u32 v[2:3], s[10:11], v3, s21, v[2:3]
	v_mov_b32_e32 v1, v2
	v_lshl_add_u64 v[0:1], v[0:1], 2, v[72:73]
	s_waitcnt vmcnt(0)
	ds_write_b32 v87, v93
	ds_write2st64_b32 v86, v74, v94 offset1:4
	s_waitcnt lgkmcnt(0)
	s_barrier
	flat_load_dword v74, v[0:1]
	flat_load_dword v93, v[76:77] offset:16
	flat_load_dword v94, v[78:79] offset:16
	s_mov_b32 s22, 0
	s_mov_b64 s[10:11], -1
.LBB28_15:                              ;   Parent Loop BB28_12 Depth=1
                                        ; =>  This Inner Loop Header: Depth=2
	v_cndmask_b32_e64 v0, 0, 1, s[10:11]
	s_lshl_b32 s10, s22, 2
	v_cmp_ne_u32_e32 vcc, 1, v0
	v_add_u32_e32 v0, s10, v85
	ds_read2_b64 v[76:79], v0 offset1:16
	ds_read2_b64 v[96:99], v0 offset0:32 offset1:48
	ds_read2_b64 v[100:103], v0 offset0:64 offset1:80
	;; [unrolled: 1-line block ×3, first 2 shown]
	v_add_u32_e32 v0, s10, v88
	ds_read2st64_b64 v[108:111], v0 offset1:1
	ds_read2st64_b64 v[0:3], v0 offset0:2 offset1:3
	s_waitcnt lgkmcnt(0)
	v_max_f32_e32 v112, v77, v77
	v_max_f32_e32 v78, v78, v78
	;; [unrolled: 1-line block ×6, first 2 shown]
	v_min_f32_e32 v76, v108, v95
	v_min_f32_e32 v77, v112, v109
	v_pk_add_f32 v[60:61], v[76:77], v[60:61]
	v_min_f32_e32 v76, v78, v95
	v_min_f32_e32 v77, v79, v109
	v_max_f32_e32 v96, v96, v96
	v_max_f32_e32 v97, v97, v97
	v_pk_add_f32 v[66:67], v[76:77], v[66:67]
	v_min_f32_e32 v76, v96, v95
	v_min_f32_e32 v77, v97, v109
	v_max_f32_e32 v98, v98, v98
	v_max_f32_e32 v99, v99, v99
	;; [unrolled: 5-line block ×5, first 2 shown]
	v_pk_add_f32 v[56:57], v[76:77], v[56:57]
	v_min_f32_e32 v76, v104, v95
	v_min_f32_e32 v77, v105, v109
	v_max_f32_e32 v106, v106, v106
	v_pk_add_f32 v[54:55], v[76:77], v[54:55]
	v_min_f32_e32 v76, v106, v95
	v_max_f32_e32 v95, v107, v107
	v_min_f32_e32 v77, v95, v109
	v_max_f32_e32 v107, v110, v110
	v_max_f32_e32 v109, v111, v111
	v_pk_add_f32 v[52:53], v[76:77], v[52:53]
	v_min_f32_e32 v76, v108, v107
	v_min_f32_e32 v77, v112, v109
	v_pk_add_f32 v[50:51], v[76:77], v[50:51]
	v_min_f32_e32 v76, v78, v107
	v_min_f32_e32 v77, v79, v109
	;; [unrolled: 3-line block ×8, first 2 shown]
	v_pk_add_f32 v[36:37], v[76:77], v[36:37]
	v_max_f32_e32 v76, v0, v0
	v_max_f32_e32 v77, v1, v1
	v_min_f32_e32 v0, v108, v76
	v_min_f32_e32 v1, v112, v77
	v_pk_add_f32 v[34:35], v[0:1], v[34:35]
	v_min_f32_e32 v0, v78, v76
	v_min_f32_e32 v1, v79, v77
	v_pk_add_f32 v[32:33], v[0:1], v[32:33]
	;; [unrolled: 3-line block ×7, first 2 shown]
	v_min_f32_e32 v0, v106, v76
	v_min_f32_e32 v1, v95, v77
	v_max_f32_e32 v2, v2, v2
	v_max_f32_e32 v3, v3, v3
	v_pk_add_f32 v[20:21], v[0:1], v[20:21]
	v_min_f32_e32 v0, v108, v2
	v_min_f32_e32 v1, v112, v3
	v_pk_add_f32 v[18:19], v[0:1], v[18:19]
	v_min_f32_e32 v0, v78, v2
	v_min_f32_e32 v1, v79, v3
	;; [unrolled: 3-line block ×8, first 2 shown]
	v_pk_add_f32 v[4:5], v[0:1], v[4:5]
	s_mov_b64 s[10:11], 0
	s_mov_b32 s22, 2
	s_cbranch_vccz .LBB28_15
; %bb.16:                               ;   in Loop: Header=BB28_12 Depth=1
	s_add_i32 s16, s16, 8
	s_add_i32 s17, s17, 8
	s_cmp_ge_i32 s17, s14
	s_waitcnt vmcnt(0)
	ds_write_b32 v89, v74
	ds_write2st64_b32 v90, v93, v94 offset1:4
	s_waitcnt lgkmcnt(0)
	s_barrier
	s_cbranch_scc0 .LBB28_12
.LBB28_17:
	v_mov_b32_e32 v0, 0x1400
	v_lshl_add_u32 v68, v80, 4, v0
	v_mov_b32_e32 v0, 0x800
	v_lshl_add_u32 v69, v81, 4, v0
	s_mov_b32 s10, 0
	s_mov_b64 s[4:5], -1
.LBB28_18:                              ; =>This Inner Loop Header: Depth=1
	v_cndmask_b32_e64 v0, 0, 1, s[4:5]
	s_lshl_b32 s4, s10, 2
	v_cmp_ne_u32_e32 vcc, 1, v0
	v_add_u32_e32 v0, s4, v68
	ds_read2_b64 v[70:73], v0 offset1:16
	ds_read2_b64 v[74:77], v0 offset0:32 offset1:48
	ds_read2_b64 v[82:85], v0 offset0:64 offset1:80
	;; [unrolled: 1-line block ×3, first 2 shown]
	v_add_u32_e32 v0, s4, v69
	ds_read2st64_b64 v[90:93], v0 offset1:1
	ds_read2st64_b64 v[0:3], v0 offset0:2 offset1:3
	s_waitcnt lgkmcnt(5)
	v_max_f32_e32 v79, v70, v70
	v_max_f32_e32 v72, v72, v72
	;; [unrolled: 1-line block ×3, first 2 shown]
	s_waitcnt lgkmcnt(1)
	v_max_f32_e32 v78, v90, v90
	v_max_f32_e32 v90, v91, v91
	;; [unrolled: 1-line block ×3, first 2 shown]
	v_min_f32_e32 v70, v79, v78
	v_min_f32_e32 v71, v91, v90
	v_pk_add_f32 v[60:61], v[70:71], v[60:61]
	v_min_f32_e32 v70, v72, v78
	v_min_f32_e32 v71, v73, v90
	v_max_f32_e32 v74, v74, v74
	v_max_f32_e32 v75, v75, v75
	v_pk_add_f32 v[66:67], v[70:71], v[66:67]
	v_min_f32_e32 v70, v74, v78
	v_min_f32_e32 v71, v75, v90
	v_max_f32_e32 v76, v76, v76
	v_max_f32_e32 v77, v77, v77
	;; [unrolled: 5-line block ×5, first 2 shown]
	v_pk_add_f32 v[56:57], v[70:71], v[56:57]
	v_min_f32_e32 v70, v86, v78
	v_min_f32_e32 v71, v87, v90
	v_max_f32_e32 v88, v88, v88
	v_pk_add_f32 v[54:55], v[70:71], v[54:55]
	v_min_f32_e32 v70, v88, v78
	v_max_f32_e32 v78, v89, v89
	v_min_f32_e32 v71, v78, v90
	v_max_f32_e32 v89, v92, v92
	v_max_f32_e32 v90, v93, v93
	v_pk_add_f32 v[52:53], v[70:71], v[52:53]
	v_min_f32_e32 v70, v79, v89
	v_min_f32_e32 v71, v91, v90
	v_pk_add_f32 v[50:51], v[70:71], v[50:51]
	v_min_f32_e32 v70, v72, v89
	v_min_f32_e32 v71, v73, v90
	;; [unrolled: 3-line block ×8, first 2 shown]
	v_pk_add_f32 v[36:37], v[70:71], v[36:37]
	s_waitcnt lgkmcnt(0)
	v_max_f32_e32 v70, v0, v0
	v_max_f32_e32 v71, v1, v1
	v_min_f32_e32 v0, v79, v70
	v_min_f32_e32 v1, v91, v71
	v_pk_add_f32 v[34:35], v[0:1], v[34:35]
	v_min_f32_e32 v0, v72, v70
	v_min_f32_e32 v1, v73, v71
	v_pk_add_f32 v[32:33], v[0:1], v[32:33]
	;; [unrolled: 3-line block ×7, first 2 shown]
	v_min_f32_e32 v0, v88, v70
	v_min_f32_e32 v1, v78, v71
	v_max_f32_e32 v2, v2, v2
	v_max_f32_e32 v3, v3, v3
	v_pk_add_f32 v[20:21], v[0:1], v[20:21]
	v_min_f32_e32 v0, v79, v2
	v_min_f32_e32 v1, v91, v3
	v_pk_add_f32 v[18:19], v[0:1], v[18:19]
	v_min_f32_e32 v0, v72, v2
	v_min_f32_e32 v1, v73, v3
	;; [unrolled: 3-line block ×8, first 2 shown]
	v_pk_add_f32 v[4:5], v[0:1], v[4:5]
	s_mov_b64 s[4:5], 0
	s_mov_b32 s10, 2
	s_cbranch_vccz .LBB28_18
; %bb.19:
	s_load_dword s10, s[0:1], 0x50
	v_add_u32_e32 v72, s19, v81
	v_add_u32_e32 v0, s18, v80
	v_ashrrev_i32_e32 v1, 31, v0
	v_mov_b32_e32 v73, 0
	s_waitcnt lgkmcnt(0)
	v_mad_i64_i32 v[2:3], s[4:5], v72, s10, 0
	v_lshl_add_u64 v[68:69], v[2:3], 2, s[12:13]
	v_cndmask_b32_e64 v2, 0, 1, s[2:3]
	v_cmp_ne_u32_e64 s[4:5], 1, v2
	s_andn2_b64 vcc, exec, s[2:3]
	v_mov_b32_e32 v74, 0
	s_cbranch_vccnz .LBB28_21
; %bb.20:
	v_lshl_add_u64 v[2:3], v[0:1], 2, v[68:69]
	flat_load_dword v2, v[2:3]
	s_waitcnt vmcnt(0) lgkmcnt(0)
	v_mul_f32_e32 v74, s15, v2
.LBB28_21:
	s_load_dwordx2 s[16:17], s[0:1], 0x70
	s_load_dword s2, s[0:1], 0x68
	v_add_u32_e32 v2, 8, v0
	v_add_f32_e32 v60, v60, v61
	v_ashrrev_i32_e32 v3, 31, v2
	s_waitcnt lgkmcnt(0)
	s_lshl_b64 s[0:1], s[16:17], 2
	s_add_u32 s0, s8, s0
	s_addc_u32 s1, s9, s1
	v_mad_i64_i32 v[70:71], s[8:9], v72, s2, 0
	v_lshl_add_u64 v[70:71], v[70:71], 2, s[0:1]
	v_add_f32_e32 v74, v60, v74
	v_lshl_add_u64 v[60:61], v[0:1], 2, v[70:71]
	s_and_b64 vcc, exec, s[4:5]
	flat_store_dword v[60:61], v74
	s_cbranch_vccnz .LBB28_23
; %bb.22:
	v_lshl_add_u64 v[60:61], v[2:3], 2, v[68:69]
	flat_load_dword v60, v[60:61]
	s_waitcnt vmcnt(0) lgkmcnt(0)
	v_mul_f32_e32 v73, s15, v60
.LBB28_23:
	v_add_f32_e32 v66, v66, v67
	v_add_u32_e32 v60, 16, v0
	v_add_f32_e32 v73, v66, v73
	v_lshl_add_u64 v[66:67], v[2:3], 2, v[70:71]
	v_ashrrev_i32_e32 v61, 31, v60
	flat_store_dword v[66:67], v73
	v_mov_b32_e32 v66, 0
	s_and_b64 vcc, exec, s[4:5]
	v_mov_b32_e32 v67, 0
	s_cbranch_vccnz .LBB28_25
; %bb.24:
	v_lshl_add_u64 v[74:75], v[60:61], 2, v[68:69]
	flat_load_dword v67, v[74:75]
	s_waitcnt vmcnt(0) lgkmcnt(0)
	v_mul_f32_e32 v67, s15, v67
.LBB28_25:
	v_add_f32_e32 v73, v64, v65
	v_add_u32_e32 v64, 24, v0
	v_ashrrev_i32_e32 v65, 31, v64
	v_add_f32_e32 v67, v73, v67
	v_lshl_add_u64 v[74:75], v[60:61], 2, v[70:71]
	s_and_b64 vcc, exec, s[4:5]
	flat_store_dword v[74:75], v67
	s_cbranch_vccnz .LBB28_27
; %bb.26:
	v_lshl_add_u64 v[66:67], v[64:65], 2, v[68:69]
	flat_load_dword v66, v[66:67]
	s_waitcnt vmcnt(0) lgkmcnt(0)
	v_mul_f32_e32 v66, s15, v66
.LBB28_27:
	v_add_f32_e32 v67, v62, v63
	v_add_u32_e32 v62, 32, v0
	v_add_f32_e32 v73, v67, v66
	v_lshl_add_u64 v[66:67], v[64:65], 2, v[70:71]
	v_ashrrev_i32_e32 v63, 31, v62
	flat_store_dword v[66:67], v73
	v_mov_b32_e32 v66, 0
	s_and_b64 vcc, exec, s[4:5]
	v_mov_b32_e32 v67, 0
	s_cbranch_vccnz .LBB28_29
; %bb.28:
	v_lshl_add_u64 v[74:75], v[62:63], 2, v[68:69]
	flat_load_dword v67, v[74:75]
	s_waitcnt vmcnt(0) lgkmcnt(0)
	v_mul_f32_e32 v67, s15, v67
.LBB28_29:
	v_add_f32_e32 v73, v58, v59
	v_add_u32_e32 v58, 40, v0
	v_ashrrev_i32_e32 v59, 31, v58
	;; [unrolled: 30-line block ×3, first 2 shown]
	v_add_f32_e32 v67, v73, v67
	v_lshl_add_u64 v[74:75], v[56:57], 2, v[70:71]
	s_and_b64 vcc, exec, s[4:5]
	flat_store_dword v[74:75], v67
	s_cbranch_vccnz .LBB28_35
; %bb.34:
	v_lshl_add_u64 v[66:67], v[54:55], 2, v[68:69]
	flat_load_dword v66, v[66:67]
	s_waitcnt vmcnt(0) lgkmcnt(0)
	v_mul_f32_e32 v66, s15, v66
.LBB28_35:
	v_add_f32_e32 v52, v52, v53
	v_add_f32_e32 v66, v52, v66
	v_lshl_add_u64 v[52:53], v[54:55], 2, v[70:71]
	flat_store_dword v[52:53], v66
	v_add_u32_e32 v66, 32, v72
	v_mad_i64_i32 v[52:53], s[8:9], v66, s10, 0
	v_lshl_add_u64 v[52:53], v[52:53], 2, s[12:13]
	v_mov_b32_e32 v68, 0
	s_and_b64 vcc, exec, s[4:5]
	v_mov_b32_e32 v69, 0
	s_cbranch_vccnz .LBB28_37
; %bb.36:
	v_lshl_add_u64 v[70:71], v[0:1], 2, v[52:53]
	flat_load_dword v67, v[70:71]
	s_waitcnt vmcnt(0) lgkmcnt(0)
	v_mul_f32_e32 v69, s15, v67
.LBB28_37:
	v_mad_i64_i32 v[66:67], s[8:9], v66, s2, 0
	v_lshl_add_u64 v[66:67], v[66:67], 2, s[0:1]
	v_add_f32_e32 v50, v50, v51
	v_add_f32_e32 v69, v50, v69
	v_lshl_add_u64 v[50:51], v[0:1], 2, v[66:67]
	s_and_b64 vcc, exec, s[4:5]
	flat_store_dword v[50:51], v69
	s_cbranch_vccnz .LBB28_39
; %bb.38:
	v_lshl_add_u64 v[50:51], v[2:3], 2, v[52:53]
	flat_load_dword v50, v[50:51]
	s_waitcnt vmcnt(0) lgkmcnt(0)
	v_mul_f32_e32 v68, s15, v50
.LBB28_39:
	v_add_f32_e32 v48, v48, v49
	v_add_f32_e32 v50, v48, v68
	v_lshl_add_u64 v[48:49], v[2:3], 2, v[66:67]
	flat_store_dword v[48:49], v50
	v_mov_b32_e32 v48, 0
	s_and_b64 vcc, exec, s[4:5]
	v_mov_b32_e32 v49, 0
	s_cbranch_vccnz .LBB28_41
; %bb.40:
	v_lshl_add_u64 v[50:51], v[60:61], 2, v[52:53]
	flat_load_dword v49, v[50:51]
	s_waitcnt vmcnt(0) lgkmcnt(0)
	v_mul_f32_e32 v49, s15, v49
.LBB28_41:
	v_add_f32_e32 v46, v46, v47
	v_add_f32_e32 v49, v46, v49
	v_lshl_add_u64 v[46:47], v[60:61], 2, v[66:67]
	s_and_b64 vcc, exec, s[4:5]
	flat_store_dword v[46:47], v49
	s_cbranch_vccnz .LBB28_43
; %bb.42:
	v_lshl_add_u64 v[46:47], v[64:65], 2, v[52:53]
	flat_load_dword v46, v[46:47]
	s_waitcnt vmcnt(0) lgkmcnt(0)
	v_mul_f32_e32 v48, s15, v46
.LBB28_43:
	v_add_f32_e32 v44, v44, v45
	v_add_f32_e32 v46, v44, v48
	v_lshl_add_u64 v[44:45], v[64:65], 2, v[66:67]
	flat_store_dword v[44:45], v46
	v_mov_b32_e32 v44, 0
	s_and_b64 vcc, exec, s[4:5]
	v_mov_b32_e32 v45, 0
	s_cbranch_vccnz .LBB28_45
; %bb.44:
	v_lshl_add_u64 v[46:47], v[62:63], 2, v[52:53]
	flat_load_dword v45, v[46:47]
	s_waitcnt vmcnt(0) lgkmcnt(0)
	v_mul_f32_e32 v45, s15, v45
.LBB28_45:
	;; [unrolled: 26-line block ×3, first 2 shown]
	v_add_f32_e32 v38, v38, v39
	v_add_f32_e32 v41, v38, v41
	v_lshl_add_u64 v[38:39], v[56:57], 2, v[66:67]
	s_and_b64 vcc, exec, s[4:5]
	flat_store_dword v[38:39], v41
	s_cbranch_vccnz .LBB28_51
; %bb.50:
	v_lshl_add_u64 v[38:39], v[54:55], 2, v[52:53]
	flat_load_dword v38, v[38:39]
	s_waitcnt vmcnt(0) lgkmcnt(0)
	v_mul_f32_e32 v40, s15, v38
.LBB28_51:
	v_add_f32_e32 v36, v36, v37
	v_add_f32_e32 v38, v36, v40
	v_lshl_add_u64 v[36:37], v[54:55], 2, v[66:67]
	flat_store_dword v[36:37], v38
	v_add_u32_e32 v38, 64, v72
	v_mad_i64_i32 v[36:37], s[8:9], v38, s10, 0
	v_lshl_add_u64 v[36:37], v[36:37], 2, s[12:13]
	v_mov_b32_e32 v40, 0
	s_and_b64 vcc, exec, s[4:5]
	v_mov_b32_e32 v41, 0
	s_cbranch_vccnz .LBB28_53
; %bb.52:
	v_lshl_add_u64 v[42:43], v[0:1], 2, v[36:37]
	flat_load_dword v39, v[42:43]
	s_waitcnt vmcnt(0) lgkmcnt(0)
	v_mul_f32_e32 v41, s15, v39
.LBB28_53:
	v_mad_i64_i32 v[38:39], s[8:9], v38, s2, 0
	v_lshl_add_u64 v[38:39], v[38:39], 2, s[0:1]
	v_add_f32_e32 v34, v34, v35
	v_add_f32_e32 v41, v34, v41
	v_lshl_add_u64 v[34:35], v[0:1], 2, v[38:39]
	s_and_b64 vcc, exec, s[4:5]
	flat_store_dword v[34:35], v41
	s_cbranch_vccnz .LBB28_55
; %bb.54:
	v_lshl_add_u64 v[34:35], v[2:3], 2, v[36:37]
	flat_load_dword v34, v[34:35]
	s_waitcnt vmcnt(0) lgkmcnt(0)
	v_mul_f32_e32 v40, s15, v34
.LBB28_55:
	v_add_f32_e32 v32, v32, v33
	v_add_f32_e32 v34, v32, v40
	v_lshl_add_u64 v[32:33], v[2:3], 2, v[38:39]
	flat_store_dword v[32:33], v34
	v_mov_b32_e32 v32, 0
	s_and_b64 vcc, exec, s[4:5]
	v_mov_b32_e32 v33, 0
	s_cbranch_vccnz .LBB28_57
; %bb.56:
	v_lshl_add_u64 v[34:35], v[60:61], 2, v[36:37]
	flat_load_dword v33, v[34:35]
	s_waitcnt vmcnt(0) lgkmcnt(0)
	v_mul_f32_e32 v33, s15, v33
.LBB28_57:
	v_add_f32_e32 v30, v30, v31
	v_add_f32_e32 v33, v30, v33
	v_lshl_add_u64 v[30:31], v[60:61], 2, v[38:39]
	s_and_b64 vcc, exec, s[4:5]
	flat_store_dword v[30:31], v33
	s_cbranch_vccnz .LBB28_59
; %bb.58:
	v_lshl_add_u64 v[30:31], v[64:65], 2, v[36:37]
	flat_load_dword v30, v[30:31]
	s_waitcnt vmcnt(0) lgkmcnt(0)
	v_mul_f32_e32 v32, s15, v30
.LBB28_59:
	v_add_f32_e32 v28, v28, v29
	v_add_f32_e32 v30, v28, v32
	v_lshl_add_u64 v[28:29], v[64:65], 2, v[38:39]
	flat_store_dword v[28:29], v30
	v_mov_b32_e32 v28, 0
	s_and_b64 vcc, exec, s[4:5]
	v_mov_b32_e32 v29, 0
	s_cbranch_vccnz .LBB28_61
; %bb.60:
	v_lshl_add_u64 v[30:31], v[62:63], 2, v[36:37]
	flat_load_dword v29, v[30:31]
	s_waitcnt vmcnt(0) lgkmcnt(0)
	v_mul_f32_e32 v29, s15, v29
.LBB28_61:
	;; [unrolled: 26-line block ×3, first 2 shown]
	v_add_f32_e32 v22, v22, v23
	v_add_f32_e32 v25, v22, v25
	v_lshl_add_u64 v[22:23], v[56:57], 2, v[38:39]
	s_and_b64 vcc, exec, s[4:5]
	flat_store_dword v[22:23], v25
	s_cbranch_vccnz .LBB28_67
; %bb.66:
	v_lshl_add_u64 v[22:23], v[54:55], 2, v[36:37]
	flat_load_dword v22, v[22:23]
	s_waitcnt vmcnt(0) lgkmcnt(0)
	v_mul_f32_e32 v24, s15, v22
.LBB28_67:
	v_add_f32_e32 v20, v20, v21
	v_add_f32_e32 v22, v20, v24
	v_lshl_add_u64 v[20:21], v[54:55], 2, v[38:39]
	flat_store_dword v[20:21], v22
	v_add_u32_e32 v22, 0x60, v72
	v_mad_i64_i32 v[20:21], s[8:9], v22, s10, 0
	v_lshl_add_u64 v[20:21], v[20:21], 2, s[12:13]
	v_mov_b32_e32 v24, 0
	s_and_b64 vcc, exec, s[4:5]
	v_mov_b32_e32 v25, 0
	s_cbranch_vccnz .LBB28_69
; %bb.68:
	v_lshl_add_u64 v[26:27], v[0:1], 2, v[20:21]
	flat_load_dword v23, v[26:27]
	s_waitcnt vmcnt(0) lgkmcnt(0)
	v_mul_f32_e32 v25, s15, v23
.LBB28_69:
	v_mad_i64_i32 v[22:23], s[2:3], v22, s2, 0
	v_lshl_add_u64 v[22:23], v[22:23], 2, s[0:1]
	v_add_f32_e32 v18, v18, v19
	v_add_f32_e32 v18, v18, v25
	v_lshl_add_u64 v[0:1], v[0:1], 2, v[22:23]
	s_and_b64 vcc, exec, s[4:5]
	flat_store_dword v[0:1], v18
	s_cbranch_vccnz .LBB28_71
; %bb.70:
	v_lshl_add_u64 v[0:1], v[2:3], 2, v[20:21]
	flat_load_dword v0, v[0:1]
	s_waitcnt vmcnt(0) lgkmcnt(0)
	v_mul_f32_e32 v24, s15, v0
.LBB28_71:
	v_add_f32_e32 v0, v16, v17
	v_add_f32_e32 v16, v0, v24
	v_lshl_add_u64 v[0:1], v[2:3], 2, v[22:23]
	flat_store_dword v[0:1], v16
	v_mov_b32_e32 v0, 0
	s_and_b64 vcc, exec, s[4:5]
	v_mov_b32_e32 v1, 0
	s_cbranch_vccnz .LBB28_73
; %bb.72:
	v_lshl_add_u64 v[2:3], v[60:61], 2, v[20:21]
	flat_load_dword v1, v[2:3]
	s_waitcnt vmcnt(0) lgkmcnt(0)
	v_mul_f32_e32 v1, s15, v1
.LBB28_73:
	v_add_f32_e32 v2, v14, v15
	v_add_f32_e32 v1, v2, v1
	v_lshl_add_u64 v[2:3], v[60:61], 2, v[22:23]
	s_and_b64 vcc, exec, s[4:5]
	flat_store_dword v[2:3], v1
	s_cbranch_vccnz .LBB28_75
; %bb.74:
	v_lshl_add_u64 v[0:1], v[64:65], 2, v[20:21]
	flat_load_dword v0, v[0:1]
	s_waitcnt vmcnt(0) lgkmcnt(0)
	v_mul_f32_e32 v0, s15, v0
.LBB28_75:
	v_add_f32_e32 v1, v12, v13
	v_add_f32_e32 v2, v1, v0
	v_lshl_add_u64 v[0:1], v[64:65], 2, v[22:23]
	flat_store_dword v[0:1], v2
	v_mov_b32_e32 v0, 0
	s_and_b64 vcc, exec, s[4:5]
	v_mov_b32_e32 v1, 0
	s_cbranch_vccnz .LBB28_77
; %bb.76:
	v_lshl_add_u64 v[2:3], v[62:63], 2, v[20:21]
	flat_load_dword v1, v[2:3]
	s_waitcnt vmcnt(0) lgkmcnt(0)
	v_mul_f32_e32 v1, s15, v1
.LBB28_77:
	v_add_f32_e32 v2, v10, v11
	v_add_f32_e32 v1, v2, v1
	v_lshl_add_u64 v[2:3], v[62:63], 2, v[22:23]
	s_and_b64 vcc, exec, s[4:5]
	flat_store_dword v[2:3], v1
	s_cbranch_vccnz .LBB28_79
; %bb.78:
	v_lshl_add_u64 v[0:1], v[58:59], 2, v[20:21]
	flat_load_dword v0, v[0:1]
	s_waitcnt vmcnt(0) lgkmcnt(0)
	v_mul_f32_e32 v0, s15, v0
.LBB28_79:
	v_add_f32_e32 v1, v8, v9
	v_add_f32_e32 v2, v1, v0
	v_lshl_add_u64 v[0:1], v[58:59], 2, v[22:23]
	flat_store_dword v[0:1], v2
	v_add_f32_e32 v0, v6, v7
	s_mov_b64 s[0:1], -1
	s_mov_b64 vcc, s[6:7]
	s_cbranch_vccz .LBB28_81
; %bb.80:
	v_add_f32_e32 v1, 0, v0
	v_lshl_add_u64 v[2:3], v[56:57], 2, v[22:23]
	flat_store_dword v[2:3], v1
	s_mov_b64 s[0:1], 0
.LBB28_81:
	s_andn2_b64 vcc, exec, s[0:1]
	v_mov_b32_e32 v1, 0
	s_cbranch_vccnz .LBB28_83
; %bb.82:
	v_lshlrev_b64 v[2:3], 2, v[56:57]
	v_lshl_add_u64 v[6:7], v[20:21], 0, v[2:3]
	flat_load_dword v1, v[6:7]
	v_lshl_add_u64 v[2:3], v[22:23], 0, v[2:3]
	s_waitcnt vmcnt(0) lgkmcnt(0)
	v_fmac_f32_e32 v0, s15, v1
	flat_store_dword v[2:3], v0
	v_lshl_add_u64 v[0:1], v[54:55], 2, v[20:21]
	flat_load_dword v0, v[0:1]
	s_waitcnt vmcnt(0) lgkmcnt(0)
	v_mul_f32_e32 v1, s15, v0
.LBB28_83:
	v_add_f32_e32 v0, v4, v5
	v_add_f32_e32 v2, v0, v1
	v_lshl_add_u64 v[0:1], v[54:55], 2, v[22:23]
	flat_store_dword v[0:1], v2
	s_endpgm
	.section	.rodata,"a",@progbits
	.p2align	6, 0x0
	.amdhsa_kernel _ZN12_GLOBAL__N_120geam_min_plus_kernelIf15HIP_vector_typeIfLj2EES2_Li8ELi32ELi64ELi128ELi4ELi64ELi4ELi4ELi64ELc78ELc78ELb1ELb0ELb0EfKPKfKPfEEviiiT16_PT17_ilSA_ilS8_SA_ilPT18_ili26rocblas_geam_ex_operation_
		.amdhsa_group_segment_fixed_size 6144
		.amdhsa_private_segment_fixed_size 0
		.amdhsa_kernarg_size 128
		.amdhsa_user_sgpr_count 2
		.amdhsa_user_sgpr_dispatch_ptr 0
		.amdhsa_user_sgpr_queue_ptr 0
		.amdhsa_user_sgpr_kernarg_segment_ptr 1
		.amdhsa_user_sgpr_dispatch_id 0
		.amdhsa_user_sgpr_kernarg_preload_length 0
		.amdhsa_user_sgpr_kernarg_preload_offset 0
		.amdhsa_user_sgpr_private_segment_size 0
		.amdhsa_uses_dynamic_stack 0
		.amdhsa_enable_private_segment 0
		.amdhsa_system_sgpr_workgroup_id_x 1
		.amdhsa_system_sgpr_workgroup_id_y 0
		.amdhsa_system_sgpr_workgroup_id_z 1
		.amdhsa_system_sgpr_workgroup_info 0
		.amdhsa_system_vgpr_workitem_id 1
		.amdhsa_next_free_vgpr 117
		.amdhsa_next_free_sgpr 24
		.amdhsa_accum_offset 120
		.amdhsa_reserve_vcc 1
		.amdhsa_float_round_mode_32 0
		.amdhsa_float_round_mode_16_64 0
		.amdhsa_float_denorm_mode_32 3
		.amdhsa_float_denorm_mode_16_64 3
		.amdhsa_dx10_clamp 1
		.amdhsa_ieee_mode 1
		.amdhsa_fp16_overflow 0
		.amdhsa_tg_split 0
		.amdhsa_exception_fp_ieee_invalid_op 0
		.amdhsa_exception_fp_denorm_src 0
		.amdhsa_exception_fp_ieee_div_zero 0
		.amdhsa_exception_fp_ieee_overflow 0
		.amdhsa_exception_fp_ieee_underflow 0
		.amdhsa_exception_fp_ieee_inexact 0
		.amdhsa_exception_int_div_zero 0
	.end_amdhsa_kernel
	.section	.text._ZN12_GLOBAL__N_120geam_min_plus_kernelIf15HIP_vector_typeIfLj2EES2_Li8ELi32ELi64ELi128ELi4ELi64ELi4ELi4ELi64ELc78ELc78ELb1ELb0ELb0EfKPKfKPfEEviiiT16_PT17_ilSA_ilS8_SA_ilPT18_ili26rocblas_geam_ex_operation_,"axG",@progbits,_ZN12_GLOBAL__N_120geam_min_plus_kernelIf15HIP_vector_typeIfLj2EES2_Li8ELi32ELi64ELi128ELi4ELi64ELi4ELi4ELi64ELc78ELc78ELb1ELb0ELb0EfKPKfKPfEEviiiT16_PT17_ilSA_ilS8_SA_ilPT18_ili26rocblas_geam_ex_operation_,comdat
.Lfunc_end28:
	.size	_ZN12_GLOBAL__N_120geam_min_plus_kernelIf15HIP_vector_typeIfLj2EES2_Li8ELi32ELi64ELi128ELi4ELi64ELi4ELi4ELi64ELc78ELc78ELb1ELb0ELb0EfKPKfKPfEEviiiT16_PT17_ilSA_ilS8_SA_ilPT18_ili26rocblas_geam_ex_operation_, .Lfunc_end28-_ZN12_GLOBAL__N_120geam_min_plus_kernelIf15HIP_vector_typeIfLj2EES2_Li8ELi32ELi64ELi128ELi4ELi64ELi4ELi4ELi64ELc78ELc78ELb1ELb0ELb0EfKPKfKPfEEviiiT16_PT17_ilSA_ilS8_SA_ilPT18_ili26rocblas_geam_ex_operation_
                                        ; -- End function
	.set _ZN12_GLOBAL__N_120geam_min_plus_kernelIf15HIP_vector_typeIfLj2EES2_Li8ELi32ELi64ELi128ELi4ELi64ELi4ELi4ELi64ELc78ELc78ELb1ELb0ELb0EfKPKfKPfEEviiiT16_PT17_ilSA_ilS8_SA_ilPT18_ili26rocblas_geam_ex_operation_.num_vgpr, 117
	.set _ZN12_GLOBAL__N_120geam_min_plus_kernelIf15HIP_vector_typeIfLj2EES2_Li8ELi32ELi64ELi128ELi4ELi64ELi4ELi4ELi64ELc78ELc78ELb1ELb0ELb0EfKPKfKPfEEviiiT16_PT17_ilSA_ilS8_SA_ilPT18_ili26rocblas_geam_ex_operation_.num_agpr, 0
	.set _ZN12_GLOBAL__N_120geam_min_plus_kernelIf15HIP_vector_typeIfLj2EES2_Li8ELi32ELi64ELi128ELi4ELi64ELi4ELi4ELi64ELc78ELc78ELb1ELb0ELb0EfKPKfKPfEEviiiT16_PT17_ilSA_ilS8_SA_ilPT18_ili26rocblas_geam_ex_operation_.numbered_sgpr, 24
	.set _ZN12_GLOBAL__N_120geam_min_plus_kernelIf15HIP_vector_typeIfLj2EES2_Li8ELi32ELi64ELi128ELi4ELi64ELi4ELi4ELi64ELc78ELc78ELb1ELb0ELb0EfKPKfKPfEEviiiT16_PT17_ilSA_ilS8_SA_ilPT18_ili26rocblas_geam_ex_operation_.num_named_barrier, 0
	.set _ZN12_GLOBAL__N_120geam_min_plus_kernelIf15HIP_vector_typeIfLj2EES2_Li8ELi32ELi64ELi128ELi4ELi64ELi4ELi4ELi64ELc78ELc78ELb1ELb0ELb0EfKPKfKPfEEviiiT16_PT17_ilSA_ilS8_SA_ilPT18_ili26rocblas_geam_ex_operation_.private_seg_size, 0
	.set _ZN12_GLOBAL__N_120geam_min_plus_kernelIf15HIP_vector_typeIfLj2EES2_Li8ELi32ELi64ELi128ELi4ELi64ELi4ELi4ELi64ELc78ELc78ELb1ELb0ELb0EfKPKfKPfEEviiiT16_PT17_ilSA_ilS8_SA_ilPT18_ili26rocblas_geam_ex_operation_.uses_vcc, 1
	.set _ZN12_GLOBAL__N_120geam_min_plus_kernelIf15HIP_vector_typeIfLj2EES2_Li8ELi32ELi64ELi128ELi4ELi64ELi4ELi4ELi64ELc78ELc78ELb1ELb0ELb0EfKPKfKPfEEviiiT16_PT17_ilSA_ilS8_SA_ilPT18_ili26rocblas_geam_ex_operation_.uses_flat_scratch, 0
	.set _ZN12_GLOBAL__N_120geam_min_plus_kernelIf15HIP_vector_typeIfLj2EES2_Li8ELi32ELi64ELi128ELi4ELi64ELi4ELi4ELi64ELc78ELc78ELb1ELb0ELb0EfKPKfKPfEEviiiT16_PT17_ilSA_ilS8_SA_ilPT18_ili26rocblas_geam_ex_operation_.has_dyn_sized_stack, 0
	.set _ZN12_GLOBAL__N_120geam_min_plus_kernelIf15HIP_vector_typeIfLj2EES2_Li8ELi32ELi64ELi128ELi4ELi64ELi4ELi4ELi64ELc78ELc78ELb1ELb0ELb0EfKPKfKPfEEviiiT16_PT17_ilSA_ilS8_SA_ilPT18_ili26rocblas_geam_ex_operation_.has_recursion, 0
	.set _ZN12_GLOBAL__N_120geam_min_plus_kernelIf15HIP_vector_typeIfLj2EES2_Li8ELi32ELi64ELi128ELi4ELi64ELi4ELi4ELi64ELc78ELc78ELb1ELb0ELb0EfKPKfKPfEEviiiT16_PT17_ilSA_ilS8_SA_ilPT18_ili26rocblas_geam_ex_operation_.has_indirect_call, 0
	.section	.AMDGPU.csdata,"",@progbits
; Kernel info:
; codeLenInByte = 6416
; TotalNumSgprs: 30
; NumVgprs: 117
; NumAgprs: 0
; TotalNumVgprs: 117
; ScratchSize: 0
; MemoryBound: 0
; FloatMode: 240
; IeeeMode: 1
; LDSByteSize: 6144 bytes/workgroup (compile time only)
; SGPRBlocks: 3
; VGPRBlocks: 14
; NumSGPRsForWavesPerEU: 30
; NumVGPRsForWavesPerEU: 117
; AccumOffset: 120
; Occupancy: 4
; WaveLimiterHint : 1
; COMPUTE_PGM_RSRC2:SCRATCH_EN: 0
; COMPUTE_PGM_RSRC2:USER_SGPR: 2
; COMPUTE_PGM_RSRC2:TRAP_HANDLER: 0
; COMPUTE_PGM_RSRC2:TGID_X_EN: 1
; COMPUTE_PGM_RSRC2:TGID_Y_EN: 0
; COMPUTE_PGM_RSRC2:TGID_Z_EN: 1
; COMPUTE_PGM_RSRC2:TIDIG_COMP_CNT: 1
; COMPUTE_PGM_RSRC3_GFX90A:ACCUM_OFFSET: 29
; COMPUTE_PGM_RSRC3_GFX90A:TG_SPLIT: 0
	.section	.text._ZN12_GLOBAL__N_120geam_min_plus_kernelIf15HIP_vector_typeIfLj2EES2_Li8ELi32ELi64ELi128ELi4ELi64ELi4ELi4ELi64ELc78ELc78ELb0ELb0ELb0EfKPKfKPfEEviiiT16_PT17_ilSA_ilS8_SA_ilPT18_ili26rocblas_geam_ex_operation_,"axG",@progbits,_ZN12_GLOBAL__N_120geam_min_plus_kernelIf15HIP_vector_typeIfLj2EES2_Li8ELi32ELi64ELi128ELi4ELi64ELi4ELi4ELi64ELc78ELc78ELb0ELb0ELb0EfKPKfKPfEEviiiT16_PT17_ilSA_ilS8_SA_ilPT18_ili26rocblas_geam_ex_operation_,comdat
	.globl	_ZN12_GLOBAL__N_120geam_min_plus_kernelIf15HIP_vector_typeIfLj2EES2_Li8ELi32ELi64ELi128ELi4ELi64ELi4ELi4ELi64ELc78ELc78ELb0ELb0ELb0EfKPKfKPfEEviiiT16_PT17_ilSA_ilS8_SA_ilPT18_ili26rocblas_geam_ex_operation_ ; -- Begin function _ZN12_GLOBAL__N_120geam_min_plus_kernelIf15HIP_vector_typeIfLj2EES2_Li8ELi32ELi64ELi128ELi4ELi64ELi4ELi4ELi64ELc78ELc78ELb0ELb0ELb0EfKPKfKPfEEviiiT16_PT17_ilSA_ilS8_SA_ilPT18_ili26rocblas_geam_ex_operation_
	.p2align	8
	.type	_ZN12_GLOBAL__N_120geam_min_plus_kernelIf15HIP_vector_typeIfLj2EES2_Li8ELi32ELi64ELi128ELi4ELi64ELi4ELi4ELi64ELc78ELc78ELb0ELb0ELb0EfKPKfKPfEEviiiT16_PT17_ilSA_ilS8_SA_ilPT18_ili26rocblas_geam_ex_operation_,@function
_ZN12_GLOBAL__N_120geam_min_plus_kernelIf15HIP_vector_typeIfLj2EES2_Li8ELi32ELi64ELi128ELi4ELi64ELi4ELi4ELi64ELc78ELc78ELb0ELb0ELb0EfKPKfKPfEEviiiT16_PT17_ilSA_ilS8_SA_ilPT18_ili26rocblas_geam_ex_operation_: ; @_ZN12_GLOBAL__N_120geam_min_plus_kernelIf15HIP_vector_typeIfLj2EES2_Li8ELi32ELi64ELi128ELi4ELi64ELi4ELi4ELi64ELc78ELc78ELb0ELb0ELb0EfKPKfKPfEEviiiT16_PT17_ilSA_ilS8_SA_ilPT18_ili26rocblas_geam_ex_operation_
; %bb.0:
	s_load_dwordx2 s[18:19], s[0:1], 0x8
	s_load_dwordx4 s[8:11], s[0:1], 0x20
	s_mov_b32 s12, s3
	s_mov_b32 s13, 0
	s_waitcnt lgkmcnt(0)
	v_cmp_eq_f32_e64 s[6:7], s19, 0
	s_and_b64 s[4:5], exec, s[6:7]
	s_mov_b64 vcc, s[4:5]
	s_cbranch_vccnz .LBB29_3
; %bb.1:
	s_load_dwordx2 s[14:15], s[0:1], 0x10
	s_lshl_b64 s[16:17], s[12:13], 3
	s_waitcnt lgkmcnt(0)
	s_add_u32 s14, s14, s16
	s_addc_u32 s15, s15, s17
	s_load_dwordx2 s[14:15], s[14:15], 0x0
	s_lshl_b64 s[8:9], s[8:9], 2
	s_waitcnt lgkmcnt(0)
	s_add_u32 s22, s14, s8
	s_addc_u32 s23, s15, s9
	s_andn2_b64 vcc, exec, s[6:7]
	s_cbranch_vccnz .LBB29_4
.LBB29_2:
	s_mov_b32 s7, 0
	s_mov_b32 s6, s12
	s_mov_b64 s[16:17], 0
	s_mov_b64 s[20:21], 0
	s_cbranch_execz .LBB29_5
	s_branch .LBB29_6
.LBB29_3:
	s_mov_b64 s[22:23], 0
	s_andn2_b64 vcc, exec, s[6:7]
	s_cbranch_vccz .LBB29_2
.LBB29_4:
	s_mov_b64 s[6:7], s[12:13]
	s_mov_b64 s[16:17], 0
	;; [unrolled: 1-line block ×3, first 2 shown]
.LBB29_5:
	s_lshl_b64 s[12:13], s[12:13], 3
	s_add_u32 s10, s10, s12
	s_load_dwordx2 s[8:9], s[0:1], 0x38
	s_addc_u32 s11, s11, s13
	s_load_dwordx2 s[10:11], s[10:11], 0x0
	s_waitcnt lgkmcnt(0)
	s_lshl_b64 s[8:9], s[8:9], 2
	s_add_u32 s20, s10, s8
	s_addc_u32 s21, s11, s9
.LBB29_6:
	s_load_dword s26, s[0:1], 0x40
	s_load_dwordx4 s[12:15], s[0:1], 0x58
	v_cmp_neq_f32_e64 s[24:25], s19, 0
	s_waitcnt lgkmcnt(0)
	v_cmp_eq_f32_e64 s[8:9], s26, 0
	s_and_b64 s[8:9], exec, s[8:9]
	s_mov_b64 vcc, s[8:9]
	s_cbranch_vccnz .LBB29_8
; %bb.7:
	s_load_dwordx2 s[10:11], s[0:1], 0x48
	s_lshl_b64 s[16:17], s[6:7], 3
	s_waitcnt lgkmcnt(0)
	s_add_u32 s10, s10, s16
	s_addc_u32 s11, s11, s17
	s_load_dwordx2 s[10:11], s[10:11], 0x0
	s_lshl_b64 s[12:13], s[12:13], 2
	s_waitcnt lgkmcnt(0)
	s_add_u32 s16, s10, s12
	s_addc_u32 s17, s11, s13
.LBB29_8:
	s_load_dword s27, s[0:1], 0x18
	s_load_dword s3, s[0:1], 0x0
	;; [unrolled: 1-line block ×3, first 2 shown]
	s_lshl_b64 s[6:7], s[6:7], 3
	v_and_b32_e32 v80, 0x3ff, v0
	s_waitcnt lgkmcnt(0)
	s_ashr_i32 s28, s27, 31
	s_add_u32 s10, s14, s6
	s_addc_u32 s11, s15, s7
	s_add_i32 s3, s3, -1
	s_ashr_i32 s6, s3, 31
	s_lshr_b32 s6, s6, 26
	s_add_i32 s3, s3, s6
	s_ashr_i32 s3, s3, 6
	s_add_i32 s6, s3, 1
	v_cvt_f32_u32_e32 v1, s6
	s_not_b32 s3, s3
	v_bfe_u32 v81, v0, 10, 10
	v_and_b32_e32 v82, 3, v0
	v_rcp_iflag_f32_e32 v1, v1
	v_lshl_add_u32 v0, v81, 3, v80
	v_and_b32_e32 v2, 63, v0
	v_lshrrev_b32_e32 v76, 2, v0
	v_mul_f32_e32 v1, 0x4f7ffffe, v1
	v_cvt_u32_f32_e32 v1, v1
	v_lshrrev_b32_e32 v83, 6, v0
	v_cndmask_b32_e64 v0, 0, 1, s[24:25]
	v_mov_b32_e32 v77, 0
	v_readfirstlane_b32 s7, v1
	s_mul_i32 s3, s3, s7
	s_mul_hi_u32 s3, s7, s3
	s_add_i32 s7, s7, s3
	s_mul_hi_u32 s3, s2, s7
	s_mul_i32 s7, s3, s6
	s_sub_i32 s7, s2, s7
	s_add_i32 s12, s3, 1
	s_sub_i32 s13, s7, s6
	s_cmp_ge_u32 s7, s6
	s_cselect_b32 s3, s12, s3
	s_cselect_b32 s7, s13, s7
	s_add_i32 s12, s3, 1
	s_cmp_ge_u32 s7, s6
	s_cselect_b32 s3, s12, s3
	s_mul_i32 s6, s3, s6
	s_sub_i32 s2, s2, s6
	s_lshl_b32 s12, s2, 6
	s_lshl_b32 s13, s3, 7
	v_or_b32_e32 v68, s12, v2
	v_add_u32_e32 v74, s13, v76
	v_cmp_ne_u32_e64 s[6:7], 1, v0
	s_andn2_b64 vcc, exec, s[24:25]
	v_ashrrev_i32_e32 v69, 31, v68
	v_lshlrev_b32_e32 v70, 2, v82
	v_add_u32_e32 v75, 64, v74
	v_mov_b32_e32 v3, 0
	v_mov_b32_e32 v0, 0
	;; [unrolled: 1-line block ×3, first 2 shown]
	s_cbranch_vccnz .LBB29_10
; %bb.9:
	v_mad_i64_i32 v[0:1], s[2:3], s27, v83, 0
	v_mov_b32_e32 v71, 0
	v_lshl_add_u64 v[0:1], v[0:1], 2, s[22:23]
	v_lshl_add_u64 v[4:5], s[20:21], 0, v[70:71]
	v_mad_i64_i32 v[6:7], s[2:3], v74, s29, 0
	v_lshl_add_u64 v[0:1], v[68:69], 2, v[0:1]
	v_lshl_add_u64 v[6:7], v[6:7], 2, v[4:5]
	v_mad_i64_i32 v[8:9], s[2:3], v75, s29, 0
	flat_load_dword v0, v[0:1]
	v_lshl_add_u64 v[4:5], v[8:9], 2, v[4:5]
	flat_load_dword v3, v[6:7]
	flat_load_dword v1, v[4:5]
	s_mov_b32 s2, s19
	s_waitcnt vmcnt(0) lgkmcnt(0)
	v_mul_f32_e32 v3, s19, v3
	v_pk_mul_f32 v[0:1], s[2:3], v[0:1] op_sel_hi:[0,1]
.LBB29_10:
	s_load_dwordx2 s[2:3], s[10:11], 0x0
	s_and_b64 vcc, exec, s[6:7]
	v_add_u32_e32 v84, 4, v83
	v_mov_b32_e32 v72, 0
	v_mov_b32_e32 v73, 0
	s_cbranch_vccnz .LBB29_12
; %bb.11:
	v_mad_i64_i32 v[4:5], s[6:7], s27, v84, 0
	v_mov_b32_e32 v71, 0
	v_lshl_add_u64 v[4:5], v[4:5], 2, s[22:23]
	v_lshl_add_u64 v[6:7], s[20:21], 0, v[70:71]
	v_mad_i64_i32 v[8:9], s[6:7], v74, s29, 0
	v_lshl_add_u64 v[4:5], v[68:69], 2, v[4:5]
	v_lshl_add_u64 v[8:9], v[8:9], 2, v[6:7]
	v_mad_i64_i32 v[10:11], s[6:7], v75, s29, 0
	flat_load_dword v4, v[4:5]
	v_lshl_add_u64 v[6:7], v[10:11], 2, v[6:7]
	flat_load_dword v10, v[8:9] offset:16
	flat_load_dword v5, v[6:7] offset:16
	s_mov_b32 s6, s19
	s_waitcnt vmcnt(0) lgkmcnt(0)
	v_mul_f32_e32 v77, s19, v10
	v_pk_mul_f32 v[72:73], s[6:7], v[4:5] op_sel_hi:[0,1]
.LBB29_12:
	v_lshlrev_b32_e32 v2, 4, v2
	v_lshl_add_u32 v71, v83, 2, v2
	ds_write_b32 v71, v0 offset:4096
	v_lshlrev_b32_e32 v0, 4, v76
	v_lshl_or_b32 v85, v82, 2, v0
	v_mov_b32_e32 v0, 0x1000
	v_mov_b32_e32 v66, 0
	v_cmp_neq_f32_e64 s[6:7], s26, 0
	v_lshl_add_u32 v86, v80, 4, v0
	s_mov_b32 s14, 0
	s_mov_b64 s[10:11], -1
	v_mov_b32_e32 v67, v66
	v_mov_b32_e32 v64, v66
	;; [unrolled: 1-line block ×63, first 2 shown]
	v_or_b32_e32 v87, 0x1000, v71
	v_lshlrev_b32_e32 v88, 4, v81
	ds_write2st64_b32 v85, v3, v1 offset1:4
	s_waitcnt lgkmcnt(0)
	s_barrier
.LBB29_13:                              ; =>This Inner Loop Header: Depth=1
	v_cndmask_b32_e64 v0, 0, 1, s[10:11]
	s_lshl_b32 s10, s14, 2
	v_cmp_ne_u32_e32 vcc, 1, v0
	v_add_u32_e32 v0, s10, v86
	ds_read2_b64 v[90:93], v0 offset1:16
	ds_read2_b64 v[94:97], v0 offset0:32 offset1:48
	ds_read2_b64 v[98:101], v0 offset0:64 offset1:80
	;; [unrolled: 1-line block ×3, first 2 shown]
	v_add_u32_e32 v0, s10, v88
	ds_read2st64_b64 v[106:109], v0 offset1:1
	ds_read2st64_b64 v[0:3], v0 offset0:2 offset1:3
	s_waitcnt lgkmcnt(5)
	v_max_f32_e32 v90, v90, v90
	v_max_f32_e32 v91, v91, v91
	;; [unrolled: 1-line block ×3, first 2 shown]
	s_waitcnt lgkmcnt(1)
	v_max_f32_e32 v89, v106, v106
	v_max_f32_e32 v106, v107, v107
	v_min_f32_e32 v78, v90, v89
	v_min_f32_e32 v79, v91, v106
	v_max_f32_e32 v93, v93, v93
	v_pk_add_f32 v[66:67], v[78:79], v[66:67]
	v_min_f32_e32 v78, v92, v89
	v_min_f32_e32 v79, v93, v106
	v_max_f32_e32 v94, v94, v94
	v_max_f32_e32 v95, v95, v95
	v_pk_add_f32 v[64:65], v[78:79], v[64:65]
	v_min_f32_e32 v78, v94, v89
	v_min_f32_e32 v79, v95, v106
	v_max_f32_e32 v96, v96, v96
	;; [unrolled: 5-line block ×6, first 2 shown]
	v_pk_add_f32 v[54:55], v[78:79], v[54:55]
	v_min_f32_e32 v78, v104, v89
	v_max_f32_e32 v89, v105, v105
	v_min_f32_e32 v79, v89, v106
	v_max_f32_e32 v105, v108, v108
	v_max_f32_e32 v106, v109, v109
	v_pk_add_f32 v[52:53], v[78:79], v[52:53]
	v_min_f32_e32 v78, v90, v105
	v_min_f32_e32 v79, v91, v106
	v_pk_add_f32 v[50:51], v[78:79], v[50:51]
	v_min_f32_e32 v78, v92, v105
	v_min_f32_e32 v79, v93, v106
	;; [unrolled: 3-line block ×8, first 2 shown]
	v_pk_add_f32 v[36:37], v[78:79], v[36:37]
	s_waitcnt lgkmcnt(0)
	v_max_f32_e32 v78, v0, v0
	v_max_f32_e32 v79, v1, v1
	v_min_f32_e32 v0, v90, v78
	v_min_f32_e32 v1, v91, v79
	v_pk_add_f32 v[34:35], v[0:1], v[34:35]
	v_min_f32_e32 v0, v92, v78
	v_min_f32_e32 v1, v93, v79
	v_pk_add_f32 v[32:33], v[0:1], v[32:33]
	;; [unrolled: 3-line block ×7, first 2 shown]
	v_min_f32_e32 v0, v104, v78
	v_min_f32_e32 v1, v89, v79
	v_max_f32_e32 v2, v2, v2
	v_max_f32_e32 v3, v3, v3
	v_pk_add_f32 v[20:21], v[0:1], v[20:21]
	v_min_f32_e32 v0, v90, v2
	v_min_f32_e32 v1, v91, v3
	v_pk_add_f32 v[18:19], v[0:1], v[18:19]
	v_min_f32_e32 v0, v92, v2
	v_min_f32_e32 v1, v93, v3
	;; [unrolled: 3-line block ×8, first 2 shown]
	v_pk_add_f32 v[4:5], v[0:1], v[4:5]
	s_mov_b64 s[10:11], 0
	s_mov_b32 s14, 2
	s_cbranch_vccz .LBB29_13
; %bb.14:
	v_lshl_or_b32 v0, v76, 4, v70
	s_cmp_lt_i32 s18, 9
	ds_write_b32 v71, v72 offset:5120
	ds_write2st64_b32 v0, v77, v73 offset0:8 offset1:12
	s_waitcnt lgkmcnt(0)
	s_barrier
	s_cbranch_scc1 .LBB29_29
; %bb.15:
	v_add_u32_e32 v90, 0x800, v0
	v_mov_b32_e32 v0, 0x1400
	v_lshl_add_u32 v91, v80, 4, v0
	v_mov_b32_e32 v0, 0x800
	v_add_u32_e32 v89, 0x1400, v71
	s_add_i32 s14, s18, -8
	v_lshl_add_u64 v[68:69], v[68:69], 2, s[22:23]
	v_mad_i64_i32 v[70:71], s[10:11], v74, s29, 0
	v_mad_i64_i32 v[72:73], s[10:11], v75, s29, 0
	v_lshl_add_u32 v92, v81, 4, v0
	s_mov_b32 s18, s19
	s_mov_b32 s15, 8
	;; [unrolled: 1-line block ×3, first 2 shown]
	v_mov_b32_e32 v75, 0
.LBB29_16:                              ; =>This Loop Header: Depth=1
                                        ;     Child Loop BB29_21 Depth 2
                                        ;     Child Loop BB29_27 Depth 2
	s_mov_b64 s[10:11], -1
	s_mov_b64 vcc, s[4:5]
                                        ; implicit-def: $vgpr76_vgpr77
	s_cbranch_vccz .LBB29_18
; %bb.17:                               ;   in Loop: Header=BB29_16 Depth=1
	v_mov_b32_e32 v76, v75
	s_mov_b64 s[10:11], 0
.LBB29_18:                              ;   in Loop: Header=BB29_16 Depth=1
	v_mov_b32_e32 v78, 0
	s_andn2_b64 vcc, exec, s[10:11]
	v_mov_b32_e32 v79, 0
	s_cbranch_vccnz .LBB29_20
; %bb.19:                               ;   in Loop: Header=BB29_16 Depth=1
	v_add_u32_e32 v3, s15, v83
	v_mad_u64_u32 v[0:1], s[10:11], v3, s27, 0
	v_mov_b32_e32 v2, v1
	v_mad_u64_u32 v[2:3], s[10:11], v3, s28, v[2:3]
	v_or_b32_e32 v74, s15, v82
	v_mov_b32_e32 v1, v2
	v_lshl_add_u64 v[2:3], v[74:75], 2, s[20:21]
	v_lshl_add_u64 v[0:1], v[0:1], 2, v[68:69]
	v_lshl_add_u64 v[76:77], v[70:71], 2, v[2:3]
	flat_load_dword v0, v[0:1]
	v_lshl_add_u64 v[2:3], v[72:73], 2, v[2:3]
	flat_load_dword v74, v[76:77]
	flat_load_dword v1, v[2:3]
	s_waitcnt vmcnt(0) lgkmcnt(0)
	v_mul_f32_e32 v76, s19, v74
	v_pk_mul_f32 v[78:79], s[18:19], v[0:1]
.LBB29_20:                              ;   in Loop: Header=BB29_16 Depth=1
	s_mov_b32 s23, 0
	s_mov_b64 s[10:11], -1
.LBB29_21:                              ;   Parent Loop BB29_16 Depth=1
                                        ; =>  This Inner Loop Header: Depth=2
	v_cndmask_b32_e64 v0, 0, 1, s[10:11]
	s_lshl_b32 s10, s23, 2
	v_cmp_ne_u32_e32 vcc, 1, v0
	v_add_u32_e32 v0, s10, v91
	ds_read2_b64 v[94:97], v0 offset1:16
	ds_read2_b64 v[98:101], v0 offset0:32 offset1:48
	ds_read2_b64 v[102:105], v0 offset0:64 offset1:80
	;; [unrolled: 1-line block ×3, first 2 shown]
	v_add_u32_e32 v0, s10, v92
	ds_read2st64_b64 v[110:113], v0 offset1:1
	ds_read2st64_b64 v[0:3], v0 offset0:2 offset1:3
	s_waitcnt lgkmcnt(5)
	v_max_f32_e32 v77, v94, v94
	v_max_f32_e32 v96, v96, v96
	;; [unrolled: 1-line block ×3, first 2 shown]
	s_waitcnt lgkmcnt(1)
	v_max_f32_e32 v74, v110, v110
	v_max_f32_e32 v93, v111, v111
	;; [unrolled: 1-line block ×3, first 2 shown]
	v_min_f32_e32 v94, v77, v74
	v_min_f32_e32 v95, v110, v93
	v_pk_add_f32 v[66:67], v[94:95], v[66:67]
	v_min_f32_e32 v94, v96, v74
	v_min_f32_e32 v95, v97, v93
	v_max_f32_e32 v98, v98, v98
	v_max_f32_e32 v99, v99, v99
	v_pk_add_f32 v[64:65], v[94:95], v[64:65]
	v_min_f32_e32 v94, v98, v74
	v_min_f32_e32 v95, v99, v93
	v_max_f32_e32 v100, v100, v100
	v_max_f32_e32 v101, v101, v101
	;; [unrolled: 5-line block ×5, first 2 shown]
	v_pk_add_f32 v[56:57], v[94:95], v[56:57]
	v_min_f32_e32 v94, v106, v74
	v_min_f32_e32 v95, v107, v93
	v_max_f32_e32 v108, v108, v108
	v_pk_add_f32 v[54:55], v[94:95], v[54:55]
	v_min_f32_e32 v94, v108, v74
	v_max_f32_e32 v74, v109, v109
	v_min_f32_e32 v95, v74, v93
	v_max_f32_e32 v93, v112, v112
	v_max_f32_e32 v109, v113, v113
	v_pk_add_f32 v[52:53], v[94:95], v[52:53]
	v_min_f32_e32 v94, v77, v93
	v_min_f32_e32 v95, v110, v109
	v_pk_add_f32 v[50:51], v[94:95], v[50:51]
	v_min_f32_e32 v94, v96, v93
	v_min_f32_e32 v95, v97, v109
	;; [unrolled: 3-line block ×8, first 2 shown]
	v_pk_add_f32 v[36:37], v[94:95], v[36:37]
	s_waitcnt lgkmcnt(0)
	v_max_f32_e32 v93, v0, v0
	v_max_f32_e32 v94, v1, v1
	v_min_f32_e32 v0, v77, v93
	v_min_f32_e32 v1, v110, v94
	v_pk_add_f32 v[34:35], v[0:1], v[34:35]
	v_min_f32_e32 v0, v96, v93
	v_min_f32_e32 v1, v97, v94
	v_pk_add_f32 v[32:33], v[0:1], v[32:33]
	v_min_f32_e32 v0, v98, v93
	v_min_f32_e32 v1, v99, v94
	v_pk_add_f32 v[30:31], v[0:1], v[30:31]
	v_min_f32_e32 v0, v100, v93
	v_min_f32_e32 v1, v101, v94
	v_pk_add_f32 v[28:29], v[0:1], v[28:29]
	v_min_f32_e32 v0, v102, v93
	v_min_f32_e32 v1, v103, v94
	v_pk_add_f32 v[26:27], v[0:1], v[26:27]
	v_min_f32_e32 v0, v104, v93
	v_min_f32_e32 v1, v105, v94
	v_pk_add_f32 v[24:25], v[0:1], v[24:25]
	v_min_f32_e32 v0, v106, v93
	v_min_f32_e32 v1, v107, v94
	v_pk_add_f32 v[22:23], v[0:1], v[22:23]
	v_min_f32_e32 v0, v108, v93
	v_min_f32_e32 v1, v74, v94
	v_max_f32_e32 v2, v2, v2
	v_max_f32_e32 v3, v3, v3
	v_pk_add_f32 v[20:21], v[0:1], v[20:21]
	v_min_f32_e32 v0, v77, v2
	v_min_f32_e32 v1, v110, v3
	v_pk_add_f32 v[18:19], v[0:1], v[18:19]
	v_min_f32_e32 v0, v96, v2
	v_min_f32_e32 v1, v97, v3
	;; [unrolled: 3-line block ×8, first 2 shown]
	v_pk_add_f32 v[4:5], v[0:1], v[4:5]
	s_mov_b64 s[10:11], 0
	s_mov_b32 s23, 2
	s_cbranch_vccz .LBB29_21
; %bb.22:                               ;   in Loop: Header=BB29_16 Depth=1
	s_mov_b64 s[10:11], -1
	s_mov_b64 vcc, s[4:5]
	ds_write_b32 v87, v78
	ds_write2st64_b32 v85, v76, v79 offset1:4
	s_waitcnt lgkmcnt(0)
	s_barrier
                                        ; implicit-def: $vgpr76_vgpr77
	s_cbranch_vccz .LBB29_24
; %bb.23:                               ;   in Loop: Header=BB29_16 Depth=1
	v_mov_b32_e32 v76, v75
	s_mov_b64 s[10:11], 0
.LBB29_24:                              ;   in Loop: Header=BB29_16 Depth=1
	v_mov_b32_e32 v78, 0
	s_andn2_b64 vcc, exec, s[10:11]
	v_mov_b32_e32 v79, 0
	s_cbranch_vccnz .LBB29_26
; %bb.25:                               ;   in Loop: Header=BB29_16 Depth=1
	v_add_u32_e32 v3, s15, v84
	v_mad_u64_u32 v[0:1], s[10:11], v3, s27, 0
	v_mov_b32_e32 v2, v1
	v_mad_u64_u32 v[2:3], s[10:11], v3, s28, v[2:3]
	v_or_b32_e32 v74, s15, v82
	v_mov_b32_e32 v1, v2
	v_lshl_add_u64 v[2:3], v[74:75], 2, s[20:21]
	v_lshl_add_u64 v[0:1], v[0:1], 2, v[68:69]
	;; [unrolled: 1-line block ×3, first 2 shown]
	flat_load_dword v0, v[0:1]
	v_lshl_add_u64 v[2:3], v[72:73], 2, v[2:3]
	flat_load_dword v74, v[76:77] offset:16
	flat_load_dword v1, v[2:3] offset:16
	s_waitcnt vmcnt(0) lgkmcnt(0)
	v_mul_f32_e32 v76, s19, v74
	v_pk_mul_f32 v[78:79], s[18:19], v[0:1]
.LBB29_26:                              ;   in Loop: Header=BB29_16 Depth=1
	s_mov_b32 s23, 0
	s_mov_b64 s[10:11], -1
.LBB29_27:                              ;   Parent Loop BB29_16 Depth=1
                                        ; =>  This Inner Loop Header: Depth=2
	v_cndmask_b32_e64 v0, 0, 1, s[10:11]
	s_lshl_b32 s10, s23, 2
	v_cmp_ne_u32_e32 vcc, 1, v0
	v_add_u32_e32 v0, s10, v86
	ds_read2_b64 v[94:97], v0 offset1:16
	ds_read2_b64 v[98:101], v0 offset0:32 offset1:48
	ds_read2_b64 v[102:105], v0 offset0:64 offset1:80
	;; [unrolled: 1-line block ×3, first 2 shown]
	v_add_u32_e32 v0, s10, v88
	ds_read2st64_b64 v[110:113], v0 offset1:1
	ds_read2st64_b64 v[0:3], v0 offset0:2 offset1:3
	s_waitcnt lgkmcnt(5)
	v_max_f32_e32 v77, v94, v94
	v_max_f32_e32 v96, v96, v96
	v_max_f32_e32 v97, v97, v97
	s_waitcnt lgkmcnt(1)
	v_max_f32_e32 v74, v110, v110
	v_max_f32_e32 v93, v111, v111
	;; [unrolled: 1-line block ×3, first 2 shown]
	v_min_f32_e32 v94, v77, v74
	v_min_f32_e32 v95, v110, v93
	v_pk_add_f32 v[66:67], v[94:95], v[66:67]
	v_min_f32_e32 v94, v96, v74
	v_min_f32_e32 v95, v97, v93
	v_max_f32_e32 v98, v98, v98
	v_max_f32_e32 v99, v99, v99
	v_pk_add_f32 v[64:65], v[94:95], v[64:65]
	v_min_f32_e32 v94, v98, v74
	v_min_f32_e32 v95, v99, v93
	v_max_f32_e32 v100, v100, v100
	v_max_f32_e32 v101, v101, v101
	v_pk_add_f32 v[62:63], v[94:95], v[62:63]
	v_min_f32_e32 v94, v100, v74
	v_min_f32_e32 v95, v101, v93
	v_max_f32_e32 v102, v102, v102
	v_max_f32_e32 v103, v103, v103
	v_pk_add_f32 v[60:61], v[94:95], v[60:61]
	v_min_f32_e32 v94, v102, v74
	v_min_f32_e32 v95, v103, v93
	v_max_f32_e32 v104, v104, v104
	v_max_f32_e32 v105, v105, v105
	v_pk_add_f32 v[58:59], v[94:95], v[58:59]
	v_min_f32_e32 v94, v104, v74
	v_min_f32_e32 v95, v105, v93
	v_max_f32_e32 v106, v106, v106
	v_max_f32_e32 v107, v107, v107
	v_pk_add_f32 v[56:57], v[94:95], v[56:57]
	v_min_f32_e32 v94, v106, v74
	v_min_f32_e32 v95, v107, v93
	v_max_f32_e32 v108, v108, v108
	v_pk_add_f32 v[54:55], v[94:95], v[54:55]
	v_min_f32_e32 v94, v108, v74
	v_max_f32_e32 v74, v109, v109
	v_min_f32_e32 v95, v74, v93
	v_max_f32_e32 v93, v112, v112
	v_max_f32_e32 v109, v113, v113
	v_pk_add_f32 v[52:53], v[94:95], v[52:53]
	v_min_f32_e32 v94, v77, v93
	v_min_f32_e32 v95, v110, v109
	v_pk_add_f32 v[50:51], v[94:95], v[50:51]
	v_min_f32_e32 v94, v96, v93
	v_min_f32_e32 v95, v97, v109
	;; [unrolled: 3-line block ×8, first 2 shown]
	v_pk_add_f32 v[36:37], v[94:95], v[36:37]
	s_waitcnt lgkmcnt(0)
	v_max_f32_e32 v93, v0, v0
	v_max_f32_e32 v94, v1, v1
	v_min_f32_e32 v0, v77, v93
	v_min_f32_e32 v1, v110, v94
	v_pk_add_f32 v[34:35], v[0:1], v[34:35]
	v_min_f32_e32 v0, v96, v93
	v_min_f32_e32 v1, v97, v94
	v_pk_add_f32 v[32:33], v[0:1], v[32:33]
	;; [unrolled: 3-line block ×7, first 2 shown]
	v_min_f32_e32 v0, v108, v93
	v_min_f32_e32 v1, v74, v94
	v_max_f32_e32 v2, v2, v2
	v_max_f32_e32 v3, v3, v3
	v_pk_add_f32 v[20:21], v[0:1], v[20:21]
	v_min_f32_e32 v0, v77, v2
	v_min_f32_e32 v1, v110, v3
	v_pk_add_f32 v[18:19], v[0:1], v[18:19]
	v_min_f32_e32 v0, v96, v2
	v_min_f32_e32 v1, v97, v3
	;; [unrolled: 3-line block ×8, first 2 shown]
	v_pk_add_f32 v[4:5], v[0:1], v[4:5]
	s_mov_b64 s[10:11], 0
	s_mov_b32 s23, 2
	s_cbranch_vccz .LBB29_27
; %bb.28:                               ;   in Loop: Header=BB29_16 Depth=1
	s_add_i32 s15, s15, 8
	s_add_i32 s22, s22, 8
	s_cmp_ge_i32 s22, s14
	ds_write_b32 v89, v78
	ds_write2st64_b32 v90, v76, v79 offset1:4
	s_waitcnt lgkmcnt(0)
	s_barrier
	s_cbranch_scc0 .LBB29_16
.LBB29_29:
	v_mov_b32_e32 v0, 0x1400
	v_lshl_add_u32 v68, v80, 4, v0
	v_mov_b32_e32 v0, 0x800
	v_lshl_add_u32 v69, v81, 4, v0
	s_mov_b32 s10, 0
	s_mov_b64 s[4:5], -1
.LBB29_30:                              ; =>This Inner Loop Header: Depth=1
	v_cndmask_b32_e64 v0, 0, 1, s[4:5]
	s_lshl_b32 s4, s10, 2
	v_cmp_ne_u32_e32 vcc, 1, v0
	v_add_u32_e32 v0, s4, v68
	ds_read2_b64 v[70:73], v0 offset1:16
	ds_read2_b64 v[74:77], v0 offset0:32 offset1:48
	ds_read2_b64 v[82:85], v0 offset0:64 offset1:80
	;; [unrolled: 1-line block ×3, first 2 shown]
	v_add_u32_e32 v0, s4, v69
	ds_read2st64_b64 v[90:93], v0 offset1:1
	ds_read2st64_b64 v[0:3], v0 offset0:2 offset1:3
	s_waitcnt lgkmcnt(5)
	v_max_f32_e32 v79, v70, v70
	v_max_f32_e32 v72, v72, v72
	;; [unrolled: 1-line block ×3, first 2 shown]
	s_waitcnt lgkmcnt(1)
	v_max_f32_e32 v78, v90, v90
	v_max_f32_e32 v90, v91, v91
	;; [unrolled: 1-line block ×3, first 2 shown]
	v_min_f32_e32 v70, v79, v78
	v_min_f32_e32 v71, v91, v90
	v_pk_add_f32 v[66:67], v[70:71], v[66:67]
	v_min_f32_e32 v70, v72, v78
	v_min_f32_e32 v71, v73, v90
	v_max_f32_e32 v74, v74, v74
	v_max_f32_e32 v75, v75, v75
	v_pk_add_f32 v[64:65], v[70:71], v[64:65]
	v_min_f32_e32 v70, v74, v78
	v_min_f32_e32 v71, v75, v90
	v_max_f32_e32 v76, v76, v76
	v_max_f32_e32 v77, v77, v77
	;; [unrolled: 5-line block ×5, first 2 shown]
	v_pk_add_f32 v[56:57], v[70:71], v[56:57]
	v_min_f32_e32 v70, v86, v78
	v_min_f32_e32 v71, v87, v90
	v_max_f32_e32 v88, v88, v88
	v_pk_add_f32 v[54:55], v[70:71], v[54:55]
	v_min_f32_e32 v70, v88, v78
	v_max_f32_e32 v78, v89, v89
	v_min_f32_e32 v71, v78, v90
	v_max_f32_e32 v89, v92, v92
	v_max_f32_e32 v90, v93, v93
	v_pk_add_f32 v[52:53], v[70:71], v[52:53]
	v_min_f32_e32 v70, v79, v89
	v_min_f32_e32 v71, v91, v90
	v_pk_add_f32 v[50:51], v[70:71], v[50:51]
	v_min_f32_e32 v70, v72, v89
	v_min_f32_e32 v71, v73, v90
	;; [unrolled: 3-line block ×8, first 2 shown]
	v_pk_add_f32 v[36:37], v[70:71], v[36:37]
	s_waitcnt lgkmcnt(0)
	v_max_f32_e32 v70, v0, v0
	v_max_f32_e32 v71, v1, v1
	v_min_f32_e32 v0, v79, v70
	v_min_f32_e32 v1, v91, v71
	v_pk_add_f32 v[34:35], v[0:1], v[34:35]
	v_min_f32_e32 v0, v72, v70
	v_min_f32_e32 v1, v73, v71
	v_pk_add_f32 v[32:33], v[0:1], v[32:33]
	;; [unrolled: 3-line block ×7, first 2 shown]
	v_min_f32_e32 v0, v88, v70
	v_min_f32_e32 v1, v78, v71
	v_max_f32_e32 v2, v2, v2
	v_max_f32_e32 v3, v3, v3
	v_pk_add_f32 v[20:21], v[0:1], v[20:21]
	v_min_f32_e32 v0, v79, v2
	v_min_f32_e32 v1, v91, v3
	v_pk_add_f32 v[18:19], v[0:1], v[18:19]
	v_min_f32_e32 v0, v72, v2
	v_min_f32_e32 v1, v73, v3
	;; [unrolled: 3-line block ×8, first 2 shown]
	v_pk_add_f32 v[4:5], v[0:1], v[4:5]
	s_mov_b64 s[4:5], 0
	s_mov_b32 s10, 2
	s_cbranch_vccz .LBB29_30
; %bb.31:
	s_load_dword s10, s[0:1], 0x50
	v_add_u32_e32 v72, s13, v81
	v_add_u32_e32 v0, s12, v80
	v_ashrrev_i32_e32 v1, 31, v0
	v_mov_b32_e32 v73, 0
	s_waitcnt lgkmcnt(0)
	v_mad_i64_i32 v[2:3], s[4:5], v72, s10, 0
	v_lshl_add_u64 v[68:69], v[2:3], 2, s[16:17]
	v_cndmask_b32_e64 v2, 0, 1, s[6:7]
	v_cmp_ne_u32_e64 s[4:5], 1, v2
	s_andn2_b64 vcc, exec, s[6:7]
	v_mov_b32_e32 v74, 0
	s_cbranch_vccnz .LBB29_33
; %bb.32:
	v_lshl_add_u64 v[2:3], v[0:1], 2, v[68:69]
	flat_load_dword v2, v[2:3]
	s_waitcnt vmcnt(0) lgkmcnt(0)
	v_mul_f32_e32 v74, s26, v2
.LBB29_33:
	s_load_dwordx2 s[12:13], s[0:1], 0x70
	s_load_dword s6, s[0:1], 0x68
	v_add_u32_e32 v2, 8, v0
	v_add_f32_e32 v66, v66, v67
	v_ashrrev_i32_e32 v3, 31, v2
	s_waitcnt lgkmcnt(0)
	s_lshl_b64 s[0:1], s[12:13], 2
	s_add_u32 s0, s2, s0
	s_addc_u32 s1, s3, s1
	v_mad_i64_i32 v[70:71], s[2:3], v72, s6, 0
	v_lshl_add_u64 v[70:71], v[70:71], 2, s[0:1]
	v_add_f32_e32 v74, v66, v74
	v_lshl_add_u64 v[66:67], v[0:1], 2, v[70:71]
	s_and_b64 vcc, exec, s[4:5]
	flat_store_dword v[66:67], v74
	s_cbranch_vccnz .LBB29_35
; %bb.34:
	v_lshl_add_u64 v[66:67], v[2:3], 2, v[68:69]
	flat_load_dword v66, v[66:67]
	s_waitcnt vmcnt(0) lgkmcnt(0)
	v_mul_f32_e32 v73, s26, v66
.LBB29_35:
	v_add_f32_e32 v66, v64, v65
	v_add_u32_e32 v64, 16, v0
	v_add_f32_e32 v73, v66, v73
	v_lshl_add_u64 v[66:67], v[2:3], 2, v[70:71]
	v_ashrrev_i32_e32 v65, 31, v64
	flat_store_dword v[66:67], v73
	v_mov_b32_e32 v66, 0
	s_and_b64 vcc, exec, s[4:5]
	v_mov_b32_e32 v67, 0
	s_cbranch_vccnz .LBB29_37
; %bb.36:
	v_lshl_add_u64 v[74:75], v[64:65], 2, v[68:69]
	flat_load_dword v67, v[74:75]
	s_waitcnt vmcnt(0) lgkmcnt(0)
	v_mul_f32_e32 v67, s26, v67
.LBB29_37:
	v_add_f32_e32 v73, v62, v63
	v_add_u32_e32 v62, 24, v0
	v_ashrrev_i32_e32 v63, 31, v62
	v_add_f32_e32 v67, v73, v67
	v_lshl_add_u64 v[74:75], v[64:65], 2, v[70:71]
	s_and_b64 vcc, exec, s[4:5]
	flat_store_dword v[74:75], v67
	s_cbranch_vccnz .LBB29_39
; %bb.38:
	v_lshl_add_u64 v[66:67], v[62:63], 2, v[68:69]
	flat_load_dword v66, v[66:67]
	s_waitcnt vmcnt(0) lgkmcnt(0)
	v_mul_f32_e32 v66, s26, v66
.LBB29_39:
	v_add_f32_e32 v67, v60, v61
	v_add_u32_e32 v60, 32, v0
	v_add_f32_e32 v73, v67, v66
	v_lshl_add_u64 v[66:67], v[62:63], 2, v[70:71]
	v_ashrrev_i32_e32 v61, 31, v60
	flat_store_dword v[66:67], v73
	v_mov_b32_e32 v66, 0
	s_and_b64 vcc, exec, s[4:5]
	v_mov_b32_e32 v67, 0
	s_cbranch_vccnz .LBB29_41
; %bb.40:
	v_lshl_add_u64 v[74:75], v[60:61], 2, v[68:69]
	flat_load_dword v67, v[74:75]
	s_waitcnt vmcnt(0) lgkmcnt(0)
	v_mul_f32_e32 v67, s26, v67
.LBB29_41:
	v_add_f32_e32 v73, v58, v59
	v_add_u32_e32 v58, 40, v0
	v_ashrrev_i32_e32 v59, 31, v58
	;; [unrolled: 30-line block ×3, first 2 shown]
	v_add_f32_e32 v67, v73, v67
	v_lshl_add_u64 v[74:75], v[56:57], 2, v[70:71]
	s_and_b64 vcc, exec, s[4:5]
	flat_store_dword v[74:75], v67
	s_cbranch_vccnz .LBB29_47
; %bb.46:
	v_lshl_add_u64 v[66:67], v[54:55], 2, v[68:69]
	flat_load_dword v66, v[66:67]
	s_waitcnt vmcnt(0) lgkmcnt(0)
	v_mul_f32_e32 v66, s26, v66
.LBB29_47:
	v_add_f32_e32 v52, v52, v53
	v_add_f32_e32 v66, v52, v66
	v_lshl_add_u64 v[52:53], v[54:55], 2, v[70:71]
	flat_store_dword v[52:53], v66
	v_add_u32_e32 v66, 32, v72
	v_mad_i64_i32 v[52:53], s[2:3], v66, s10, 0
	v_lshl_add_u64 v[52:53], v[52:53], 2, s[16:17]
	v_mov_b32_e32 v68, 0
	s_and_b64 vcc, exec, s[4:5]
	v_mov_b32_e32 v69, 0
	s_cbranch_vccnz .LBB29_49
; %bb.48:
	v_lshl_add_u64 v[70:71], v[0:1], 2, v[52:53]
	flat_load_dword v67, v[70:71]
	s_waitcnt vmcnt(0) lgkmcnt(0)
	v_mul_f32_e32 v69, s26, v67
.LBB29_49:
	v_mad_i64_i32 v[66:67], s[2:3], v66, s6, 0
	v_lshl_add_u64 v[66:67], v[66:67], 2, s[0:1]
	v_add_f32_e32 v50, v50, v51
	v_add_f32_e32 v69, v50, v69
	v_lshl_add_u64 v[50:51], v[0:1], 2, v[66:67]
	s_and_b64 vcc, exec, s[4:5]
	flat_store_dword v[50:51], v69
	s_cbranch_vccnz .LBB29_51
; %bb.50:
	v_lshl_add_u64 v[50:51], v[2:3], 2, v[52:53]
	flat_load_dword v50, v[50:51]
	s_waitcnt vmcnt(0) lgkmcnt(0)
	v_mul_f32_e32 v68, s26, v50
.LBB29_51:
	v_add_f32_e32 v48, v48, v49
	v_add_f32_e32 v50, v48, v68
	v_lshl_add_u64 v[48:49], v[2:3], 2, v[66:67]
	flat_store_dword v[48:49], v50
	v_mov_b32_e32 v48, 0
	s_and_b64 vcc, exec, s[4:5]
	v_mov_b32_e32 v49, 0
	s_cbranch_vccnz .LBB29_53
; %bb.52:
	v_lshl_add_u64 v[50:51], v[64:65], 2, v[52:53]
	flat_load_dword v49, v[50:51]
	s_waitcnt vmcnt(0) lgkmcnt(0)
	v_mul_f32_e32 v49, s26, v49
.LBB29_53:
	v_add_f32_e32 v46, v46, v47
	v_add_f32_e32 v49, v46, v49
	v_lshl_add_u64 v[46:47], v[64:65], 2, v[66:67]
	s_and_b64 vcc, exec, s[4:5]
	flat_store_dword v[46:47], v49
	s_cbranch_vccnz .LBB29_55
; %bb.54:
	v_lshl_add_u64 v[46:47], v[62:63], 2, v[52:53]
	flat_load_dword v46, v[46:47]
	s_waitcnt vmcnt(0) lgkmcnt(0)
	v_mul_f32_e32 v48, s26, v46
.LBB29_55:
	v_add_f32_e32 v44, v44, v45
	v_add_f32_e32 v46, v44, v48
	v_lshl_add_u64 v[44:45], v[62:63], 2, v[66:67]
	flat_store_dword v[44:45], v46
	v_mov_b32_e32 v44, 0
	s_and_b64 vcc, exec, s[4:5]
	v_mov_b32_e32 v45, 0
	s_cbranch_vccnz .LBB29_57
; %bb.56:
	v_lshl_add_u64 v[46:47], v[60:61], 2, v[52:53]
	flat_load_dword v45, v[46:47]
	s_waitcnt vmcnt(0) lgkmcnt(0)
	v_mul_f32_e32 v45, s26, v45
.LBB29_57:
	;; [unrolled: 26-line block ×3, first 2 shown]
	v_add_f32_e32 v38, v38, v39
	v_add_f32_e32 v41, v38, v41
	v_lshl_add_u64 v[38:39], v[56:57], 2, v[66:67]
	s_and_b64 vcc, exec, s[4:5]
	flat_store_dword v[38:39], v41
	s_cbranch_vccnz .LBB29_63
; %bb.62:
	v_lshl_add_u64 v[38:39], v[54:55], 2, v[52:53]
	flat_load_dword v38, v[38:39]
	s_waitcnt vmcnt(0) lgkmcnt(0)
	v_mul_f32_e32 v40, s26, v38
.LBB29_63:
	v_add_f32_e32 v36, v36, v37
	v_add_f32_e32 v38, v36, v40
	v_lshl_add_u64 v[36:37], v[54:55], 2, v[66:67]
	flat_store_dword v[36:37], v38
	v_add_u32_e32 v38, 64, v72
	v_mad_i64_i32 v[36:37], s[2:3], v38, s10, 0
	v_lshl_add_u64 v[36:37], v[36:37], 2, s[16:17]
	v_mov_b32_e32 v40, 0
	s_and_b64 vcc, exec, s[4:5]
	v_mov_b32_e32 v41, 0
	s_cbranch_vccnz .LBB29_65
; %bb.64:
	v_lshl_add_u64 v[42:43], v[0:1], 2, v[36:37]
	flat_load_dword v39, v[42:43]
	s_waitcnt vmcnt(0) lgkmcnt(0)
	v_mul_f32_e32 v41, s26, v39
.LBB29_65:
	v_mad_i64_i32 v[38:39], s[2:3], v38, s6, 0
	v_lshl_add_u64 v[38:39], v[38:39], 2, s[0:1]
	v_add_f32_e32 v34, v34, v35
	v_add_f32_e32 v41, v34, v41
	v_lshl_add_u64 v[34:35], v[0:1], 2, v[38:39]
	s_and_b64 vcc, exec, s[4:5]
	flat_store_dword v[34:35], v41
	s_cbranch_vccnz .LBB29_67
; %bb.66:
	v_lshl_add_u64 v[34:35], v[2:3], 2, v[36:37]
	flat_load_dword v34, v[34:35]
	s_waitcnt vmcnt(0) lgkmcnt(0)
	v_mul_f32_e32 v40, s26, v34
.LBB29_67:
	v_add_f32_e32 v32, v32, v33
	v_add_f32_e32 v34, v32, v40
	v_lshl_add_u64 v[32:33], v[2:3], 2, v[38:39]
	flat_store_dword v[32:33], v34
	v_mov_b32_e32 v32, 0
	s_and_b64 vcc, exec, s[4:5]
	v_mov_b32_e32 v33, 0
	s_cbranch_vccnz .LBB29_69
; %bb.68:
	v_lshl_add_u64 v[34:35], v[64:65], 2, v[36:37]
	flat_load_dword v33, v[34:35]
	s_waitcnt vmcnt(0) lgkmcnt(0)
	v_mul_f32_e32 v33, s26, v33
.LBB29_69:
	v_add_f32_e32 v30, v30, v31
	v_add_f32_e32 v33, v30, v33
	v_lshl_add_u64 v[30:31], v[64:65], 2, v[38:39]
	s_and_b64 vcc, exec, s[4:5]
	flat_store_dword v[30:31], v33
	s_cbranch_vccnz .LBB29_71
; %bb.70:
	v_lshl_add_u64 v[30:31], v[62:63], 2, v[36:37]
	flat_load_dword v30, v[30:31]
	s_waitcnt vmcnt(0) lgkmcnt(0)
	v_mul_f32_e32 v32, s26, v30
.LBB29_71:
	v_add_f32_e32 v28, v28, v29
	v_add_f32_e32 v30, v28, v32
	v_lshl_add_u64 v[28:29], v[62:63], 2, v[38:39]
	flat_store_dword v[28:29], v30
	v_mov_b32_e32 v28, 0
	s_and_b64 vcc, exec, s[4:5]
	v_mov_b32_e32 v29, 0
	s_cbranch_vccnz .LBB29_73
; %bb.72:
	v_lshl_add_u64 v[30:31], v[60:61], 2, v[36:37]
	flat_load_dword v29, v[30:31]
	s_waitcnt vmcnt(0) lgkmcnt(0)
	v_mul_f32_e32 v29, s26, v29
.LBB29_73:
	;; [unrolled: 26-line block ×3, first 2 shown]
	v_add_f32_e32 v22, v22, v23
	v_add_f32_e32 v25, v22, v25
	v_lshl_add_u64 v[22:23], v[56:57], 2, v[38:39]
	s_and_b64 vcc, exec, s[4:5]
	flat_store_dword v[22:23], v25
	s_cbranch_vccnz .LBB29_79
; %bb.78:
	v_lshl_add_u64 v[22:23], v[54:55], 2, v[36:37]
	flat_load_dword v22, v[22:23]
	s_waitcnt vmcnt(0) lgkmcnt(0)
	v_mul_f32_e32 v24, s26, v22
.LBB29_79:
	v_add_f32_e32 v20, v20, v21
	v_add_f32_e32 v22, v20, v24
	v_lshl_add_u64 v[20:21], v[54:55], 2, v[38:39]
	flat_store_dword v[20:21], v22
	v_add_u32_e32 v22, 0x60, v72
	v_mad_i64_i32 v[20:21], s[2:3], v22, s10, 0
	v_lshl_add_u64 v[20:21], v[20:21], 2, s[16:17]
	v_mov_b32_e32 v24, 0
	s_and_b64 vcc, exec, s[4:5]
	v_mov_b32_e32 v25, 0
	s_cbranch_vccnz .LBB29_81
; %bb.80:
	v_lshl_add_u64 v[26:27], v[0:1], 2, v[20:21]
	flat_load_dword v23, v[26:27]
	s_waitcnt vmcnt(0) lgkmcnt(0)
	v_mul_f32_e32 v25, s26, v23
.LBB29_81:
	v_mad_i64_i32 v[22:23], s[2:3], v22, s6, 0
	v_lshl_add_u64 v[22:23], v[22:23], 2, s[0:1]
	v_add_f32_e32 v18, v18, v19
	v_add_f32_e32 v18, v18, v25
	v_lshl_add_u64 v[0:1], v[0:1], 2, v[22:23]
	s_and_b64 vcc, exec, s[4:5]
	flat_store_dword v[0:1], v18
	s_cbranch_vccnz .LBB29_83
; %bb.82:
	v_lshl_add_u64 v[0:1], v[2:3], 2, v[20:21]
	flat_load_dword v0, v[0:1]
	s_waitcnt vmcnt(0) lgkmcnt(0)
	v_mul_f32_e32 v24, s26, v0
.LBB29_83:
	v_add_f32_e32 v0, v16, v17
	v_add_f32_e32 v16, v0, v24
	v_lshl_add_u64 v[0:1], v[2:3], 2, v[22:23]
	flat_store_dword v[0:1], v16
	v_mov_b32_e32 v0, 0
	s_and_b64 vcc, exec, s[4:5]
	v_mov_b32_e32 v1, 0
	s_cbranch_vccnz .LBB29_85
; %bb.84:
	v_lshl_add_u64 v[2:3], v[64:65], 2, v[20:21]
	flat_load_dword v1, v[2:3]
	s_waitcnt vmcnt(0) lgkmcnt(0)
	v_mul_f32_e32 v1, s26, v1
.LBB29_85:
	v_add_f32_e32 v2, v14, v15
	v_add_f32_e32 v1, v2, v1
	v_lshl_add_u64 v[2:3], v[64:65], 2, v[22:23]
	s_and_b64 vcc, exec, s[4:5]
	flat_store_dword v[2:3], v1
	s_cbranch_vccnz .LBB29_87
; %bb.86:
	v_lshl_add_u64 v[0:1], v[62:63], 2, v[20:21]
	flat_load_dword v0, v[0:1]
	s_waitcnt vmcnt(0) lgkmcnt(0)
	v_mul_f32_e32 v0, s26, v0
.LBB29_87:
	v_add_f32_e32 v1, v12, v13
	v_add_f32_e32 v2, v1, v0
	v_lshl_add_u64 v[0:1], v[62:63], 2, v[22:23]
	flat_store_dword v[0:1], v2
	v_mov_b32_e32 v0, 0
	s_and_b64 vcc, exec, s[4:5]
	v_mov_b32_e32 v1, 0
	s_cbranch_vccnz .LBB29_89
; %bb.88:
	v_lshl_add_u64 v[2:3], v[60:61], 2, v[20:21]
	flat_load_dword v1, v[2:3]
	s_waitcnt vmcnt(0) lgkmcnt(0)
	v_mul_f32_e32 v1, s26, v1
.LBB29_89:
	v_add_f32_e32 v2, v10, v11
	v_add_f32_e32 v1, v2, v1
	v_lshl_add_u64 v[2:3], v[60:61], 2, v[22:23]
	s_and_b64 vcc, exec, s[4:5]
	flat_store_dword v[2:3], v1
	s_cbranch_vccnz .LBB29_91
; %bb.90:
	v_lshl_add_u64 v[0:1], v[58:59], 2, v[20:21]
	flat_load_dword v0, v[0:1]
	s_waitcnt vmcnt(0) lgkmcnt(0)
	v_mul_f32_e32 v0, s26, v0
.LBB29_91:
	v_add_f32_e32 v1, v8, v9
	v_add_f32_e32 v2, v1, v0
	v_lshl_add_u64 v[0:1], v[58:59], 2, v[22:23]
	flat_store_dword v[0:1], v2
	v_add_f32_e32 v0, v6, v7
	s_mov_b64 s[0:1], -1
	s_mov_b64 vcc, s[8:9]
	s_cbranch_vccz .LBB29_93
; %bb.92:
	v_add_f32_e32 v1, 0, v0
	v_lshl_add_u64 v[2:3], v[56:57], 2, v[22:23]
	flat_store_dword v[2:3], v1
	s_mov_b64 s[0:1], 0
.LBB29_93:
	s_andn2_b64 vcc, exec, s[0:1]
	v_mov_b32_e32 v1, 0
	s_cbranch_vccnz .LBB29_95
; %bb.94:
	v_lshlrev_b64 v[2:3], 2, v[56:57]
	v_lshl_add_u64 v[6:7], v[20:21], 0, v[2:3]
	flat_load_dword v1, v[6:7]
	v_lshl_add_u64 v[2:3], v[22:23], 0, v[2:3]
	s_waitcnt vmcnt(0) lgkmcnt(0)
	v_fmac_f32_e32 v0, s26, v1
	flat_store_dword v[2:3], v0
	v_lshl_add_u64 v[0:1], v[54:55], 2, v[20:21]
	flat_load_dword v0, v[0:1]
	s_waitcnt vmcnt(0) lgkmcnt(0)
	v_mul_f32_e32 v1, s26, v0
.LBB29_95:
	v_add_f32_e32 v0, v4, v5
	v_add_f32_e32 v2, v0, v1
	v_lshl_add_u64 v[0:1], v[54:55], 2, v[22:23]
	flat_store_dword v[0:1], v2
	s_endpgm
	.section	.rodata,"a",@progbits
	.p2align	6, 0x0
	.amdhsa_kernel _ZN12_GLOBAL__N_120geam_min_plus_kernelIf15HIP_vector_typeIfLj2EES2_Li8ELi32ELi64ELi128ELi4ELi64ELi4ELi4ELi64ELc78ELc78ELb0ELb0ELb0EfKPKfKPfEEviiiT16_PT17_ilSA_ilS8_SA_ilPT18_ili26rocblas_geam_ex_operation_
		.amdhsa_group_segment_fixed_size 6144
		.amdhsa_private_segment_fixed_size 0
		.amdhsa_kernarg_size 128
		.amdhsa_user_sgpr_count 2
		.amdhsa_user_sgpr_dispatch_ptr 0
		.amdhsa_user_sgpr_queue_ptr 0
		.amdhsa_user_sgpr_kernarg_segment_ptr 1
		.amdhsa_user_sgpr_dispatch_id 0
		.amdhsa_user_sgpr_kernarg_preload_length 0
		.amdhsa_user_sgpr_kernarg_preload_offset 0
		.amdhsa_user_sgpr_private_segment_size 0
		.amdhsa_uses_dynamic_stack 0
		.amdhsa_enable_private_segment 0
		.amdhsa_system_sgpr_workgroup_id_x 1
		.amdhsa_system_sgpr_workgroup_id_y 0
		.amdhsa_system_sgpr_workgroup_id_z 1
		.amdhsa_system_sgpr_workgroup_info 0
		.amdhsa_system_vgpr_workitem_id 1
		.amdhsa_next_free_vgpr 114
		.amdhsa_next_free_sgpr 30
		.amdhsa_accum_offset 116
		.amdhsa_reserve_vcc 1
		.amdhsa_float_round_mode_32 0
		.amdhsa_float_round_mode_16_64 0
		.amdhsa_float_denorm_mode_32 3
		.amdhsa_float_denorm_mode_16_64 3
		.amdhsa_dx10_clamp 1
		.amdhsa_ieee_mode 1
		.amdhsa_fp16_overflow 0
		.amdhsa_tg_split 0
		.amdhsa_exception_fp_ieee_invalid_op 0
		.amdhsa_exception_fp_denorm_src 0
		.amdhsa_exception_fp_ieee_div_zero 0
		.amdhsa_exception_fp_ieee_overflow 0
		.amdhsa_exception_fp_ieee_underflow 0
		.amdhsa_exception_fp_ieee_inexact 0
		.amdhsa_exception_int_div_zero 0
	.end_amdhsa_kernel
	.section	.text._ZN12_GLOBAL__N_120geam_min_plus_kernelIf15HIP_vector_typeIfLj2EES2_Li8ELi32ELi64ELi128ELi4ELi64ELi4ELi4ELi64ELc78ELc78ELb0ELb0ELb0EfKPKfKPfEEviiiT16_PT17_ilSA_ilS8_SA_ilPT18_ili26rocblas_geam_ex_operation_,"axG",@progbits,_ZN12_GLOBAL__N_120geam_min_plus_kernelIf15HIP_vector_typeIfLj2EES2_Li8ELi32ELi64ELi128ELi4ELi64ELi4ELi4ELi64ELc78ELc78ELb0ELb0ELb0EfKPKfKPfEEviiiT16_PT17_ilSA_ilS8_SA_ilPT18_ili26rocblas_geam_ex_operation_,comdat
.Lfunc_end29:
	.size	_ZN12_GLOBAL__N_120geam_min_plus_kernelIf15HIP_vector_typeIfLj2EES2_Li8ELi32ELi64ELi128ELi4ELi64ELi4ELi4ELi64ELc78ELc78ELb0ELb0ELb0EfKPKfKPfEEviiiT16_PT17_ilSA_ilS8_SA_ilPT18_ili26rocblas_geam_ex_operation_, .Lfunc_end29-_ZN12_GLOBAL__N_120geam_min_plus_kernelIf15HIP_vector_typeIfLj2EES2_Li8ELi32ELi64ELi128ELi4ELi64ELi4ELi4ELi64ELc78ELc78ELb0ELb0ELb0EfKPKfKPfEEviiiT16_PT17_ilSA_ilS8_SA_ilPT18_ili26rocblas_geam_ex_operation_
                                        ; -- End function
	.set _ZN12_GLOBAL__N_120geam_min_plus_kernelIf15HIP_vector_typeIfLj2EES2_Li8ELi32ELi64ELi128ELi4ELi64ELi4ELi4ELi64ELc78ELc78ELb0ELb0ELb0EfKPKfKPfEEviiiT16_PT17_ilSA_ilS8_SA_ilPT18_ili26rocblas_geam_ex_operation_.num_vgpr, 114
	.set _ZN12_GLOBAL__N_120geam_min_plus_kernelIf15HIP_vector_typeIfLj2EES2_Li8ELi32ELi64ELi128ELi4ELi64ELi4ELi4ELi64ELc78ELc78ELb0ELb0ELb0EfKPKfKPfEEviiiT16_PT17_ilSA_ilS8_SA_ilPT18_ili26rocblas_geam_ex_operation_.num_agpr, 0
	.set _ZN12_GLOBAL__N_120geam_min_plus_kernelIf15HIP_vector_typeIfLj2EES2_Li8ELi32ELi64ELi128ELi4ELi64ELi4ELi4ELi64ELc78ELc78ELb0ELb0ELb0EfKPKfKPfEEviiiT16_PT17_ilSA_ilS8_SA_ilPT18_ili26rocblas_geam_ex_operation_.numbered_sgpr, 30
	.set _ZN12_GLOBAL__N_120geam_min_plus_kernelIf15HIP_vector_typeIfLj2EES2_Li8ELi32ELi64ELi128ELi4ELi64ELi4ELi4ELi64ELc78ELc78ELb0ELb0ELb0EfKPKfKPfEEviiiT16_PT17_ilSA_ilS8_SA_ilPT18_ili26rocblas_geam_ex_operation_.num_named_barrier, 0
	.set _ZN12_GLOBAL__N_120geam_min_plus_kernelIf15HIP_vector_typeIfLj2EES2_Li8ELi32ELi64ELi128ELi4ELi64ELi4ELi4ELi64ELc78ELc78ELb0ELb0ELb0EfKPKfKPfEEviiiT16_PT17_ilSA_ilS8_SA_ilPT18_ili26rocblas_geam_ex_operation_.private_seg_size, 0
	.set _ZN12_GLOBAL__N_120geam_min_plus_kernelIf15HIP_vector_typeIfLj2EES2_Li8ELi32ELi64ELi128ELi4ELi64ELi4ELi4ELi64ELc78ELc78ELb0ELb0ELb0EfKPKfKPfEEviiiT16_PT17_ilSA_ilS8_SA_ilPT18_ili26rocblas_geam_ex_operation_.uses_vcc, 1
	.set _ZN12_GLOBAL__N_120geam_min_plus_kernelIf15HIP_vector_typeIfLj2EES2_Li8ELi32ELi64ELi128ELi4ELi64ELi4ELi4ELi64ELc78ELc78ELb0ELb0ELb0EfKPKfKPfEEviiiT16_PT17_ilSA_ilS8_SA_ilPT18_ili26rocblas_geam_ex_operation_.uses_flat_scratch, 0
	.set _ZN12_GLOBAL__N_120geam_min_plus_kernelIf15HIP_vector_typeIfLj2EES2_Li8ELi32ELi64ELi128ELi4ELi64ELi4ELi4ELi64ELc78ELc78ELb0ELb0ELb0EfKPKfKPfEEviiiT16_PT17_ilSA_ilS8_SA_ilPT18_ili26rocblas_geam_ex_operation_.has_dyn_sized_stack, 0
	.set _ZN12_GLOBAL__N_120geam_min_plus_kernelIf15HIP_vector_typeIfLj2EES2_Li8ELi32ELi64ELi128ELi4ELi64ELi4ELi4ELi64ELc78ELc78ELb0ELb0ELb0EfKPKfKPfEEviiiT16_PT17_ilSA_ilS8_SA_ilPT18_ili26rocblas_geam_ex_operation_.has_recursion, 0
	.set _ZN12_GLOBAL__N_120geam_min_plus_kernelIf15HIP_vector_typeIfLj2EES2_Li8ELi32ELi64ELi128ELi4ELi64ELi4ELi4ELi64ELc78ELc78ELb0ELb0ELb0EfKPKfKPfEEviiiT16_PT17_ilSA_ilS8_SA_ilPT18_ili26rocblas_geam_ex_operation_.has_indirect_call, 0
	.section	.AMDGPU.csdata,"",@progbits
; Kernel info:
; codeLenInByte = 6732
; TotalNumSgprs: 36
; NumVgprs: 114
; NumAgprs: 0
; TotalNumVgprs: 114
; ScratchSize: 0
; MemoryBound: 0
; FloatMode: 240
; IeeeMode: 1
; LDSByteSize: 6144 bytes/workgroup (compile time only)
; SGPRBlocks: 4
; VGPRBlocks: 14
; NumSGPRsForWavesPerEU: 36
; NumVGPRsForWavesPerEU: 114
; AccumOffset: 116
; Occupancy: 4
; WaveLimiterHint : 1
; COMPUTE_PGM_RSRC2:SCRATCH_EN: 0
; COMPUTE_PGM_RSRC2:USER_SGPR: 2
; COMPUTE_PGM_RSRC2:TRAP_HANDLER: 0
; COMPUTE_PGM_RSRC2:TGID_X_EN: 1
; COMPUTE_PGM_RSRC2:TGID_Y_EN: 0
; COMPUTE_PGM_RSRC2:TGID_Z_EN: 1
; COMPUTE_PGM_RSRC2:TIDIG_COMP_CNT: 1
; COMPUTE_PGM_RSRC3_GFX90A:ACCUM_OFFSET: 28
; COMPUTE_PGM_RSRC3_GFX90A:TG_SPLIT: 0
	.section	.text._ZN12_GLOBAL__N_120geam_min_plus_kernelIf15HIP_vector_typeIfLj2EES2_Li8ELi32ELi64ELi128ELi4ELi64ELi4ELi4ELi64ELc78ELc78ELb0ELb1ELb0EPKfKS4_KPfEEviiiT16_PT17_ilSA_ilS8_SA_ilPT18_ili26rocblas_geam_ex_operation_,"axG",@progbits,_ZN12_GLOBAL__N_120geam_min_plus_kernelIf15HIP_vector_typeIfLj2EES2_Li8ELi32ELi64ELi128ELi4ELi64ELi4ELi4ELi64ELc78ELc78ELb0ELb1ELb0EPKfKS4_KPfEEviiiT16_PT17_ilSA_ilS8_SA_ilPT18_ili26rocblas_geam_ex_operation_,comdat
	.globl	_ZN12_GLOBAL__N_120geam_min_plus_kernelIf15HIP_vector_typeIfLj2EES2_Li8ELi32ELi64ELi128ELi4ELi64ELi4ELi4ELi64ELc78ELc78ELb0ELb1ELb0EPKfKS4_KPfEEviiiT16_PT17_ilSA_ilS8_SA_ilPT18_ili26rocblas_geam_ex_operation_ ; -- Begin function _ZN12_GLOBAL__N_120geam_min_plus_kernelIf15HIP_vector_typeIfLj2EES2_Li8ELi32ELi64ELi128ELi4ELi64ELi4ELi4ELi64ELc78ELc78ELb0ELb1ELb0EPKfKS4_KPfEEviiiT16_PT17_ilSA_ilS8_SA_ilPT18_ili26rocblas_geam_ex_operation_
	.p2align	8
	.type	_ZN12_GLOBAL__N_120geam_min_plus_kernelIf15HIP_vector_typeIfLj2EES2_Li8ELi32ELi64ELi128ELi4ELi64ELi4ELi4ELi64ELc78ELc78ELb0ELb1ELb0EPKfKS4_KPfEEviiiT16_PT17_ilSA_ilS8_SA_ilPT18_ili26rocblas_geam_ex_operation_,@function
_ZN12_GLOBAL__N_120geam_min_plus_kernelIf15HIP_vector_typeIfLj2EES2_Li8ELi32ELi64ELi128ELi4ELi64ELi4ELi4ELi64ELc78ELc78ELb0ELb1ELb0EPKfKS4_KPfEEviiiT16_PT17_ilSA_ilS8_SA_ilPT18_ili26rocblas_geam_ex_operation_: ; @_ZN12_GLOBAL__N_120geam_min_plus_kernelIf15HIP_vector_typeIfLj2EES2_Li8ELi32ELi64ELi128ELi4ELi64ELi4ELi4ELi64ELc78ELc78ELb0ELb1ELb0EPKfKS4_KPfEEviiiT16_PT17_ilSA_ilS8_SA_ilPT18_ili26rocblas_geam_ex_operation_
; %bb.0:
	s_load_dwordx4 s[12:15], s[0:1], 0x10
	s_load_dwordx4 s[8:11], s[0:1], 0x28
	;; [unrolled: 1-line block ×3, first 2 shown]
	s_mov_b32 s26, s3
	s_mov_b32 s27, 0
	s_lshl_b64 s[16:17], s[26:27], 2
	s_waitcnt lgkmcnt(0)
	s_add_u32 s12, s12, s16
	s_addc_u32 s13, s13, s17
	s_load_dword s29, s[12:13], 0x0
	s_load_dwordx2 s[20:21], s[0:1], 0x50
	s_add_u32 s6, s6, s16
	s_addc_u32 s7, s7, s17
	s_mov_b64 s[16:17], 0
	s_waitcnt lgkmcnt(0)
	v_cmp_eq_f32_e64 s[18:19], s29, 0
	v_cmp_neq_f32_e64 s[12:13], s29, 0
	s_and_b64 vcc, exec, s[18:19]
	s_mov_b64 s[18:19], 0
	s_cbranch_vccnz .LBB30_2
; %bb.1:
	s_lshl_b64 s[18:19], s[26:27], 3
	s_add_u32 s14, s14, s18
	s_addc_u32 s15, s15, s19
	s_load_dwordx2 s[14:15], s[14:15], 0x0
	s_lshl_b64 s[8:9], s[8:9], 2
	s_waitcnt lgkmcnt(0)
	s_add_u32 s18, s14, s8
	s_addc_u32 s19, s15, s9
.LBB30_2:
	s_load_dword s28, s[6:7], 0x0
	s_andn2_b64 vcc, exec, s[12:13]
	s_cbranch_vccnz .LBB30_4
; %bb.3:
	s_lshl_b64 s[6:7], s[26:27], 3
	s_add_u32 s6, s10, s6
	s_addc_u32 s7, s11, s7
	s_load_dwordx2 s[6:7], s[6:7], 0x0
	s_lshl_b64 s[4:5], s[4:5], 2
	s_waitcnt lgkmcnt(0)
	s_add_u32 s16, s6, s4
	s_addc_u32 s17, s7, s5
.LBB30_4:
	s_load_dwordx4 s[4:7], s[0:1], 0x60
	s_waitcnt lgkmcnt(0)
	v_cmp_eq_f32_e64 s[10:11], s28, 0
	v_cmp_neq_f32_e64 s[8:9], s28, 0
	s_and_b64 vcc, exec, s[10:11]
	s_cbranch_vccnz .LBB30_6
; %bb.5:
	s_lshl_b64 s[10:11], s[26:27], 3
	s_add_u32 s10, s20, s10
	s_addc_u32 s11, s21, s11
	s_load_dwordx2 s[10:11], s[10:11], 0x0
	s_lshl_b64 s[4:5], s[4:5], 2
	s_waitcnt lgkmcnt(0)
	s_add_u32 s24, s10, s4
	s_addc_u32 s25, s11, s5
	s_branch .LBB30_7
.LBB30_6:
	s_mov_b64 s[24:25], 0
.LBB30_7:
	s_load_dword s30, s[0:1], 0x20
	s_load_dwordx4 s[20:23], s[0:1], 0x0
	s_lshl_b64 s[4:5], s[26:27], 3
	v_and_b32_e32 v74, 0x3ff, v0
	v_bfe_u32 v75, v0, 10, 10
	s_waitcnt lgkmcnt(0)
	s_ashr_i32 s27, s30, 31
	s_add_u32 s14, s6, s4
	s_addc_u32 s15, s7, s5
	s_add_i32 s3, s20, -1
	s_ashr_i32 s4, s3, 31
	s_lshr_b32 s4, s4, 26
	s_add_i32 s3, s3, s4
	s_ashr_i32 s3, s3, 6
	s_add_i32 s4, s3, 1
	v_cvt_f32_u32_e32 v1, s4
	s_not_b32 s3, s3
	v_lshl_add_u32 v0, v75, 3, v74
	v_and_b32_e32 v3, 63, v0
	v_rcp_iflag_f32_e32 v1, v1
	v_lshrrev_b32_e32 v76, 6, v0
	v_cmp_gt_i32_e32 vcc, s22, v76
	v_mov_b32_e32 v2, 0
	v_mul_f32_e32 v1, 0x4f7ffffe, v1
	v_cvt_u32_f32_e32 v1, v1
	v_mov_b32_e32 v4, 0
	v_readfirstlane_b32 s5, v1
	s_mul_i32 s3, s3, s5
	s_mul_hi_u32 s3, s5, s3
	s_add_i32 s5, s5, s3
	s_mul_hi_u32 s3, s2, s5
	s_mul_i32 s5, s3, s4
	s_sub_i32 s5, s2, s5
	s_add_i32 s6, s3, 1
	s_sub_i32 s7, s5, s4
	s_cmp_ge_u32 s5, s4
	s_cselect_b32 s3, s6, s3
	s_cselect_b32 s5, s7, s5
	s_add_i32 s6, s3, 1
	s_cmp_ge_u32 s5, s4
	s_cselect_b32 s6, s6, s3
	s_mul_i32 s3, s6, s4
	s_sub_i32 s2, s2, s3
	s_lshl_b32 s23, s2, 6
	v_or_b32_e32 v68, s23, v3
	v_cmp_gt_i32_e64 s[2:3], s20, v68
	s_and_b64 s[4:5], vcc, s[2:3]
	s_and_b64 s[10:11], s[12:13], s[4:5]
	v_ashrrev_i32_e32 v69, 31, v68
	s_and_saveexec_b64 s[4:5], s[10:11]
	s_cbranch_execz .LBB30_9
; %bb.8:
	v_mad_i64_i32 v[4:5], s[10:11], s30, v76, 0
	v_lshl_add_u64 v[4:5], v[4:5], 2, s[18:19]
	v_lshl_add_u64 v[4:5], v[68:69], 2, v[4:5]
	flat_load_dword v1, v[4:5]
	s_waitcnt vmcnt(0) lgkmcnt(0)
	v_mul_f32_e32 v4, s29, v1
.LBB30_9:
	s_or_b64 exec, exec, s[4:5]
	s_load_dword s34, s[0:1], 0x38
	v_lshrrev_b32_e32 v71, 2, v0
	s_lshl_b32 s26, s6, 7
	v_and_b32_e32 v77, 3, v74
	v_add_u32_e32 v70, s26, v71
	s_add_i32 s31, s22, -1
	v_min_i32_e32 v0, s31, v77
	v_cmp_le_i32_e64 s[4:5], s21, v70
	s_xor_b64 s[10:11], s[12:13], -1
	v_cmp_le_i32_e32 vcc, s22, v77
	v_ashrrev_i32_e32 v1, 31, v0
	s_or_b64 s[6:7], s[4:5], s[10:11]
	v_lshl_add_u64 v[0:1], v[0:1], 2, s[16:17]
	s_nor_b64 s[36:37], vcc, s[6:7]
	s_and_saveexec_b64 s[4:5], s[36:37]
	s_cbranch_execz .LBB30_11
; %bb.10:
	s_waitcnt lgkmcnt(0)
	v_mad_i64_i32 v[6:7], s[36:37], v70, s34, 0
	v_lshl_add_u64 v[6:7], v[6:7], 2, v[0:1]
	flat_load_dword v2, v[6:7]
	s_waitcnt vmcnt(0) lgkmcnt(0)
	v_mul_f32_e32 v2, s29, v2
.LBB30_11:
	s_or_b64 exec, exec, s[4:5]
	v_add_u32_e32 v72, 64, v70
	v_cmp_le_i32_e64 s[4:5], s21, v72
	s_or_b64 s[10:11], s[4:5], s[10:11]
	s_nor_b64 s[36:37], vcc, s[10:11]
	v_mov_b32_e32 v73, 0
	v_mov_b32_e32 v5, 0
	s_and_saveexec_b64 s[4:5], s[36:37]
	s_cbranch_execz .LBB30_13
; %bb.12:
	s_waitcnt lgkmcnt(0)
	v_mad_i64_i32 v[6:7], s[36:37], v72, s34, 0
	v_lshl_add_u64 v[0:1], v[6:7], 2, v[0:1]
	flat_load_dword v0, v[0:1]
	s_waitcnt vmcnt(0) lgkmcnt(0)
	v_mul_f32_e32 v5, s29, v0
.LBB30_13:
	s_or_b64 exec, exec, s[4:5]
	v_add_u32_e32 v0, 4, v76
	v_cmp_gt_i32_e32 vcc, s22, v0
	s_and_b64 s[4:5], s[2:3], vcc
	s_and_b64 s[36:37], s[12:13], s[4:5]
	s_and_saveexec_b64 s[4:5], s[36:37]
	s_cbranch_execz .LBB30_15
; %bb.14:
	v_mad_u64_u32 v[6:7], s[36:37], s30, v0, 0
	v_mov_b32_e32 v8, v7
	v_mad_u64_u32 v[0:1], s[36:37], s27, v0, v[8:9]
	v_mov_b32_e32 v7, v0
	v_lshl_add_u64 v[0:1], v[6:7], 2, s[18:19]
	v_lshl_add_u64 v[0:1], v[68:69], 2, v[0:1]
	flat_load_dword v0, v[0:1]
	s_waitcnt vmcnt(0) lgkmcnt(0)
	v_mul_f32_e32 v73, s29, v0
.LBB30_15:
	s_or_b64 exec, exec, s[4:5]
	v_or_b32_e32 v0, 4, v77
	v_cmp_le_i32_e32 vcc, s22, v0
	v_min_i32_e32 v0, s31, v0
	v_ashrrev_i32_e32 v1, 31, v0
	v_lshl_add_u64 v[0:1], v[0:1], 2, s[16:17]
	s_nor_b64 s[36:37], vcc, s[6:7]
	v_mov_b32_e32 v82, 0
	v_mov_b32_e32 v83, 0
	s_and_saveexec_b64 s[4:5], s[36:37]
	s_cbranch_execz .LBB30_17
; %bb.16:
	s_waitcnt lgkmcnt(0)
	v_mad_i64_i32 v[6:7], s[36:37], v70, s34, 0
	v_lshl_add_u64 v[6:7], v[6:7], 2, v[0:1]
	flat_load_dword v6, v[6:7]
	s_waitcnt vmcnt(0) lgkmcnt(0)
	v_mul_f32_e32 v83, s29, v6
.LBB30_17:
	s_or_b64 exec, exec, s[4:5]
	s_load_dwordx2 s[4:5], s[14:15], 0x0
	s_nor_b64 s[36:37], vcc, s[10:11]
	s_and_saveexec_b64 s[14:15], s[36:37]
	s_cbranch_execz .LBB30_19
; %bb.18:
	s_waitcnt lgkmcnt(0)
	v_mad_i64_i32 v[6:7], s[36:37], v72, s34, 0
	v_lshl_add_u64 v[0:1], v[6:7], 2, v[0:1]
	flat_load_dword v0, v[0:1]
	s_waitcnt vmcnt(0) lgkmcnt(0)
	v_mul_f32_e32 v82, s29, v0
.LBB30_19:
	s_or_b64 exec, exec, s[14:15]
	v_lshlrev_b32_e32 v0, 4, v3
	v_lshl_add_u32 v84, v76, 2, v0
	v_lshlrev_b32_e32 v0, 4, v71
	v_lshl_or_b32 v78, v77, 2, v0
	v_mov_b32_e32 v0, 0x1000
	v_mov_b32_e32 v66, 0
	ds_write_b32 v84, v4 offset:4096
	ds_write2st64_b32 v78, v2, v5 offset1:4
	v_lshl_add_u32 v79, v74, 4, v0
	s_mov_b32 s33, 0
	s_mov_b64 s[14:15], -1
	v_mov_b32_e32 v67, v66
	v_mov_b32_e32 v64, v66
	;; [unrolled: 1-line block ×63, first 2 shown]
	v_or_b32_e32 v80, 0x1000, v84
	v_lshlrev_b32_e32 v81, 4, v75
	s_waitcnt lgkmcnt(0)
	s_barrier
.LBB30_20:                              ; =>This Inner Loop Header: Depth=1
	v_cndmask_b32_e64 v0, 0, 1, s[14:15]
	s_lshl_b32 s14, s33, 2
	v_cmp_ne_u32_e32 vcc, 1, v0
	v_add_u32_e32 v0, s14, v79
	ds_read2_b64 v[86:89], v0 offset1:16
	ds_read2_b64 v[90:93], v0 offset0:32 offset1:48
	ds_read2_b64 v[94:97], v0 offset0:64 offset1:80
	;; [unrolled: 1-line block ×3, first 2 shown]
	v_add_u32_e32 v0, s14, v81
	ds_read2st64_b64 v[102:105], v0 offset1:1
	ds_read2st64_b64 v[0:3], v0 offset0:2 offset1:3
	s_waitcnt lgkmcnt(5)
	v_max_f32_e32 v106, v87, v87
	v_max_f32_e32 v88, v88, v88
	;; [unrolled: 1-line block ×3, first 2 shown]
	s_waitcnt lgkmcnt(1)
	v_max_f32_e32 v85, v102, v102
	v_max_f32_e32 v102, v86, v86
	;; [unrolled: 1-line block ×3, first 2 shown]
	v_min_f32_e32 v86, v102, v85
	v_min_f32_e32 v87, v106, v103
	v_pk_add_f32 v[66:67], v[66:67], v[86:87]
	v_min_f32_e32 v86, v88, v85
	v_min_f32_e32 v87, v89, v103
	v_max_f32_e32 v90, v90, v90
	v_max_f32_e32 v91, v91, v91
	v_pk_add_f32 v[64:65], v[64:65], v[86:87]
	v_min_f32_e32 v86, v90, v85
	v_min_f32_e32 v87, v91, v103
	v_max_f32_e32 v92, v92, v92
	v_max_f32_e32 v93, v93, v93
	;; [unrolled: 5-line block ×5, first 2 shown]
	v_pk_add_f32 v[56:57], v[56:57], v[86:87]
	v_min_f32_e32 v86, v98, v85
	v_min_f32_e32 v87, v99, v103
	v_max_f32_e32 v100, v100, v100
	v_pk_add_f32 v[54:55], v[54:55], v[86:87]
	v_min_f32_e32 v86, v100, v85
	v_max_f32_e32 v85, v101, v101
	v_min_f32_e32 v87, v85, v103
	v_max_f32_e32 v101, v104, v104
	v_max_f32_e32 v103, v105, v105
	v_pk_add_f32 v[52:53], v[52:53], v[86:87]
	v_min_f32_e32 v86, v102, v101
	v_min_f32_e32 v87, v106, v103
	v_pk_add_f32 v[50:51], v[50:51], v[86:87]
	v_min_f32_e32 v86, v88, v101
	v_min_f32_e32 v87, v89, v103
	;; [unrolled: 3-line block ×8, first 2 shown]
	v_pk_add_f32 v[36:37], v[36:37], v[86:87]
	s_waitcnt lgkmcnt(0)
	v_max_f32_e32 v86, v0, v0
	v_max_f32_e32 v87, v1, v1
	v_min_f32_e32 v0, v102, v86
	v_min_f32_e32 v1, v106, v87
	v_pk_add_f32 v[34:35], v[34:35], v[0:1]
	v_min_f32_e32 v0, v88, v86
	v_min_f32_e32 v1, v89, v87
	v_pk_add_f32 v[32:33], v[32:33], v[0:1]
	;; [unrolled: 3-line block ×7, first 2 shown]
	v_min_f32_e32 v0, v100, v86
	v_min_f32_e32 v1, v85, v87
	v_max_f32_e32 v2, v2, v2
	v_max_f32_e32 v3, v3, v3
	v_pk_add_f32 v[20:21], v[20:21], v[0:1]
	v_min_f32_e32 v0, v102, v2
	v_min_f32_e32 v1, v106, v3
	v_pk_add_f32 v[18:19], v[18:19], v[0:1]
	v_min_f32_e32 v0, v88, v2
	v_min_f32_e32 v1, v89, v3
	;; [unrolled: 3-line block ×8, first 2 shown]
	v_pk_add_f32 v[4:5], v[4:5], v[0:1]
	s_mov_b64 s[14:15], 0
	s_mov_b32 s33, 2
	s_cbranch_vccz .LBB30_20
; %bb.21:
	v_lshlrev_b32_e32 v0, 2, v77
	v_lshl_or_b32 v0, v71, 4, v0
	s_cmp_lt_i32 s22, 9
	ds_write_b32 v84, v73 offset:5120
	ds_write2st64_b32 v0, v83, v82 offset0:8 offset1:12
	s_waitcnt lgkmcnt(0)
	s_barrier
	s_cbranch_scc1 .LBB30_40
; %bb.22:
	v_add_u32_e32 v83, 0x800, v0
	v_mov_b32_e32 v0, 0x1400
	v_add_u32_e32 v82, 0x1400, v84
	v_lshl_add_u32 v84, v74, 4, v0
	v_mov_b32_e32 v0, 0x800
	s_add_i32 s33, s22, -8
	v_lshl_add_u64 v[68:69], v[68:69], 2, s[18:19]
	v_mad_i64_i32 v[70:71], s[14:15], v70, s34, 0
	v_mad_i64_i32 v[72:73], s[14:15], v72, s34, 0
	v_lshl_add_u32 v85, v75, 4, v0
	s_mov_b32 s18, 8
	s_mov_b32 s19, 0
.LBB30_23:                              ; =>This Loop Header: Depth=1
                                        ;     Child Loop BB30_30 Depth 2
                                        ;     Child Loop BB30_38 Depth 2
	v_add_u32_e32 v0, s18, v76
	v_cmp_gt_i32_e32 vcc, s22, v0
	s_and_b64 s[14:15], s[2:3], vcc
	s_and_b64 s[34:35], s[12:13], s[14:15]
	v_mov_b32_e32 v87, 0
	v_mov_b32_e32 v88, 0
	s_and_saveexec_b64 s[14:15], s[34:35]
	s_cbranch_execz .LBB30_25
; %bb.24:                               ;   in Loop: Header=BB30_23 Depth=1
	v_mad_u64_u32 v[2:3], s[34:35], v0, s30, 0
	v_mov_b32_e32 v86, v3
	v_mad_u64_u32 v[0:1], s[34:35], v0, s27, v[86:87]
	v_mov_b32_e32 v3, v0
	v_lshl_add_u64 v[0:1], v[2:3], 2, v[68:69]
	flat_load_dword v0, v[0:1]
	s_waitcnt vmcnt(0) lgkmcnt(0)
	v_mul_f32_e32 v88, s29, v0
.LBB30_25:                              ;   in Loop: Header=BB30_23 Depth=1
	s_or_b64 exec, exec, s[14:15]
	v_or_b32_e32 v86, s18, v77
	v_min_i32_e32 v0, s31, v86
	v_cmp_le_i32_e32 vcc, s22, v86
	v_ashrrev_i32_e32 v1, 31, v0
	v_lshl_add_u64 v[0:1], v[0:1], 2, s[16:17]
	s_nor_b64 s[34:35], s[6:7], vcc
	s_and_saveexec_b64 s[14:15], s[34:35]
	s_cbranch_execz .LBB30_27
; %bb.26:                               ;   in Loop: Header=BB30_23 Depth=1
	v_lshl_add_u64 v[2:3], v[70:71], 2, v[0:1]
	flat_load_dword v2, v[2:3]
	s_waitcnt vmcnt(0) lgkmcnt(0)
	v_mul_f32_e32 v87, s29, v2
.LBB30_27:                              ;   in Loop: Header=BB30_23 Depth=1
	s_or_b64 exec, exec, s[14:15]
	s_nor_b64 s[34:35], s[10:11], vcc
	v_mov_b32_e32 v89, 0
	s_and_saveexec_b64 s[14:15], s[34:35]
	s_cbranch_execz .LBB30_29
; %bb.28:                               ;   in Loop: Header=BB30_23 Depth=1
	v_lshl_add_u64 v[0:1], v[72:73], 2, v[0:1]
	flat_load_dword v0, v[0:1]
	s_waitcnt vmcnt(0) lgkmcnt(0)
	v_mul_f32_e32 v89, s29, v0
.LBB30_29:                              ;   in Loop: Header=BB30_23 Depth=1
	s_or_b64 exec, exec, s[14:15]
	s_mov_b32 s34, 0
	s_mov_b64 s[14:15], -1
.LBB30_30:                              ;   Parent Loop BB30_23 Depth=1
                                        ; =>  This Inner Loop Header: Depth=2
	v_cndmask_b32_e64 v0, 0, 1, s[14:15]
	s_lshl_b32 s14, s34, 2
	v_cmp_ne_u32_e32 vcc, 1, v0
	v_add_u32_e32 v0, s14, v84
	ds_read2_b64 v[90:93], v0 offset1:16
	ds_read2_b64 v[94:97], v0 offset0:32 offset1:48
	ds_read2_b64 v[98:101], v0 offset0:64 offset1:80
	;; [unrolled: 1-line block ×3, first 2 shown]
	v_add_u32_e32 v0, s14, v85
	ds_read2st64_b64 v[106:109], v0 offset1:1
	ds_read2st64_b64 v[0:3], v0 offset0:2 offset1:3
	s_waitcnt lgkmcnt(5)
	v_max_f32_e32 v110, v90, v90
	v_max_f32_e32 v111, v91, v91
	;; [unrolled: 1-line block ×3, first 2 shown]
	s_waitcnt lgkmcnt(1)
	v_max_f32_e32 v106, v106, v106
	v_max_f32_e32 v107, v107, v107
	v_min_f32_e32 v90, v110, v106
	v_min_f32_e32 v91, v111, v107
	v_max_f32_e32 v93, v93, v93
	v_pk_add_f32 v[66:67], v[66:67], v[90:91]
	v_min_f32_e32 v90, v92, v106
	v_min_f32_e32 v91, v93, v107
	v_max_f32_e32 v94, v94, v94
	v_max_f32_e32 v95, v95, v95
	v_pk_add_f32 v[64:65], v[64:65], v[90:91]
	v_min_f32_e32 v90, v94, v106
	v_min_f32_e32 v91, v95, v107
	v_max_f32_e32 v96, v96, v96
	;; [unrolled: 5-line block ×7, first 2 shown]
	v_max_f32_e32 v107, v109, v109
	v_pk_add_f32 v[52:53], v[52:53], v[90:91]
	v_min_f32_e32 v90, v110, v106
	v_min_f32_e32 v91, v111, v107
	v_pk_add_f32 v[50:51], v[50:51], v[90:91]
	v_min_f32_e32 v90, v92, v106
	v_min_f32_e32 v91, v93, v107
	;; [unrolled: 3-line block ×8, first 2 shown]
	v_pk_add_f32 v[36:37], v[36:37], v[90:91]
	s_waitcnt lgkmcnt(0)
	v_max_f32_e32 v90, v0, v0
	v_max_f32_e32 v91, v1, v1
	v_min_f32_e32 v0, v110, v90
	v_min_f32_e32 v1, v111, v91
	v_pk_add_f32 v[34:35], v[34:35], v[0:1]
	v_min_f32_e32 v0, v92, v90
	v_min_f32_e32 v1, v93, v91
	v_pk_add_f32 v[32:33], v[32:33], v[0:1]
	;; [unrolled: 3-line block ×7, first 2 shown]
	v_min_f32_e32 v0, v104, v90
	v_min_f32_e32 v1, v105, v91
	v_max_f32_e32 v2, v2, v2
	v_max_f32_e32 v3, v3, v3
	v_pk_add_f32 v[20:21], v[20:21], v[0:1]
	v_min_f32_e32 v0, v110, v2
	v_min_f32_e32 v1, v111, v3
	v_pk_add_f32 v[18:19], v[18:19], v[0:1]
	v_min_f32_e32 v0, v92, v2
	v_min_f32_e32 v1, v93, v3
	;; [unrolled: 3-line block ×8, first 2 shown]
	v_pk_add_f32 v[4:5], v[4:5], v[0:1]
	s_mov_b64 s[14:15], 0
	s_mov_b32 s34, 2
	s_cbranch_vccz .LBB30_30
; %bb.31:                               ;   in Loop: Header=BB30_23 Depth=1
	v_add3_u32 v0, v76, s18, 4
	v_cmp_gt_i32_e32 vcc, s22, v0
	s_and_b64 s[14:15], s[2:3], vcc
	ds_write_b32 v80, v88
	ds_write2st64_b32 v78, v87, v89 offset1:4
	s_and_b64 s[34:35], s[12:13], s[14:15]
	v_mov_b32_e32 v87, 0
	v_mov_b32_e32 v88, 0
	s_waitcnt lgkmcnt(0)
	s_barrier
	s_and_saveexec_b64 s[14:15], s[34:35]
	s_cbranch_execz .LBB30_33
; %bb.32:                               ;   in Loop: Header=BB30_23 Depth=1
	v_mad_u64_u32 v[2:3], s[34:35], v0, s30, 0
	v_mov_b32_e32 v88, v3
	v_mad_u64_u32 v[0:1], s[34:35], v0, s27, v[88:89]
	v_mov_b32_e32 v3, v0
	v_lshl_add_u64 v[0:1], v[2:3], 2, v[68:69]
	flat_load_dword v0, v[0:1]
	s_waitcnt vmcnt(0) lgkmcnt(0)
	v_mul_f32_e32 v88, s29, v0
.LBB30_33:                              ;   in Loop: Header=BB30_23 Depth=1
	s_or_b64 exec, exec, s[14:15]
	v_or_b32_e32 v0, 4, v86
	v_cmp_le_i32_e32 vcc, s22, v0
	v_min_i32_e32 v0, s31, v0
	v_ashrrev_i32_e32 v1, 31, v0
	v_lshl_add_u64 v[0:1], v[0:1], 2, s[16:17]
	s_nor_b64 s[34:35], s[6:7], vcc
	s_and_saveexec_b64 s[14:15], s[34:35]
	s_cbranch_execz .LBB30_35
; %bb.34:                               ;   in Loop: Header=BB30_23 Depth=1
	v_lshl_add_u64 v[2:3], v[70:71], 2, v[0:1]
	flat_load_dword v2, v[2:3]
	s_waitcnt vmcnt(0) lgkmcnt(0)
	v_mul_f32_e32 v87, s29, v2
.LBB30_35:                              ;   in Loop: Header=BB30_23 Depth=1
	s_or_b64 exec, exec, s[14:15]
	s_nor_b64 s[34:35], s[10:11], vcc
	v_mov_b32_e32 v86, 0
	s_and_saveexec_b64 s[14:15], s[34:35]
	s_cbranch_execz .LBB30_37
; %bb.36:                               ;   in Loop: Header=BB30_23 Depth=1
	v_lshl_add_u64 v[0:1], v[72:73], 2, v[0:1]
	flat_load_dword v0, v[0:1]
	s_waitcnt vmcnt(0) lgkmcnt(0)
	v_mul_f32_e32 v86, s29, v0
.LBB30_37:                              ;   in Loop: Header=BB30_23 Depth=1
	s_or_b64 exec, exec, s[14:15]
	s_mov_b32 s34, 0
	s_mov_b64 s[14:15], -1
.LBB30_38:                              ;   Parent Loop BB30_23 Depth=1
                                        ; =>  This Inner Loop Header: Depth=2
	v_cndmask_b32_e64 v0, 0, 1, s[14:15]
	s_lshl_b32 s14, s34, 2
	v_cmp_ne_u32_e32 vcc, 1, v0
	v_add_u32_e32 v0, s14, v79
	ds_read2_b64 v[90:93], v0 offset1:16
	ds_read2_b64 v[94:97], v0 offset0:32 offset1:48
	ds_read2_b64 v[98:101], v0 offset0:64 offset1:80
	;; [unrolled: 1-line block ×3, first 2 shown]
	v_add_u32_e32 v0, s14, v81
	ds_read2st64_b64 v[106:109], v0 offset1:1
	ds_read2st64_b64 v[0:3], v0 offset0:2 offset1:3
	s_waitcnt lgkmcnt(5)
	v_max_f32_e32 v110, v91, v91
	v_max_f32_e32 v92, v92, v92
	;; [unrolled: 1-line block ×3, first 2 shown]
	s_waitcnt lgkmcnt(1)
	v_max_f32_e32 v89, v106, v106
	v_max_f32_e32 v106, v90, v90
	v_max_f32_e32 v107, v107, v107
	v_min_f32_e32 v90, v106, v89
	v_min_f32_e32 v91, v110, v107
	v_pk_add_f32 v[66:67], v[66:67], v[90:91]
	v_min_f32_e32 v90, v92, v89
	v_min_f32_e32 v91, v93, v107
	v_max_f32_e32 v94, v94, v94
	v_max_f32_e32 v95, v95, v95
	v_pk_add_f32 v[64:65], v[64:65], v[90:91]
	v_min_f32_e32 v90, v94, v89
	v_min_f32_e32 v91, v95, v107
	v_max_f32_e32 v96, v96, v96
	v_max_f32_e32 v97, v97, v97
	;; [unrolled: 5-line block ×5, first 2 shown]
	v_pk_add_f32 v[56:57], v[56:57], v[90:91]
	v_min_f32_e32 v90, v102, v89
	v_min_f32_e32 v91, v103, v107
	v_max_f32_e32 v104, v104, v104
	v_pk_add_f32 v[54:55], v[54:55], v[90:91]
	v_min_f32_e32 v90, v104, v89
	v_max_f32_e32 v89, v105, v105
	v_min_f32_e32 v91, v89, v107
	v_max_f32_e32 v105, v108, v108
	v_max_f32_e32 v107, v109, v109
	v_pk_add_f32 v[52:53], v[52:53], v[90:91]
	v_min_f32_e32 v90, v106, v105
	v_min_f32_e32 v91, v110, v107
	v_pk_add_f32 v[50:51], v[50:51], v[90:91]
	v_min_f32_e32 v90, v92, v105
	v_min_f32_e32 v91, v93, v107
	;; [unrolled: 3-line block ×8, first 2 shown]
	v_pk_add_f32 v[36:37], v[36:37], v[90:91]
	s_waitcnt lgkmcnt(0)
	v_max_f32_e32 v90, v0, v0
	v_max_f32_e32 v91, v1, v1
	v_min_f32_e32 v0, v106, v90
	v_min_f32_e32 v1, v110, v91
	v_pk_add_f32 v[34:35], v[34:35], v[0:1]
	v_min_f32_e32 v0, v92, v90
	v_min_f32_e32 v1, v93, v91
	v_pk_add_f32 v[32:33], v[32:33], v[0:1]
	;; [unrolled: 3-line block ×7, first 2 shown]
	v_min_f32_e32 v0, v104, v90
	v_min_f32_e32 v1, v89, v91
	v_max_f32_e32 v2, v2, v2
	v_max_f32_e32 v3, v3, v3
	v_pk_add_f32 v[20:21], v[20:21], v[0:1]
	v_min_f32_e32 v0, v106, v2
	v_min_f32_e32 v1, v110, v3
	v_pk_add_f32 v[18:19], v[18:19], v[0:1]
	v_min_f32_e32 v0, v92, v2
	v_min_f32_e32 v1, v93, v3
	;; [unrolled: 3-line block ×8, first 2 shown]
	v_pk_add_f32 v[4:5], v[4:5], v[0:1]
	s_mov_b64 s[14:15], 0
	s_mov_b32 s34, 2
	s_cbranch_vccz .LBB30_38
; %bb.39:                               ;   in Loop: Header=BB30_23 Depth=1
	s_add_i32 s18, s18, 8
	s_add_i32 s19, s19, 8
	s_cmp_ge_i32 s19, s33
	ds_write_b32 v82, v88
	ds_write2st64_b32 v83, v87, v86 offset1:4
	s_waitcnt lgkmcnt(0)
	s_barrier
	s_cbranch_scc0 .LBB30_23
.LBB30_40:
	v_mov_b32_e32 v0, 0x1400
	v_lshl_add_u32 v68, v74, 4, v0
	v_mov_b32_e32 v0, 0x800
	v_lshl_add_u32 v69, v75, 4, v0
	s_mov_b32 s6, 0
	s_mov_b64 s[2:3], -1
.LBB30_41:                              ; =>This Inner Loop Header: Depth=1
	v_cndmask_b32_e64 v0, 0, 1, s[2:3]
	s_lshl_b32 s2, s6, 2
	v_cmp_ne_u32_e32 vcc, 1, v0
	v_add_u32_e32 v0, s2, v68
	ds_read2_b64 v[70:73], v0 offset1:16
	ds_read2_b64 v[76:79], v0 offset0:32 offset1:48
	ds_read2_b64 v[80:83], v0 offset0:64 offset1:80
	;; [unrolled: 1-line block ×3, first 2 shown]
	v_add_u32_e32 v0, s2, v69
	ds_read2st64_b64 v[88:91], v0 offset1:1
	ds_read2st64_b64 v[0:3], v0 offset0:2 offset1:3
	s_waitcnt lgkmcnt(5)
	v_max_f32_e32 v92, v70, v70
	v_max_f32_e32 v93, v71, v71
	;; [unrolled: 1-line block ×3, first 2 shown]
	s_waitcnt lgkmcnt(1)
	v_max_f32_e32 v88, v88, v88
	v_max_f32_e32 v89, v89, v89
	v_min_f32_e32 v70, v92, v88
	v_min_f32_e32 v71, v93, v89
	v_max_f32_e32 v73, v73, v73
	v_pk_add_f32 v[66:67], v[66:67], v[70:71]
	v_min_f32_e32 v70, v72, v88
	v_min_f32_e32 v71, v73, v89
	v_max_f32_e32 v76, v76, v76
	v_max_f32_e32 v77, v77, v77
	v_pk_add_f32 v[64:65], v[64:65], v[70:71]
	v_min_f32_e32 v70, v76, v88
	v_min_f32_e32 v71, v77, v89
	v_max_f32_e32 v78, v78, v78
	;; [unrolled: 5-line block ×7, first 2 shown]
	v_max_f32_e32 v89, v91, v91
	v_pk_add_f32 v[52:53], v[52:53], v[70:71]
	v_min_f32_e32 v70, v92, v88
	v_min_f32_e32 v71, v93, v89
	v_pk_add_f32 v[50:51], v[50:51], v[70:71]
	v_min_f32_e32 v70, v72, v88
	v_min_f32_e32 v71, v73, v89
	;; [unrolled: 3-line block ×8, first 2 shown]
	v_pk_add_f32 v[36:37], v[36:37], v[70:71]
	s_waitcnt lgkmcnt(0)
	v_max_f32_e32 v70, v0, v0
	v_max_f32_e32 v71, v1, v1
	v_min_f32_e32 v0, v92, v70
	v_min_f32_e32 v1, v93, v71
	v_pk_add_f32 v[34:35], v[34:35], v[0:1]
	v_min_f32_e32 v0, v72, v70
	v_min_f32_e32 v1, v73, v71
	v_pk_add_f32 v[32:33], v[32:33], v[0:1]
	;; [unrolled: 3-line block ×7, first 2 shown]
	v_min_f32_e32 v0, v86, v70
	v_min_f32_e32 v1, v87, v71
	v_max_f32_e32 v2, v2, v2
	v_max_f32_e32 v3, v3, v3
	v_pk_add_f32 v[20:21], v[20:21], v[0:1]
	v_min_f32_e32 v0, v92, v2
	v_min_f32_e32 v1, v93, v3
	v_pk_add_f32 v[18:19], v[18:19], v[0:1]
	v_min_f32_e32 v0, v72, v2
	v_min_f32_e32 v1, v73, v3
	;; [unrolled: 3-line block ×8, first 2 shown]
	v_pk_add_f32 v[4:5], v[4:5], v[0:1]
	s_mov_b64 s[2:3], 0
	s_mov_b32 s6, 2
	s_cbranch_vccz .LBB30_41
; %bb.42:
	s_load_dwordx2 s[2:3], s[0:1], 0x78
	s_load_dword s30, s[0:1], 0x58
	s_load_dword s29, s[0:1], 0x70
	v_add_u32_e32 v72, s26, v75
	v_add_u32_e32 v0, s23, v74
	s_waitcnt lgkmcnt(0)
	s_lshl_b64 s[0:1], s[2:3], 2
	s_add_u32 s22, s4, s0
	s_addc_u32 s23, s5, s1
	v_mad_i64_i32 v[2:3], s[0:1], v72, s30, 0
	v_lshl_add_u64 v[70:71], v[2:3], 2, s[24:25]
	v_mad_i64_i32 v[2:3], s[0:1], v72, s29, 0
	v_cmp_gt_i32_e64 s[18:19], s21, v72
	v_lshl_add_u64 v[68:69], v[2:3], 2, s[22:23]
	v_cmp_gt_i32_e64 s[2:3], s20, v0
	v_cndmask_b32_e64 v2, 0, 1, s[8:9]
	s_and_b64 s[6:7], s[2:3], s[18:19]
	v_ashrrev_i32_e32 v1, 31, v0
	v_cmp_ne_u32_e64 s[0:1], 1, v2
	s_and_saveexec_b64 s[4:5], s[6:7]
	s_cbranch_execz .LBB30_47
; %bb.43:
	s_and_b64 vcc, exec, s[0:1]
	s_cbranch_vccnz .LBB30_45
; %bb.44:
	v_lshl_add_u64 v[2:3], v[0:1], 2, v[70:71]
	flat_load_dword v2, v[2:3]
	s_waitcnt vmcnt(0) lgkmcnt(0)
	v_mul_f32_e32 v2, s28, v2
	s_branch .LBB30_46
.LBB30_45:
	v_mov_b32_e32 v2, 0
.LBB30_46:
	v_add_f32_e32 v3, v66, v67
	v_add_f32_e32 v66, v3, v2
	v_lshl_add_u64 v[2:3], v[0:1], 2, v[68:69]
	flat_store_dword v[2:3], v66
.LBB30_47:
	s_or_b64 exec, exec, s[4:5]
	v_add_u32_e32 v2, 8, v0
	v_cmp_gt_i32_e64 s[4:5], s20, v2
	s_and_b64 s[8:9], s[4:5], s[18:19]
	v_ashrrev_i32_e32 v3, 31, v2
	s_and_saveexec_b64 s[6:7], s[8:9]
	s_cbranch_execz .LBB30_52
; %bb.48:
	s_and_b64 vcc, exec, s[0:1]
	s_cbranch_vccnz .LBB30_50
; %bb.49:
	v_lshl_add_u64 v[66:67], v[2:3], 2, v[70:71]
	flat_load_dword v66, v[66:67]
	s_waitcnt vmcnt(0) lgkmcnt(0)
	v_mul_f32_e32 v66, s28, v66
	s_branch .LBB30_51
.LBB30_50:
	v_mov_b32_e32 v66, 0
.LBB30_51:
	v_add_f32_e32 v64, v64, v65
	v_add_f32_e32 v66, v64, v66
	v_lshl_add_u64 v[64:65], v[2:3], 2, v[68:69]
	flat_store_dword v[64:65], v66
.LBB30_52:
	s_or_b64 exec, exec, s[6:7]
	v_add_u32_e32 v64, 16, v0
	v_cmp_gt_i32_e64 s[6:7], s20, v64
	s_and_b64 s[10:11], s[6:7], s[18:19]
	v_ashrrev_i32_e32 v65, 31, v64
	s_and_saveexec_b64 s[8:9], s[10:11]
	s_cbranch_execz .LBB30_57
; %bb.53:
	s_and_b64 vcc, exec, s[0:1]
	s_cbranch_vccnz .LBB30_55
; %bb.54:
	v_lshl_add_u64 v[66:67], v[64:65], 2, v[70:71]
	flat_load_dword v66, v[66:67]
	s_waitcnt vmcnt(0) lgkmcnt(0)
	v_mul_f32_e32 v66, s28, v66
	s_branch .LBB30_56
.LBB30_55:
	v_mov_b32_e32 v66, 0
.LBB30_56:
	v_add_f32_e32 v62, v62, v63
	v_add_f32_e32 v66, v62, v66
	v_lshl_add_u64 v[62:63], v[64:65], 2, v[68:69]
	flat_store_dword v[62:63], v66
.LBB30_57:
	s_or_b64 exec, exec, s[8:9]
	v_add_u32_e32 v62, 24, v0
	v_cmp_gt_i32_e64 s[8:9], s20, v62
	s_and_b64 s[12:13], s[8:9], s[18:19]
	v_ashrrev_i32_e32 v63, 31, v62
	s_and_saveexec_b64 s[10:11], s[12:13]
	s_cbranch_execz .LBB30_62
; %bb.58:
	s_and_b64 vcc, exec, s[0:1]
	s_cbranch_vccnz .LBB30_60
; %bb.59:
	v_lshl_add_u64 v[66:67], v[62:63], 2, v[70:71]
	flat_load_dword v66, v[66:67]
	s_waitcnt vmcnt(0) lgkmcnt(0)
	v_mul_f32_e32 v66, s28, v66
	s_branch .LBB30_61
.LBB30_60:
	v_mov_b32_e32 v66, 0
.LBB30_61:
	v_add_f32_e32 v60, v60, v61
	v_add_f32_e32 v66, v60, v66
	v_lshl_add_u64 v[60:61], v[62:63], 2, v[68:69]
	flat_store_dword v[60:61], v66
.LBB30_62:
	s_or_b64 exec, exec, s[10:11]
	v_add_u32_e32 v60, 32, v0
	v_cmp_gt_i32_e64 s[10:11], s20, v60
	s_and_b64 s[14:15], s[10:11], s[18:19]
	v_ashrrev_i32_e32 v61, 31, v60
	s_and_saveexec_b64 s[12:13], s[14:15]
	s_cbranch_execz .LBB30_67
; %bb.63:
	s_and_b64 vcc, exec, s[0:1]
	s_cbranch_vccnz .LBB30_65
; %bb.64:
	v_lshl_add_u64 v[66:67], v[60:61], 2, v[70:71]
	flat_load_dword v66, v[66:67]
	s_waitcnt vmcnt(0) lgkmcnt(0)
	v_mul_f32_e32 v66, s28, v66
	s_branch .LBB30_66
.LBB30_65:
	v_mov_b32_e32 v66, 0
.LBB30_66:
	v_add_f32_e32 v58, v58, v59
	v_add_f32_e32 v66, v58, v66
	v_lshl_add_u64 v[58:59], v[60:61], 2, v[68:69]
	flat_store_dword v[58:59], v66
.LBB30_67:
	s_or_b64 exec, exec, s[12:13]
	v_add_u32_e32 v58, 40, v0
	v_cmp_gt_i32_e64 s[12:13], s20, v58
	s_and_b64 s[16:17], s[12:13], s[18:19]
	v_ashrrev_i32_e32 v59, 31, v58
	s_and_saveexec_b64 s[14:15], s[16:17]
	s_cbranch_execz .LBB30_72
; %bb.68:
	s_and_b64 vcc, exec, s[0:1]
	s_cbranch_vccnz .LBB30_70
; %bb.69:
	v_lshl_add_u64 v[66:67], v[58:59], 2, v[70:71]
	flat_load_dword v66, v[66:67]
	s_waitcnt vmcnt(0) lgkmcnt(0)
	v_mul_f32_e32 v66, s28, v66
	s_branch .LBB30_71
.LBB30_70:
	v_mov_b32_e32 v66, 0
.LBB30_71:
	v_add_f32_e32 v56, v56, v57
	v_add_f32_e32 v66, v56, v66
	v_lshl_add_u64 v[56:57], v[58:59], 2, v[68:69]
	flat_store_dword v[56:57], v66
.LBB30_72:
	s_or_b64 exec, exec, s[14:15]
	v_add_u32_e32 v56, 48, v0
	v_cmp_gt_i32_e64 s[14:15], s20, v56
	s_and_b64 s[26:27], s[14:15], s[18:19]
	v_ashrrev_i32_e32 v57, 31, v56
	s_and_saveexec_b64 s[16:17], s[26:27]
	s_cbranch_execz .LBB30_77
; %bb.73:
	s_and_b64 vcc, exec, s[0:1]
	s_cbranch_vccnz .LBB30_75
; %bb.74:
	v_lshl_add_u64 v[66:67], v[56:57], 2, v[70:71]
	flat_load_dword v66, v[66:67]
	s_waitcnt vmcnt(0) lgkmcnt(0)
	v_mul_f32_e32 v66, s28, v66
	s_branch .LBB30_76
.LBB30_75:
	v_mov_b32_e32 v66, 0
.LBB30_76:
	v_add_f32_e32 v54, v54, v55
	v_add_f32_e32 v66, v54, v66
	v_lshl_add_u64 v[54:55], v[56:57], 2, v[68:69]
	flat_store_dword v[54:55], v66
.LBB30_77:
	s_or_b64 exec, exec, s[16:17]
	v_add_u32_e32 v54, 56, v0
	v_cmp_gt_i32_e64 s[16:17], s20, v54
	s_and_b64 s[26:27], s[16:17], s[18:19]
	v_ashrrev_i32_e32 v55, 31, v54
	s_and_saveexec_b64 s[18:19], s[26:27]
	s_cbranch_execz .LBB30_82
; %bb.78:
	s_and_b64 vcc, exec, s[0:1]
	s_cbranch_vccnz .LBB30_80
; %bb.79:
	v_lshl_add_u64 v[66:67], v[54:55], 2, v[70:71]
	flat_load_dword v66, v[66:67]
	s_waitcnt vmcnt(0) lgkmcnt(0)
	v_mul_f32_e32 v66, s28, v66
	s_branch .LBB30_81
.LBB30_80:
	v_mov_b32_e32 v66, 0
.LBB30_81:
	v_add_f32_e32 v52, v52, v53
	v_add_f32_e32 v66, v52, v66
	v_lshl_add_u64 v[52:53], v[54:55], 2, v[68:69]
	flat_store_dword v[52:53], v66
.LBB30_82:
	s_or_b64 exec, exec, s[18:19]
	v_add_u32_e32 v68, 32, v72
	v_mad_i64_i32 v[52:53], s[26:27], v68, s30, 0
	v_cmp_gt_i32_e64 s[18:19], s21, v68
	v_lshl_add_u64 v[66:67], v[52:53], 2, s[24:25]
	v_mad_i64_i32 v[52:53], s[26:27], v68, s29, 0
	v_lshl_add_u64 v[52:53], v[52:53], 2, s[22:23]
	s_and_b64 s[34:35], s[2:3], s[18:19]
	s_and_saveexec_b64 s[26:27], s[34:35]
	s_cbranch_execnz .LBB30_90
; %bb.83:
	s_or_b64 exec, exec, s[26:27]
	s_and_b64 s[34:35], s[4:5], s[18:19]
	s_and_saveexec_b64 s[26:27], s[34:35]
	s_cbranch_execnz .LBB30_94
.LBB30_84:
	s_or_b64 exec, exec, s[26:27]
	s_and_b64 s[34:35], s[6:7], s[18:19]
	s_and_saveexec_b64 s[26:27], s[34:35]
	s_cbranch_execnz .LBB30_98
.LBB30_85:
	s_or_b64 exec, exec, s[26:27]
	s_and_b64 s[34:35], s[8:9], s[18:19]
	s_and_saveexec_b64 s[26:27], s[34:35]
	s_cbranch_execnz .LBB30_102
.LBB30_86:
	s_or_b64 exec, exec, s[26:27]
	s_and_b64 s[34:35], s[10:11], s[18:19]
	s_and_saveexec_b64 s[26:27], s[34:35]
	s_cbranch_execnz .LBB30_106
.LBB30_87:
	s_or_b64 exec, exec, s[26:27]
	s_and_b64 s[34:35], s[12:13], s[18:19]
	s_and_saveexec_b64 s[26:27], s[34:35]
	s_cbranch_execnz .LBB30_110
.LBB30_88:
	s_or_b64 exec, exec, s[26:27]
	s_and_b64 s[34:35], s[14:15], s[18:19]
	s_and_saveexec_b64 s[26:27], s[34:35]
	s_cbranch_execnz .LBB30_114
.LBB30_89:
	s_or_b64 exec, exec, s[26:27]
	s_and_b64 s[26:27], s[16:17], s[18:19]
	s_and_saveexec_b64 s[18:19], s[26:27]
	s_cbranch_execnz .LBB30_118
	s_branch .LBB30_122
.LBB30_90:
	s_and_b64 vcc, exec, s[0:1]
	s_cbranch_vccnz .LBB30_92
; %bb.91:
	v_lshl_add_u64 v[68:69], v[0:1], 2, v[66:67]
	flat_load_dword v68, v[68:69]
	s_waitcnt vmcnt(0) lgkmcnt(0)
	v_mul_f32_e32 v68, s28, v68
	s_branch .LBB30_93
.LBB30_92:
	v_mov_b32_e32 v68, 0
.LBB30_93:
	v_add_f32_e32 v50, v50, v51
	v_add_f32_e32 v68, v50, v68
	v_lshl_add_u64 v[50:51], v[0:1], 2, v[52:53]
	flat_store_dword v[50:51], v68
	s_or_b64 exec, exec, s[26:27]
	s_and_b64 s[34:35], s[4:5], s[18:19]
	s_and_saveexec_b64 s[26:27], s[34:35]
	s_cbranch_execz .LBB30_84
.LBB30_94:
	s_and_b64 vcc, exec, s[0:1]
	s_cbranch_vccnz .LBB30_96
; %bb.95:
	v_lshl_add_u64 v[50:51], v[2:3], 2, v[66:67]
	flat_load_dword v50, v[50:51]
	s_waitcnt vmcnt(0) lgkmcnt(0)
	v_mul_f32_e32 v50, s28, v50
	s_branch .LBB30_97
.LBB30_96:
	v_mov_b32_e32 v50, 0
.LBB30_97:
	v_add_f32_e32 v48, v48, v49
	v_add_f32_e32 v50, v48, v50
	v_lshl_add_u64 v[48:49], v[2:3], 2, v[52:53]
	flat_store_dword v[48:49], v50
	s_or_b64 exec, exec, s[26:27]
	s_and_b64 s[34:35], s[6:7], s[18:19]
	s_and_saveexec_b64 s[26:27], s[34:35]
	s_cbranch_execz .LBB30_85
.LBB30_98:
	s_and_b64 vcc, exec, s[0:1]
	s_cbranch_vccnz .LBB30_100
; %bb.99:
	v_lshl_add_u64 v[48:49], v[64:65], 2, v[66:67]
	flat_load_dword v48, v[48:49]
	s_waitcnt vmcnt(0) lgkmcnt(0)
	v_mul_f32_e32 v48, s28, v48
	s_branch .LBB30_101
.LBB30_100:
	v_mov_b32_e32 v48, 0
.LBB30_101:
	v_add_f32_e32 v46, v46, v47
	v_add_f32_e32 v48, v46, v48
	v_lshl_add_u64 v[46:47], v[64:65], 2, v[52:53]
	flat_store_dword v[46:47], v48
	s_or_b64 exec, exec, s[26:27]
	s_and_b64 s[34:35], s[8:9], s[18:19]
	s_and_saveexec_b64 s[26:27], s[34:35]
	s_cbranch_execz .LBB30_86
.LBB30_102:
	s_and_b64 vcc, exec, s[0:1]
	s_cbranch_vccnz .LBB30_104
; %bb.103:
	v_lshl_add_u64 v[46:47], v[62:63], 2, v[66:67]
	flat_load_dword v46, v[46:47]
	s_waitcnt vmcnt(0) lgkmcnt(0)
	v_mul_f32_e32 v46, s28, v46
	s_branch .LBB30_105
.LBB30_104:
	v_mov_b32_e32 v46, 0
.LBB30_105:
	v_add_f32_e32 v44, v44, v45
	v_add_f32_e32 v46, v44, v46
	v_lshl_add_u64 v[44:45], v[62:63], 2, v[52:53]
	flat_store_dword v[44:45], v46
	s_or_b64 exec, exec, s[26:27]
	s_and_b64 s[34:35], s[10:11], s[18:19]
	s_and_saveexec_b64 s[26:27], s[34:35]
	s_cbranch_execz .LBB30_87
.LBB30_106:
	s_and_b64 vcc, exec, s[0:1]
	s_cbranch_vccnz .LBB30_108
; %bb.107:
	v_lshl_add_u64 v[44:45], v[60:61], 2, v[66:67]
	flat_load_dword v44, v[44:45]
	s_waitcnt vmcnt(0) lgkmcnt(0)
	v_mul_f32_e32 v44, s28, v44
	s_branch .LBB30_109
.LBB30_108:
	v_mov_b32_e32 v44, 0
.LBB30_109:
	v_add_f32_e32 v42, v42, v43
	v_add_f32_e32 v44, v42, v44
	v_lshl_add_u64 v[42:43], v[60:61], 2, v[52:53]
	flat_store_dword v[42:43], v44
	s_or_b64 exec, exec, s[26:27]
	s_and_b64 s[34:35], s[12:13], s[18:19]
	s_and_saveexec_b64 s[26:27], s[34:35]
	s_cbranch_execz .LBB30_88
.LBB30_110:
	s_and_b64 vcc, exec, s[0:1]
	s_cbranch_vccnz .LBB30_112
; %bb.111:
	v_lshl_add_u64 v[42:43], v[58:59], 2, v[66:67]
	flat_load_dword v42, v[42:43]
	s_waitcnt vmcnt(0) lgkmcnt(0)
	v_mul_f32_e32 v42, s28, v42
	s_branch .LBB30_113
.LBB30_112:
	v_mov_b32_e32 v42, 0
.LBB30_113:
	v_add_f32_e32 v40, v40, v41
	v_add_f32_e32 v42, v40, v42
	v_lshl_add_u64 v[40:41], v[58:59], 2, v[52:53]
	flat_store_dword v[40:41], v42
	s_or_b64 exec, exec, s[26:27]
	s_and_b64 s[34:35], s[14:15], s[18:19]
	s_and_saveexec_b64 s[26:27], s[34:35]
	s_cbranch_execz .LBB30_89
.LBB30_114:
	s_and_b64 vcc, exec, s[0:1]
	s_cbranch_vccnz .LBB30_116
; %bb.115:
	v_lshl_add_u64 v[40:41], v[56:57], 2, v[66:67]
	flat_load_dword v40, v[40:41]
	s_waitcnt vmcnt(0) lgkmcnt(0)
	v_mul_f32_e32 v40, s28, v40
	s_branch .LBB30_117
.LBB30_116:
	v_mov_b32_e32 v40, 0
.LBB30_117:
	v_add_f32_e32 v38, v38, v39
	v_add_f32_e32 v40, v38, v40
	v_lshl_add_u64 v[38:39], v[56:57], 2, v[52:53]
	flat_store_dword v[38:39], v40
	s_or_b64 exec, exec, s[26:27]
	s_and_b64 s[26:27], s[16:17], s[18:19]
	s_and_saveexec_b64 s[18:19], s[26:27]
	s_cbranch_execz .LBB30_122
.LBB30_118:
	s_and_b64 vcc, exec, s[0:1]
	s_cbranch_vccnz .LBB30_120
; %bb.119:
	v_lshl_add_u64 v[38:39], v[54:55], 2, v[66:67]
	flat_load_dword v38, v[38:39]
	s_waitcnt vmcnt(0) lgkmcnt(0)
	v_mul_f32_e32 v38, s28, v38
	s_branch .LBB30_121
.LBB30_120:
	v_mov_b32_e32 v38, 0
.LBB30_121:
	v_add_f32_e32 v36, v36, v37
	v_add_f32_e32 v38, v36, v38
	v_lshl_add_u64 v[36:37], v[54:55], 2, v[52:53]
	flat_store_dword v[36:37], v38
.LBB30_122:
	s_or_b64 exec, exec, s[18:19]
	v_add_u32_e32 v40, 64, v72
	v_mad_i64_i32 v[36:37], s[26:27], v40, s30, 0
	v_cmp_gt_i32_e64 s[18:19], s21, v40
	v_lshl_add_u64 v[38:39], v[36:37], 2, s[24:25]
	v_mad_i64_i32 v[36:37], s[26:27], v40, s29, 0
	v_lshl_add_u64 v[36:37], v[36:37], 2, s[22:23]
	s_and_b64 s[34:35], s[2:3], s[18:19]
	s_and_saveexec_b64 s[26:27], s[34:35]
	s_cbranch_execnz .LBB30_130
; %bb.123:
	s_or_b64 exec, exec, s[26:27]
	s_and_b64 s[34:35], s[4:5], s[18:19]
	s_and_saveexec_b64 s[26:27], s[34:35]
	s_cbranch_execnz .LBB30_134
.LBB30_124:
	s_or_b64 exec, exec, s[26:27]
	s_and_b64 s[34:35], s[6:7], s[18:19]
	s_and_saveexec_b64 s[26:27], s[34:35]
	s_cbranch_execnz .LBB30_138
.LBB30_125:
	s_or_b64 exec, exec, s[26:27]
	s_and_b64 s[34:35], s[8:9], s[18:19]
	s_and_saveexec_b64 s[26:27], s[34:35]
	s_cbranch_execnz .LBB30_142
.LBB30_126:
	s_or_b64 exec, exec, s[26:27]
	s_and_b64 s[34:35], s[10:11], s[18:19]
	s_and_saveexec_b64 s[26:27], s[34:35]
	s_cbranch_execnz .LBB30_146
.LBB30_127:
	s_or_b64 exec, exec, s[26:27]
	s_and_b64 s[34:35], s[12:13], s[18:19]
	s_and_saveexec_b64 s[26:27], s[34:35]
	s_cbranch_execnz .LBB30_150
.LBB30_128:
	s_or_b64 exec, exec, s[26:27]
	s_and_b64 s[34:35], s[14:15], s[18:19]
	s_and_saveexec_b64 s[26:27], s[34:35]
	s_cbranch_execnz .LBB30_154
.LBB30_129:
	s_or_b64 exec, exec, s[26:27]
	s_and_b64 s[26:27], s[16:17], s[18:19]
	s_and_saveexec_b64 s[18:19], s[26:27]
	s_cbranch_execnz .LBB30_158
	s_branch .LBB30_162
.LBB30_130:
	s_and_b64 vcc, exec, s[0:1]
	s_cbranch_vccnz .LBB30_132
; %bb.131:
	v_lshl_add_u64 v[40:41], v[0:1], 2, v[38:39]
	flat_load_dword v40, v[40:41]
	s_waitcnt vmcnt(0) lgkmcnt(0)
	v_mul_f32_e32 v40, s28, v40
	s_branch .LBB30_133
.LBB30_132:
	v_mov_b32_e32 v40, 0
.LBB30_133:
	v_add_f32_e32 v34, v34, v35
	v_add_f32_e32 v40, v34, v40
	v_lshl_add_u64 v[34:35], v[0:1], 2, v[36:37]
	flat_store_dword v[34:35], v40
	s_or_b64 exec, exec, s[26:27]
	s_and_b64 s[34:35], s[4:5], s[18:19]
	s_and_saveexec_b64 s[26:27], s[34:35]
	s_cbranch_execz .LBB30_124
.LBB30_134:
	s_and_b64 vcc, exec, s[0:1]
	s_cbranch_vccnz .LBB30_136
; %bb.135:
	v_lshl_add_u64 v[34:35], v[2:3], 2, v[38:39]
	flat_load_dword v34, v[34:35]
	s_waitcnt vmcnt(0) lgkmcnt(0)
	v_mul_f32_e32 v34, s28, v34
	s_branch .LBB30_137
.LBB30_136:
	v_mov_b32_e32 v34, 0
.LBB30_137:
	v_add_f32_e32 v32, v32, v33
	v_add_f32_e32 v34, v32, v34
	v_lshl_add_u64 v[32:33], v[2:3], 2, v[36:37]
	flat_store_dword v[32:33], v34
	s_or_b64 exec, exec, s[26:27]
	s_and_b64 s[34:35], s[6:7], s[18:19]
	s_and_saveexec_b64 s[26:27], s[34:35]
	s_cbranch_execz .LBB30_125
.LBB30_138:
	s_and_b64 vcc, exec, s[0:1]
	s_cbranch_vccnz .LBB30_140
; %bb.139:
	v_lshl_add_u64 v[32:33], v[64:65], 2, v[38:39]
	flat_load_dword v32, v[32:33]
	s_waitcnt vmcnt(0) lgkmcnt(0)
	v_mul_f32_e32 v32, s28, v32
	s_branch .LBB30_141
.LBB30_140:
	v_mov_b32_e32 v32, 0
.LBB30_141:
	v_add_f32_e32 v30, v30, v31
	v_add_f32_e32 v32, v30, v32
	v_lshl_add_u64 v[30:31], v[64:65], 2, v[36:37]
	flat_store_dword v[30:31], v32
	s_or_b64 exec, exec, s[26:27]
	s_and_b64 s[34:35], s[8:9], s[18:19]
	s_and_saveexec_b64 s[26:27], s[34:35]
	s_cbranch_execz .LBB30_126
.LBB30_142:
	s_and_b64 vcc, exec, s[0:1]
	s_cbranch_vccnz .LBB30_144
; %bb.143:
	v_lshl_add_u64 v[30:31], v[62:63], 2, v[38:39]
	flat_load_dword v30, v[30:31]
	s_waitcnt vmcnt(0) lgkmcnt(0)
	v_mul_f32_e32 v30, s28, v30
	s_branch .LBB30_145
.LBB30_144:
	v_mov_b32_e32 v30, 0
.LBB30_145:
	v_add_f32_e32 v28, v28, v29
	v_add_f32_e32 v30, v28, v30
	v_lshl_add_u64 v[28:29], v[62:63], 2, v[36:37]
	flat_store_dword v[28:29], v30
	s_or_b64 exec, exec, s[26:27]
	s_and_b64 s[34:35], s[10:11], s[18:19]
	s_and_saveexec_b64 s[26:27], s[34:35]
	s_cbranch_execz .LBB30_127
.LBB30_146:
	s_and_b64 vcc, exec, s[0:1]
	s_cbranch_vccnz .LBB30_148
; %bb.147:
	v_lshl_add_u64 v[28:29], v[60:61], 2, v[38:39]
	flat_load_dword v28, v[28:29]
	s_waitcnt vmcnt(0) lgkmcnt(0)
	v_mul_f32_e32 v28, s28, v28
	s_branch .LBB30_149
.LBB30_148:
	v_mov_b32_e32 v28, 0
.LBB30_149:
	v_add_f32_e32 v26, v26, v27
	v_add_f32_e32 v28, v26, v28
	v_lshl_add_u64 v[26:27], v[60:61], 2, v[36:37]
	flat_store_dword v[26:27], v28
	s_or_b64 exec, exec, s[26:27]
	s_and_b64 s[34:35], s[12:13], s[18:19]
	s_and_saveexec_b64 s[26:27], s[34:35]
	s_cbranch_execz .LBB30_128
.LBB30_150:
	s_and_b64 vcc, exec, s[0:1]
	s_cbranch_vccnz .LBB30_152
; %bb.151:
	v_lshl_add_u64 v[26:27], v[58:59], 2, v[38:39]
	flat_load_dword v26, v[26:27]
	s_waitcnt vmcnt(0) lgkmcnt(0)
	v_mul_f32_e32 v26, s28, v26
	s_branch .LBB30_153
.LBB30_152:
	v_mov_b32_e32 v26, 0
.LBB30_153:
	v_add_f32_e32 v24, v24, v25
	v_add_f32_e32 v26, v24, v26
	v_lshl_add_u64 v[24:25], v[58:59], 2, v[36:37]
	flat_store_dword v[24:25], v26
	s_or_b64 exec, exec, s[26:27]
	s_and_b64 s[34:35], s[14:15], s[18:19]
	s_and_saveexec_b64 s[26:27], s[34:35]
	s_cbranch_execz .LBB30_129
.LBB30_154:
	s_and_b64 vcc, exec, s[0:1]
	s_cbranch_vccnz .LBB30_156
; %bb.155:
	v_lshl_add_u64 v[24:25], v[56:57], 2, v[38:39]
	flat_load_dword v24, v[24:25]
	s_waitcnt vmcnt(0) lgkmcnt(0)
	v_mul_f32_e32 v24, s28, v24
	s_branch .LBB30_157
.LBB30_156:
	v_mov_b32_e32 v24, 0
.LBB30_157:
	v_add_f32_e32 v22, v22, v23
	v_add_f32_e32 v24, v22, v24
	v_lshl_add_u64 v[22:23], v[56:57], 2, v[36:37]
	flat_store_dword v[22:23], v24
	s_or_b64 exec, exec, s[26:27]
	s_and_b64 s[26:27], s[16:17], s[18:19]
	s_and_saveexec_b64 s[18:19], s[26:27]
	s_cbranch_execz .LBB30_162
.LBB30_158:
	s_and_b64 vcc, exec, s[0:1]
	s_cbranch_vccnz .LBB30_160
; %bb.159:
	v_lshl_add_u64 v[22:23], v[54:55], 2, v[38:39]
	flat_load_dword v22, v[22:23]
	s_waitcnt vmcnt(0) lgkmcnt(0)
	v_mul_f32_e32 v22, s28, v22
	s_branch .LBB30_161
.LBB30_160:
	v_mov_b32_e32 v22, 0
.LBB30_161:
	v_add_f32_e32 v20, v20, v21
	v_add_f32_e32 v22, v20, v22
	v_lshl_add_u64 v[20:21], v[54:55], 2, v[36:37]
	flat_store_dword v[20:21], v22
.LBB30_162:
	s_or_b64 exec, exec, s[18:19]
	v_add_u32_e32 v24, 0x60, v72
	v_cmp_gt_i32_e64 s[18:19], s21, v24
	v_mad_i64_i32 v[20:21], s[20:21], v24, s30, 0
	v_lshl_add_u64 v[22:23], v[20:21], 2, s[24:25]
	v_mad_i64_i32 v[20:21], s[20:21], v24, s29, 0
	v_lshl_add_u64 v[20:21], v[20:21], 2, s[22:23]
	s_and_b64 s[20:21], s[2:3], s[18:19]
	s_and_saveexec_b64 s[2:3], s[20:21]
	s_cbranch_execnz .LBB30_171
; %bb.163:
	s_or_b64 exec, exec, s[2:3]
	s_and_b64 s[4:5], s[4:5], s[18:19]
	s_and_saveexec_b64 s[2:3], s[4:5]
	s_cbranch_execnz .LBB30_175
.LBB30_164:
	s_or_b64 exec, exec, s[2:3]
	s_and_b64 s[4:5], s[6:7], s[18:19]
	s_and_saveexec_b64 s[2:3], s[4:5]
	s_cbranch_execnz .LBB30_179
.LBB30_165:
	s_or_b64 exec, exec, s[2:3]
	s_and_b64 s[4:5], s[8:9], s[18:19]
	s_and_saveexec_b64 s[2:3], s[4:5]
	s_cbranch_execnz .LBB30_183
.LBB30_166:
	s_or_b64 exec, exec, s[2:3]
	s_and_b64 s[4:5], s[10:11], s[18:19]
	s_and_saveexec_b64 s[2:3], s[4:5]
	s_cbranch_execnz .LBB30_187
.LBB30_167:
	s_or_b64 exec, exec, s[2:3]
	s_and_b64 s[4:5], s[12:13], s[18:19]
	s_and_saveexec_b64 s[2:3], s[4:5]
	s_cbranch_execnz .LBB30_191
.LBB30_168:
	s_or_b64 exec, exec, s[2:3]
	s_and_b64 s[4:5], s[14:15], s[18:19]
	s_and_saveexec_b64 s[2:3], s[4:5]
	s_cbranch_execnz .LBB30_195
.LBB30_169:
	s_or_b64 exec, exec, s[2:3]
	s_and_b64 s[2:3], s[16:17], s[18:19]
	s_and_saveexec_b64 s[4:5], s[2:3]
	s_cbranch_execnz .LBB30_199
.LBB30_170:
	s_endpgm
.LBB30_171:
	s_and_b64 vcc, exec, s[0:1]
	s_cbranch_vccnz .LBB30_173
; %bb.172:
	v_lshl_add_u64 v[24:25], v[0:1], 2, v[22:23]
	flat_load_dword v24, v[24:25]
	s_waitcnt vmcnt(0) lgkmcnt(0)
	v_mul_f32_e32 v24, s28, v24
	s_branch .LBB30_174
.LBB30_173:
	v_mov_b32_e32 v24, 0
.LBB30_174:
	v_add_f32_e32 v18, v18, v19
	v_add_f32_e32 v18, v18, v24
	v_lshl_add_u64 v[0:1], v[0:1], 2, v[20:21]
	flat_store_dword v[0:1], v18
	s_or_b64 exec, exec, s[2:3]
	s_and_b64 s[4:5], s[4:5], s[18:19]
	s_and_saveexec_b64 s[2:3], s[4:5]
	s_cbranch_execz .LBB30_164
.LBB30_175:
	s_and_b64 vcc, exec, s[0:1]
	s_cbranch_vccnz .LBB30_177
; %bb.176:
	v_lshl_add_u64 v[0:1], v[2:3], 2, v[22:23]
	flat_load_dword v0, v[0:1]
	s_waitcnt vmcnt(0) lgkmcnt(0)
	v_mul_f32_e32 v0, s28, v0
	s_branch .LBB30_178
.LBB30_177:
	v_mov_b32_e32 v0, 0
.LBB30_178:
	v_add_f32_e32 v1, v16, v17
	v_add_f32_e32 v16, v1, v0
	v_lshl_add_u64 v[0:1], v[2:3], 2, v[20:21]
	flat_store_dword v[0:1], v16
	s_or_b64 exec, exec, s[2:3]
	s_and_b64 s[4:5], s[6:7], s[18:19]
	s_and_saveexec_b64 s[2:3], s[4:5]
	s_cbranch_execz .LBB30_165
.LBB30_179:
	s_and_b64 vcc, exec, s[0:1]
	s_cbranch_vccnz .LBB30_181
; %bb.180:
	v_lshl_add_u64 v[0:1], v[64:65], 2, v[22:23]
	flat_load_dword v0, v[0:1]
	s_waitcnt vmcnt(0) lgkmcnt(0)
	v_mul_f32_e32 v0, s28, v0
	s_branch .LBB30_182
.LBB30_181:
	v_mov_b32_e32 v0, 0
.LBB30_182:
	v_add_f32_e32 v1, v14, v15
	v_add_f32_e32 v2, v1, v0
	v_lshl_add_u64 v[0:1], v[64:65], 2, v[20:21]
	flat_store_dword v[0:1], v2
	s_or_b64 exec, exec, s[2:3]
	s_and_b64 s[4:5], s[8:9], s[18:19]
	s_and_saveexec_b64 s[2:3], s[4:5]
	s_cbranch_execz .LBB30_166
.LBB30_183:
	s_and_b64 vcc, exec, s[0:1]
	s_cbranch_vccnz .LBB30_185
; %bb.184:
	v_lshl_add_u64 v[0:1], v[62:63], 2, v[22:23]
	flat_load_dword v0, v[0:1]
	s_waitcnt vmcnt(0) lgkmcnt(0)
	v_mul_f32_e32 v0, s28, v0
	s_branch .LBB30_186
.LBB30_185:
	v_mov_b32_e32 v0, 0
.LBB30_186:
	v_add_f32_e32 v1, v12, v13
	v_add_f32_e32 v2, v1, v0
	v_lshl_add_u64 v[0:1], v[62:63], 2, v[20:21]
	flat_store_dword v[0:1], v2
	s_or_b64 exec, exec, s[2:3]
	s_and_b64 s[4:5], s[10:11], s[18:19]
	s_and_saveexec_b64 s[2:3], s[4:5]
	s_cbranch_execz .LBB30_167
.LBB30_187:
	s_and_b64 vcc, exec, s[0:1]
	s_cbranch_vccnz .LBB30_189
; %bb.188:
	v_lshl_add_u64 v[0:1], v[60:61], 2, v[22:23]
	flat_load_dword v0, v[0:1]
	s_waitcnt vmcnt(0) lgkmcnt(0)
	v_mul_f32_e32 v0, s28, v0
	s_branch .LBB30_190
.LBB30_189:
	v_mov_b32_e32 v0, 0
.LBB30_190:
	v_add_f32_e32 v1, v10, v11
	v_add_f32_e32 v2, v1, v0
	v_lshl_add_u64 v[0:1], v[60:61], 2, v[20:21]
	flat_store_dword v[0:1], v2
	s_or_b64 exec, exec, s[2:3]
	s_and_b64 s[4:5], s[12:13], s[18:19]
	s_and_saveexec_b64 s[2:3], s[4:5]
	s_cbranch_execz .LBB30_168
.LBB30_191:
	s_and_b64 vcc, exec, s[0:1]
	s_cbranch_vccnz .LBB30_193
; %bb.192:
	v_lshl_add_u64 v[0:1], v[58:59], 2, v[22:23]
	flat_load_dword v0, v[0:1]
	s_waitcnt vmcnt(0) lgkmcnt(0)
	v_mul_f32_e32 v0, s28, v0
	s_branch .LBB30_194
.LBB30_193:
	v_mov_b32_e32 v0, 0
.LBB30_194:
	v_add_f32_e32 v1, v8, v9
	v_add_f32_e32 v2, v1, v0
	v_lshl_add_u64 v[0:1], v[58:59], 2, v[20:21]
	flat_store_dword v[0:1], v2
	s_or_b64 exec, exec, s[2:3]
	s_and_b64 s[4:5], s[14:15], s[18:19]
	s_and_saveexec_b64 s[2:3], s[4:5]
	s_cbranch_execz .LBB30_169
.LBB30_195:
	s_and_b64 vcc, exec, s[0:1]
	s_cbranch_vccnz .LBB30_197
; %bb.196:
	v_lshl_add_u64 v[0:1], v[56:57], 2, v[22:23]
	flat_load_dword v0, v[0:1]
	s_waitcnt vmcnt(0) lgkmcnt(0)
	v_mul_f32_e32 v0, s28, v0
	s_branch .LBB30_198
.LBB30_197:
	v_mov_b32_e32 v0, 0
.LBB30_198:
	v_add_f32_e32 v1, v6, v7
	v_add_f32_e32 v2, v1, v0
	v_lshl_add_u64 v[0:1], v[56:57], 2, v[20:21]
	flat_store_dword v[0:1], v2
	s_or_b64 exec, exec, s[2:3]
	s_and_b64 s[2:3], s[16:17], s[18:19]
	s_and_saveexec_b64 s[4:5], s[2:3]
	s_cbranch_execz .LBB30_170
.LBB30_199:
	s_and_b64 vcc, exec, s[0:1]
	s_cbranch_vccnz .LBB30_201
; %bb.200:
	v_lshl_add_u64 v[0:1], v[54:55], 2, v[22:23]
	flat_load_dword v0, v[0:1]
	s_waitcnt vmcnt(0) lgkmcnt(0)
	v_mul_f32_e32 v0, s28, v0
	s_branch .LBB30_202
.LBB30_201:
	v_mov_b32_e32 v0, 0
.LBB30_202:
	v_add_f32_e32 v1, v4, v5
	v_add_f32_e32 v2, v1, v0
	v_lshl_add_u64 v[0:1], v[54:55], 2, v[20:21]
	flat_store_dword v[0:1], v2
	s_endpgm
	.section	.rodata,"a",@progbits
	.p2align	6, 0x0
	.amdhsa_kernel _ZN12_GLOBAL__N_120geam_min_plus_kernelIf15HIP_vector_typeIfLj2EES2_Li8ELi32ELi64ELi128ELi4ELi64ELi4ELi4ELi64ELc78ELc78ELb0ELb1ELb0EPKfKS4_KPfEEviiiT16_PT17_ilSA_ilS8_SA_ilPT18_ili26rocblas_geam_ex_operation_
		.amdhsa_group_segment_fixed_size 6144
		.amdhsa_private_segment_fixed_size 0
		.amdhsa_kernarg_size 136
		.amdhsa_user_sgpr_count 2
		.amdhsa_user_sgpr_dispatch_ptr 0
		.amdhsa_user_sgpr_queue_ptr 0
		.amdhsa_user_sgpr_kernarg_segment_ptr 1
		.amdhsa_user_sgpr_dispatch_id 0
		.amdhsa_user_sgpr_kernarg_preload_length 0
		.amdhsa_user_sgpr_kernarg_preload_offset 0
		.amdhsa_user_sgpr_private_segment_size 0
		.amdhsa_uses_dynamic_stack 0
		.amdhsa_enable_private_segment 0
		.amdhsa_system_sgpr_workgroup_id_x 1
		.amdhsa_system_sgpr_workgroup_id_y 0
		.amdhsa_system_sgpr_workgroup_id_z 1
		.amdhsa_system_sgpr_workgroup_info 0
		.amdhsa_system_vgpr_workitem_id 1
		.amdhsa_next_free_vgpr 112
		.amdhsa_next_free_sgpr 38
		.amdhsa_accum_offset 112
		.amdhsa_reserve_vcc 1
		.amdhsa_float_round_mode_32 0
		.amdhsa_float_round_mode_16_64 0
		.amdhsa_float_denorm_mode_32 3
		.amdhsa_float_denorm_mode_16_64 3
		.amdhsa_dx10_clamp 1
		.amdhsa_ieee_mode 1
		.amdhsa_fp16_overflow 0
		.amdhsa_tg_split 0
		.amdhsa_exception_fp_ieee_invalid_op 0
		.amdhsa_exception_fp_denorm_src 0
		.amdhsa_exception_fp_ieee_div_zero 0
		.amdhsa_exception_fp_ieee_overflow 0
		.amdhsa_exception_fp_ieee_underflow 0
		.amdhsa_exception_fp_ieee_inexact 0
		.amdhsa_exception_int_div_zero 0
	.end_amdhsa_kernel
	.section	.text._ZN12_GLOBAL__N_120geam_min_plus_kernelIf15HIP_vector_typeIfLj2EES2_Li8ELi32ELi64ELi128ELi4ELi64ELi4ELi4ELi64ELc78ELc78ELb0ELb1ELb0EPKfKS4_KPfEEviiiT16_PT17_ilSA_ilS8_SA_ilPT18_ili26rocblas_geam_ex_operation_,"axG",@progbits,_ZN12_GLOBAL__N_120geam_min_plus_kernelIf15HIP_vector_typeIfLj2EES2_Li8ELi32ELi64ELi128ELi4ELi64ELi4ELi4ELi64ELc78ELc78ELb0ELb1ELb0EPKfKS4_KPfEEviiiT16_PT17_ilSA_ilS8_SA_ilPT18_ili26rocblas_geam_ex_operation_,comdat
.Lfunc_end30:
	.size	_ZN12_GLOBAL__N_120geam_min_plus_kernelIf15HIP_vector_typeIfLj2EES2_Li8ELi32ELi64ELi128ELi4ELi64ELi4ELi4ELi64ELc78ELc78ELb0ELb1ELb0EPKfKS4_KPfEEviiiT16_PT17_ilSA_ilS8_SA_ilPT18_ili26rocblas_geam_ex_operation_, .Lfunc_end30-_ZN12_GLOBAL__N_120geam_min_plus_kernelIf15HIP_vector_typeIfLj2EES2_Li8ELi32ELi64ELi128ELi4ELi64ELi4ELi4ELi64ELc78ELc78ELb0ELb1ELb0EPKfKS4_KPfEEviiiT16_PT17_ilSA_ilS8_SA_ilPT18_ili26rocblas_geam_ex_operation_
                                        ; -- End function
	.set _ZN12_GLOBAL__N_120geam_min_plus_kernelIf15HIP_vector_typeIfLj2EES2_Li8ELi32ELi64ELi128ELi4ELi64ELi4ELi4ELi64ELc78ELc78ELb0ELb1ELb0EPKfKS4_KPfEEviiiT16_PT17_ilSA_ilS8_SA_ilPT18_ili26rocblas_geam_ex_operation_.num_vgpr, 112
	.set _ZN12_GLOBAL__N_120geam_min_plus_kernelIf15HIP_vector_typeIfLj2EES2_Li8ELi32ELi64ELi128ELi4ELi64ELi4ELi4ELi64ELc78ELc78ELb0ELb1ELb0EPKfKS4_KPfEEviiiT16_PT17_ilSA_ilS8_SA_ilPT18_ili26rocblas_geam_ex_operation_.num_agpr, 0
	.set _ZN12_GLOBAL__N_120geam_min_plus_kernelIf15HIP_vector_typeIfLj2EES2_Li8ELi32ELi64ELi128ELi4ELi64ELi4ELi4ELi64ELc78ELc78ELb0ELb1ELb0EPKfKS4_KPfEEviiiT16_PT17_ilSA_ilS8_SA_ilPT18_ili26rocblas_geam_ex_operation_.numbered_sgpr, 38
	.set _ZN12_GLOBAL__N_120geam_min_plus_kernelIf15HIP_vector_typeIfLj2EES2_Li8ELi32ELi64ELi128ELi4ELi64ELi4ELi4ELi64ELc78ELc78ELb0ELb1ELb0EPKfKS4_KPfEEviiiT16_PT17_ilSA_ilS8_SA_ilPT18_ili26rocblas_geam_ex_operation_.num_named_barrier, 0
	.set _ZN12_GLOBAL__N_120geam_min_plus_kernelIf15HIP_vector_typeIfLj2EES2_Li8ELi32ELi64ELi128ELi4ELi64ELi4ELi4ELi64ELc78ELc78ELb0ELb1ELb0EPKfKS4_KPfEEviiiT16_PT17_ilSA_ilS8_SA_ilPT18_ili26rocblas_geam_ex_operation_.private_seg_size, 0
	.set _ZN12_GLOBAL__N_120geam_min_plus_kernelIf15HIP_vector_typeIfLj2EES2_Li8ELi32ELi64ELi128ELi4ELi64ELi4ELi4ELi64ELc78ELc78ELb0ELb1ELb0EPKfKS4_KPfEEviiiT16_PT17_ilSA_ilS8_SA_ilPT18_ili26rocblas_geam_ex_operation_.uses_vcc, 1
	.set _ZN12_GLOBAL__N_120geam_min_plus_kernelIf15HIP_vector_typeIfLj2EES2_Li8ELi32ELi64ELi128ELi4ELi64ELi4ELi4ELi64ELc78ELc78ELb0ELb1ELb0EPKfKS4_KPfEEviiiT16_PT17_ilSA_ilS8_SA_ilPT18_ili26rocblas_geam_ex_operation_.uses_flat_scratch, 0
	.set _ZN12_GLOBAL__N_120geam_min_plus_kernelIf15HIP_vector_typeIfLj2EES2_Li8ELi32ELi64ELi128ELi4ELi64ELi4ELi4ELi64ELc78ELc78ELb0ELb1ELb0EPKfKS4_KPfEEviiiT16_PT17_ilSA_ilS8_SA_ilPT18_ili26rocblas_geam_ex_operation_.has_dyn_sized_stack, 0
	.set _ZN12_GLOBAL__N_120geam_min_plus_kernelIf15HIP_vector_typeIfLj2EES2_Li8ELi32ELi64ELi128ELi4ELi64ELi4ELi4ELi64ELc78ELc78ELb0ELb1ELb0EPKfKS4_KPfEEviiiT16_PT17_ilSA_ilS8_SA_ilPT18_ili26rocblas_geam_ex_operation_.has_recursion, 0
	.set _ZN12_GLOBAL__N_120geam_min_plus_kernelIf15HIP_vector_typeIfLj2EES2_Li8ELi32ELi64ELi128ELi4ELi64ELi4ELi4ELi64ELc78ELc78ELb0ELb1ELb0EPKfKS4_KPfEEviiiT16_PT17_ilSA_ilS8_SA_ilPT18_ili26rocblas_geam_ex_operation_.has_indirect_call, 0
	.section	.AMDGPU.csdata,"",@progbits
; Kernel info:
; codeLenInByte = 8036
; TotalNumSgprs: 44
; NumVgprs: 112
; NumAgprs: 0
; TotalNumVgprs: 112
; ScratchSize: 0
; MemoryBound: 0
; FloatMode: 240
; IeeeMode: 1
; LDSByteSize: 6144 bytes/workgroup (compile time only)
; SGPRBlocks: 5
; VGPRBlocks: 13
; NumSGPRsForWavesPerEU: 44
; NumVGPRsForWavesPerEU: 112
; AccumOffset: 112
; Occupancy: 4
; WaveLimiterHint : 1
; COMPUTE_PGM_RSRC2:SCRATCH_EN: 0
; COMPUTE_PGM_RSRC2:USER_SGPR: 2
; COMPUTE_PGM_RSRC2:TRAP_HANDLER: 0
; COMPUTE_PGM_RSRC2:TGID_X_EN: 1
; COMPUTE_PGM_RSRC2:TGID_Y_EN: 0
; COMPUTE_PGM_RSRC2:TGID_Z_EN: 1
; COMPUTE_PGM_RSRC2:TIDIG_COMP_CNT: 1
; COMPUTE_PGM_RSRC3_GFX90A:ACCUM_OFFSET: 27
; COMPUTE_PGM_RSRC3_GFX90A:TG_SPLIT: 0
	.section	.text._ZN12_GLOBAL__N_120geam_min_plus_kernelIf15HIP_vector_typeIfLj2EES2_Li8ELi32ELi64ELi128ELi4ELi64ELi4ELi4ELi64ELc78ELc78ELb1ELb1ELb0EfKPKfKPfEEviiiT16_PT17_ilSA_ilS8_SA_ilPT18_ili26rocblas_geam_ex_operation_,"axG",@progbits,_ZN12_GLOBAL__N_120geam_min_plus_kernelIf15HIP_vector_typeIfLj2EES2_Li8ELi32ELi64ELi128ELi4ELi64ELi4ELi4ELi64ELc78ELc78ELb1ELb1ELb0EfKPKfKPfEEviiiT16_PT17_ilSA_ilS8_SA_ilPT18_ili26rocblas_geam_ex_operation_,comdat
	.globl	_ZN12_GLOBAL__N_120geam_min_plus_kernelIf15HIP_vector_typeIfLj2EES2_Li8ELi32ELi64ELi128ELi4ELi64ELi4ELi4ELi64ELc78ELc78ELb1ELb1ELb0EfKPKfKPfEEviiiT16_PT17_ilSA_ilS8_SA_ilPT18_ili26rocblas_geam_ex_operation_ ; -- Begin function _ZN12_GLOBAL__N_120geam_min_plus_kernelIf15HIP_vector_typeIfLj2EES2_Li8ELi32ELi64ELi128ELi4ELi64ELi4ELi4ELi64ELc78ELc78ELb1ELb1ELb0EfKPKfKPfEEviiiT16_PT17_ilSA_ilS8_SA_ilPT18_ili26rocblas_geam_ex_operation_
	.p2align	8
	.type	_ZN12_GLOBAL__N_120geam_min_plus_kernelIf15HIP_vector_typeIfLj2EES2_Li8ELi32ELi64ELi128ELi4ELi64ELi4ELi4ELi64ELc78ELc78ELb1ELb1ELb0EfKPKfKPfEEviiiT16_PT17_ilSA_ilS8_SA_ilPT18_ili26rocblas_geam_ex_operation_,@function
_ZN12_GLOBAL__N_120geam_min_plus_kernelIf15HIP_vector_typeIfLj2EES2_Li8ELi32ELi64ELi128ELi4ELi64ELi4ELi4ELi64ELc78ELc78ELb1ELb1ELb0EfKPKfKPfEEviiiT16_PT17_ilSA_ilS8_SA_ilPT18_ili26rocblas_geam_ex_operation_: ; @_ZN12_GLOBAL__N_120geam_min_plus_kernelIf15HIP_vector_typeIfLj2EES2_Li8ELi32ELi64ELi128ELi4ELi64ELi4ELi4ELi64ELc78ELc78ELb1ELb1ELb0EfKPKfKPfEEviiiT16_PT17_ilSA_ilS8_SA_ilPT18_ili26rocblas_geam_ex_operation_
; %bb.0:
	s_load_dwordx4 s[20:23], s[0:1], 0x0
	s_load_dwordx4 s[4:7], s[0:1], 0x20
	s_mov_b32 s8, s3
	s_mov_b32 s9, 0
	s_waitcnt lgkmcnt(0)
	v_cmp_eq_f32_e64 s[10:11], s23, 0
	s_and_b64 vcc, exec, s[10:11]
	s_cbranch_vccnz .LBB31_3
; %bb.1:
	s_load_dwordx2 s[12:13], s[0:1], 0x10
	s_lshl_b64 s[14:15], s[8:9], 3
	s_waitcnt lgkmcnt(0)
	s_add_u32 s12, s12, s14
	s_addc_u32 s13, s13, s15
	s_load_dwordx2 s[12:13], s[12:13], 0x0
	s_lshl_b64 s[4:5], s[4:5], 2
	s_waitcnt lgkmcnt(0)
	s_add_u32 s14, s12, s4
	s_addc_u32 s15, s13, s5
	s_andn2_b64 vcc, exec, s[10:11]
	s_cbranch_vccnz .LBB31_4
.LBB31_2:
	s_mov_b32 s13, 0
	s_mov_b32 s12, s8
	s_mov_b64 s[24:25], 0
	s_mov_b64 s[10:11], 0
	s_cbranch_execz .LBB31_5
	s_branch .LBB31_6
.LBB31_3:
	s_mov_b64 s[14:15], 0
	s_andn2_b64 vcc, exec, s[10:11]
	s_cbranch_vccz .LBB31_2
.LBB31_4:
	s_mov_b64 s[12:13], s[8:9]
	s_mov_b64 s[24:25], 0
	;; [unrolled: 1-line block ×3, first 2 shown]
.LBB31_5:
	s_lshl_b64 s[8:9], s[8:9], 3
	s_add_u32 s6, s6, s8
	s_load_dwordx2 s[4:5], s[0:1], 0x38
	s_addc_u32 s7, s7, s9
	s_load_dwordx2 s[6:7], s[6:7], 0x0
	s_waitcnt lgkmcnt(0)
	s_lshl_b64 s[4:5], s[4:5], 2
	s_add_u32 s10, s6, s4
	s_addc_u32 s11, s7, s5
.LBB31_6:
	s_load_dword s28, s[0:1], 0x40
	s_load_dwordx4 s[4:7], s[0:1], 0x58
	s_waitcnt lgkmcnt(0)
	v_cmp_eq_f32_e64 s[16:17], s28, 0
	v_cmp_neq_f32_e64 s[8:9], s28, 0
	s_and_b64 vcc, exec, s[16:17]
	s_cbranch_vccnz .LBB31_8
; %bb.7:
	s_load_dwordx2 s[16:17], s[0:1], 0x48
	s_lshl_b64 s[18:19], s[12:13], 3
	s_waitcnt lgkmcnt(0)
	s_add_u32 s16, s16, s18
	s_addc_u32 s17, s17, s19
	s_load_dwordx2 s[16:17], s[16:17], 0x0
	s_lshl_b64 s[4:5], s[4:5], 2
	s_waitcnt lgkmcnt(0)
	s_add_u32 s24, s16, s4
	s_addc_u32 s25, s17, s5
.LBB31_8:
	s_load_dword s23, s[0:1], 0x18
	s_lshl_b64 s[4:5], s[12:13], 3
	v_and_b32_e32 v80, 0x3ff, v0
	v_bfe_u32 v81, v0, 10, 10
	v_lshl_add_u32 v0, v81, 3, v80
	s_waitcnt lgkmcnt(0)
	s_ashr_i32 s26, s23, 31
	s_add_u32 s16, s6, s4
	s_addc_u32 s17, s7, s5
	s_add_i32 s3, s20, -1
	s_ashr_i32 s4, s3, 31
	s_lshr_b32 s4, s4, 26
	s_add_i32 s3, s3, s4
	s_ashr_i32 s3, s3, 6
	s_add_i32 s7, s3, 1
	v_cvt_f32_u32_e32 v1, s7
	s_not_b32 s3, s3
	v_and_b32_e32 v2, 63, v0
	v_lshrrev_b32_e32 v82, 6, v0
	v_rcp_iflag_f32_e32 v1, v1
	v_cmp_gt_i32_e64 s[4:5], s22, v82
	v_mov_b32_e32 v69, 0
	v_mov_b32_e32 v5, 0
	v_mul_f32_e32 v1, 0x4f7ffffe, v1
	v_cvt_u32_f32_e32 v1, v1
	s_nop 0
	v_readfirstlane_b32 s6, v1
	s_mul_i32 s3, s3, s6
	s_mul_hi_u32 s3, s6, s3
	s_add_i32 s6, s6, s3
	s_mul_hi_u32 s3, s2, s6
	s_mul_i32 s6, s3, s7
	s_sub_i32 s6, s2, s6
	s_add_i32 s12, s3, 1
	s_sub_i32 s13, s6, s7
	s_cmp_ge_u32 s6, s7
	s_cselect_b32 s3, s12, s3
	s_cselect_b32 s6, s13, s6
	s_add_i32 s12, s3, 1
	s_cmp_ge_u32 s6, s7
	s_cselect_b32 s6, s12, s3
	s_mul_i32 s3, s6, s7
	s_sub_i32 s2, s2, s3
	s_lshl_b32 s18, s2, 6
	v_or_b32_e32 v70, s18, v2
	v_cmp_gt_i32_e64 s[2:3], s20, v70
	v_cmp_le_i32_e32 vcc, s20, v70
	s_and_b64 s[4:5], s[4:5], s[2:3]
	v_ashrrev_i32_e32 v71, 31, v70
	s_and_saveexec_b64 s[2:3], s[4:5]
	s_cbranch_execz .LBB31_10
; %bb.9:
	v_mad_i64_i32 v[4:5], s[4:5], s23, v82, 0
	v_lshl_add_u64 v[4:5], v[4:5], 2, s[14:15]
	v_lshl_add_u64 v[4:5], v[70:71], 2, v[4:5]
	flat_load_dword v5, v[4:5]
.LBB31_10:
	s_or_b64 exec, exec, s[2:3]
	s_load_dword s27, s[0:1], 0x30
	v_lshrrev_b32_e32 v73, 2, v0
	s_lshl_b32 s19, s6, 7
	v_and_b32_e32 v83, 3, v80
	v_add_u32_e32 v72, s19, v73
	v_cmp_le_i32_e64 s[6:7], s22, v83
	v_lshlrev_b32_e32 v68, 2, v83
	v_cmp_le_i32_e64 s[2:3], s21, v72
	v_lshl_add_u64 v[0:1], s[10:11], 0, v[68:69]
	s_nor_b64 s[12:13], s[6:7], s[2:3]
	s_and_saveexec_b64 s[4:5], s[12:13]
	s_cbranch_execz .LBB31_12
; %bb.11:
	s_waitcnt lgkmcnt(0)
	v_mad_i64_i32 v[6:7], s[12:13], v72, s27, 0
	v_lshl_add_u64 v[6:7], v[6:7], 2, v[0:1]
	flat_load_dword v69, v[6:7]
.LBB31_12:
	s_or_b64 exec, exec, s[4:5]
	v_add_u32_e32 v74, 64, v72
	v_cmp_le_i32_e64 s[4:5], s21, v74
	s_nor_b64 s[12:13], s[6:7], s[4:5]
	v_mov_b32_e32 v78, 0
	v_mov_b32_e32 v3, 0
	s_and_saveexec_b64 s[6:7], s[12:13]
	s_cbranch_execz .LBB31_14
; %bb.13:
	s_waitcnt lgkmcnt(0)
	v_mad_i64_i32 v[6:7], s[12:13], v74, s27, 0
	v_lshl_add_u64 v[6:7], v[6:7], 2, v[0:1]
	flat_load_dword v3, v[6:7]
.LBB31_14:
	s_or_b64 exec, exec, s[6:7]
	v_add_u32_e32 v4, 4, v82
	v_cmp_gt_i32_e64 s[6:7], s22, v4
	s_xor_b64 s[12:13], vcc, -1
	s_and_b64 s[30:31], s[12:13], s[6:7]
	s_and_saveexec_b64 s[6:7], s[30:31]
	s_cbranch_execz .LBB31_16
; %bb.15:
	v_mad_u64_u32 v[6:7], s[30:31], s23, v4, 0
	v_mov_b32_e32 v8, v7
	v_mad_u64_u32 v[8:9], s[30:31], s26, v4, v[8:9]
	v_mov_b32_e32 v7, v8
	v_lshl_add_u64 v[6:7], v[6:7], 2, s[14:15]
	v_lshl_add_u64 v[6:7], v[70:71], 2, v[6:7]
	flat_load_dword v78, v[6:7]
.LBB31_16:
	s_or_b64 exec, exec, s[6:7]
	v_or_b32_e32 v4, 4, v83
	v_cmp_le_i32_e32 vcc, s22, v4
	s_nor_b64 s[30:31], vcc, s[2:3]
	v_mov_b32_e32 v75, 0
	v_mov_b32_e32 v76, 0
	s_and_saveexec_b64 s[6:7], s[30:31]
	s_cbranch_execz .LBB31_18
; %bb.17:
	s_waitcnt lgkmcnt(0)
	v_mad_i64_i32 v[6:7], s[30:31], v72, s27, 0
	v_lshl_add_u64 v[6:7], v[6:7], 2, v[0:1]
	flat_load_dword v76, v[6:7] offset:16
.LBB31_18:
	s_or_b64 exec, exec, s[6:7]
	s_load_dwordx2 s[6:7], s[16:17], 0x0
	s_nor_b64 s[30:31], vcc, s[4:5]
	s_and_saveexec_b64 s[16:17], s[30:31]
	s_cbranch_execz .LBB31_20
; %bb.19:
	s_waitcnt lgkmcnt(0)
	v_mad_i64_i32 v[6:7], s[30:31], v74, s27, 0
	v_lshl_add_u64 v[0:1], v[6:7], 2, v[0:1]
	flat_load_dword v75, v[0:1] offset:16
.LBB31_20:
	s_or_b64 exec, exec, s[16:17]
	v_lshlrev_b32_e32 v0, 4, v2
	v_lshl_add_u32 v77, v82, 2, v0
	v_lshlrev_b32_e32 v0, 4, v73
	v_lshl_or_b32 v84, v83, 2, v0
	v_mov_b32_e32 v0, 0x1000
	v_mov_b32_e32 v66, 0
	s_waitcnt vmcnt(0) lgkmcnt(0)
	ds_write_b32 v77, v5 offset:4096
	v_lshl_add_u32 v85, v80, 4, v0
	s_mov_b32 s29, 0
	s_mov_b64 s[16:17], -1
	v_mov_b32_e32 v67, v66
	v_mov_b32_e32 v64, v66
	;; [unrolled: 1-line block ×63, first 2 shown]
	v_or_b32_e32 v86, 0x1000, v77
	v_lshlrev_b32_e32 v87, 4, v81
	ds_write2st64_b32 v84, v69, v3 offset1:4
	s_waitcnt lgkmcnt(0)
	s_barrier
.LBB31_21:                              ; =>This Inner Loop Header: Depth=1
	v_cndmask_b32_e64 v0, 0, 1, s[16:17]
	s_lshl_b32 s16, s29, 2
	v_cmp_ne_u32_e32 vcc, 1, v0
	v_add_u32_e32 v0, s16, v85
	ds_read2_b64 v[88:91], v0 offset1:16
	ds_read2_b64 v[92:95], v0 offset0:32 offset1:48
	ds_read2_b64 v[96:99], v0 offset0:64 offset1:80
	;; [unrolled: 1-line block ×3, first 2 shown]
	v_add_u32_e32 v0, s16, v87
	ds_read2st64_b64 v[104:107], v0 offset1:1
	ds_read2st64_b64 v[0:3], v0 offset0:2 offset1:3
	s_waitcnt lgkmcnt(5)
	v_max_f32_e32 v79, v88, v88
	v_max_f32_e32 v90, v90, v90
	;; [unrolled: 1-line block ×3, first 2 shown]
	s_waitcnt lgkmcnt(1)
	v_max_f32_e32 v69, v104, v104
	v_max_f32_e32 v104, v105, v105
	;; [unrolled: 1-line block ×3, first 2 shown]
	v_min_f32_e32 v88, v79, v69
	v_min_f32_e32 v89, v105, v104
	v_pk_add_f32 v[66:67], v[66:67], v[88:89]
	v_min_f32_e32 v88, v90, v69
	v_min_f32_e32 v89, v91, v104
	v_max_f32_e32 v92, v92, v92
	v_max_f32_e32 v93, v93, v93
	v_pk_add_f32 v[64:65], v[64:65], v[88:89]
	v_min_f32_e32 v88, v92, v69
	v_min_f32_e32 v89, v93, v104
	v_max_f32_e32 v94, v94, v94
	v_max_f32_e32 v95, v95, v95
	;; [unrolled: 5-line block ×5, first 2 shown]
	v_pk_add_f32 v[56:57], v[56:57], v[88:89]
	v_min_f32_e32 v88, v100, v69
	v_min_f32_e32 v89, v101, v104
	v_max_f32_e32 v102, v102, v102
	v_pk_add_f32 v[54:55], v[54:55], v[88:89]
	v_min_f32_e32 v88, v102, v69
	v_max_f32_e32 v69, v103, v103
	v_min_f32_e32 v89, v69, v104
	v_max_f32_e32 v103, v106, v106
	v_max_f32_e32 v104, v107, v107
	v_pk_add_f32 v[52:53], v[52:53], v[88:89]
	v_min_f32_e32 v88, v79, v103
	v_min_f32_e32 v89, v105, v104
	v_pk_add_f32 v[50:51], v[50:51], v[88:89]
	v_min_f32_e32 v88, v90, v103
	v_min_f32_e32 v89, v91, v104
	;; [unrolled: 3-line block ×8, first 2 shown]
	v_pk_add_f32 v[36:37], v[36:37], v[88:89]
	s_waitcnt lgkmcnt(0)
	v_max_f32_e32 v88, v0, v0
	v_max_f32_e32 v89, v1, v1
	v_min_f32_e32 v0, v79, v88
	v_min_f32_e32 v1, v105, v89
	v_pk_add_f32 v[34:35], v[34:35], v[0:1]
	v_min_f32_e32 v0, v90, v88
	v_min_f32_e32 v1, v91, v89
	v_pk_add_f32 v[32:33], v[32:33], v[0:1]
	;; [unrolled: 3-line block ×7, first 2 shown]
	v_min_f32_e32 v0, v102, v88
	v_min_f32_e32 v1, v69, v89
	v_max_f32_e32 v2, v2, v2
	v_max_f32_e32 v3, v3, v3
	v_pk_add_f32 v[20:21], v[20:21], v[0:1]
	v_min_f32_e32 v0, v79, v2
	v_min_f32_e32 v1, v105, v3
	v_pk_add_f32 v[18:19], v[18:19], v[0:1]
	v_min_f32_e32 v0, v90, v2
	v_min_f32_e32 v1, v91, v3
	;; [unrolled: 3-line block ×8, first 2 shown]
	v_pk_add_f32 v[4:5], v[4:5], v[0:1]
	s_mov_b64 s[16:17], 0
	s_mov_b32 s29, 2
	s_cbranch_vccz .LBB31_21
; %bb.22:
	v_lshl_or_b32 v0, v73, 4, v68
	s_cmp_lt_i32 s22, 9
	ds_write_b32 v77, v78 offset:5120
	ds_write2st64_b32 v0, v76, v75 offset0:8 offset1:12
	s_waitcnt lgkmcnt(0)
	s_barrier
	s_cbranch_scc1 .LBB31_41
; %bb.23:
	v_add_u32_e32 v89, 0x800, v0
	v_mov_b32_e32 v0, 0x1400
	v_lshl_add_u32 v90, v80, 4, v0
	v_mov_b32_e32 v0, 0x800
	v_add_u32_e32 v88, 0x1400, v77
	s_add_i32 s16, s22, -8
	v_lshl_add_u64 v[68:69], v[70:71], 2, s[14:15]
	v_mad_i64_i32 v[70:71], s[14:15], v72, s27, 0
	v_mad_i64_i32 v[72:73], s[14:15], v74, s27, 0
	v_lshl_add_u32 v91, v81, 4, v0
	s_mov_b32 s17, 8
	s_mov_b32 s27, 0
	v_mov_b32_e32 v75, 0
.LBB31_24:                              ; =>This Loop Header: Depth=1
                                        ;     Child Loop BB31_31 Depth 2
                                        ;     Child Loop BB31_39 Depth 2
	v_add_u32_e32 v0, s17, v82
	v_cmp_gt_i32_e32 vcc, s22, v0
	s_and_b64 s[30:31], s[12:13], vcc
	v_mov_b32_e32 v94, 0
	s_and_saveexec_b64 s[14:15], s[30:31]
	s_cbranch_execz .LBB31_26
; %bb.25:                               ;   in Loop: Header=BB31_24 Depth=1
	v_mad_u64_u32 v[2:3], s[30:31], v0, s23, 0
	v_mov_b32_e32 v74, v3
	v_mad_u64_u32 v[0:1], s[30:31], v0, s26, v[74:75]
	v_mov_b32_e32 v3, v0
	v_lshl_add_u64 v[0:1], v[2:3], 2, v[68:69]
	flat_load_dword v94, v[0:1]
.LBB31_26:                              ;   in Loop: Header=BB31_24 Depth=1
	s_or_b64 exec, exec, s[14:15]
	v_or_b32_e32 v74, s17, v83
	v_cmp_le_i32_e32 vcc, s22, v74
	v_lshl_add_u64 v[0:1], v[74:75], 2, s[10:11]
	s_nor_b64 s[30:31], s[2:3], vcc
	v_mov_b32_e32 v92, 0
	v_lshl_add_u64 v[78:79], v[70:71], 2, v[0:1]
	v_mov_b32_e32 v93, 0
	s_and_saveexec_b64 s[14:15], s[30:31]
	s_cbranch_execz .LBB31_28
; %bb.27:                               ;   in Loop: Header=BB31_24 Depth=1
	flat_load_dword v93, v[78:79]
.LBB31_28:                              ;   in Loop: Header=BB31_24 Depth=1
	s_or_b64 exec, exec, s[14:15]
	s_nor_b64 s[30:31], s[4:5], vcc
	v_lshl_add_u64 v[76:77], v[72:73], 2, v[0:1]
	s_and_saveexec_b64 s[14:15], s[30:31]
	s_cbranch_execz .LBB31_30
; %bb.29:                               ;   in Loop: Header=BB31_24 Depth=1
	flat_load_dword v92, v[76:77]
.LBB31_30:                              ;   in Loop: Header=BB31_24 Depth=1
	s_or_b64 exec, exec, s[14:15]
	s_mov_b32 s29, 0
	s_mov_b64 s[14:15], -1
.LBB31_31:                              ;   Parent Loop BB31_24 Depth=1
                                        ; =>  This Inner Loop Header: Depth=2
	v_cndmask_b32_e64 v0, 0, 1, s[14:15]
	s_lshl_b32 s14, s29, 2
	v_cmp_ne_u32_e32 vcc, 1, v0
	v_add_u32_e32 v0, s14, v90
	ds_read2_b64 v[96:99], v0 offset1:16
	ds_read2_b64 v[100:103], v0 offset0:32 offset1:48
	ds_read2_b64 v[104:107], v0 offset0:64 offset1:80
	;; [unrolled: 1-line block ×3, first 2 shown]
	v_add_u32_e32 v0, s14, v91
	ds_read2st64_b64 v[112:115], v0 offset1:1
	ds_read2st64_b64 v[0:3], v0 offset0:2 offset1:3
	s_waitcnt lgkmcnt(0)
	v_max_f32_e32 v116, v97, v97
	v_max_f32_e32 v98, v98, v98
	;; [unrolled: 1-line block ×6, first 2 shown]
	v_min_f32_e32 v96, v112, v95
	v_min_f32_e32 v97, v116, v113
	v_pk_add_f32 v[66:67], v[66:67], v[96:97]
	v_min_f32_e32 v96, v98, v95
	v_min_f32_e32 v97, v99, v113
	v_max_f32_e32 v100, v100, v100
	v_max_f32_e32 v101, v101, v101
	v_pk_add_f32 v[64:65], v[64:65], v[96:97]
	v_min_f32_e32 v96, v100, v95
	v_min_f32_e32 v97, v101, v113
	v_max_f32_e32 v102, v102, v102
	v_max_f32_e32 v103, v103, v103
	;; [unrolled: 5-line block ×5, first 2 shown]
	v_pk_add_f32 v[56:57], v[56:57], v[96:97]
	v_min_f32_e32 v96, v108, v95
	v_min_f32_e32 v97, v109, v113
	v_max_f32_e32 v110, v110, v110
	v_pk_add_f32 v[54:55], v[54:55], v[96:97]
	v_min_f32_e32 v96, v110, v95
	v_max_f32_e32 v95, v111, v111
	v_min_f32_e32 v97, v95, v113
	v_max_f32_e32 v111, v114, v114
	v_max_f32_e32 v113, v115, v115
	v_pk_add_f32 v[52:53], v[52:53], v[96:97]
	v_min_f32_e32 v96, v112, v111
	v_min_f32_e32 v97, v116, v113
	v_pk_add_f32 v[50:51], v[50:51], v[96:97]
	v_min_f32_e32 v96, v98, v111
	v_min_f32_e32 v97, v99, v113
	;; [unrolled: 3-line block ×8, first 2 shown]
	v_pk_add_f32 v[36:37], v[36:37], v[96:97]
	v_max_f32_e32 v96, v0, v0
	v_max_f32_e32 v97, v1, v1
	v_min_f32_e32 v0, v112, v96
	v_min_f32_e32 v1, v116, v97
	v_pk_add_f32 v[34:35], v[34:35], v[0:1]
	v_min_f32_e32 v0, v98, v96
	v_min_f32_e32 v1, v99, v97
	v_pk_add_f32 v[32:33], v[32:33], v[0:1]
	;; [unrolled: 3-line block ×7, first 2 shown]
	v_min_f32_e32 v0, v110, v96
	v_min_f32_e32 v1, v95, v97
	v_max_f32_e32 v2, v2, v2
	v_max_f32_e32 v3, v3, v3
	v_pk_add_f32 v[20:21], v[20:21], v[0:1]
	v_min_f32_e32 v0, v112, v2
	v_min_f32_e32 v1, v116, v3
	v_pk_add_f32 v[18:19], v[18:19], v[0:1]
	v_min_f32_e32 v0, v98, v2
	v_min_f32_e32 v1, v99, v3
	;; [unrolled: 3-line block ×8, first 2 shown]
	v_pk_add_f32 v[4:5], v[4:5], v[0:1]
	s_mov_b64 s[14:15], 0
	s_mov_b32 s29, 2
	s_cbranch_vccz .LBB31_31
; %bb.32:                               ;   in Loop: Header=BB31_24 Depth=1
	v_add3_u32 v0, v82, s17, 4
	v_cmp_gt_i32_e32 vcc, s22, v0
	s_waitcnt vmcnt(0)
	ds_write_b32 v86, v94
	ds_write2st64_b32 v84, v93, v92 offset1:4
	s_and_b64 s[30:31], s[12:13], vcc
	v_mov_b32_e32 v92, 0
	v_mov_b32_e32 v93, 0
	s_waitcnt lgkmcnt(0)
	s_barrier
	s_and_saveexec_b64 s[14:15], s[30:31]
	s_cbranch_execz .LBB31_34
; %bb.33:                               ;   in Loop: Header=BB31_24 Depth=1
	v_mad_u64_u32 v[2:3], s[30:31], v0, s23, 0
	v_mov_b32_e32 v94, v3
	v_mad_u64_u32 v[0:1], s[30:31], v0, s26, v[94:95]
	v_mov_b32_e32 v3, v0
	v_lshl_add_u64 v[0:1], v[2:3], 2, v[68:69]
	flat_load_dword v93, v[0:1]
.LBB31_34:                              ;   in Loop: Header=BB31_24 Depth=1
	s_or_b64 exec, exec, s[14:15]
	v_or_b32_e32 v0, 4, v74
	v_cmp_le_i32_e32 vcc, s22, v0
	s_nor_b64 s[30:31], s[2:3], vcc
	s_and_saveexec_b64 s[14:15], s[30:31]
	s_cbranch_execz .LBB31_36
; %bb.35:                               ;   in Loop: Header=BB31_24 Depth=1
	flat_load_dword v92, v[78:79] offset:16
.LBB31_36:                              ;   in Loop: Header=BB31_24 Depth=1
	s_or_b64 exec, exec, s[14:15]
	s_nor_b64 s[30:31], s[4:5], vcc
	v_mov_b32_e32 v74, 0
	s_and_saveexec_b64 s[14:15], s[30:31]
	s_cbranch_execz .LBB31_38
; %bb.37:                               ;   in Loop: Header=BB31_24 Depth=1
	flat_load_dword v74, v[76:77] offset:16
.LBB31_38:                              ;   in Loop: Header=BB31_24 Depth=1
	s_or_b64 exec, exec, s[14:15]
	s_mov_b32 s29, 0
	s_mov_b64 s[14:15], -1
.LBB31_39:                              ;   Parent Loop BB31_24 Depth=1
                                        ; =>  This Inner Loop Header: Depth=2
	v_cndmask_b32_e64 v0, 0, 1, s[14:15]
	s_lshl_b32 s14, s29, 2
	v_cmp_ne_u32_e32 vcc, 1, v0
	v_add_u32_e32 v0, s14, v85
	ds_read2_b64 v[76:79], v0 offset1:16
	ds_read2_b64 v[94:97], v0 offset0:32 offset1:48
	ds_read2_b64 v[98:101], v0 offset0:64 offset1:80
	;; [unrolled: 1-line block ×3, first 2 shown]
	v_add_u32_e32 v0, s14, v87
	ds_read2st64_b64 v[106:109], v0 offset1:1
	ds_read2st64_b64 v[0:3], v0 offset0:2 offset1:3
	s_waitcnt lgkmcnt(0)
	v_max_f32_e32 v110, v76, v76
	v_max_f32_e32 v111, v77, v77
	;; [unrolled: 1-line block ×5, first 2 shown]
	v_min_f32_e32 v76, v110, v106
	v_min_f32_e32 v77, v111, v107
	v_max_f32_e32 v79, v79, v79
	v_pk_add_f32 v[66:67], v[66:67], v[76:77]
	v_min_f32_e32 v76, v78, v106
	v_min_f32_e32 v77, v79, v107
	v_max_f32_e32 v94, v94, v94
	v_max_f32_e32 v95, v95, v95
	v_pk_add_f32 v[64:65], v[64:65], v[76:77]
	v_min_f32_e32 v76, v94, v106
	v_min_f32_e32 v77, v95, v107
	v_max_f32_e32 v96, v96, v96
	;; [unrolled: 5-line block ×7, first 2 shown]
	v_max_f32_e32 v107, v109, v109
	v_pk_add_f32 v[52:53], v[52:53], v[76:77]
	v_min_f32_e32 v76, v110, v106
	v_min_f32_e32 v77, v111, v107
	v_pk_add_f32 v[50:51], v[50:51], v[76:77]
	v_min_f32_e32 v76, v78, v106
	v_min_f32_e32 v77, v79, v107
	;; [unrolled: 3-line block ×8, first 2 shown]
	v_pk_add_f32 v[36:37], v[36:37], v[76:77]
	v_max_f32_e32 v76, v0, v0
	v_max_f32_e32 v77, v1, v1
	v_min_f32_e32 v0, v110, v76
	v_min_f32_e32 v1, v111, v77
	v_pk_add_f32 v[34:35], v[34:35], v[0:1]
	v_min_f32_e32 v0, v78, v76
	v_min_f32_e32 v1, v79, v77
	v_pk_add_f32 v[32:33], v[32:33], v[0:1]
	;; [unrolled: 3-line block ×7, first 2 shown]
	v_min_f32_e32 v0, v104, v76
	v_min_f32_e32 v1, v105, v77
	v_max_f32_e32 v2, v2, v2
	v_max_f32_e32 v3, v3, v3
	v_pk_add_f32 v[20:21], v[20:21], v[0:1]
	v_min_f32_e32 v0, v110, v2
	v_min_f32_e32 v1, v111, v3
	v_pk_add_f32 v[18:19], v[18:19], v[0:1]
	v_min_f32_e32 v0, v78, v2
	v_min_f32_e32 v1, v79, v3
	;; [unrolled: 3-line block ×8, first 2 shown]
	v_pk_add_f32 v[4:5], v[4:5], v[0:1]
	s_mov_b64 s[14:15], 0
	s_mov_b32 s29, 2
	s_cbranch_vccz .LBB31_39
; %bb.40:                               ;   in Loop: Header=BB31_24 Depth=1
	s_add_i32 s17, s17, 8
	s_add_i32 s27, s27, 8
	s_cmp_ge_i32 s27, s16
	s_waitcnt vmcnt(0)
	ds_write_b32 v88, v93
	ds_write2st64_b32 v89, v92, v74 offset1:4
	s_waitcnt lgkmcnt(0)
	s_barrier
	s_cbranch_scc0 .LBB31_24
.LBB31_41:
	v_mov_b32_e32 v0, 0x1400
	v_lshl_add_u32 v68, v80, 4, v0
	v_mov_b32_e32 v0, 0x800
	v_lshl_add_u32 v69, v81, 4, v0
	s_mov_b32 s4, 0
	s_mov_b64 s[2:3], -1
.LBB31_42:                              ; =>This Inner Loop Header: Depth=1
	v_cndmask_b32_e64 v0, 0, 1, s[2:3]
	s_lshl_b32 s2, s4, 2
	v_cmp_ne_u32_e32 vcc, 1, v0
	v_add_u32_e32 v0, s2, v68
	ds_read2_b64 v[70:73], v0 offset1:16
	ds_read2_b64 v[74:77], v0 offset0:32 offset1:48
	ds_read2_b64 v[82:85], v0 offset0:64 offset1:80
	;; [unrolled: 1-line block ×3, first 2 shown]
	v_add_u32_e32 v0, s2, v69
	ds_read2st64_b64 v[90:93], v0 offset1:1
	ds_read2st64_b64 v[0:3], v0 offset0:2 offset1:3
	s_waitcnt lgkmcnt(5)
	v_max_f32_e32 v79, v70, v70
	v_max_f32_e32 v72, v72, v72
	;; [unrolled: 1-line block ×3, first 2 shown]
	s_waitcnt lgkmcnt(1)
	v_max_f32_e32 v78, v90, v90
	v_max_f32_e32 v90, v91, v91
	;; [unrolled: 1-line block ×3, first 2 shown]
	v_min_f32_e32 v70, v79, v78
	v_min_f32_e32 v71, v91, v90
	v_pk_add_f32 v[66:67], v[66:67], v[70:71]
	v_min_f32_e32 v70, v72, v78
	v_min_f32_e32 v71, v73, v90
	v_max_f32_e32 v74, v74, v74
	v_max_f32_e32 v75, v75, v75
	v_pk_add_f32 v[64:65], v[64:65], v[70:71]
	v_min_f32_e32 v70, v74, v78
	v_min_f32_e32 v71, v75, v90
	v_max_f32_e32 v76, v76, v76
	v_max_f32_e32 v77, v77, v77
	;; [unrolled: 5-line block ×5, first 2 shown]
	v_pk_add_f32 v[56:57], v[56:57], v[70:71]
	v_min_f32_e32 v70, v86, v78
	v_min_f32_e32 v71, v87, v90
	v_max_f32_e32 v88, v88, v88
	v_pk_add_f32 v[54:55], v[54:55], v[70:71]
	v_min_f32_e32 v70, v88, v78
	v_max_f32_e32 v78, v89, v89
	v_min_f32_e32 v71, v78, v90
	v_max_f32_e32 v89, v92, v92
	v_max_f32_e32 v90, v93, v93
	v_pk_add_f32 v[52:53], v[52:53], v[70:71]
	v_min_f32_e32 v70, v79, v89
	v_min_f32_e32 v71, v91, v90
	v_pk_add_f32 v[50:51], v[50:51], v[70:71]
	v_min_f32_e32 v70, v72, v89
	v_min_f32_e32 v71, v73, v90
	;; [unrolled: 3-line block ×8, first 2 shown]
	v_pk_add_f32 v[36:37], v[36:37], v[70:71]
	s_waitcnt lgkmcnt(0)
	v_max_f32_e32 v70, v0, v0
	v_max_f32_e32 v71, v1, v1
	v_min_f32_e32 v0, v79, v70
	v_min_f32_e32 v1, v91, v71
	v_pk_add_f32 v[34:35], v[34:35], v[0:1]
	v_min_f32_e32 v0, v72, v70
	v_min_f32_e32 v1, v73, v71
	v_pk_add_f32 v[32:33], v[32:33], v[0:1]
	;; [unrolled: 3-line block ×7, first 2 shown]
	v_min_f32_e32 v0, v88, v70
	v_min_f32_e32 v1, v78, v71
	v_max_f32_e32 v2, v2, v2
	v_max_f32_e32 v3, v3, v3
	v_pk_add_f32 v[20:21], v[20:21], v[0:1]
	v_min_f32_e32 v0, v79, v2
	v_min_f32_e32 v1, v91, v3
	v_pk_add_f32 v[18:19], v[18:19], v[0:1]
	v_min_f32_e32 v0, v72, v2
	v_min_f32_e32 v1, v73, v3
	;; [unrolled: 3-line block ×8, first 2 shown]
	v_pk_add_f32 v[4:5], v[4:5], v[0:1]
	s_mov_b64 s[2:3], 0
	s_mov_b32 s4, 2
	s_cbranch_vccz .LBB31_42
; %bb.43:
	s_load_dwordx2 s[2:3], s[0:1], 0x70
	s_load_dword s30, s[0:1], 0x50
	s_load_dword s29, s[0:1], 0x68
	v_add_u32_e32 v72, s19, v81
	v_add_u32_e32 v0, s18, v80
	s_waitcnt lgkmcnt(0)
	s_lshl_b64 s[0:1], s[2:3], 2
	s_add_u32 s22, s6, s0
	s_addc_u32 s23, s7, s1
	v_mad_i64_i32 v[2:3], s[0:1], v72, s30, 0
	v_lshl_add_u64 v[70:71], v[2:3], 2, s[24:25]
	v_mad_i64_i32 v[2:3], s[0:1], v72, s29, 0
	v_cmp_gt_i32_e64 s[18:19], s21, v72
	v_lshl_add_u64 v[68:69], v[2:3], 2, s[22:23]
	v_cmp_gt_i32_e64 s[2:3], s20, v0
	v_cndmask_b32_e64 v2, 0, 1, s[8:9]
	s_and_b64 s[6:7], s[2:3], s[18:19]
	v_ashrrev_i32_e32 v1, 31, v0
	v_cmp_ne_u32_e64 s[0:1], 1, v2
	s_and_saveexec_b64 s[4:5], s[6:7]
	s_cbranch_execz .LBB31_48
; %bb.44:
	s_and_b64 vcc, exec, s[0:1]
	s_cbranch_vccnz .LBB31_46
; %bb.45:
	v_lshl_add_u64 v[2:3], v[0:1], 2, v[70:71]
	flat_load_dword v2, v[2:3]
	s_waitcnt vmcnt(0) lgkmcnt(0)
	v_mul_f32_e32 v2, s28, v2
	s_branch .LBB31_47
.LBB31_46:
	v_mov_b32_e32 v2, 0
.LBB31_47:
	v_add_f32_e32 v3, v66, v67
	v_add_f32_e32 v66, v3, v2
	v_lshl_add_u64 v[2:3], v[0:1], 2, v[68:69]
	flat_store_dword v[2:3], v66
.LBB31_48:
	s_or_b64 exec, exec, s[4:5]
	v_add_u32_e32 v2, 8, v0
	v_cmp_gt_i32_e64 s[4:5], s20, v2
	s_and_b64 s[8:9], s[4:5], s[18:19]
	v_ashrrev_i32_e32 v3, 31, v2
	s_and_saveexec_b64 s[6:7], s[8:9]
	s_cbranch_execz .LBB31_53
; %bb.49:
	s_and_b64 vcc, exec, s[0:1]
	s_cbranch_vccnz .LBB31_51
; %bb.50:
	v_lshl_add_u64 v[66:67], v[2:3], 2, v[70:71]
	flat_load_dword v66, v[66:67]
	s_waitcnt vmcnt(0) lgkmcnt(0)
	v_mul_f32_e32 v66, s28, v66
	s_branch .LBB31_52
.LBB31_51:
	v_mov_b32_e32 v66, 0
.LBB31_52:
	v_add_f32_e32 v64, v64, v65
	v_add_f32_e32 v66, v64, v66
	v_lshl_add_u64 v[64:65], v[2:3], 2, v[68:69]
	flat_store_dword v[64:65], v66
.LBB31_53:
	s_or_b64 exec, exec, s[6:7]
	v_add_u32_e32 v64, 16, v0
	v_cmp_gt_i32_e64 s[6:7], s20, v64
	s_and_b64 s[10:11], s[6:7], s[18:19]
	v_ashrrev_i32_e32 v65, 31, v64
	;; [unrolled: 24-line block ×7, first 2 shown]
	s_and_saveexec_b64 s[18:19], s[26:27]
	s_cbranch_execz .LBB31_83
; %bb.79:
	s_and_b64 vcc, exec, s[0:1]
	s_cbranch_vccnz .LBB31_81
; %bb.80:
	v_lshl_add_u64 v[66:67], v[54:55], 2, v[70:71]
	flat_load_dword v66, v[66:67]
	s_waitcnt vmcnt(0) lgkmcnt(0)
	v_mul_f32_e32 v66, s28, v66
	s_branch .LBB31_82
.LBB31_81:
	v_mov_b32_e32 v66, 0
.LBB31_82:
	v_add_f32_e32 v52, v52, v53
	v_add_f32_e32 v66, v52, v66
	v_lshl_add_u64 v[52:53], v[54:55], 2, v[68:69]
	flat_store_dword v[52:53], v66
.LBB31_83:
	s_or_b64 exec, exec, s[18:19]
	v_add_u32_e32 v68, 32, v72
	v_mad_i64_i32 v[52:53], s[26:27], v68, s30, 0
	v_cmp_gt_i32_e64 s[18:19], s21, v68
	v_lshl_add_u64 v[66:67], v[52:53], 2, s[24:25]
	v_mad_i64_i32 v[52:53], s[26:27], v68, s29, 0
	v_lshl_add_u64 v[52:53], v[52:53], 2, s[22:23]
	s_and_b64 s[34:35], s[2:3], s[18:19]
	s_and_saveexec_b64 s[26:27], s[34:35]
	s_cbranch_execnz .LBB31_91
; %bb.84:
	s_or_b64 exec, exec, s[26:27]
	s_and_b64 s[34:35], s[4:5], s[18:19]
	s_and_saveexec_b64 s[26:27], s[34:35]
	s_cbranch_execnz .LBB31_95
.LBB31_85:
	s_or_b64 exec, exec, s[26:27]
	s_and_b64 s[34:35], s[6:7], s[18:19]
	s_and_saveexec_b64 s[26:27], s[34:35]
	s_cbranch_execnz .LBB31_99
.LBB31_86:
	s_or_b64 exec, exec, s[26:27]
	s_and_b64 s[34:35], s[8:9], s[18:19]
	s_and_saveexec_b64 s[26:27], s[34:35]
	s_cbranch_execnz .LBB31_103
.LBB31_87:
	s_or_b64 exec, exec, s[26:27]
	s_and_b64 s[34:35], s[10:11], s[18:19]
	s_and_saveexec_b64 s[26:27], s[34:35]
	s_cbranch_execnz .LBB31_107
.LBB31_88:
	s_or_b64 exec, exec, s[26:27]
	s_and_b64 s[34:35], s[12:13], s[18:19]
	s_and_saveexec_b64 s[26:27], s[34:35]
	s_cbranch_execnz .LBB31_111
.LBB31_89:
	s_or_b64 exec, exec, s[26:27]
	s_and_b64 s[34:35], s[14:15], s[18:19]
	s_and_saveexec_b64 s[26:27], s[34:35]
	s_cbranch_execnz .LBB31_115
.LBB31_90:
	s_or_b64 exec, exec, s[26:27]
	s_and_b64 s[26:27], s[16:17], s[18:19]
	s_and_saveexec_b64 s[18:19], s[26:27]
	s_cbranch_execnz .LBB31_119
	s_branch .LBB31_123
.LBB31_91:
	s_and_b64 vcc, exec, s[0:1]
	s_cbranch_vccnz .LBB31_93
; %bb.92:
	v_lshl_add_u64 v[68:69], v[0:1], 2, v[66:67]
	flat_load_dword v68, v[68:69]
	s_waitcnt vmcnt(0) lgkmcnt(0)
	v_mul_f32_e32 v68, s28, v68
	s_branch .LBB31_94
.LBB31_93:
	v_mov_b32_e32 v68, 0
.LBB31_94:
	v_add_f32_e32 v50, v50, v51
	v_add_f32_e32 v68, v50, v68
	v_lshl_add_u64 v[50:51], v[0:1], 2, v[52:53]
	flat_store_dword v[50:51], v68
	s_or_b64 exec, exec, s[26:27]
	s_and_b64 s[34:35], s[4:5], s[18:19]
	s_and_saveexec_b64 s[26:27], s[34:35]
	s_cbranch_execz .LBB31_85
.LBB31_95:
	s_and_b64 vcc, exec, s[0:1]
	s_cbranch_vccnz .LBB31_97
; %bb.96:
	v_lshl_add_u64 v[50:51], v[2:3], 2, v[66:67]
	flat_load_dword v50, v[50:51]
	s_waitcnt vmcnt(0) lgkmcnt(0)
	v_mul_f32_e32 v50, s28, v50
	s_branch .LBB31_98
.LBB31_97:
	v_mov_b32_e32 v50, 0
.LBB31_98:
	v_add_f32_e32 v48, v48, v49
	v_add_f32_e32 v50, v48, v50
	v_lshl_add_u64 v[48:49], v[2:3], 2, v[52:53]
	flat_store_dword v[48:49], v50
	s_or_b64 exec, exec, s[26:27]
	s_and_b64 s[34:35], s[6:7], s[18:19]
	s_and_saveexec_b64 s[26:27], s[34:35]
	s_cbranch_execz .LBB31_86
.LBB31_99:
	s_and_b64 vcc, exec, s[0:1]
	s_cbranch_vccnz .LBB31_101
; %bb.100:
	v_lshl_add_u64 v[48:49], v[64:65], 2, v[66:67]
	flat_load_dword v48, v[48:49]
	s_waitcnt vmcnt(0) lgkmcnt(0)
	v_mul_f32_e32 v48, s28, v48
	s_branch .LBB31_102
.LBB31_101:
	v_mov_b32_e32 v48, 0
.LBB31_102:
	v_add_f32_e32 v46, v46, v47
	v_add_f32_e32 v48, v46, v48
	v_lshl_add_u64 v[46:47], v[64:65], 2, v[52:53]
	flat_store_dword v[46:47], v48
	s_or_b64 exec, exec, s[26:27]
	s_and_b64 s[34:35], s[8:9], s[18:19]
	s_and_saveexec_b64 s[26:27], s[34:35]
	s_cbranch_execz .LBB31_87
.LBB31_103:
	s_and_b64 vcc, exec, s[0:1]
	s_cbranch_vccnz .LBB31_105
; %bb.104:
	v_lshl_add_u64 v[46:47], v[62:63], 2, v[66:67]
	flat_load_dword v46, v[46:47]
	s_waitcnt vmcnt(0) lgkmcnt(0)
	v_mul_f32_e32 v46, s28, v46
	s_branch .LBB31_106
.LBB31_105:
	v_mov_b32_e32 v46, 0
.LBB31_106:
	v_add_f32_e32 v44, v44, v45
	v_add_f32_e32 v46, v44, v46
	v_lshl_add_u64 v[44:45], v[62:63], 2, v[52:53]
	flat_store_dword v[44:45], v46
	s_or_b64 exec, exec, s[26:27]
	s_and_b64 s[34:35], s[10:11], s[18:19]
	s_and_saveexec_b64 s[26:27], s[34:35]
	s_cbranch_execz .LBB31_88
.LBB31_107:
	s_and_b64 vcc, exec, s[0:1]
	s_cbranch_vccnz .LBB31_109
; %bb.108:
	v_lshl_add_u64 v[44:45], v[60:61], 2, v[66:67]
	flat_load_dword v44, v[44:45]
	s_waitcnt vmcnt(0) lgkmcnt(0)
	v_mul_f32_e32 v44, s28, v44
	s_branch .LBB31_110
.LBB31_109:
	v_mov_b32_e32 v44, 0
.LBB31_110:
	v_add_f32_e32 v42, v42, v43
	v_add_f32_e32 v44, v42, v44
	v_lshl_add_u64 v[42:43], v[60:61], 2, v[52:53]
	flat_store_dword v[42:43], v44
	s_or_b64 exec, exec, s[26:27]
	s_and_b64 s[34:35], s[12:13], s[18:19]
	s_and_saveexec_b64 s[26:27], s[34:35]
	s_cbranch_execz .LBB31_89
.LBB31_111:
	s_and_b64 vcc, exec, s[0:1]
	s_cbranch_vccnz .LBB31_113
; %bb.112:
	v_lshl_add_u64 v[42:43], v[58:59], 2, v[66:67]
	flat_load_dword v42, v[42:43]
	s_waitcnt vmcnt(0) lgkmcnt(0)
	v_mul_f32_e32 v42, s28, v42
	s_branch .LBB31_114
.LBB31_113:
	v_mov_b32_e32 v42, 0
.LBB31_114:
	v_add_f32_e32 v40, v40, v41
	v_add_f32_e32 v42, v40, v42
	v_lshl_add_u64 v[40:41], v[58:59], 2, v[52:53]
	flat_store_dword v[40:41], v42
	s_or_b64 exec, exec, s[26:27]
	s_and_b64 s[34:35], s[14:15], s[18:19]
	s_and_saveexec_b64 s[26:27], s[34:35]
	s_cbranch_execz .LBB31_90
.LBB31_115:
	s_and_b64 vcc, exec, s[0:1]
	s_cbranch_vccnz .LBB31_117
; %bb.116:
	v_lshl_add_u64 v[40:41], v[56:57], 2, v[66:67]
	flat_load_dword v40, v[40:41]
	s_waitcnt vmcnt(0) lgkmcnt(0)
	v_mul_f32_e32 v40, s28, v40
	s_branch .LBB31_118
.LBB31_117:
	v_mov_b32_e32 v40, 0
.LBB31_118:
	v_add_f32_e32 v38, v38, v39
	v_add_f32_e32 v40, v38, v40
	v_lshl_add_u64 v[38:39], v[56:57], 2, v[52:53]
	flat_store_dword v[38:39], v40
	s_or_b64 exec, exec, s[26:27]
	s_and_b64 s[26:27], s[16:17], s[18:19]
	s_and_saveexec_b64 s[18:19], s[26:27]
	s_cbranch_execz .LBB31_123
.LBB31_119:
	s_and_b64 vcc, exec, s[0:1]
	s_cbranch_vccnz .LBB31_121
; %bb.120:
	v_lshl_add_u64 v[38:39], v[54:55], 2, v[66:67]
	flat_load_dword v38, v[38:39]
	s_waitcnt vmcnt(0) lgkmcnt(0)
	v_mul_f32_e32 v38, s28, v38
	s_branch .LBB31_122
.LBB31_121:
	v_mov_b32_e32 v38, 0
.LBB31_122:
	v_add_f32_e32 v36, v36, v37
	v_add_f32_e32 v38, v36, v38
	v_lshl_add_u64 v[36:37], v[54:55], 2, v[52:53]
	flat_store_dword v[36:37], v38
.LBB31_123:
	s_or_b64 exec, exec, s[18:19]
	v_add_u32_e32 v40, 64, v72
	v_mad_i64_i32 v[36:37], s[26:27], v40, s30, 0
	v_cmp_gt_i32_e64 s[18:19], s21, v40
	v_lshl_add_u64 v[38:39], v[36:37], 2, s[24:25]
	v_mad_i64_i32 v[36:37], s[26:27], v40, s29, 0
	v_lshl_add_u64 v[36:37], v[36:37], 2, s[22:23]
	s_and_b64 s[34:35], s[2:3], s[18:19]
	s_and_saveexec_b64 s[26:27], s[34:35]
	s_cbranch_execnz .LBB31_131
; %bb.124:
	s_or_b64 exec, exec, s[26:27]
	s_and_b64 s[34:35], s[4:5], s[18:19]
	s_and_saveexec_b64 s[26:27], s[34:35]
	s_cbranch_execnz .LBB31_135
.LBB31_125:
	s_or_b64 exec, exec, s[26:27]
	s_and_b64 s[34:35], s[6:7], s[18:19]
	s_and_saveexec_b64 s[26:27], s[34:35]
	s_cbranch_execnz .LBB31_139
.LBB31_126:
	s_or_b64 exec, exec, s[26:27]
	s_and_b64 s[34:35], s[8:9], s[18:19]
	s_and_saveexec_b64 s[26:27], s[34:35]
	s_cbranch_execnz .LBB31_143
.LBB31_127:
	s_or_b64 exec, exec, s[26:27]
	s_and_b64 s[34:35], s[10:11], s[18:19]
	s_and_saveexec_b64 s[26:27], s[34:35]
	s_cbranch_execnz .LBB31_147
.LBB31_128:
	s_or_b64 exec, exec, s[26:27]
	s_and_b64 s[34:35], s[12:13], s[18:19]
	s_and_saveexec_b64 s[26:27], s[34:35]
	s_cbranch_execnz .LBB31_151
.LBB31_129:
	s_or_b64 exec, exec, s[26:27]
	s_and_b64 s[34:35], s[14:15], s[18:19]
	s_and_saveexec_b64 s[26:27], s[34:35]
	s_cbranch_execnz .LBB31_155
.LBB31_130:
	s_or_b64 exec, exec, s[26:27]
	s_and_b64 s[26:27], s[16:17], s[18:19]
	s_and_saveexec_b64 s[18:19], s[26:27]
	s_cbranch_execnz .LBB31_159
	s_branch .LBB31_163
.LBB31_131:
	s_and_b64 vcc, exec, s[0:1]
	s_cbranch_vccnz .LBB31_133
; %bb.132:
	v_lshl_add_u64 v[40:41], v[0:1], 2, v[38:39]
	flat_load_dword v40, v[40:41]
	s_waitcnt vmcnt(0) lgkmcnt(0)
	v_mul_f32_e32 v40, s28, v40
	s_branch .LBB31_134
.LBB31_133:
	v_mov_b32_e32 v40, 0
.LBB31_134:
	v_add_f32_e32 v34, v34, v35
	v_add_f32_e32 v40, v34, v40
	v_lshl_add_u64 v[34:35], v[0:1], 2, v[36:37]
	flat_store_dword v[34:35], v40
	s_or_b64 exec, exec, s[26:27]
	s_and_b64 s[34:35], s[4:5], s[18:19]
	s_and_saveexec_b64 s[26:27], s[34:35]
	s_cbranch_execz .LBB31_125
.LBB31_135:
	s_and_b64 vcc, exec, s[0:1]
	s_cbranch_vccnz .LBB31_137
; %bb.136:
	v_lshl_add_u64 v[34:35], v[2:3], 2, v[38:39]
	flat_load_dword v34, v[34:35]
	s_waitcnt vmcnt(0) lgkmcnt(0)
	v_mul_f32_e32 v34, s28, v34
	s_branch .LBB31_138
.LBB31_137:
	v_mov_b32_e32 v34, 0
.LBB31_138:
	v_add_f32_e32 v32, v32, v33
	v_add_f32_e32 v34, v32, v34
	v_lshl_add_u64 v[32:33], v[2:3], 2, v[36:37]
	flat_store_dword v[32:33], v34
	s_or_b64 exec, exec, s[26:27]
	s_and_b64 s[34:35], s[6:7], s[18:19]
	s_and_saveexec_b64 s[26:27], s[34:35]
	s_cbranch_execz .LBB31_126
.LBB31_139:
	s_and_b64 vcc, exec, s[0:1]
	s_cbranch_vccnz .LBB31_141
; %bb.140:
	v_lshl_add_u64 v[32:33], v[64:65], 2, v[38:39]
	flat_load_dword v32, v[32:33]
	s_waitcnt vmcnt(0) lgkmcnt(0)
	v_mul_f32_e32 v32, s28, v32
	s_branch .LBB31_142
.LBB31_141:
	v_mov_b32_e32 v32, 0
.LBB31_142:
	v_add_f32_e32 v30, v30, v31
	v_add_f32_e32 v32, v30, v32
	v_lshl_add_u64 v[30:31], v[64:65], 2, v[36:37]
	flat_store_dword v[30:31], v32
	s_or_b64 exec, exec, s[26:27]
	s_and_b64 s[34:35], s[8:9], s[18:19]
	s_and_saveexec_b64 s[26:27], s[34:35]
	s_cbranch_execz .LBB31_127
.LBB31_143:
	s_and_b64 vcc, exec, s[0:1]
	s_cbranch_vccnz .LBB31_145
; %bb.144:
	v_lshl_add_u64 v[30:31], v[62:63], 2, v[38:39]
	flat_load_dword v30, v[30:31]
	s_waitcnt vmcnt(0) lgkmcnt(0)
	v_mul_f32_e32 v30, s28, v30
	s_branch .LBB31_146
.LBB31_145:
	v_mov_b32_e32 v30, 0
.LBB31_146:
	v_add_f32_e32 v28, v28, v29
	v_add_f32_e32 v30, v28, v30
	v_lshl_add_u64 v[28:29], v[62:63], 2, v[36:37]
	flat_store_dword v[28:29], v30
	s_or_b64 exec, exec, s[26:27]
	s_and_b64 s[34:35], s[10:11], s[18:19]
	s_and_saveexec_b64 s[26:27], s[34:35]
	s_cbranch_execz .LBB31_128
.LBB31_147:
	s_and_b64 vcc, exec, s[0:1]
	s_cbranch_vccnz .LBB31_149
; %bb.148:
	v_lshl_add_u64 v[28:29], v[60:61], 2, v[38:39]
	flat_load_dword v28, v[28:29]
	s_waitcnt vmcnt(0) lgkmcnt(0)
	v_mul_f32_e32 v28, s28, v28
	s_branch .LBB31_150
.LBB31_149:
	v_mov_b32_e32 v28, 0
.LBB31_150:
	v_add_f32_e32 v26, v26, v27
	v_add_f32_e32 v28, v26, v28
	v_lshl_add_u64 v[26:27], v[60:61], 2, v[36:37]
	flat_store_dword v[26:27], v28
	s_or_b64 exec, exec, s[26:27]
	s_and_b64 s[34:35], s[12:13], s[18:19]
	s_and_saveexec_b64 s[26:27], s[34:35]
	s_cbranch_execz .LBB31_129
.LBB31_151:
	s_and_b64 vcc, exec, s[0:1]
	s_cbranch_vccnz .LBB31_153
; %bb.152:
	v_lshl_add_u64 v[26:27], v[58:59], 2, v[38:39]
	flat_load_dword v26, v[26:27]
	s_waitcnt vmcnt(0) lgkmcnt(0)
	v_mul_f32_e32 v26, s28, v26
	s_branch .LBB31_154
.LBB31_153:
	v_mov_b32_e32 v26, 0
.LBB31_154:
	v_add_f32_e32 v24, v24, v25
	v_add_f32_e32 v26, v24, v26
	v_lshl_add_u64 v[24:25], v[58:59], 2, v[36:37]
	flat_store_dword v[24:25], v26
	s_or_b64 exec, exec, s[26:27]
	s_and_b64 s[34:35], s[14:15], s[18:19]
	s_and_saveexec_b64 s[26:27], s[34:35]
	s_cbranch_execz .LBB31_130
.LBB31_155:
	s_and_b64 vcc, exec, s[0:1]
	s_cbranch_vccnz .LBB31_157
; %bb.156:
	v_lshl_add_u64 v[24:25], v[56:57], 2, v[38:39]
	flat_load_dword v24, v[24:25]
	s_waitcnt vmcnt(0) lgkmcnt(0)
	v_mul_f32_e32 v24, s28, v24
	s_branch .LBB31_158
.LBB31_157:
	v_mov_b32_e32 v24, 0
.LBB31_158:
	v_add_f32_e32 v22, v22, v23
	v_add_f32_e32 v24, v22, v24
	v_lshl_add_u64 v[22:23], v[56:57], 2, v[36:37]
	flat_store_dword v[22:23], v24
	s_or_b64 exec, exec, s[26:27]
	s_and_b64 s[26:27], s[16:17], s[18:19]
	s_and_saveexec_b64 s[18:19], s[26:27]
	s_cbranch_execz .LBB31_163
.LBB31_159:
	s_and_b64 vcc, exec, s[0:1]
	s_cbranch_vccnz .LBB31_161
; %bb.160:
	v_lshl_add_u64 v[22:23], v[54:55], 2, v[38:39]
	flat_load_dword v22, v[22:23]
	s_waitcnt vmcnt(0) lgkmcnt(0)
	v_mul_f32_e32 v22, s28, v22
	s_branch .LBB31_162
.LBB31_161:
	v_mov_b32_e32 v22, 0
.LBB31_162:
	v_add_f32_e32 v20, v20, v21
	v_add_f32_e32 v22, v20, v22
	v_lshl_add_u64 v[20:21], v[54:55], 2, v[36:37]
	flat_store_dword v[20:21], v22
.LBB31_163:
	s_or_b64 exec, exec, s[18:19]
	v_add_u32_e32 v24, 0x60, v72
	v_cmp_gt_i32_e64 s[18:19], s21, v24
	v_mad_i64_i32 v[20:21], s[20:21], v24, s30, 0
	v_lshl_add_u64 v[22:23], v[20:21], 2, s[24:25]
	v_mad_i64_i32 v[20:21], s[20:21], v24, s29, 0
	v_lshl_add_u64 v[20:21], v[20:21], 2, s[22:23]
	s_and_b64 s[20:21], s[2:3], s[18:19]
	s_and_saveexec_b64 s[2:3], s[20:21]
	s_cbranch_execnz .LBB31_172
; %bb.164:
	s_or_b64 exec, exec, s[2:3]
	s_and_b64 s[4:5], s[4:5], s[18:19]
	s_and_saveexec_b64 s[2:3], s[4:5]
	s_cbranch_execnz .LBB31_176
.LBB31_165:
	s_or_b64 exec, exec, s[2:3]
	s_and_b64 s[4:5], s[6:7], s[18:19]
	s_and_saveexec_b64 s[2:3], s[4:5]
	s_cbranch_execnz .LBB31_180
.LBB31_166:
	s_or_b64 exec, exec, s[2:3]
	s_and_b64 s[4:5], s[8:9], s[18:19]
	s_and_saveexec_b64 s[2:3], s[4:5]
	s_cbranch_execnz .LBB31_184
.LBB31_167:
	s_or_b64 exec, exec, s[2:3]
	s_and_b64 s[4:5], s[10:11], s[18:19]
	s_and_saveexec_b64 s[2:3], s[4:5]
	s_cbranch_execnz .LBB31_188
.LBB31_168:
	s_or_b64 exec, exec, s[2:3]
	s_and_b64 s[4:5], s[12:13], s[18:19]
	s_and_saveexec_b64 s[2:3], s[4:5]
	s_cbranch_execnz .LBB31_192
.LBB31_169:
	s_or_b64 exec, exec, s[2:3]
	s_and_b64 s[4:5], s[14:15], s[18:19]
	s_and_saveexec_b64 s[2:3], s[4:5]
	s_cbranch_execnz .LBB31_196
.LBB31_170:
	s_or_b64 exec, exec, s[2:3]
	s_and_b64 s[2:3], s[16:17], s[18:19]
	s_and_saveexec_b64 s[4:5], s[2:3]
	s_cbranch_execnz .LBB31_200
.LBB31_171:
	s_endpgm
.LBB31_172:
	s_and_b64 vcc, exec, s[0:1]
	s_cbranch_vccnz .LBB31_174
; %bb.173:
	v_lshl_add_u64 v[24:25], v[0:1], 2, v[22:23]
	flat_load_dword v24, v[24:25]
	s_waitcnt vmcnt(0) lgkmcnt(0)
	v_mul_f32_e32 v24, s28, v24
	s_branch .LBB31_175
.LBB31_174:
	v_mov_b32_e32 v24, 0
.LBB31_175:
	v_add_f32_e32 v18, v18, v19
	v_add_f32_e32 v18, v18, v24
	v_lshl_add_u64 v[0:1], v[0:1], 2, v[20:21]
	flat_store_dword v[0:1], v18
	s_or_b64 exec, exec, s[2:3]
	s_and_b64 s[4:5], s[4:5], s[18:19]
	s_and_saveexec_b64 s[2:3], s[4:5]
	s_cbranch_execz .LBB31_165
.LBB31_176:
	s_and_b64 vcc, exec, s[0:1]
	s_cbranch_vccnz .LBB31_178
; %bb.177:
	v_lshl_add_u64 v[0:1], v[2:3], 2, v[22:23]
	flat_load_dword v0, v[0:1]
	s_waitcnt vmcnt(0) lgkmcnt(0)
	v_mul_f32_e32 v0, s28, v0
	s_branch .LBB31_179
.LBB31_178:
	v_mov_b32_e32 v0, 0
.LBB31_179:
	v_add_f32_e32 v1, v16, v17
	v_add_f32_e32 v16, v1, v0
	v_lshl_add_u64 v[0:1], v[2:3], 2, v[20:21]
	flat_store_dword v[0:1], v16
	s_or_b64 exec, exec, s[2:3]
	s_and_b64 s[4:5], s[6:7], s[18:19]
	s_and_saveexec_b64 s[2:3], s[4:5]
	s_cbranch_execz .LBB31_166
.LBB31_180:
	s_and_b64 vcc, exec, s[0:1]
	s_cbranch_vccnz .LBB31_182
; %bb.181:
	v_lshl_add_u64 v[0:1], v[64:65], 2, v[22:23]
	flat_load_dword v0, v[0:1]
	s_waitcnt vmcnt(0) lgkmcnt(0)
	v_mul_f32_e32 v0, s28, v0
	s_branch .LBB31_183
.LBB31_182:
	v_mov_b32_e32 v0, 0
.LBB31_183:
	v_add_f32_e32 v1, v14, v15
	v_add_f32_e32 v2, v1, v0
	v_lshl_add_u64 v[0:1], v[64:65], 2, v[20:21]
	flat_store_dword v[0:1], v2
	s_or_b64 exec, exec, s[2:3]
	s_and_b64 s[4:5], s[8:9], s[18:19]
	s_and_saveexec_b64 s[2:3], s[4:5]
	s_cbranch_execz .LBB31_167
.LBB31_184:
	s_and_b64 vcc, exec, s[0:1]
	s_cbranch_vccnz .LBB31_186
; %bb.185:
	v_lshl_add_u64 v[0:1], v[62:63], 2, v[22:23]
	flat_load_dword v0, v[0:1]
	s_waitcnt vmcnt(0) lgkmcnt(0)
	v_mul_f32_e32 v0, s28, v0
	s_branch .LBB31_187
.LBB31_186:
	v_mov_b32_e32 v0, 0
.LBB31_187:
	v_add_f32_e32 v1, v12, v13
	v_add_f32_e32 v2, v1, v0
	v_lshl_add_u64 v[0:1], v[62:63], 2, v[20:21]
	flat_store_dword v[0:1], v2
	s_or_b64 exec, exec, s[2:3]
	s_and_b64 s[4:5], s[10:11], s[18:19]
	s_and_saveexec_b64 s[2:3], s[4:5]
	s_cbranch_execz .LBB31_168
.LBB31_188:
	s_and_b64 vcc, exec, s[0:1]
	s_cbranch_vccnz .LBB31_190
; %bb.189:
	v_lshl_add_u64 v[0:1], v[60:61], 2, v[22:23]
	flat_load_dword v0, v[0:1]
	s_waitcnt vmcnt(0) lgkmcnt(0)
	v_mul_f32_e32 v0, s28, v0
	s_branch .LBB31_191
.LBB31_190:
	v_mov_b32_e32 v0, 0
.LBB31_191:
	v_add_f32_e32 v1, v10, v11
	v_add_f32_e32 v2, v1, v0
	v_lshl_add_u64 v[0:1], v[60:61], 2, v[20:21]
	flat_store_dword v[0:1], v2
	s_or_b64 exec, exec, s[2:3]
	s_and_b64 s[4:5], s[12:13], s[18:19]
	s_and_saveexec_b64 s[2:3], s[4:5]
	s_cbranch_execz .LBB31_169
.LBB31_192:
	s_and_b64 vcc, exec, s[0:1]
	s_cbranch_vccnz .LBB31_194
; %bb.193:
	v_lshl_add_u64 v[0:1], v[58:59], 2, v[22:23]
	flat_load_dword v0, v[0:1]
	s_waitcnt vmcnt(0) lgkmcnt(0)
	v_mul_f32_e32 v0, s28, v0
	s_branch .LBB31_195
.LBB31_194:
	v_mov_b32_e32 v0, 0
.LBB31_195:
	v_add_f32_e32 v1, v8, v9
	v_add_f32_e32 v2, v1, v0
	v_lshl_add_u64 v[0:1], v[58:59], 2, v[20:21]
	flat_store_dword v[0:1], v2
	s_or_b64 exec, exec, s[2:3]
	s_and_b64 s[4:5], s[14:15], s[18:19]
	s_and_saveexec_b64 s[2:3], s[4:5]
	s_cbranch_execz .LBB31_170
.LBB31_196:
	s_and_b64 vcc, exec, s[0:1]
	s_cbranch_vccnz .LBB31_198
; %bb.197:
	v_lshl_add_u64 v[0:1], v[56:57], 2, v[22:23]
	flat_load_dword v0, v[0:1]
	s_waitcnt vmcnt(0) lgkmcnt(0)
	v_mul_f32_e32 v0, s28, v0
	s_branch .LBB31_199
.LBB31_198:
	v_mov_b32_e32 v0, 0
.LBB31_199:
	v_add_f32_e32 v1, v6, v7
	v_add_f32_e32 v2, v1, v0
	v_lshl_add_u64 v[0:1], v[56:57], 2, v[20:21]
	flat_store_dword v[0:1], v2
	s_or_b64 exec, exec, s[2:3]
	s_and_b64 s[2:3], s[16:17], s[18:19]
	s_and_saveexec_b64 s[4:5], s[2:3]
	s_cbranch_execz .LBB31_171
.LBB31_200:
	s_and_b64 vcc, exec, s[0:1]
	s_cbranch_vccnz .LBB31_202
; %bb.201:
	v_lshl_add_u64 v[0:1], v[54:55], 2, v[22:23]
	flat_load_dword v0, v[0:1]
	s_waitcnt vmcnt(0) lgkmcnt(0)
	v_mul_f32_e32 v0, s28, v0
	s_branch .LBB31_203
.LBB31_202:
	v_mov_b32_e32 v0, 0
.LBB31_203:
	v_add_f32_e32 v1, v4, v5
	v_add_f32_e32 v2, v1, v0
	v_lshl_add_u64 v[0:1], v[54:55], 2, v[20:21]
	flat_store_dword v[0:1], v2
	s_endpgm
	.section	.rodata,"a",@progbits
	.p2align	6, 0x0
	.amdhsa_kernel _ZN12_GLOBAL__N_120geam_min_plus_kernelIf15HIP_vector_typeIfLj2EES2_Li8ELi32ELi64ELi128ELi4ELi64ELi4ELi4ELi64ELc78ELc78ELb1ELb1ELb0EfKPKfKPfEEviiiT16_PT17_ilSA_ilS8_SA_ilPT18_ili26rocblas_geam_ex_operation_
		.amdhsa_group_segment_fixed_size 6144
		.amdhsa_private_segment_fixed_size 0
		.amdhsa_kernarg_size 128
		.amdhsa_user_sgpr_count 2
		.amdhsa_user_sgpr_dispatch_ptr 0
		.amdhsa_user_sgpr_queue_ptr 0
		.amdhsa_user_sgpr_kernarg_segment_ptr 1
		.amdhsa_user_sgpr_dispatch_id 0
		.amdhsa_user_sgpr_kernarg_preload_length 0
		.amdhsa_user_sgpr_kernarg_preload_offset 0
		.amdhsa_user_sgpr_private_segment_size 0
		.amdhsa_uses_dynamic_stack 0
		.amdhsa_enable_private_segment 0
		.amdhsa_system_sgpr_workgroup_id_x 1
		.amdhsa_system_sgpr_workgroup_id_y 0
		.amdhsa_system_sgpr_workgroup_id_z 1
		.amdhsa_system_sgpr_workgroup_info 0
		.amdhsa_system_vgpr_workitem_id 1
		.amdhsa_next_free_vgpr 117
		.amdhsa_next_free_sgpr 36
		.amdhsa_accum_offset 120
		.amdhsa_reserve_vcc 1
		.amdhsa_float_round_mode_32 0
		.amdhsa_float_round_mode_16_64 0
		.amdhsa_float_denorm_mode_32 3
		.amdhsa_float_denorm_mode_16_64 3
		.amdhsa_dx10_clamp 1
		.amdhsa_ieee_mode 1
		.amdhsa_fp16_overflow 0
		.amdhsa_tg_split 0
		.amdhsa_exception_fp_ieee_invalid_op 0
		.amdhsa_exception_fp_denorm_src 0
		.amdhsa_exception_fp_ieee_div_zero 0
		.amdhsa_exception_fp_ieee_overflow 0
		.amdhsa_exception_fp_ieee_underflow 0
		.amdhsa_exception_fp_ieee_inexact 0
		.amdhsa_exception_int_div_zero 0
	.end_amdhsa_kernel
	.section	.text._ZN12_GLOBAL__N_120geam_min_plus_kernelIf15HIP_vector_typeIfLj2EES2_Li8ELi32ELi64ELi128ELi4ELi64ELi4ELi4ELi64ELc78ELc78ELb1ELb1ELb0EfKPKfKPfEEviiiT16_PT17_ilSA_ilS8_SA_ilPT18_ili26rocblas_geam_ex_operation_,"axG",@progbits,_ZN12_GLOBAL__N_120geam_min_plus_kernelIf15HIP_vector_typeIfLj2EES2_Li8ELi32ELi64ELi128ELi4ELi64ELi4ELi4ELi64ELc78ELc78ELb1ELb1ELb0EfKPKfKPfEEviiiT16_PT17_ilSA_ilS8_SA_ilPT18_ili26rocblas_geam_ex_operation_,comdat
.Lfunc_end31:
	.size	_ZN12_GLOBAL__N_120geam_min_plus_kernelIf15HIP_vector_typeIfLj2EES2_Li8ELi32ELi64ELi128ELi4ELi64ELi4ELi4ELi64ELc78ELc78ELb1ELb1ELb0EfKPKfKPfEEviiiT16_PT17_ilSA_ilS8_SA_ilPT18_ili26rocblas_geam_ex_operation_, .Lfunc_end31-_ZN12_GLOBAL__N_120geam_min_plus_kernelIf15HIP_vector_typeIfLj2EES2_Li8ELi32ELi64ELi128ELi4ELi64ELi4ELi4ELi64ELc78ELc78ELb1ELb1ELb0EfKPKfKPfEEviiiT16_PT17_ilSA_ilS8_SA_ilPT18_ili26rocblas_geam_ex_operation_
                                        ; -- End function
	.set _ZN12_GLOBAL__N_120geam_min_plus_kernelIf15HIP_vector_typeIfLj2EES2_Li8ELi32ELi64ELi128ELi4ELi64ELi4ELi4ELi64ELc78ELc78ELb1ELb1ELb0EfKPKfKPfEEviiiT16_PT17_ilSA_ilS8_SA_ilPT18_ili26rocblas_geam_ex_operation_.num_vgpr, 117
	.set _ZN12_GLOBAL__N_120geam_min_plus_kernelIf15HIP_vector_typeIfLj2EES2_Li8ELi32ELi64ELi128ELi4ELi64ELi4ELi4ELi64ELc78ELc78ELb1ELb1ELb0EfKPKfKPfEEviiiT16_PT17_ilSA_ilS8_SA_ilPT18_ili26rocblas_geam_ex_operation_.num_agpr, 0
	.set _ZN12_GLOBAL__N_120geam_min_plus_kernelIf15HIP_vector_typeIfLj2EES2_Li8ELi32ELi64ELi128ELi4ELi64ELi4ELi4ELi64ELc78ELc78ELb1ELb1ELb0EfKPKfKPfEEviiiT16_PT17_ilSA_ilS8_SA_ilPT18_ili26rocblas_geam_ex_operation_.numbered_sgpr, 36
	.set _ZN12_GLOBAL__N_120geam_min_plus_kernelIf15HIP_vector_typeIfLj2EES2_Li8ELi32ELi64ELi128ELi4ELi64ELi4ELi4ELi64ELc78ELc78ELb1ELb1ELb0EfKPKfKPfEEviiiT16_PT17_ilSA_ilS8_SA_ilPT18_ili26rocblas_geam_ex_operation_.num_named_barrier, 0
	.set _ZN12_GLOBAL__N_120geam_min_plus_kernelIf15HIP_vector_typeIfLj2EES2_Li8ELi32ELi64ELi128ELi4ELi64ELi4ELi4ELi64ELc78ELc78ELb1ELb1ELb0EfKPKfKPfEEviiiT16_PT17_ilSA_ilS8_SA_ilPT18_ili26rocblas_geam_ex_operation_.private_seg_size, 0
	.set _ZN12_GLOBAL__N_120geam_min_plus_kernelIf15HIP_vector_typeIfLj2EES2_Li8ELi32ELi64ELi128ELi4ELi64ELi4ELi4ELi64ELc78ELc78ELb1ELb1ELb0EfKPKfKPfEEviiiT16_PT17_ilSA_ilS8_SA_ilPT18_ili26rocblas_geam_ex_operation_.uses_vcc, 1
	.set _ZN12_GLOBAL__N_120geam_min_plus_kernelIf15HIP_vector_typeIfLj2EES2_Li8ELi32ELi64ELi128ELi4ELi64ELi4ELi4ELi64ELc78ELc78ELb1ELb1ELb0EfKPKfKPfEEviiiT16_PT17_ilSA_ilS8_SA_ilPT18_ili26rocblas_geam_ex_operation_.uses_flat_scratch, 0
	.set _ZN12_GLOBAL__N_120geam_min_plus_kernelIf15HIP_vector_typeIfLj2EES2_Li8ELi32ELi64ELi128ELi4ELi64ELi4ELi4ELi64ELc78ELc78ELb1ELb1ELb0EfKPKfKPfEEviiiT16_PT17_ilSA_ilS8_SA_ilPT18_ili26rocblas_geam_ex_operation_.has_dyn_sized_stack, 0
	.set _ZN12_GLOBAL__N_120geam_min_plus_kernelIf15HIP_vector_typeIfLj2EES2_Li8ELi32ELi64ELi128ELi4ELi64ELi4ELi4ELi64ELc78ELc78ELb1ELb1ELb0EfKPKfKPfEEviiiT16_PT17_ilSA_ilS8_SA_ilPT18_ili26rocblas_geam_ex_operation_.has_recursion, 0
	.set _ZN12_GLOBAL__N_120geam_min_plus_kernelIf15HIP_vector_typeIfLj2EES2_Li8ELi32ELi64ELi128ELi4ELi64ELi4ELi4ELi64ELc78ELc78ELb1ELb1ELb0EfKPKfKPfEEviiiT16_PT17_ilSA_ilS8_SA_ilPT18_ili26rocblas_geam_ex_operation_.has_indirect_call, 0
	.section	.AMDGPU.csdata,"",@progbits
; Kernel info:
; codeLenInByte = 7868
; TotalNumSgprs: 42
; NumVgprs: 117
; NumAgprs: 0
; TotalNumVgprs: 117
; ScratchSize: 0
; MemoryBound: 0
; FloatMode: 240
; IeeeMode: 1
; LDSByteSize: 6144 bytes/workgroup (compile time only)
; SGPRBlocks: 5
; VGPRBlocks: 14
; NumSGPRsForWavesPerEU: 42
; NumVGPRsForWavesPerEU: 117
; AccumOffset: 120
; Occupancy: 4
; WaveLimiterHint : 1
; COMPUTE_PGM_RSRC2:SCRATCH_EN: 0
; COMPUTE_PGM_RSRC2:USER_SGPR: 2
; COMPUTE_PGM_RSRC2:TRAP_HANDLER: 0
; COMPUTE_PGM_RSRC2:TGID_X_EN: 1
; COMPUTE_PGM_RSRC2:TGID_Y_EN: 0
; COMPUTE_PGM_RSRC2:TGID_Z_EN: 1
; COMPUTE_PGM_RSRC2:TIDIG_COMP_CNT: 1
; COMPUTE_PGM_RSRC3_GFX90A:ACCUM_OFFSET: 29
; COMPUTE_PGM_RSRC3_GFX90A:TG_SPLIT: 0
	.section	.text._ZN12_GLOBAL__N_120geam_min_plus_kernelIf15HIP_vector_typeIfLj2EES2_Li8ELi32ELi64ELi128ELi4ELi64ELi4ELi4ELi64ELc78ELc78ELb0ELb1ELb0EfKPKfKPfEEviiiT16_PT17_ilSA_ilS8_SA_ilPT18_ili26rocblas_geam_ex_operation_,"axG",@progbits,_ZN12_GLOBAL__N_120geam_min_plus_kernelIf15HIP_vector_typeIfLj2EES2_Li8ELi32ELi64ELi128ELi4ELi64ELi4ELi4ELi64ELc78ELc78ELb0ELb1ELb0EfKPKfKPfEEviiiT16_PT17_ilSA_ilS8_SA_ilPT18_ili26rocblas_geam_ex_operation_,comdat
	.globl	_ZN12_GLOBAL__N_120geam_min_plus_kernelIf15HIP_vector_typeIfLj2EES2_Li8ELi32ELi64ELi128ELi4ELi64ELi4ELi4ELi64ELc78ELc78ELb0ELb1ELb0EfKPKfKPfEEviiiT16_PT17_ilSA_ilS8_SA_ilPT18_ili26rocblas_geam_ex_operation_ ; -- Begin function _ZN12_GLOBAL__N_120geam_min_plus_kernelIf15HIP_vector_typeIfLj2EES2_Li8ELi32ELi64ELi128ELi4ELi64ELi4ELi4ELi64ELc78ELc78ELb0ELb1ELb0EfKPKfKPfEEviiiT16_PT17_ilSA_ilS8_SA_ilPT18_ili26rocblas_geam_ex_operation_
	.p2align	8
	.type	_ZN12_GLOBAL__N_120geam_min_plus_kernelIf15HIP_vector_typeIfLj2EES2_Li8ELi32ELi64ELi128ELi4ELi64ELi4ELi4ELi64ELc78ELc78ELb0ELb1ELb0EfKPKfKPfEEviiiT16_PT17_ilSA_ilS8_SA_ilPT18_ili26rocblas_geam_ex_operation_,@function
_ZN12_GLOBAL__N_120geam_min_plus_kernelIf15HIP_vector_typeIfLj2EES2_Li8ELi32ELi64ELi128ELi4ELi64ELi4ELi4ELi64ELc78ELc78ELb0ELb1ELb0EfKPKfKPfEEviiiT16_PT17_ilSA_ilS8_SA_ilPT18_ili26rocblas_geam_ex_operation_: ; @_ZN12_GLOBAL__N_120geam_min_plus_kernelIf15HIP_vector_typeIfLj2EES2_Li8ELi32ELi64ELi128ELi4ELi64ELi4ELi4ELi64ELc78ELc78ELb0ELb1ELb0EfKPKfKPfEEviiiT16_PT17_ilSA_ilS8_SA_ilPT18_ili26rocblas_geam_ex_operation_
; %bb.0:
	s_load_dwordx4 s[20:23], s[0:1], 0x0
	s_load_dwordx4 s[4:7], s[0:1], 0x20
	s_mov_b32 s8, s3
	s_mov_b32 s9, 0
	s_waitcnt lgkmcnt(0)
	v_cmp_eq_f32_e64 s[12:13], s23, 0
	v_cmp_neq_f32_e64 s[10:11], s23, 0
	s_and_b64 vcc, exec, s[12:13]
	s_cbranch_vccnz .LBB32_3
; %bb.1:
	s_load_dwordx2 s[14:15], s[0:1], 0x10
	s_lshl_b64 s[16:17], s[8:9], 3
	s_waitcnt lgkmcnt(0)
	s_add_u32 s14, s14, s16
	s_addc_u32 s15, s15, s17
	s_load_dwordx2 s[14:15], s[14:15], 0x0
	s_lshl_b64 s[4:5], s[4:5], 2
	s_waitcnt lgkmcnt(0)
	s_add_u32 s16, s14, s4
	s_addc_u32 s17, s15, s5
	s_andn2_b64 vcc, exec, s[12:13]
	s_cbranch_vccnz .LBB32_4
.LBB32_2:
	s_mov_b32 s15, 0
	s_mov_b32 s14, s8
	s_mov_b64 s[24:25], 0
	s_mov_b64 s[12:13], 0
	s_cbranch_execz .LBB32_5
	s_branch .LBB32_6
.LBB32_3:
	s_mov_b64 s[16:17], 0
	s_andn2_b64 vcc, exec, s[12:13]
	s_cbranch_vccz .LBB32_2
.LBB32_4:
	s_mov_b64 s[14:15], s[8:9]
	s_mov_b64 s[24:25], 0
	;; [unrolled: 1-line block ×3, first 2 shown]
.LBB32_5:
	s_lshl_b64 s[8:9], s[8:9], 3
	s_add_u32 s6, s6, s8
	s_load_dwordx2 s[4:5], s[0:1], 0x38
	s_addc_u32 s7, s7, s9
	s_load_dwordx2 s[6:7], s[6:7], 0x0
	s_waitcnt lgkmcnt(0)
	s_lshl_b64 s[4:5], s[4:5], 2
	s_add_u32 s12, s6, s4
	s_addc_u32 s13, s7, s5
.LBB32_6:
	s_load_dword s28, s[0:1], 0x40
	s_load_dwordx4 s[4:7], s[0:1], 0x58
	s_waitcnt lgkmcnt(0)
	v_cmp_eq_f32_e64 s[18:19], s28, 0
	v_cmp_neq_f32_e64 s[8:9], s28, 0
	s_and_b64 vcc, exec, s[18:19]
	s_cbranch_vccnz .LBB32_8
; %bb.7:
	s_load_dwordx2 s[18:19], s[0:1], 0x48
	s_lshl_b64 s[24:25], s[14:15], 3
	s_waitcnt lgkmcnt(0)
	s_add_u32 s18, s18, s24
	s_addc_u32 s19, s19, s25
	s_load_dwordx2 s[18:19], s[18:19], 0x0
	s_lshl_b64 s[4:5], s[4:5], 2
	s_waitcnt lgkmcnt(0)
	s_add_u32 s24, s18, s4
	s_addc_u32 s25, s19, s5
.LBB32_8:
	s_load_dword s29, s[0:1], 0x18
	s_lshl_b64 s[4:5], s[14:15], 3
	v_and_b32_e32 v74, 0x3ff, v0
	v_bfe_u32 v75, v0, 10, 10
	v_lshl_add_u32 v0, v75, 3, v74
	s_waitcnt lgkmcnt(0)
	s_ashr_i32 s30, s29, 31
	s_add_u32 s18, s6, s4
	s_addc_u32 s19, s7, s5
	s_add_i32 s3, s20, -1
	s_ashr_i32 s4, s3, 31
	s_lshr_b32 s4, s4, 26
	s_add_i32 s3, s3, s4
	s_ashr_i32 s3, s3, 6
	s_add_i32 s4, s3, 1
	v_cvt_f32_u32_e32 v1, s4
	s_not_b32 s3, s3
	v_and_b32_e32 v3, 63, v0
	v_lshrrev_b32_e32 v76, 6, v0
	v_rcp_iflag_f32_e32 v1, v1
	v_cmp_gt_i32_e32 vcc, s22, v76
	v_mov_b32_e32 v2, 0
	v_mov_b32_e32 v4, 0
	v_mul_f32_e32 v1, 0x4f7ffffe, v1
	v_cvt_u32_f32_e32 v1, v1
	s_nop 0
	v_readfirstlane_b32 s5, v1
	s_mul_i32 s3, s3, s5
	s_mul_hi_u32 s3, s5, s3
	s_add_i32 s5, s5, s3
	s_mul_hi_u32 s3, s2, s5
	s_mul_i32 s5, s3, s4
	s_sub_i32 s5, s2, s5
	s_add_i32 s6, s3, 1
	s_sub_i32 s7, s5, s4
	s_cmp_ge_u32 s5, s4
	s_cselect_b32 s3, s6, s3
	s_cselect_b32 s5, s7, s5
	s_add_i32 s6, s3, 1
	s_cmp_ge_u32 s5, s4
	s_cselect_b32 s6, s6, s3
	s_mul_i32 s3, s6, s4
	s_sub_i32 s2, s2, s3
	s_lshl_b32 s26, s2, 6
	v_or_b32_e32 v68, s26, v3
	v_cmp_gt_i32_e64 s[2:3], s20, v68
	s_and_b64 s[4:5], vcc, s[2:3]
	v_ashrrev_i32_e32 v69, 31, v68
	s_and_b64 s[14:15], s[10:11], s[4:5]
	s_and_saveexec_b64 s[4:5], s[14:15]
	s_cbranch_execz .LBB32_10
; %bb.9:
	v_mad_i64_i32 v[4:5], s[14:15], s29, v76, 0
	v_lshl_add_u64 v[4:5], v[4:5], 2, s[16:17]
	v_lshl_add_u64 v[4:5], v[68:69], 2, v[4:5]
	flat_load_dword v1, v[4:5]
	s_waitcnt vmcnt(0) lgkmcnt(0)
	v_mul_f32_e32 v4, s23, v1
.LBB32_10:
	s_or_b64 exec, exec, s[4:5]
	s_load_dword s33, s[0:1], 0x30
	v_lshrrev_b32_e32 v71, 2, v0
	s_lshl_b32 s27, s6, 7
	v_and_b32_e32 v77, 3, v74
	v_add_u32_e32 v70, s27, v71
	s_add_i32 s31, s22, -1
	v_min_i32_e32 v0, s31, v77
	v_cmp_le_i32_e64 s[4:5], s21, v70
	s_xor_b64 s[14:15], s[10:11], -1
	v_cmp_le_i32_e32 vcc, s22, v77
	v_ashrrev_i32_e32 v1, 31, v0
	s_or_b64 s[6:7], s[4:5], s[14:15]
	v_lshl_add_u64 v[0:1], v[0:1], 2, s[12:13]
	s_nor_b64 s[34:35], vcc, s[6:7]
	s_and_saveexec_b64 s[4:5], s[34:35]
	s_cbranch_execz .LBB32_12
; %bb.11:
	s_waitcnt lgkmcnt(0)
	v_mad_i64_i32 v[6:7], s[34:35], v70, s33, 0
	v_lshl_add_u64 v[6:7], v[6:7], 2, v[0:1]
	flat_load_dword v2, v[6:7]
	s_waitcnt vmcnt(0) lgkmcnt(0)
	v_mul_f32_e32 v2, s23, v2
.LBB32_12:
	s_or_b64 exec, exec, s[4:5]
	v_add_u32_e32 v72, 64, v70
	v_cmp_le_i32_e64 s[4:5], s21, v72
	s_or_b64 s[14:15], s[4:5], s[14:15]
	s_nor_b64 s[34:35], vcc, s[14:15]
	v_mov_b32_e32 v73, 0
	v_mov_b32_e32 v5, 0
	s_and_saveexec_b64 s[4:5], s[34:35]
	s_cbranch_execz .LBB32_14
; %bb.13:
	s_waitcnt lgkmcnt(0)
	v_mad_i64_i32 v[6:7], s[34:35], v72, s33, 0
	v_lshl_add_u64 v[0:1], v[6:7], 2, v[0:1]
	flat_load_dword v0, v[0:1]
	s_waitcnt vmcnt(0) lgkmcnt(0)
	v_mul_f32_e32 v5, s23, v0
.LBB32_14:
	s_or_b64 exec, exec, s[4:5]
	v_add_u32_e32 v0, 4, v76
	v_cmp_gt_i32_e32 vcc, s22, v0
	s_and_b64 s[4:5], s[2:3], vcc
	s_and_b64 s[34:35], s[10:11], s[4:5]
	s_and_saveexec_b64 s[4:5], s[34:35]
	s_cbranch_execz .LBB32_16
; %bb.15:
	v_mad_u64_u32 v[6:7], s[34:35], s29, v0, 0
	v_mov_b32_e32 v8, v7
	v_mad_u64_u32 v[0:1], s[34:35], s30, v0, v[8:9]
	v_mov_b32_e32 v7, v0
	v_lshl_add_u64 v[0:1], v[6:7], 2, s[16:17]
	v_lshl_add_u64 v[0:1], v[68:69], 2, v[0:1]
	flat_load_dword v0, v[0:1]
	s_waitcnt vmcnt(0) lgkmcnt(0)
	v_mul_f32_e32 v73, s23, v0
.LBB32_16:
	s_or_b64 exec, exec, s[4:5]
	v_or_b32_e32 v0, 4, v77
	v_cmp_le_i32_e32 vcc, s22, v0
	v_min_i32_e32 v0, s31, v0
	v_ashrrev_i32_e32 v1, 31, v0
	v_lshl_add_u64 v[0:1], v[0:1], 2, s[12:13]
	s_nor_b64 s[34:35], vcc, s[6:7]
	v_mov_b32_e32 v82, 0
	v_mov_b32_e32 v83, 0
	s_and_saveexec_b64 s[4:5], s[34:35]
	s_cbranch_execz .LBB32_18
; %bb.17:
	s_waitcnt lgkmcnt(0)
	v_mad_i64_i32 v[6:7], s[34:35], v70, s33, 0
	v_lshl_add_u64 v[6:7], v[6:7], 2, v[0:1]
	flat_load_dword v6, v[6:7]
	s_waitcnt vmcnt(0) lgkmcnt(0)
	v_mul_f32_e32 v83, s23, v6
.LBB32_18:
	s_or_b64 exec, exec, s[4:5]
	s_load_dwordx2 s[4:5], s[18:19], 0x0
	s_nor_b64 s[34:35], vcc, s[14:15]
	s_and_saveexec_b64 s[18:19], s[34:35]
	s_cbranch_execz .LBB32_20
; %bb.19:
	s_waitcnt lgkmcnt(0)
	v_mad_i64_i32 v[6:7], s[34:35], v72, s33, 0
	v_lshl_add_u64 v[0:1], v[6:7], 2, v[0:1]
	flat_load_dword v0, v[0:1]
	s_waitcnt vmcnt(0) lgkmcnt(0)
	v_mul_f32_e32 v82, s23, v0
.LBB32_20:
	s_or_b64 exec, exec, s[18:19]
	v_lshlrev_b32_e32 v0, 4, v3
	v_lshl_add_u32 v84, v76, 2, v0
	v_lshlrev_b32_e32 v0, 4, v71
	v_lshl_or_b32 v78, v77, 2, v0
	v_mov_b32_e32 v0, 0x1000
	v_mov_b32_e32 v66, 0
	ds_write_b32 v84, v4 offset:4096
	ds_write2st64_b32 v78, v2, v5 offset1:4
	v_lshl_add_u32 v79, v74, 4, v0
	s_mov_b32 s34, 0
	s_mov_b64 s[18:19], -1
	v_mov_b32_e32 v67, v66
	v_mov_b32_e32 v64, v66
	;; [unrolled: 1-line block ×63, first 2 shown]
	v_or_b32_e32 v80, 0x1000, v84
	v_lshlrev_b32_e32 v81, 4, v75
	s_waitcnt lgkmcnt(0)
	s_barrier
.LBB32_21:                              ; =>This Inner Loop Header: Depth=1
	v_cndmask_b32_e64 v0, 0, 1, s[18:19]
	s_lshl_b32 s18, s34, 2
	v_cmp_ne_u32_e32 vcc, 1, v0
	v_add_u32_e32 v0, s18, v79
	ds_read2_b64 v[86:89], v0 offset1:16
	ds_read2_b64 v[90:93], v0 offset0:32 offset1:48
	ds_read2_b64 v[94:97], v0 offset0:64 offset1:80
	;; [unrolled: 1-line block ×3, first 2 shown]
	v_add_u32_e32 v0, s18, v81
	ds_read2st64_b64 v[102:105], v0 offset1:1
	ds_read2st64_b64 v[0:3], v0 offset0:2 offset1:3
	s_waitcnt lgkmcnt(5)
	v_max_f32_e32 v106, v87, v87
	v_max_f32_e32 v88, v88, v88
	;; [unrolled: 1-line block ×3, first 2 shown]
	s_waitcnt lgkmcnt(1)
	v_max_f32_e32 v85, v102, v102
	v_max_f32_e32 v102, v86, v86
	v_max_f32_e32 v103, v103, v103
	v_min_f32_e32 v86, v102, v85
	v_min_f32_e32 v87, v106, v103
	v_pk_add_f32 v[66:67], v[66:67], v[86:87]
	v_min_f32_e32 v86, v88, v85
	v_min_f32_e32 v87, v89, v103
	v_max_f32_e32 v90, v90, v90
	v_max_f32_e32 v91, v91, v91
	v_pk_add_f32 v[64:65], v[64:65], v[86:87]
	v_min_f32_e32 v86, v90, v85
	v_min_f32_e32 v87, v91, v103
	v_max_f32_e32 v92, v92, v92
	v_max_f32_e32 v93, v93, v93
	;; [unrolled: 5-line block ×5, first 2 shown]
	v_pk_add_f32 v[56:57], v[56:57], v[86:87]
	v_min_f32_e32 v86, v98, v85
	v_min_f32_e32 v87, v99, v103
	v_max_f32_e32 v100, v100, v100
	v_pk_add_f32 v[54:55], v[54:55], v[86:87]
	v_min_f32_e32 v86, v100, v85
	v_max_f32_e32 v85, v101, v101
	v_min_f32_e32 v87, v85, v103
	v_max_f32_e32 v101, v104, v104
	v_max_f32_e32 v103, v105, v105
	v_pk_add_f32 v[52:53], v[52:53], v[86:87]
	v_min_f32_e32 v86, v102, v101
	v_min_f32_e32 v87, v106, v103
	v_pk_add_f32 v[50:51], v[50:51], v[86:87]
	v_min_f32_e32 v86, v88, v101
	v_min_f32_e32 v87, v89, v103
	;; [unrolled: 3-line block ×8, first 2 shown]
	v_pk_add_f32 v[36:37], v[36:37], v[86:87]
	s_waitcnt lgkmcnt(0)
	v_max_f32_e32 v86, v0, v0
	v_max_f32_e32 v87, v1, v1
	v_min_f32_e32 v0, v102, v86
	v_min_f32_e32 v1, v106, v87
	v_pk_add_f32 v[34:35], v[34:35], v[0:1]
	v_min_f32_e32 v0, v88, v86
	v_min_f32_e32 v1, v89, v87
	v_pk_add_f32 v[32:33], v[32:33], v[0:1]
	;; [unrolled: 3-line block ×7, first 2 shown]
	v_min_f32_e32 v0, v100, v86
	v_min_f32_e32 v1, v85, v87
	v_max_f32_e32 v2, v2, v2
	v_max_f32_e32 v3, v3, v3
	v_pk_add_f32 v[20:21], v[20:21], v[0:1]
	v_min_f32_e32 v0, v102, v2
	v_min_f32_e32 v1, v106, v3
	v_pk_add_f32 v[18:19], v[18:19], v[0:1]
	v_min_f32_e32 v0, v88, v2
	v_min_f32_e32 v1, v89, v3
	;; [unrolled: 3-line block ×8, first 2 shown]
	v_pk_add_f32 v[4:5], v[4:5], v[0:1]
	s_mov_b64 s[18:19], 0
	s_mov_b32 s34, 2
	s_cbranch_vccz .LBB32_21
; %bb.22:
	v_lshlrev_b32_e32 v0, 2, v77
	v_lshl_or_b32 v0, v71, 4, v0
	s_cmp_lt_i32 s22, 9
	ds_write_b32 v84, v73 offset:5120
	ds_write2st64_b32 v0, v83, v82 offset0:8 offset1:12
	s_waitcnt lgkmcnt(0)
	s_barrier
	s_cbranch_scc1 .LBB32_41
; %bb.23:
	v_add_u32_e32 v83, 0x800, v0
	v_mov_b32_e32 v0, 0x1400
	v_add_u32_e32 v82, 0x1400, v84
	v_lshl_add_u32 v84, v74, 4, v0
	v_mov_b32_e32 v0, 0x800
	s_add_i32 s18, s22, -8
	v_lshl_add_u64 v[68:69], v[68:69], 2, s[16:17]
	v_mad_i64_i32 v[70:71], s[16:17], v70, s33, 0
	v_mad_i64_i32 v[72:73], s[16:17], v72, s33, 0
	v_lshl_add_u32 v85, v75, 4, v0
	s_mov_b32 s19, 8
	s_mov_b32 s33, 0
.LBB32_24:                              ; =>This Loop Header: Depth=1
                                        ;     Child Loop BB32_31 Depth 2
                                        ;     Child Loop BB32_39 Depth 2
	v_add_u32_e32 v0, s19, v76
	v_cmp_gt_i32_e32 vcc, s22, v0
	s_and_b64 s[16:17], s[2:3], vcc
	s_and_b64 s[34:35], s[10:11], s[16:17]
	v_mov_b32_e32 v87, 0
	v_mov_b32_e32 v88, 0
	s_and_saveexec_b64 s[16:17], s[34:35]
	s_cbranch_execz .LBB32_26
; %bb.25:                               ;   in Loop: Header=BB32_24 Depth=1
	v_mad_u64_u32 v[2:3], s[34:35], v0, s29, 0
	v_mov_b32_e32 v86, v3
	v_mad_u64_u32 v[0:1], s[34:35], v0, s30, v[86:87]
	v_mov_b32_e32 v3, v0
	v_lshl_add_u64 v[0:1], v[2:3], 2, v[68:69]
	flat_load_dword v0, v[0:1]
	s_waitcnt vmcnt(0) lgkmcnt(0)
	v_mul_f32_e32 v88, s23, v0
.LBB32_26:                              ;   in Loop: Header=BB32_24 Depth=1
	s_or_b64 exec, exec, s[16:17]
	v_or_b32_e32 v86, s19, v77
	v_min_i32_e32 v0, s31, v86
	v_cmp_le_i32_e32 vcc, s22, v86
	v_ashrrev_i32_e32 v1, 31, v0
	v_lshl_add_u64 v[0:1], v[0:1], 2, s[12:13]
	s_nor_b64 s[34:35], s[6:7], vcc
	s_and_saveexec_b64 s[16:17], s[34:35]
	s_cbranch_execz .LBB32_28
; %bb.27:                               ;   in Loop: Header=BB32_24 Depth=1
	v_lshl_add_u64 v[2:3], v[70:71], 2, v[0:1]
	flat_load_dword v2, v[2:3]
	s_waitcnt vmcnt(0) lgkmcnt(0)
	v_mul_f32_e32 v87, s23, v2
.LBB32_28:                              ;   in Loop: Header=BB32_24 Depth=1
	s_or_b64 exec, exec, s[16:17]
	s_nor_b64 s[34:35], s[14:15], vcc
	v_mov_b32_e32 v89, 0
	s_and_saveexec_b64 s[16:17], s[34:35]
	s_cbranch_execz .LBB32_30
; %bb.29:                               ;   in Loop: Header=BB32_24 Depth=1
	v_lshl_add_u64 v[0:1], v[72:73], 2, v[0:1]
	flat_load_dword v0, v[0:1]
	s_waitcnt vmcnt(0) lgkmcnt(0)
	v_mul_f32_e32 v89, s23, v0
.LBB32_30:                              ;   in Loop: Header=BB32_24 Depth=1
	s_or_b64 exec, exec, s[16:17]
	s_mov_b32 s34, 0
	s_mov_b64 s[16:17], -1
.LBB32_31:                              ;   Parent Loop BB32_24 Depth=1
                                        ; =>  This Inner Loop Header: Depth=2
	v_cndmask_b32_e64 v0, 0, 1, s[16:17]
	s_lshl_b32 s16, s34, 2
	v_cmp_ne_u32_e32 vcc, 1, v0
	v_add_u32_e32 v0, s16, v84
	ds_read2_b64 v[90:93], v0 offset1:16
	ds_read2_b64 v[94:97], v0 offset0:32 offset1:48
	ds_read2_b64 v[98:101], v0 offset0:64 offset1:80
	;; [unrolled: 1-line block ×3, first 2 shown]
	v_add_u32_e32 v0, s16, v85
	ds_read2st64_b64 v[106:109], v0 offset1:1
	ds_read2st64_b64 v[0:3], v0 offset0:2 offset1:3
	s_waitcnt lgkmcnt(5)
	v_max_f32_e32 v110, v90, v90
	v_max_f32_e32 v111, v91, v91
	;; [unrolled: 1-line block ×3, first 2 shown]
	s_waitcnt lgkmcnt(1)
	v_max_f32_e32 v106, v106, v106
	v_max_f32_e32 v107, v107, v107
	v_min_f32_e32 v90, v110, v106
	v_min_f32_e32 v91, v111, v107
	v_max_f32_e32 v93, v93, v93
	v_pk_add_f32 v[66:67], v[66:67], v[90:91]
	v_min_f32_e32 v90, v92, v106
	v_min_f32_e32 v91, v93, v107
	v_max_f32_e32 v94, v94, v94
	v_max_f32_e32 v95, v95, v95
	v_pk_add_f32 v[64:65], v[64:65], v[90:91]
	v_min_f32_e32 v90, v94, v106
	v_min_f32_e32 v91, v95, v107
	v_max_f32_e32 v96, v96, v96
	;; [unrolled: 5-line block ×7, first 2 shown]
	v_max_f32_e32 v107, v109, v109
	v_pk_add_f32 v[52:53], v[52:53], v[90:91]
	v_min_f32_e32 v90, v110, v106
	v_min_f32_e32 v91, v111, v107
	v_pk_add_f32 v[50:51], v[50:51], v[90:91]
	v_min_f32_e32 v90, v92, v106
	v_min_f32_e32 v91, v93, v107
	;; [unrolled: 3-line block ×8, first 2 shown]
	v_pk_add_f32 v[36:37], v[36:37], v[90:91]
	s_waitcnt lgkmcnt(0)
	v_max_f32_e32 v90, v0, v0
	v_max_f32_e32 v91, v1, v1
	v_min_f32_e32 v0, v110, v90
	v_min_f32_e32 v1, v111, v91
	v_pk_add_f32 v[34:35], v[34:35], v[0:1]
	v_min_f32_e32 v0, v92, v90
	v_min_f32_e32 v1, v93, v91
	v_pk_add_f32 v[32:33], v[32:33], v[0:1]
	;; [unrolled: 3-line block ×7, first 2 shown]
	v_min_f32_e32 v0, v104, v90
	v_min_f32_e32 v1, v105, v91
	v_max_f32_e32 v2, v2, v2
	v_max_f32_e32 v3, v3, v3
	v_pk_add_f32 v[20:21], v[20:21], v[0:1]
	v_min_f32_e32 v0, v110, v2
	v_min_f32_e32 v1, v111, v3
	v_pk_add_f32 v[18:19], v[18:19], v[0:1]
	v_min_f32_e32 v0, v92, v2
	v_min_f32_e32 v1, v93, v3
	;; [unrolled: 3-line block ×8, first 2 shown]
	v_pk_add_f32 v[4:5], v[4:5], v[0:1]
	s_mov_b64 s[16:17], 0
	s_mov_b32 s34, 2
	s_cbranch_vccz .LBB32_31
; %bb.32:                               ;   in Loop: Header=BB32_24 Depth=1
	v_add3_u32 v0, v76, s19, 4
	v_cmp_gt_i32_e32 vcc, s22, v0
	s_and_b64 s[16:17], s[2:3], vcc
	ds_write_b32 v80, v88
	ds_write2st64_b32 v78, v87, v89 offset1:4
	s_and_b64 s[34:35], s[10:11], s[16:17]
	v_mov_b32_e32 v87, 0
	v_mov_b32_e32 v88, 0
	s_waitcnt lgkmcnt(0)
	s_barrier
	s_and_saveexec_b64 s[16:17], s[34:35]
	s_cbranch_execz .LBB32_34
; %bb.33:                               ;   in Loop: Header=BB32_24 Depth=1
	v_mad_u64_u32 v[2:3], s[34:35], v0, s29, 0
	v_mov_b32_e32 v88, v3
	v_mad_u64_u32 v[0:1], s[34:35], v0, s30, v[88:89]
	v_mov_b32_e32 v3, v0
	v_lshl_add_u64 v[0:1], v[2:3], 2, v[68:69]
	flat_load_dword v0, v[0:1]
	s_waitcnt vmcnt(0) lgkmcnt(0)
	v_mul_f32_e32 v88, s23, v0
.LBB32_34:                              ;   in Loop: Header=BB32_24 Depth=1
	s_or_b64 exec, exec, s[16:17]
	v_or_b32_e32 v0, 4, v86
	v_cmp_le_i32_e32 vcc, s22, v0
	v_min_i32_e32 v0, s31, v0
	v_ashrrev_i32_e32 v1, 31, v0
	v_lshl_add_u64 v[0:1], v[0:1], 2, s[12:13]
	s_nor_b64 s[34:35], s[6:7], vcc
	s_and_saveexec_b64 s[16:17], s[34:35]
	s_cbranch_execz .LBB32_36
; %bb.35:                               ;   in Loop: Header=BB32_24 Depth=1
	v_lshl_add_u64 v[2:3], v[70:71], 2, v[0:1]
	flat_load_dword v2, v[2:3]
	s_waitcnt vmcnt(0) lgkmcnt(0)
	v_mul_f32_e32 v87, s23, v2
.LBB32_36:                              ;   in Loop: Header=BB32_24 Depth=1
	s_or_b64 exec, exec, s[16:17]
	s_nor_b64 s[34:35], s[14:15], vcc
	v_mov_b32_e32 v86, 0
	s_and_saveexec_b64 s[16:17], s[34:35]
	s_cbranch_execz .LBB32_38
; %bb.37:                               ;   in Loop: Header=BB32_24 Depth=1
	v_lshl_add_u64 v[0:1], v[72:73], 2, v[0:1]
	flat_load_dword v0, v[0:1]
	s_waitcnt vmcnt(0) lgkmcnt(0)
	v_mul_f32_e32 v86, s23, v0
.LBB32_38:                              ;   in Loop: Header=BB32_24 Depth=1
	s_or_b64 exec, exec, s[16:17]
	s_mov_b32 s34, 0
	s_mov_b64 s[16:17], -1
.LBB32_39:                              ;   Parent Loop BB32_24 Depth=1
                                        ; =>  This Inner Loop Header: Depth=2
	v_cndmask_b32_e64 v0, 0, 1, s[16:17]
	s_lshl_b32 s16, s34, 2
	v_cmp_ne_u32_e32 vcc, 1, v0
	v_add_u32_e32 v0, s16, v79
	ds_read2_b64 v[90:93], v0 offset1:16
	ds_read2_b64 v[94:97], v0 offset0:32 offset1:48
	ds_read2_b64 v[98:101], v0 offset0:64 offset1:80
	;; [unrolled: 1-line block ×3, first 2 shown]
	v_add_u32_e32 v0, s16, v81
	ds_read2st64_b64 v[106:109], v0 offset1:1
	ds_read2st64_b64 v[0:3], v0 offset0:2 offset1:3
	s_waitcnt lgkmcnt(5)
	v_max_f32_e32 v110, v91, v91
	v_max_f32_e32 v92, v92, v92
	;; [unrolled: 1-line block ×3, first 2 shown]
	s_waitcnt lgkmcnt(1)
	v_max_f32_e32 v89, v106, v106
	v_max_f32_e32 v106, v90, v90
	;; [unrolled: 1-line block ×3, first 2 shown]
	v_min_f32_e32 v90, v106, v89
	v_min_f32_e32 v91, v110, v107
	v_pk_add_f32 v[66:67], v[66:67], v[90:91]
	v_min_f32_e32 v90, v92, v89
	v_min_f32_e32 v91, v93, v107
	v_max_f32_e32 v94, v94, v94
	v_max_f32_e32 v95, v95, v95
	v_pk_add_f32 v[64:65], v[64:65], v[90:91]
	v_min_f32_e32 v90, v94, v89
	v_min_f32_e32 v91, v95, v107
	v_max_f32_e32 v96, v96, v96
	v_max_f32_e32 v97, v97, v97
	;; [unrolled: 5-line block ×5, first 2 shown]
	v_pk_add_f32 v[56:57], v[56:57], v[90:91]
	v_min_f32_e32 v90, v102, v89
	v_min_f32_e32 v91, v103, v107
	v_max_f32_e32 v104, v104, v104
	v_pk_add_f32 v[54:55], v[54:55], v[90:91]
	v_min_f32_e32 v90, v104, v89
	v_max_f32_e32 v89, v105, v105
	v_min_f32_e32 v91, v89, v107
	v_max_f32_e32 v105, v108, v108
	v_max_f32_e32 v107, v109, v109
	v_pk_add_f32 v[52:53], v[52:53], v[90:91]
	v_min_f32_e32 v90, v106, v105
	v_min_f32_e32 v91, v110, v107
	v_pk_add_f32 v[50:51], v[50:51], v[90:91]
	v_min_f32_e32 v90, v92, v105
	v_min_f32_e32 v91, v93, v107
	;; [unrolled: 3-line block ×8, first 2 shown]
	v_pk_add_f32 v[36:37], v[36:37], v[90:91]
	s_waitcnt lgkmcnt(0)
	v_max_f32_e32 v90, v0, v0
	v_max_f32_e32 v91, v1, v1
	v_min_f32_e32 v0, v106, v90
	v_min_f32_e32 v1, v110, v91
	v_pk_add_f32 v[34:35], v[34:35], v[0:1]
	v_min_f32_e32 v0, v92, v90
	v_min_f32_e32 v1, v93, v91
	v_pk_add_f32 v[32:33], v[32:33], v[0:1]
	;; [unrolled: 3-line block ×7, first 2 shown]
	v_min_f32_e32 v0, v104, v90
	v_min_f32_e32 v1, v89, v91
	v_max_f32_e32 v2, v2, v2
	v_max_f32_e32 v3, v3, v3
	v_pk_add_f32 v[20:21], v[20:21], v[0:1]
	v_min_f32_e32 v0, v106, v2
	v_min_f32_e32 v1, v110, v3
	v_pk_add_f32 v[18:19], v[18:19], v[0:1]
	v_min_f32_e32 v0, v92, v2
	v_min_f32_e32 v1, v93, v3
	;; [unrolled: 3-line block ×8, first 2 shown]
	v_pk_add_f32 v[4:5], v[4:5], v[0:1]
	s_mov_b64 s[16:17], 0
	s_mov_b32 s34, 2
	s_cbranch_vccz .LBB32_39
; %bb.40:                               ;   in Loop: Header=BB32_24 Depth=1
	s_add_i32 s19, s19, 8
	s_add_i32 s33, s33, 8
	s_cmp_ge_i32 s33, s18
	ds_write_b32 v82, v88
	ds_write2st64_b32 v83, v87, v86 offset1:4
	s_waitcnt lgkmcnt(0)
	s_barrier
	s_cbranch_scc0 .LBB32_24
.LBB32_41:
	v_mov_b32_e32 v0, 0x1400
	v_lshl_add_u32 v68, v74, 4, v0
	v_mov_b32_e32 v0, 0x800
	v_lshl_add_u32 v69, v75, 4, v0
	s_mov_b32 s6, 0
	s_mov_b64 s[2:3], -1
.LBB32_42:                              ; =>This Inner Loop Header: Depth=1
	v_cndmask_b32_e64 v0, 0, 1, s[2:3]
	s_lshl_b32 s2, s6, 2
	v_cmp_ne_u32_e32 vcc, 1, v0
	v_add_u32_e32 v0, s2, v68
	ds_read2_b64 v[70:73], v0 offset1:16
	ds_read2_b64 v[76:79], v0 offset0:32 offset1:48
	ds_read2_b64 v[80:83], v0 offset0:64 offset1:80
	;; [unrolled: 1-line block ×3, first 2 shown]
	v_add_u32_e32 v0, s2, v69
	ds_read2st64_b64 v[88:91], v0 offset1:1
	ds_read2st64_b64 v[0:3], v0 offset0:2 offset1:3
	s_waitcnt lgkmcnt(5)
	v_max_f32_e32 v92, v70, v70
	v_max_f32_e32 v93, v71, v71
	;; [unrolled: 1-line block ×3, first 2 shown]
	s_waitcnt lgkmcnt(1)
	v_max_f32_e32 v88, v88, v88
	v_max_f32_e32 v89, v89, v89
	v_min_f32_e32 v70, v92, v88
	v_min_f32_e32 v71, v93, v89
	v_max_f32_e32 v73, v73, v73
	v_pk_add_f32 v[66:67], v[66:67], v[70:71]
	v_min_f32_e32 v70, v72, v88
	v_min_f32_e32 v71, v73, v89
	v_max_f32_e32 v76, v76, v76
	v_max_f32_e32 v77, v77, v77
	v_pk_add_f32 v[64:65], v[64:65], v[70:71]
	v_min_f32_e32 v70, v76, v88
	v_min_f32_e32 v71, v77, v89
	v_max_f32_e32 v78, v78, v78
	;; [unrolled: 5-line block ×7, first 2 shown]
	v_max_f32_e32 v89, v91, v91
	v_pk_add_f32 v[52:53], v[52:53], v[70:71]
	v_min_f32_e32 v70, v92, v88
	v_min_f32_e32 v71, v93, v89
	v_pk_add_f32 v[50:51], v[50:51], v[70:71]
	v_min_f32_e32 v70, v72, v88
	v_min_f32_e32 v71, v73, v89
	;; [unrolled: 3-line block ×8, first 2 shown]
	v_pk_add_f32 v[36:37], v[36:37], v[70:71]
	s_waitcnt lgkmcnt(0)
	v_max_f32_e32 v70, v0, v0
	v_max_f32_e32 v71, v1, v1
	v_min_f32_e32 v0, v92, v70
	v_min_f32_e32 v1, v93, v71
	v_pk_add_f32 v[34:35], v[34:35], v[0:1]
	v_min_f32_e32 v0, v72, v70
	v_min_f32_e32 v1, v73, v71
	v_pk_add_f32 v[32:33], v[32:33], v[0:1]
	;; [unrolled: 3-line block ×7, first 2 shown]
	v_min_f32_e32 v0, v86, v70
	v_min_f32_e32 v1, v87, v71
	v_max_f32_e32 v2, v2, v2
	v_max_f32_e32 v3, v3, v3
	v_pk_add_f32 v[20:21], v[20:21], v[0:1]
	v_min_f32_e32 v0, v92, v2
	v_min_f32_e32 v1, v93, v3
	v_pk_add_f32 v[18:19], v[18:19], v[0:1]
	v_min_f32_e32 v0, v72, v2
	v_min_f32_e32 v1, v73, v3
	;; [unrolled: 3-line block ×8, first 2 shown]
	v_pk_add_f32 v[4:5], v[4:5], v[0:1]
	s_mov_b64 s[2:3], 0
	s_mov_b32 s6, 2
	s_cbranch_vccz .LBB32_42
; %bb.43:
	s_load_dwordx2 s[2:3], s[0:1], 0x70
	s_load_dword s30, s[0:1], 0x50
	s_load_dword s29, s[0:1], 0x68
	v_add_u32_e32 v72, s27, v75
	v_add_u32_e32 v0, s26, v74
	s_waitcnt lgkmcnt(0)
	s_lshl_b64 s[0:1], s[2:3], 2
	s_add_u32 s22, s4, s0
	s_addc_u32 s23, s5, s1
	v_mad_i64_i32 v[2:3], s[0:1], v72, s30, 0
	v_lshl_add_u64 v[70:71], v[2:3], 2, s[24:25]
	v_mad_i64_i32 v[2:3], s[0:1], v72, s29, 0
	v_cmp_gt_i32_e64 s[18:19], s21, v72
	v_lshl_add_u64 v[68:69], v[2:3], 2, s[22:23]
	v_cmp_gt_i32_e64 s[2:3], s20, v0
	v_cndmask_b32_e64 v2, 0, 1, s[8:9]
	s_and_b64 s[6:7], s[2:3], s[18:19]
	v_ashrrev_i32_e32 v1, 31, v0
	v_cmp_ne_u32_e64 s[0:1], 1, v2
	s_and_saveexec_b64 s[4:5], s[6:7]
	s_cbranch_execz .LBB32_48
; %bb.44:
	s_and_b64 vcc, exec, s[0:1]
	s_cbranch_vccnz .LBB32_46
; %bb.45:
	v_lshl_add_u64 v[2:3], v[0:1], 2, v[70:71]
	flat_load_dword v2, v[2:3]
	s_waitcnt vmcnt(0) lgkmcnt(0)
	v_mul_f32_e32 v2, s28, v2
	s_branch .LBB32_47
.LBB32_46:
	v_mov_b32_e32 v2, 0
.LBB32_47:
	v_add_f32_e32 v3, v66, v67
	v_add_f32_e32 v66, v3, v2
	v_lshl_add_u64 v[2:3], v[0:1], 2, v[68:69]
	flat_store_dword v[2:3], v66
.LBB32_48:
	s_or_b64 exec, exec, s[4:5]
	v_add_u32_e32 v2, 8, v0
	v_cmp_gt_i32_e64 s[4:5], s20, v2
	s_and_b64 s[8:9], s[4:5], s[18:19]
	v_ashrrev_i32_e32 v3, 31, v2
	s_and_saveexec_b64 s[6:7], s[8:9]
	s_cbranch_execz .LBB32_53
; %bb.49:
	s_and_b64 vcc, exec, s[0:1]
	s_cbranch_vccnz .LBB32_51
; %bb.50:
	v_lshl_add_u64 v[66:67], v[2:3], 2, v[70:71]
	flat_load_dword v66, v[66:67]
	s_waitcnt vmcnt(0) lgkmcnt(0)
	v_mul_f32_e32 v66, s28, v66
	s_branch .LBB32_52
.LBB32_51:
	v_mov_b32_e32 v66, 0
.LBB32_52:
	v_add_f32_e32 v64, v64, v65
	v_add_f32_e32 v66, v64, v66
	v_lshl_add_u64 v[64:65], v[2:3], 2, v[68:69]
	flat_store_dword v[64:65], v66
.LBB32_53:
	s_or_b64 exec, exec, s[6:7]
	v_add_u32_e32 v64, 16, v0
	v_cmp_gt_i32_e64 s[6:7], s20, v64
	s_and_b64 s[10:11], s[6:7], s[18:19]
	v_ashrrev_i32_e32 v65, 31, v64
	;; [unrolled: 24-line block ×7, first 2 shown]
	s_and_saveexec_b64 s[18:19], s[26:27]
	s_cbranch_execz .LBB32_83
; %bb.79:
	s_and_b64 vcc, exec, s[0:1]
	s_cbranch_vccnz .LBB32_81
; %bb.80:
	v_lshl_add_u64 v[66:67], v[54:55], 2, v[70:71]
	flat_load_dword v66, v[66:67]
	s_waitcnt vmcnt(0) lgkmcnt(0)
	v_mul_f32_e32 v66, s28, v66
	s_branch .LBB32_82
.LBB32_81:
	v_mov_b32_e32 v66, 0
.LBB32_82:
	v_add_f32_e32 v52, v52, v53
	v_add_f32_e32 v66, v52, v66
	v_lshl_add_u64 v[52:53], v[54:55], 2, v[68:69]
	flat_store_dword v[52:53], v66
.LBB32_83:
	s_or_b64 exec, exec, s[18:19]
	v_add_u32_e32 v68, 32, v72
	v_mad_i64_i32 v[52:53], s[26:27], v68, s30, 0
	v_cmp_gt_i32_e64 s[18:19], s21, v68
	v_lshl_add_u64 v[66:67], v[52:53], 2, s[24:25]
	v_mad_i64_i32 v[52:53], s[26:27], v68, s29, 0
	v_lshl_add_u64 v[52:53], v[52:53], 2, s[22:23]
	s_and_b64 s[34:35], s[2:3], s[18:19]
	s_and_saveexec_b64 s[26:27], s[34:35]
	s_cbranch_execnz .LBB32_91
; %bb.84:
	s_or_b64 exec, exec, s[26:27]
	s_and_b64 s[34:35], s[4:5], s[18:19]
	s_and_saveexec_b64 s[26:27], s[34:35]
	s_cbranch_execnz .LBB32_95
.LBB32_85:
	s_or_b64 exec, exec, s[26:27]
	s_and_b64 s[34:35], s[6:7], s[18:19]
	s_and_saveexec_b64 s[26:27], s[34:35]
	s_cbranch_execnz .LBB32_99
.LBB32_86:
	s_or_b64 exec, exec, s[26:27]
	s_and_b64 s[34:35], s[8:9], s[18:19]
	s_and_saveexec_b64 s[26:27], s[34:35]
	s_cbranch_execnz .LBB32_103
.LBB32_87:
	s_or_b64 exec, exec, s[26:27]
	s_and_b64 s[34:35], s[10:11], s[18:19]
	s_and_saveexec_b64 s[26:27], s[34:35]
	s_cbranch_execnz .LBB32_107
.LBB32_88:
	s_or_b64 exec, exec, s[26:27]
	s_and_b64 s[34:35], s[12:13], s[18:19]
	s_and_saveexec_b64 s[26:27], s[34:35]
	s_cbranch_execnz .LBB32_111
.LBB32_89:
	s_or_b64 exec, exec, s[26:27]
	s_and_b64 s[34:35], s[14:15], s[18:19]
	s_and_saveexec_b64 s[26:27], s[34:35]
	s_cbranch_execnz .LBB32_115
.LBB32_90:
	s_or_b64 exec, exec, s[26:27]
	s_and_b64 s[26:27], s[16:17], s[18:19]
	s_and_saveexec_b64 s[18:19], s[26:27]
	s_cbranch_execnz .LBB32_119
	s_branch .LBB32_123
.LBB32_91:
	s_and_b64 vcc, exec, s[0:1]
	s_cbranch_vccnz .LBB32_93
; %bb.92:
	v_lshl_add_u64 v[68:69], v[0:1], 2, v[66:67]
	flat_load_dword v68, v[68:69]
	s_waitcnt vmcnt(0) lgkmcnt(0)
	v_mul_f32_e32 v68, s28, v68
	s_branch .LBB32_94
.LBB32_93:
	v_mov_b32_e32 v68, 0
.LBB32_94:
	v_add_f32_e32 v50, v50, v51
	v_add_f32_e32 v68, v50, v68
	v_lshl_add_u64 v[50:51], v[0:1], 2, v[52:53]
	flat_store_dword v[50:51], v68
	s_or_b64 exec, exec, s[26:27]
	s_and_b64 s[34:35], s[4:5], s[18:19]
	s_and_saveexec_b64 s[26:27], s[34:35]
	s_cbranch_execz .LBB32_85
.LBB32_95:
	s_and_b64 vcc, exec, s[0:1]
	s_cbranch_vccnz .LBB32_97
; %bb.96:
	v_lshl_add_u64 v[50:51], v[2:3], 2, v[66:67]
	flat_load_dword v50, v[50:51]
	s_waitcnt vmcnt(0) lgkmcnt(0)
	v_mul_f32_e32 v50, s28, v50
	s_branch .LBB32_98
.LBB32_97:
	v_mov_b32_e32 v50, 0
.LBB32_98:
	v_add_f32_e32 v48, v48, v49
	v_add_f32_e32 v50, v48, v50
	v_lshl_add_u64 v[48:49], v[2:3], 2, v[52:53]
	flat_store_dword v[48:49], v50
	s_or_b64 exec, exec, s[26:27]
	s_and_b64 s[34:35], s[6:7], s[18:19]
	s_and_saveexec_b64 s[26:27], s[34:35]
	s_cbranch_execz .LBB32_86
.LBB32_99:
	s_and_b64 vcc, exec, s[0:1]
	s_cbranch_vccnz .LBB32_101
; %bb.100:
	v_lshl_add_u64 v[48:49], v[64:65], 2, v[66:67]
	flat_load_dword v48, v[48:49]
	s_waitcnt vmcnt(0) lgkmcnt(0)
	v_mul_f32_e32 v48, s28, v48
	s_branch .LBB32_102
.LBB32_101:
	v_mov_b32_e32 v48, 0
.LBB32_102:
	v_add_f32_e32 v46, v46, v47
	v_add_f32_e32 v48, v46, v48
	v_lshl_add_u64 v[46:47], v[64:65], 2, v[52:53]
	flat_store_dword v[46:47], v48
	s_or_b64 exec, exec, s[26:27]
	s_and_b64 s[34:35], s[8:9], s[18:19]
	s_and_saveexec_b64 s[26:27], s[34:35]
	s_cbranch_execz .LBB32_87
.LBB32_103:
	s_and_b64 vcc, exec, s[0:1]
	s_cbranch_vccnz .LBB32_105
; %bb.104:
	v_lshl_add_u64 v[46:47], v[62:63], 2, v[66:67]
	flat_load_dword v46, v[46:47]
	s_waitcnt vmcnt(0) lgkmcnt(0)
	v_mul_f32_e32 v46, s28, v46
	s_branch .LBB32_106
.LBB32_105:
	v_mov_b32_e32 v46, 0
.LBB32_106:
	v_add_f32_e32 v44, v44, v45
	v_add_f32_e32 v46, v44, v46
	v_lshl_add_u64 v[44:45], v[62:63], 2, v[52:53]
	flat_store_dword v[44:45], v46
	s_or_b64 exec, exec, s[26:27]
	s_and_b64 s[34:35], s[10:11], s[18:19]
	s_and_saveexec_b64 s[26:27], s[34:35]
	s_cbranch_execz .LBB32_88
.LBB32_107:
	s_and_b64 vcc, exec, s[0:1]
	s_cbranch_vccnz .LBB32_109
; %bb.108:
	v_lshl_add_u64 v[44:45], v[60:61], 2, v[66:67]
	flat_load_dword v44, v[44:45]
	s_waitcnt vmcnt(0) lgkmcnt(0)
	v_mul_f32_e32 v44, s28, v44
	s_branch .LBB32_110
.LBB32_109:
	v_mov_b32_e32 v44, 0
.LBB32_110:
	v_add_f32_e32 v42, v42, v43
	v_add_f32_e32 v44, v42, v44
	v_lshl_add_u64 v[42:43], v[60:61], 2, v[52:53]
	flat_store_dword v[42:43], v44
	s_or_b64 exec, exec, s[26:27]
	s_and_b64 s[34:35], s[12:13], s[18:19]
	s_and_saveexec_b64 s[26:27], s[34:35]
	s_cbranch_execz .LBB32_89
.LBB32_111:
	s_and_b64 vcc, exec, s[0:1]
	s_cbranch_vccnz .LBB32_113
; %bb.112:
	v_lshl_add_u64 v[42:43], v[58:59], 2, v[66:67]
	flat_load_dword v42, v[42:43]
	s_waitcnt vmcnt(0) lgkmcnt(0)
	v_mul_f32_e32 v42, s28, v42
	s_branch .LBB32_114
.LBB32_113:
	v_mov_b32_e32 v42, 0
.LBB32_114:
	v_add_f32_e32 v40, v40, v41
	v_add_f32_e32 v42, v40, v42
	v_lshl_add_u64 v[40:41], v[58:59], 2, v[52:53]
	flat_store_dword v[40:41], v42
	s_or_b64 exec, exec, s[26:27]
	s_and_b64 s[34:35], s[14:15], s[18:19]
	s_and_saveexec_b64 s[26:27], s[34:35]
	s_cbranch_execz .LBB32_90
.LBB32_115:
	s_and_b64 vcc, exec, s[0:1]
	s_cbranch_vccnz .LBB32_117
; %bb.116:
	v_lshl_add_u64 v[40:41], v[56:57], 2, v[66:67]
	flat_load_dword v40, v[40:41]
	s_waitcnt vmcnt(0) lgkmcnt(0)
	v_mul_f32_e32 v40, s28, v40
	s_branch .LBB32_118
.LBB32_117:
	v_mov_b32_e32 v40, 0
.LBB32_118:
	v_add_f32_e32 v38, v38, v39
	v_add_f32_e32 v40, v38, v40
	v_lshl_add_u64 v[38:39], v[56:57], 2, v[52:53]
	flat_store_dword v[38:39], v40
	s_or_b64 exec, exec, s[26:27]
	s_and_b64 s[26:27], s[16:17], s[18:19]
	s_and_saveexec_b64 s[18:19], s[26:27]
	s_cbranch_execz .LBB32_123
.LBB32_119:
	s_and_b64 vcc, exec, s[0:1]
	s_cbranch_vccnz .LBB32_121
; %bb.120:
	v_lshl_add_u64 v[38:39], v[54:55], 2, v[66:67]
	flat_load_dword v38, v[38:39]
	s_waitcnt vmcnt(0) lgkmcnt(0)
	v_mul_f32_e32 v38, s28, v38
	s_branch .LBB32_122
.LBB32_121:
	v_mov_b32_e32 v38, 0
.LBB32_122:
	v_add_f32_e32 v36, v36, v37
	v_add_f32_e32 v38, v36, v38
	v_lshl_add_u64 v[36:37], v[54:55], 2, v[52:53]
	flat_store_dword v[36:37], v38
.LBB32_123:
	s_or_b64 exec, exec, s[18:19]
	v_add_u32_e32 v40, 64, v72
	v_mad_i64_i32 v[36:37], s[26:27], v40, s30, 0
	v_cmp_gt_i32_e64 s[18:19], s21, v40
	v_lshl_add_u64 v[38:39], v[36:37], 2, s[24:25]
	v_mad_i64_i32 v[36:37], s[26:27], v40, s29, 0
	v_lshl_add_u64 v[36:37], v[36:37], 2, s[22:23]
	s_and_b64 s[34:35], s[2:3], s[18:19]
	s_and_saveexec_b64 s[26:27], s[34:35]
	s_cbranch_execnz .LBB32_131
; %bb.124:
	s_or_b64 exec, exec, s[26:27]
	s_and_b64 s[34:35], s[4:5], s[18:19]
	s_and_saveexec_b64 s[26:27], s[34:35]
	s_cbranch_execnz .LBB32_135
.LBB32_125:
	s_or_b64 exec, exec, s[26:27]
	s_and_b64 s[34:35], s[6:7], s[18:19]
	s_and_saveexec_b64 s[26:27], s[34:35]
	s_cbranch_execnz .LBB32_139
.LBB32_126:
	s_or_b64 exec, exec, s[26:27]
	s_and_b64 s[34:35], s[8:9], s[18:19]
	s_and_saveexec_b64 s[26:27], s[34:35]
	s_cbranch_execnz .LBB32_143
.LBB32_127:
	s_or_b64 exec, exec, s[26:27]
	s_and_b64 s[34:35], s[10:11], s[18:19]
	s_and_saveexec_b64 s[26:27], s[34:35]
	s_cbranch_execnz .LBB32_147
.LBB32_128:
	s_or_b64 exec, exec, s[26:27]
	s_and_b64 s[34:35], s[12:13], s[18:19]
	s_and_saveexec_b64 s[26:27], s[34:35]
	s_cbranch_execnz .LBB32_151
.LBB32_129:
	s_or_b64 exec, exec, s[26:27]
	s_and_b64 s[34:35], s[14:15], s[18:19]
	s_and_saveexec_b64 s[26:27], s[34:35]
	s_cbranch_execnz .LBB32_155
.LBB32_130:
	s_or_b64 exec, exec, s[26:27]
	s_and_b64 s[26:27], s[16:17], s[18:19]
	s_and_saveexec_b64 s[18:19], s[26:27]
	s_cbranch_execnz .LBB32_159
	s_branch .LBB32_163
.LBB32_131:
	s_and_b64 vcc, exec, s[0:1]
	s_cbranch_vccnz .LBB32_133
; %bb.132:
	v_lshl_add_u64 v[40:41], v[0:1], 2, v[38:39]
	flat_load_dword v40, v[40:41]
	s_waitcnt vmcnt(0) lgkmcnt(0)
	v_mul_f32_e32 v40, s28, v40
	s_branch .LBB32_134
.LBB32_133:
	v_mov_b32_e32 v40, 0
.LBB32_134:
	v_add_f32_e32 v34, v34, v35
	v_add_f32_e32 v40, v34, v40
	v_lshl_add_u64 v[34:35], v[0:1], 2, v[36:37]
	flat_store_dword v[34:35], v40
	s_or_b64 exec, exec, s[26:27]
	s_and_b64 s[34:35], s[4:5], s[18:19]
	s_and_saveexec_b64 s[26:27], s[34:35]
	s_cbranch_execz .LBB32_125
.LBB32_135:
	s_and_b64 vcc, exec, s[0:1]
	s_cbranch_vccnz .LBB32_137
; %bb.136:
	v_lshl_add_u64 v[34:35], v[2:3], 2, v[38:39]
	flat_load_dword v34, v[34:35]
	s_waitcnt vmcnt(0) lgkmcnt(0)
	v_mul_f32_e32 v34, s28, v34
	s_branch .LBB32_138
.LBB32_137:
	v_mov_b32_e32 v34, 0
.LBB32_138:
	v_add_f32_e32 v32, v32, v33
	v_add_f32_e32 v34, v32, v34
	v_lshl_add_u64 v[32:33], v[2:3], 2, v[36:37]
	flat_store_dword v[32:33], v34
	s_or_b64 exec, exec, s[26:27]
	s_and_b64 s[34:35], s[6:7], s[18:19]
	s_and_saveexec_b64 s[26:27], s[34:35]
	s_cbranch_execz .LBB32_126
.LBB32_139:
	s_and_b64 vcc, exec, s[0:1]
	s_cbranch_vccnz .LBB32_141
; %bb.140:
	v_lshl_add_u64 v[32:33], v[64:65], 2, v[38:39]
	flat_load_dword v32, v[32:33]
	s_waitcnt vmcnt(0) lgkmcnt(0)
	v_mul_f32_e32 v32, s28, v32
	s_branch .LBB32_142
.LBB32_141:
	v_mov_b32_e32 v32, 0
.LBB32_142:
	v_add_f32_e32 v30, v30, v31
	v_add_f32_e32 v32, v30, v32
	v_lshl_add_u64 v[30:31], v[64:65], 2, v[36:37]
	flat_store_dword v[30:31], v32
	s_or_b64 exec, exec, s[26:27]
	s_and_b64 s[34:35], s[8:9], s[18:19]
	s_and_saveexec_b64 s[26:27], s[34:35]
	s_cbranch_execz .LBB32_127
.LBB32_143:
	s_and_b64 vcc, exec, s[0:1]
	s_cbranch_vccnz .LBB32_145
; %bb.144:
	v_lshl_add_u64 v[30:31], v[62:63], 2, v[38:39]
	flat_load_dword v30, v[30:31]
	s_waitcnt vmcnt(0) lgkmcnt(0)
	v_mul_f32_e32 v30, s28, v30
	s_branch .LBB32_146
.LBB32_145:
	v_mov_b32_e32 v30, 0
.LBB32_146:
	v_add_f32_e32 v28, v28, v29
	v_add_f32_e32 v30, v28, v30
	v_lshl_add_u64 v[28:29], v[62:63], 2, v[36:37]
	flat_store_dword v[28:29], v30
	s_or_b64 exec, exec, s[26:27]
	s_and_b64 s[34:35], s[10:11], s[18:19]
	s_and_saveexec_b64 s[26:27], s[34:35]
	s_cbranch_execz .LBB32_128
.LBB32_147:
	s_and_b64 vcc, exec, s[0:1]
	s_cbranch_vccnz .LBB32_149
; %bb.148:
	v_lshl_add_u64 v[28:29], v[60:61], 2, v[38:39]
	flat_load_dword v28, v[28:29]
	s_waitcnt vmcnt(0) lgkmcnt(0)
	v_mul_f32_e32 v28, s28, v28
	s_branch .LBB32_150
.LBB32_149:
	v_mov_b32_e32 v28, 0
.LBB32_150:
	v_add_f32_e32 v26, v26, v27
	v_add_f32_e32 v28, v26, v28
	v_lshl_add_u64 v[26:27], v[60:61], 2, v[36:37]
	flat_store_dword v[26:27], v28
	s_or_b64 exec, exec, s[26:27]
	s_and_b64 s[34:35], s[12:13], s[18:19]
	s_and_saveexec_b64 s[26:27], s[34:35]
	s_cbranch_execz .LBB32_129
.LBB32_151:
	s_and_b64 vcc, exec, s[0:1]
	s_cbranch_vccnz .LBB32_153
; %bb.152:
	v_lshl_add_u64 v[26:27], v[58:59], 2, v[38:39]
	flat_load_dword v26, v[26:27]
	s_waitcnt vmcnt(0) lgkmcnt(0)
	v_mul_f32_e32 v26, s28, v26
	s_branch .LBB32_154
.LBB32_153:
	v_mov_b32_e32 v26, 0
.LBB32_154:
	v_add_f32_e32 v24, v24, v25
	v_add_f32_e32 v26, v24, v26
	v_lshl_add_u64 v[24:25], v[58:59], 2, v[36:37]
	flat_store_dword v[24:25], v26
	s_or_b64 exec, exec, s[26:27]
	s_and_b64 s[34:35], s[14:15], s[18:19]
	s_and_saveexec_b64 s[26:27], s[34:35]
	s_cbranch_execz .LBB32_130
.LBB32_155:
	s_and_b64 vcc, exec, s[0:1]
	s_cbranch_vccnz .LBB32_157
; %bb.156:
	v_lshl_add_u64 v[24:25], v[56:57], 2, v[38:39]
	flat_load_dword v24, v[24:25]
	s_waitcnt vmcnt(0) lgkmcnt(0)
	v_mul_f32_e32 v24, s28, v24
	s_branch .LBB32_158
.LBB32_157:
	v_mov_b32_e32 v24, 0
.LBB32_158:
	v_add_f32_e32 v22, v22, v23
	v_add_f32_e32 v24, v22, v24
	v_lshl_add_u64 v[22:23], v[56:57], 2, v[36:37]
	flat_store_dword v[22:23], v24
	s_or_b64 exec, exec, s[26:27]
	s_and_b64 s[26:27], s[16:17], s[18:19]
	s_and_saveexec_b64 s[18:19], s[26:27]
	s_cbranch_execz .LBB32_163
.LBB32_159:
	s_and_b64 vcc, exec, s[0:1]
	s_cbranch_vccnz .LBB32_161
; %bb.160:
	v_lshl_add_u64 v[22:23], v[54:55], 2, v[38:39]
	flat_load_dword v22, v[22:23]
	s_waitcnt vmcnt(0) lgkmcnt(0)
	v_mul_f32_e32 v22, s28, v22
	s_branch .LBB32_162
.LBB32_161:
	v_mov_b32_e32 v22, 0
.LBB32_162:
	v_add_f32_e32 v20, v20, v21
	v_add_f32_e32 v22, v20, v22
	v_lshl_add_u64 v[20:21], v[54:55], 2, v[36:37]
	flat_store_dword v[20:21], v22
.LBB32_163:
	s_or_b64 exec, exec, s[18:19]
	v_add_u32_e32 v24, 0x60, v72
	v_cmp_gt_i32_e64 s[18:19], s21, v24
	v_mad_i64_i32 v[20:21], s[20:21], v24, s30, 0
	v_lshl_add_u64 v[22:23], v[20:21], 2, s[24:25]
	v_mad_i64_i32 v[20:21], s[20:21], v24, s29, 0
	v_lshl_add_u64 v[20:21], v[20:21], 2, s[22:23]
	s_and_b64 s[20:21], s[2:3], s[18:19]
	s_and_saveexec_b64 s[2:3], s[20:21]
	s_cbranch_execnz .LBB32_172
; %bb.164:
	s_or_b64 exec, exec, s[2:3]
	s_and_b64 s[4:5], s[4:5], s[18:19]
	s_and_saveexec_b64 s[2:3], s[4:5]
	s_cbranch_execnz .LBB32_176
.LBB32_165:
	s_or_b64 exec, exec, s[2:3]
	s_and_b64 s[4:5], s[6:7], s[18:19]
	s_and_saveexec_b64 s[2:3], s[4:5]
	s_cbranch_execnz .LBB32_180
.LBB32_166:
	s_or_b64 exec, exec, s[2:3]
	s_and_b64 s[4:5], s[8:9], s[18:19]
	s_and_saveexec_b64 s[2:3], s[4:5]
	s_cbranch_execnz .LBB32_184
.LBB32_167:
	s_or_b64 exec, exec, s[2:3]
	s_and_b64 s[4:5], s[10:11], s[18:19]
	s_and_saveexec_b64 s[2:3], s[4:5]
	s_cbranch_execnz .LBB32_188
.LBB32_168:
	s_or_b64 exec, exec, s[2:3]
	s_and_b64 s[4:5], s[12:13], s[18:19]
	s_and_saveexec_b64 s[2:3], s[4:5]
	s_cbranch_execnz .LBB32_192
.LBB32_169:
	s_or_b64 exec, exec, s[2:3]
	s_and_b64 s[4:5], s[14:15], s[18:19]
	s_and_saveexec_b64 s[2:3], s[4:5]
	s_cbranch_execnz .LBB32_196
.LBB32_170:
	s_or_b64 exec, exec, s[2:3]
	s_and_b64 s[2:3], s[16:17], s[18:19]
	s_and_saveexec_b64 s[4:5], s[2:3]
	s_cbranch_execnz .LBB32_200
.LBB32_171:
	s_endpgm
.LBB32_172:
	s_and_b64 vcc, exec, s[0:1]
	s_cbranch_vccnz .LBB32_174
; %bb.173:
	v_lshl_add_u64 v[24:25], v[0:1], 2, v[22:23]
	flat_load_dword v24, v[24:25]
	s_waitcnt vmcnt(0) lgkmcnt(0)
	v_mul_f32_e32 v24, s28, v24
	s_branch .LBB32_175
.LBB32_174:
	v_mov_b32_e32 v24, 0
.LBB32_175:
	v_add_f32_e32 v18, v18, v19
	v_add_f32_e32 v18, v18, v24
	v_lshl_add_u64 v[0:1], v[0:1], 2, v[20:21]
	flat_store_dword v[0:1], v18
	s_or_b64 exec, exec, s[2:3]
	s_and_b64 s[4:5], s[4:5], s[18:19]
	s_and_saveexec_b64 s[2:3], s[4:5]
	s_cbranch_execz .LBB32_165
.LBB32_176:
	s_and_b64 vcc, exec, s[0:1]
	s_cbranch_vccnz .LBB32_178
; %bb.177:
	v_lshl_add_u64 v[0:1], v[2:3], 2, v[22:23]
	flat_load_dword v0, v[0:1]
	s_waitcnt vmcnt(0) lgkmcnt(0)
	v_mul_f32_e32 v0, s28, v0
	s_branch .LBB32_179
.LBB32_178:
	v_mov_b32_e32 v0, 0
.LBB32_179:
	v_add_f32_e32 v1, v16, v17
	v_add_f32_e32 v16, v1, v0
	v_lshl_add_u64 v[0:1], v[2:3], 2, v[20:21]
	flat_store_dword v[0:1], v16
	s_or_b64 exec, exec, s[2:3]
	s_and_b64 s[4:5], s[6:7], s[18:19]
	s_and_saveexec_b64 s[2:3], s[4:5]
	s_cbranch_execz .LBB32_166
.LBB32_180:
	s_and_b64 vcc, exec, s[0:1]
	s_cbranch_vccnz .LBB32_182
; %bb.181:
	v_lshl_add_u64 v[0:1], v[64:65], 2, v[22:23]
	flat_load_dword v0, v[0:1]
	s_waitcnt vmcnt(0) lgkmcnt(0)
	v_mul_f32_e32 v0, s28, v0
	s_branch .LBB32_183
.LBB32_182:
	v_mov_b32_e32 v0, 0
.LBB32_183:
	v_add_f32_e32 v1, v14, v15
	v_add_f32_e32 v2, v1, v0
	v_lshl_add_u64 v[0:1], v[64:65], 2, v[20:21]
	flat_store_dword v[0:1], v2
	s_or_b64 exec, exec, s[2:3]
	s_and_b64 s[4:5], s[8:9], s[18:19]
	s_and_saveexec_b64 s[2:3], s[4:5]
	s_cbranch_execz .LBB32_167
.LBB32_184:
	s_and_b64 vcc, exec, s[0:1]
	s_cbranch_vccnz .LBB32_186
; %bb.185:
	v_lshl_add_u64 v[0:1], v[62:63], 2, v[22:23]
	flat_load_dword v0, v[0:1]
	s_waitcnt vmcnt(0) lgkmcnt(0)
	v_mul_f32_e32 v0, s28, v0
	s_branch .LBB32_187
.LBB32_186:
	v_mov_b32_e32 v0, 0
.LBB32_187:
	v_add_f32_e32 v1, v12, v13
	v_add_f32_e32 v2, v1, v0
	v_lshl_add_u64 v[0:1], v[62:63], 2, v[20:21]
	flat_store_dword v[0:1], v2
	s_or_b64 exec, exec, s[2:3]
	s_and_b64 s[4:5], s[10:11], s[18:19]
	s_and_saveexec_b64 s[2:3], s[4:5]
	s_cbranch_execz .LBB32_168
.LBB32_188:
	s_and_b64 vcc, exec, s[0:1]
	s_cbranch_vccnz .LBB32_190
; %bb.189:
	v_lshl_add_u64 v[0:1], v[60:61], 2, v[22:23]
	flat_load_dword v0, v[0:1]
	s_waitcnt vmcnt(0) lgkmcnt(0)
	v_mul_f32_e32 v0, s28, v0
	s_branch .LBB32_191
.LBB32_190:
	v_mov_b32_e32 v0, 0
.LBB32_191:
	v_add_f32_e32 v1, v10, v11
	v_add_f32_e32 v2, v1, v0
	v_lshl_add_u64 v[0:1], v[60:61], 2, v[20:21]
	flat_store_dword v[0:1], v2
	s_or_b64 exec, exec, s[2:3]
	s_and_b64 s[4:5], s[12:13], s[18:19]
	s_and_saveexec_b64 s[2:3], s[4:5]
	s_cbranch_execz .LBB32_169
.LBB32_192:
	s_and_b64 vcc, exec, s[0:1]
	s_cbranch_vccnz .LBB32_194
; %bb.193:
	v_lshl_add_u64 v[0:1], v[58:59], 2, v[22:23]
	flat_load_dword v0, v[0:1]
	s_waitcnt vmcnt(0) lgkmcnt(0)
	v_mul_f32_e32 v0, s28, v0
	s_branch .LBB32_195
.LBB32_194:
	v_mov_b32_e32 v0, 0
.LBB32_195:
	v_add_f32_e32 v1, v8, v9
	v_add_f32_e32 v2, v1, v0
	v_lshl_add_u64 v[0:1], v[58:59], 2, v[20:21]
	flat_store_dword v[0:1], v2
	s_or_b64 exec, exec, s[2:3]
	s_and_b64 s[4:5], s[14:15], s[18:19]
	s_and_saveexec_b64 s[2:3], s[4:5]
	s_cbranch_execz .LBB32_170
.LBB32_196:
	s_and_b64 vcc, exec, s[0:1]
	s_cbranch_vccnz .LBB32_198
; %bb.197:
	v_lshl_add_u64 v[0:1], v[56:57], 2, v[22:23]
	flat_load_dword v0, v[0:1]
	s_waitcnt vmcnt(0) lgkmcnt(0)
	v_mul_f32_e32 v0, s28, v0
	s_branch .LBB32_199
.LBB32_198:
	v_mov_b32_e32 v0, 0
.LBB32_199:
	v_add_f32_e32 v1, v6, v7
	v_add_f32_e32 v2, v1, v0
	v_lshl_add_u64 v[0:1], v[56:57], 2, v[20:21]
	flat_store_dword v[0:1], v2
	s_or_b64 exec, exec, s[2:3]
	s_and_b64 s[2:3], s[16:17], s[18:19]
	s_and_saveexec_b64 s[4:5], s[2:3]
	s_cbranch_execz .LBB32_171
.LBB32_200:
	s_and_b64 vcc, exec, s[0:1]
	s_cbranch_vccnz .LBB32_202
; %bb.201:
	v_lshl_add_u64 v[0:1], v[54:55], 2, v[22:23]
	flat_load_dword v0, v[0:1]
	s_waitcnt vmcnt(0) lgkmcnt(0)
	v_mul_f32_e32 v0, s28, v0
	s_branch .LBB32_203
.LBB32_202:
	v_mov_b32_e32 v0, 0
.LBB32_203:
	v_add_f32_e32 v1, v4, v5
	v_add_f32_e32 v2, v1, v0
	v_lshl_add_u64 v[0:1], v[54:55], 2, v[20:21]
	flat_store_dword v[0:1], v2
	s_endpgm
	.section	.rodata,"a",@progbits
	.p2align	6, 0x0
	.amdhsa_kernel _ZN12_GLOBAL__N_120geam_min_plus_kernelIf15HIP_vector_typeIfLj2EES2_Li8ELi32ELi64ELi128ELi4ELi64ELi4ELi4ELi64ELc78ELc78ELb0ELb1ELb0EfKPKfKPfEEviiiT16_PT17_ilSA_ilS8_SA_ilPT18_ili26rocblas_geam_ex_operation_
		.amdhsa_group_segment_fixed_size 6144
		.amdhsa_private_segment_fixed_size 0
		.amdhsa_kernarg_size 128
		.amdhsa_user_sgpr_count 2
		.amdhsa_user_sgpr_dispatch_ptr 0
		.amdhsa_user_sgpr_queue_ptr 0
		.amdhsa_user_sgpr_kernarg_segment_ptr 1
		.amdhsa_user_sgpr_dispatch_id 0
		.amdhsa_user_sgpr_kernarg_preload_length 0
		.amdhsa_user_sgpr_kernarg_preload_offset 0
		.amdhsa_user_sgpr_private_segment_size 0
		.amdhsa_uses_dynamic_stack 0
		.amdhsa_enable_private_segment 0
		.amdhsa_system_sgpr_workgroup_id_x 1
		.amdhsa_system_sgpr_workgroup_id_y 0
		.amdhsa_system_sgpr_workgroup_id_z 1
		.amdhsa_system_sgpr_workgroup_info 0
		.amdhsa_system_vgpr_workitem_id 1
		.amdhsa_next_free_vgpr 112
		.amdhsa_next_free_sgpr 36
		.amdhsa_accum_offset 112
		.amdhsa_reserve_vcc 1
		.amdhsa_float_round_mode_32 0
		.amdhsa_float_round_mode_16_64 0
		.amdhsa_float_denorm_mode_32 3
		.amdhsa_float_denorm_mode_16_64 3
		.amdhsa_dx10_clamp 1
		.amdhsa_ieee_mode 1
		.amdhsa_fp16_overflow 0
		.amdhsa_tg_split 0
		.amdhsa_exception_fp_ieee_invalid_op 0
		.amdhsa_exception_fp_denorm_src 0
		.amdhsa_exception_fp_ieee_div_zero 0
		.amdhsa_exception_fp_ieee_overflow 0
		.amdhsa_exception_fp_ieee_underflow 0
		.amdhsa_exception_fp_ieee_inexact 0
		.amdhsa_exception_int_div_zero 0
	.end_amdhsa_kernel
	.section	.text._ZN12_GLOBAL__N_120geam_min_plus_kernelIf15HIP_vector_typeIfLj2EES2_Li8ELi32ELi64ELi128ELi4ELi64ELi4ELi4ELi64ELc78ELc78ELb0ELb1ELb0EfKPKfKPfEEviiiT16_PT17_ilSA_ilS8_SA_ilPT18_ili26rocblas_geam_ex_operation_,"axG",@progbits,_ZN12_GLOBAL__N_120geam_min_plus_kernelIf15HIP_vector_typeIfLj2EES2_Li8ELi32ELi64ELi128ELi4ELi64ELi4ELi4ELi64ELc78ELc78ELb0ELb1ELb0EfKPKfKPfEEviiiT16_PT17_ilSA_ilS8_SA_ilPT18_ili26rocblas_geam_ex_operation_,comdat
.Lfunc_end32:
	.size	_ZN12_GLOBAL__N_120geam_min_plus_kernelIf15HIP_vector_typeIfLj2EES2_Li8ELi32ELi64ELi128ELi4ELi64ELi4ELi4ELi64ELc78ELc78ELb0ELb1ELb0EfKPKfKPfEEviiiT16_PT17_ilSA_ilS8_SA_ilPT18_ili26rocblas_geam_ex_operation_, .Lfunc_end32-_ZN12_GLOBAL__N_120geam_min_plus_kernelIf15HIP_vector_typeIfLj2EES2_Li8ELi32ELi64ELi128ELi4ELi64ELi4ELi4ELi64ELc78ELc78ELb0ELb1ELb0EfKPKfKPfEEviiiT16_PT17_ilSA_ilS8_SA_ilPT18_ili26rocblas_geam_ex_operation_
                                        ; -- End function
	.set _ZN12_GLOBAL__N_120geam_min_plus_kernelIf15HIP_vector_typeIfLj2EES2_Li8ELi32ELi64ELi128ELi4ELi64ELi4ELi4ELi64ELc78ELc78ELb0ELb1ELb0EfKPKfKPfEEviiiT16_PT17_ilSA_ilS8_SA_ilPT18_ili26rocblas_geam_ex_operation_.num_vgpr, 112
	.set _ZN12_GLOBAL__N_120geam_min_plus_kernelIf15HIP_vector_typeIfLj2EES2_Li8ELi32ELi64ELi128ELi4ELi64ELi4ELi4ELi64ELc78ELc78ELb0ELb1ELb0EfKPKfKPfEEviiiT16_PT17_ilSA_ilS8_SA_ilPT18_ili26rocblas_geam_ex_operation_.num_agpr, 0
	.set _ZN12_GLOBAL__N_120geam_min_plus_kernelIf15HIP_vector_typeIfLj2EES2_Li8ELi32ELi64ELi128ELi4ELi64ELi4ELi4ELi64ELc78ELc78ELb0ELb1ELb0EfKPKfKPfEEviiiT16_PT17_ilSA_ilS8_SA_ilPT18_ili26rocblas_geam_ex_operation_.numbered_sgpr, 36
	.set _ZN12_GLOBAL__N_120geam_min_plus_kernelIf15HIP_vector_typeIfLj2EES2_Li8ELi32ELi64ELi128ELi4ELi64ELi4ELi4ELi64ELc78ELc78ELb0ELb1ELb0EfKPKfKPfEEviiiT16_PT17_ilSA_ilS8_SA_ilPT18_ili26rocblas_geam_ex_operation_.num_named_barrier, 0
	.set _ZN12_GLOBAL__N_120geam_min_plus_kernelIf15HIP_vector_typeIfLj2EES2_Li8ELi32ELi64ELi128ELi4ELi64ELi4ELi4ELi64ELc78ELc78ELb0ELb1ELb0EfKPKfKPfEEviiiT16_PT17_ilSA_ilS8_SA_ilPT18_ili26rocblas_geam_ex_operation_.private_seg_size, 0
	.set _ZN12_GLOBAL__N_120geam_min_plus_kernelIf15HIP_vector_typeIfLj2EES2_Li8ELi32ELi64ELi128ELi4ELi64ELi4ELi4ELi64ELc78ELc78ELb0ELb1ELb0EfKPKfKPfEEviiiT16_PT17_ilSA_ilS8_SA_ilPT18_ili26rocblas_geam_ex_operation_.uses_vcc, 1
	.set _ZN12_GLOBAL__N_120geam_min_plus_kernelIf15HIP_vector_typeIfLj2EES2_Li8ELi32ELi64ELi128ELi4ELi64ELi4ELi4ELi64ELc78ELc78ELb0ELb1ELb0EfKPKfKPfEEviiiT16_PT17_ilSA_ilS8_SA_ilPT18_ili26rocblas_geam_ex_operation_.uses_flat_scratch, 0
	.set _ZN12_GLOBAL__N_120geam_min_plus_kernelIf15HIP_vector_typeIfLj2EES2_Li8ELi32ELi64ELi128ELi4ELi64ELi4ELi4ELi64ELc78ELc78ELb0ELb1ELb0EfKPKfKPfEEviiiT16_PT17_ilSA_ilS8_SA_ilPT18_ili26rocblas_geam_ex_operation_.has_dyn_sized_stack, 0
	.set _ZN12_GLOBAL__N_120geam_min_plus_kernelIf15HIP_vector_typeIfLj2EES2_Li8ELi32ELi64ELi128ELi4ELi64ELi4ELi4ELi64ELc78ELc78ELb0ELb1ELb0EfKPKfKPfEEviiiT16_PT17_ilSA_ilS8_SA_ilPT18_ili26rocblas_geam_ex_operation_.has_recursion, 0
	.set _ZN12_GLOBAL__N_120geam_min_plus_kernelIf15HIP_vector_typeIfLj2EES2_Li8ELi32ELi64ELi128ELi4ELi64ELi4ELi4ELi64ELc78ELc78ELb0ELb1ELb0EfKPKfKPfEEviiiT16_PT17_ilSA_ilS8_SA_ilPT18_ili26rocblas_geam_ex_operation_.has_indirect_call, 0
	.section	.AMDGPU.csdata,"",@progbits
; Kernel info:
; codeLenInByte = 8048
; TotalNumSgprs: 42
; NumVgprs: 112
; NumAgprs: 0
; TotalNumVgprs: 112
; ScratchSize: 0
; MemoryBound: 0
; FloatMode: 240
; IeeeMode: 1
; LDSByteSize: 6144 bytes/workgroup (compile time only)
; SGPRBlocks: 5
; VGPRBlocks: 13
; NumSGPRsForWavesPerEU: 42
; NumVGPRsForWavesPerEU: 112
; AccumOffset: 112
; Occupancy: 4
; WaveLimiterHint : 1
; COMPUTE_PGM_RSRC2:SCRATCH_EN: 0
; COMPUTE_PGM_RSRC2:USER_SGPR: 2
; COMPUTE_PGM_RSRC2:TRAP_HANDLER: 0
; COMPUTE_PGM_RSRC2:TGID_X_EN: 1
; COMPUTE_PGM_RSRC2:TGID_Y_EN: 0
; COMPUTE_PGM_RSRC2:TGID_Z_EN: 1
; COMPUTE_PGM_RSRC2:TIDIG_COMP_CNT: 1
; COMPUTE_PGM_RSRC3_GFX90A:ACCUM_OFFSET: 27
; COMPUTE_PGM_RSRC3_GFX90A:TG_SPLIT: 0
	.section	.text._ZN12_GLOBAL__N_120geam_min_plus_kernelIf15HIP_vector_typeIfLj2EES2_Li8ELi32ELi64ELi128ELi4ELi4ELi64ELi4ELi64ELc84ELc78ELb0ELb0ELb0EPKfKS4_KPfEEviiiT16_PT17_ilSA_ilS8_SA_ilPT18_ili26rocblas_geam_ex_operation_,"axG",@progbits,_ZN12_GLOBAL__N_120geam_min_plus_kernelIf15HIP_vector_typeIfLj2EES2_Li8ELi32ELi64ELi128ELi4ELi4ELi64ELi4ELi64ELc84ELc78ELb0ELb0ELb0EPKfKS4_KPfEEviiiT16_PT17_ilSA_ilS8_SA_ilPT18_ili26rocblas_geam_ex_operation_,comdat
	.globl	_ZN12_GLOBAL__N_120geam_min_plus_kernelIf15HIP_vector_typeIfLj2EES2_Li8ELi32ELi64ELi128ELi4ELi4ELi64ELi4ELi64ELc84ELc78ELb0ELb0ELb0EPKfKS4_KPfEEviiiT16_PT17_ilSA_ilS8_SA_ilPT18_ili26rocblas_geam_ex_operation_ ; -- Begin function _ZN12_GLOBAL__N_120geam_min_plus_kernelIf15HIP_vector_typeIfLj2EES2_Li8ELi32ELi64ELi128ELi4ELi4ELi64ELi4ELi64ELc84ELc78ELb0ELb0ELb0EPKfKS4_KPfEEviiiT16_PT17_ilSA_ilS8_SA_ilPT18_ili26rocblas_geam_ex_operation_
	.p2align	8
	.type	_ZN12_GLOBAL__N_120geam_min_plus_kernelIf15HIP_vector_typeIfLj2EES2_Li8ELi32ELi64ELi128ELi4ELi4ELi64ELi4ELi64ELc84ELc78ELb0ELb0ELb0EPKfKS4_KPfEEviiiT16_PT17_ilSA_ilS8_SA_ilPT18_ili26rocblas_geam_ex_operation_,@function
_ZN12_GLOBAL__N_120geam_min_plus_kernelIf15HIP_vector_typeIfLj2EES2_Li8ELi32ELi64ELi128ELi4ELi4ELi64ELi4ELi64ELc84ELc78ELb0ELb0ELb0EPKfKS4_KPfEEviiiT16_PT17_ilSA_ilS8_SA_ilPT18_ili26rocblas_geam_ex_operation_: ; @_ZN12_GLOBAL__N_120geam_min_plus_kernelIf15HIP_vector_typeIfLj2EES2_Li8ELi32ELi64ELi128ELi4ELi4ELi64ELi4ELi64ELc84ELc78ELb0ELb0ELb0EPKfKS4_KPfEEviiiT16_PT17_ilSA_ilS8_SA_ilPT18_ili26rocblas_geam_ex_operation_
; %bb.0:
	s_load_dwordx4 s[4:7], s[0:1], 0x10
	s_load_dwordx4 s[12:15], s[0:1], 0x28
	;; [unrolled: 1-line block ×3, first 2 shown]
	s_mov_b32 s22, s3
	s_mov_b32 s23, 0
	s_lshl_b64 s[18:19], s[22:23], 2
	s_waitcnt lgkmcnt(0)
	s_add_u32 s4, s4, s18
	s_addc_u32 s5, s5, s19
	s_load_dword s16, s[4:5], 0x0
	s_load_dwordx2 s[24:25], s[0:1], 0x50
	s_add_u32 s10, s10, s18
	s_addc_u32 s11, s11, s19
	s_mov_b64 s[18:19], 0
	s_waitcnt lgkmcnt(0)
	v_cmp_eq_f32_e64 s[4:5], s16, 0
	s_and_b64 s[4:5], exec, s[4:5]
	v_cmp_neq_f32_e64 s[26:27], s16, 0
	s_mov_b64 s[20:21], 0
	s_mov_b64 vcc, s[4:5]
	s_cbranch_vccnz .LBB33_2
; %bb.1:
	s_lshl_b64 s[20:21], s[22:23], 3
	s_add_u32 s6, s6, s20
	s_addc_u32 s7, s7, s21
	s_load_dwordx2 s[6:7], s[6:7], 0x0
	s_lshl_b64 s[12:13], s[12:13], 2
	s_waitcnt lgkmcnt(0)
	s_add_u32 s20, s6, s12
	s_addc_u32 s21, s7, s13
.LBB33_2:
	s_load_dword s28, s[10:11], 0x0
	v_cndmask_b32_e64 v1, 0, 1, s[26:27]
	v_cmp_ne_u32_e64 s[6:7], 1, v1
	s_andn2_b64 vcc, exec, s[26:27]
	s_cbranch_vccnz .LBB33_4
; %bb.3:
	s_lshl_b64 s[10:11], s[22:23], 3
	s_add_u32 s10, s14, s10
	s_addc_u32 s11, s15, s11
	s_load_dwordx2 s[10:11], s[10:11], 0x0
	s_lshl_b64 s[8:9], s[8:9], 2
	s_waitcnt lgkmcnt(0)
	s_add_u32 s18, s10, s8
	s_addc_u32 s19, s11, s9
.LBB33_4:
	s_load_dwordx4 s[12:15], s[0:1], 0x60
	s_waitcnt lgkmcnt(0)
	v_cmp_eq_f32_e64 s[8:9], s28, 0
	s_and_b64 s[8:9], exec, s[8:9]
	s_mov_b64 vcc, s[8:9]
	s_cbranch_vccnz .LBB33_6
; %bb.5:
	s_lshl_b64 s[10:11], s[22:23], 3
	s_add_u32 s10, s24, s10
	s_addc_u32 s11, s25, s11
	s_load_dwordx2 s[10:11], s[10:11], 0x0
	s_lshl_b64 s[12:13], s[12:13], 2
	s_waitcnt lgkmcnt(0)
	s_add_u32 s10, s10, s12
	s_addc_u32 s11, s11, s13
	s_branch .LBB33_7
.LBB33_6:
	s_mov_b64 s[10:11], 0
.LBB33_7:
	s_load_dword s3, s[0:1], 0x0
	s_load_dword s24, s[0:1], 0x20
	;; [unrolled: 1-line block ×3, first 2 shown]
	s_lshl_b64 s[12:13], s[22:23], 3
	s_add_u32 s12, s14, s12
	s_addc_u32 s13, s15, s13
	s_waitcnt lgkmcnt(0)
	s_add_i32 s3, s3, -1
	s_ashr_i32 s14, s3, 31
	s_lshr_b32 s14, s14, 26
	s_add_i32 s3, s3, s14
	s_ashr_i32 s3, s3, 6
	s_add_i32 s14, s3, 1
	v_cvt_f32_u32_e32 v1, s14
	v_and_b32_e32 v80, 0x3ff, v0
	v_bfe_u32 v81, v0, 10, 10
	v_and_b32_e32 v82, 3, v0
	v_rcp_iflag_f32_e32 v1, v1
	s_not_b32 s3, s3
	v_mov_b32_e32 v76, 0
	v_lshlrev_b32_e32 v68, 2, v82
	v_mul_f32_e32 v0, 0x4f7ffffe, v1
	v_cvt_u32_f32_e32 v0, v0
	v_lshl_add_u32 v1, v81, 3, v80
	v_lshrrev_b32_e32 v72, 2, v1
	v_mov_b32_e32 v2, 0
	v_readfirstlane_b32 s15, v0
	s_mul_i32 s3, s3, s15
	s_mul_hi_u32 s3, s15, s3
	s_add_i32 s15, s15, s3
	s_mul_hi_u32 s3, s2, s15
	s_mul_i32 s15, s3, s14
	s_sub_i32 s15, s2, s15
	s_add_i32 s22, s3, 1
	s_sub_i32 s23, s15, s14
	s_cmp_ge_u32 s15, s14
	s_cselect_b32 s3, s22, s3
	s_cselect_b32 s15, s23, s15
	s_add_i32 s22, s3, 1
	s_cmp_ge_u32 s15, s14
	s_cselect_b32 s3, s22, s3
	s_mul_i32 s14, s3, s14
	s_sub_i32 s2, s2, s14
	s_lshl_b32 s15, s3, 7
	s_lshl_b32 s14, s2, 6
	v_add_u32_e32 v74, s15, v72
	s_and_b64 vcc, exec, s[6:7]
	v_add_u32_e32 v75, s14, v72
	v_add_u32_e32 v73, 64, v74
	v_mov_b32_e32 v0, 0
	v_mov_b32_e32 v1, 0
	s_cbranch_vccnz .LBB33_9
; %bb.8:
	v_mad_i64_i32 v[0:1], s[2:3], v75, s24, 0
	v_mov_b32_e32 v69, 0
	v_lshl_add_u64 v[0:1], v[0:1], 2, s[20:21]
	v_lshl_add_u64 v[2:3], s[18:19], 0, v[68:69]
	v_mad_i64_i32 v[4:5], s[2:3], v74, s17, 0
	v_lshl_add_u64 v[0:1], v[0:1], 0, v[68:69]
	v_lshl_add_u64 v[4:5], v[4:5], 2, v[2:3]
	v_mad_i64_i32 v[6:7], s[2:3], v73, s17, 0
	flat_load_dword v0, v[0:1]
	v_lshl_add_u64 v[2:3], v[6:7], 2, v[2:3]
	flat_load_dword v6, v[4:5]
	flat_load_dword v1, v[2:3]
	s_waitcnt vmcnt(0) lgkmcnt(0)
	v_mul_f32_e32 v2, s16, v6
	v_pk_mul_f32 v[0:1], s[16:17], v[0:1] op_sel_hi:[0,1]
.LBB33_9:
	s_load_dwordx2 s[2:3], s[12:13], 0x0
	s_and_b64 vcc, exec, s[6:7]
	v_mov_b32_e32 v70, 0
	v_mov_b32_e32 v71, 0
	s_cbranch_vccnz .LBB33_11
; %bb.10:
	v_mad_i64_i32 v[4:5], s[6:7], v75, s24, 0
	v_mov_b32_e32 v69, 0
	v_lshl_add_u64 v[4:5], v[4:5], 2, s[20:21]
	v_lshl_add_u64 v[6:7], s[18:19], 0, v[68:69]
	v_mad_i64_i32 v[8:9], s[6:7], v74, s17, 0
	v_lshl_add_u64 v[4:5], v[4:5], 0, v[68:69]
	v_lshl_add_u64 v[8:9], v[8:9], 2, v[6:7]
	v_mad_i64_i32 v[10:11], s[6:7], v73, s17, 0
	flat_load_dword v4, v[4:5] offset:16
	v_lshl_add_u64 v[6:7], v[10:11], 2, v[6:7]
	flat_load_dword v3, v[8:9] offset:16
	flat_load_dword v5, v[6:7] offset:16
	s_waitcnt vmcnt(0) lgkmcnt(0)
	v_mul_f32_e32 v76, s16, v3
	v_pk_mul_f32 v[70:71], s[16:17], v[4:5] op_sel_hi:[0,1]
.LBB33_11:
	v_lshlrev_b32_e32 v3, 4, v72
	v_lshl_or_b32 v83, v82, 2, v3
	ds_write_b32 v83, v0 offset:4096
	ds_write2st64_b32 v83, v2, v1 offset1:4
	v_mov_b32_e32 v0, 0x1000
	v_mov_b32_e32 v66, 0
	v_cmp_neq_f32_e64 s[6:7], s28, 0
	v_lshl_add_u32 v84, v80, 4, v0
	s_mov_b32 s22, 0
	s_mov_b64 s[12:13], -1
	v_mov_b32_e32 v67, v66
	v_mov_b32_e32 v64, v66
	;; [unrolled: 1-line block ×63, first 2 shown]
	v_add_u32_e32 v85, 0x1000, v83
	v_lshlrev_b32_e32 v86, 4, v81
	s_waitcnt lgkmcnt(0)
	s_barrier
.LBB33_12:                              ; =>This Inner Loop Header: Depth=1
	v_cndmask_b32_e64 v0, 0, 1, s[12:13]
	s_lshl_b32 s12, s22, 2
	v_cmp_ne_u32_e32 vcc, 1, v0
	v_add_u32_e32 v0, s12, v84
	ds_read2_b64 v[88:91], v0 offset1:16
	ds_read2_b64 v[92:95], v0 offset0:32 offset1:48
	ds_read2_b64 v[96:99], v0 offset0:64 offset1:80
	;; [unrolled: 1-line block ×3, first 2 shown]
	v_add_u32_e32 v0, s12, v86
	ds_read2st64_b64 v[104:107], v0 offset1:1
	ds_read2st64_b64 v[0:3], v0 offset0:2 offset1:3
	s_waitcnt lgkmcnt(5)
	v_max_f32_e32 v77, v88, v88
	v_max_f32_e32 v88, v89, v89
	v_max_f32_e32 v89, v90, v90
	s_waitcnt lgkmcnt(1)
	v_max_f32_e32 v69, v104, v104
	v_max_f32_e32 v87, v105, v105
	v_min_f32_e32 v78, v77, v69
	v_min_f32_e32 v79, v88, v87
	v_max_f32_e32 v90, v91, v91
	v_pk_add_f32 v[66:67], v[78:79], v[66:67]
	v_min_f32_e32 v78, v89, v69
	v_min_f32_e32 v79, v90, v87
	v_max_f32_e32 v91, v92, v92
	v_max_f32_e32 v92, v93, v93
	v_pk_add_f32 v[64:65], v[78:79], v[64:65]
	v_min_f32_e32 v78, v91, v69
	v_min_f32_e32 v79, v92, v87
	v_max_f32_e32 v93, v94, v94
	;; [unrolled: 5-line block ×6, first 2 shown]
	v_pk_add_f32 v[54:55], v[78:79], v[54:55]
	v_min_f32_e32 v78, v101, v69
	v_max_f32_e32 v69, v103, v103
	v_min_f32_e32 v79, v69, v87
	v_max_f32_e32 v87, v106, v106
	v_max_f32_e32 v102, v107, v107
	v_pk_add_f32 v[52:53], v[78:79], v[52:53]
	v_min_f32_e32 v78, v77, v87
	v_min_f32_e32 v79, v88, v102
	v_pk_add_f32 v[50:51], v[78:79], v[50:51]
	v_min_f32_e32 v78, v89, v87
	v_min_f32_e32 v79, v90, v102
	;; [unrolled: 3-line block ×8, first 2 shown]
	v_pk_add_f32 v[36:37], v[78:79], v[36:37]
	s_waitcnt lgkmcnt(0)
	v_max_f32_e32 v78, v0, v0
	v_max_f32_e32 v79, v1, v1
	v_min_f32_e32 v0, v77, v78
	v_min_f32_e32 v1, v88, v79
	v_pk_add_f32 v[34:35], v[0:1], v[34:35]
	v_min_f32_e32 v0, v89, v78
	v_min_f32_e32 v1, v90, v79
	v_pk_add_f32 v[32:33], v[0:1], v[32:33]
	;; [unrolled: 3-line block ×7, first 2 shown]
	v_min_f32_e32 v0, v101, v78
	v_min_f32_e32 v1, v69, v79
	v_max_f32_e32 v2, v2, v2
	v_max_f32_e32 v3, v3, v3
	v_pk_add_f32 v[20:21], v[0:1], v[20:21]
	v_min_f32_e32 v0, v77, v2
	v_min_f32_e32 v1, v88, v3
	v_pk_add_f32 v[18:19], v[0:1], v[18:19]
	v_min_f32_e32 v0, v89, v2
	v_min_f32_e32 v1, v90, v3
	;; [unrolled: 3-line block ×8, first 2 shown]
	v_pk_add_f32 v[4:5], v[0:1], v[4:5]
	s_mov_b64 s[12:13], 0
	s_mov_b32 s22, 2
	s_cbranch_vccz .LBB33_12
; %bb.13:
	s_load_dword s22, s[0:1], 0x8
	v_lshl_or_b32 v0, v72, 4, v68
	ds_write_b32 v0, v70 offset:5120
	ds_write2st64_b32 v0, v76, v71 offset0:8 offset1:12
	s_waitcnt lgkmcnt(0)
	s_barrier
	s_cmp_lt_i32 s22, 9
	s_cbranch_scc1 .LBB33_28
; %bb.14:
	v_add_u32_e32 v87, 0x1400, v0
	v_add_u32_e32 v88, 0x800, v0
	v_mad_i64_i32 v[0:1], s[12:13], v75, s24, 0
	v_lshl_add_u64 v[68:69], v[0:1], 2, s[20:21]
	v_mov_b32_e32 v0, 0x1400
	v_lshl_add_u32 v89, v80, 4, v0
	v_mov_b32_e32 v0, 0x800
	s_add_i32 s22, s22, -8
	v_mad_i64_i32 v[70:71], s[12:13], v74, s17, 0
	v_mad_i64_i32 v[72:73], s[12:13], v73, s17, 0
	v_lshl_add_u32 v90, v81, 4, v0
	s_mov_b32 s17, s16
	s_mov_b32 s20, 8
	;; [unrolled: 1-line block ×3, first 2 shown]
	v_mov_b32_e32 v75, 0
.LBB33_15:                              ; =>This Loop Header: Depth=1
                                        ;     Child Loop BB33_20 Depth 2
                                        ;     Child Loop BB33_26 Depth 2
	s_mov_b64 s[12:13], -1
	s_mov_b64 vcc, s[4:5]
                                        ; implicit-def: $vgpr76_vgpr77
	s_cbranch_vccz .LBB33_17
; %bb.16:                               ;   in Loop: Header=BB33_15 Depth=1
	v_mov_b32_e32 v76, v75
	s_mov_b64 s[12:13], 0
.LBB33_17:                              ;   in Loop: Header=BB33_15 Depth=1
	v_mov_b32_e32 v78, 0
	s_andn2_b64 vcc, exec, s[12:13]
	v_mov_b32_e32 v79, 0
	s_cbranch_vccnz .LBB33_19
; %bb.18:                               ;   in Loop: Header=BB33_15 Depth=1
	v_or_b32_e32 v74, s20, v82
	v_lshlrev_b64 v[0:1], 2, v[74:75]
	v_lshl_add_u64 v[2:3], v[68:69], 0, v[0:1]
	v_lshl_add_u64 v[0:1], s[18:19], 0, v[0:1]
	;; [unrolled: 1-line block ×3, first 2 shown]
	flat_load_dword v2, v[2:3]
	v_lshl_add_u64 v[0:1], v[72:73], 2, v[0:1]
	flat_load_dword v74, v[76:77]
	flat_load_dword v3, v[0:1]
	s_waitcnt vmcnt(0) lgkmcnt(0)
	v_mul_f32_e32 v76, s16, v74
	v_pk_mul_f32 v[78:79], s[16:17], v[2:3]
.LBB33_19:                              ;   in Loop: Header=BB33_15 Depth=1
	s_mov_b32 s23, 0
	s_mov_b64 s[12:13], -1
.LBB33_20:                              ;   Parent Loop BB33_15 Depth=1
                                        ; =>  This Inner Loop Header: Depth=2
	v_cndmask_b32_e64 v0, 0, 1, s[12:13]
	s_lshl_b32 s12, s23, 2
	v_cmp_ne_u32_e32 vcc, 1, v0
	v_add_u32_e32 v0, s12, v89
	ds_read2_b64 v[92:95], v0 offset1:16
	ds_read2_b64 v[96:99], v0 offset0:32 offset1:48
	ds_read2_b64 v[100:103], v0 offset0:64 offset1:80
	;; [unrolled: 1-line block ×3, first 2 shown]
	v_add_u32_e32 v0, s12, v90
	ds_read2st64_b64 v[108:111], v0 offset1:1
	ds_read2st64_b64 v[0:3], v0 offset0:2 offset1:3
	s_waitcnt lgkmcnt(5)
	v_max_f32_e32 v77, v92, v92
	v_max_f32_e32 v94, v94, v94
	;; [unrolled: 1-line block ×3, first 2 shown]
	s_waitcnt lgkmcnt(1)
	v_max_f32_e32 v74, v108, v108
	v_max_f32_e32 v91, v109, v109
	;; [unrolled: 1-line block ×3, first 2 shown]
	v_min_f32_e32 v92, v77, v74
	v_min_f32_e32 v93, v108, v91
	v_pk_add_f32 v[66:67], v[92:93], v[66:67]
	v_min_f32_e32 v92, v94, v74
	v_min_f32_e32 v93, v95, v91
	v_max_f32_e32 v96, v96, v96
	v_max_f32_e32 v97, v97, v97
	v_pk_add_f32 v[64:65], v[92:93], v[64:65]
	v_min_f32_e32 v92, v96, v74
	v_min_f32_e32 v93, v97, v91
	v_max_f32_e32 v98, v98, v98
	v_max_f32_e32 v99, v99, v99
	;; [unrolled: 5-line block ×5, first 2 shown]
	v_pk_add_f32 v[56:57], v[92:93], v[56:57]
	v_min_f32_e32 v92, v104, v74
	v_min_f32_e32 v93, v105, v91
	v_max_f32_e32 v106, v106, v106
	v_pk_add_f32 v[54:55], v[92:93], v[54:55]
	v_min_f32_e32 v92, v106, v74
	v_max_f32_e32 v74, v107, v107
	v_min_f32_e32 v93, v74, v91
	v_max_f32_e32 v91, v110, v110
	v_max_f32_e32 v107, v111, v111
	v_pk_add_f32 v[52:53], v[92:93], v[52:53]
	v_min_f32_e32 v92, v77, v91
	v_min_f32_e32 v93, v108, v107
	v_pk_add_f32 v[50:51], v[92:93], v[50:51]
	v_min_f32_e32 v92, v94, v91
	v_min_f32_e32 v93, v95, v107
	;; [unrolled: 3-line block ×8, first 2 shown]
	v_pk_add_f32 v[36:37], v[92:93], v[36:37]
	s_waitcnt lgkmcnt(0)
	v_max_f32_e32 v91, v0, v0
	v_max_f32_e32 v92, v1, v1
	v_min_f32_e32 v0, v77, v91
	v_min_f32_e32 v1, v108, v92
	v_pk_add_f32 v[34:35], v[0:1], v[34:35]
	v_min_f32_e32 v0, v94, v91
	v_min_f32_e32 v1, v95, v92
	v_pk_add_f32 v[32:33], v[0:1], v[32:33]
	;; [unrolled: 3-line block ×7, first 2 shown]
	v_min_f32_e32 v0, v106, v91
	v_min_f32_e32 v1, v74, v92
	v_max_f32_e32 v2, v2, v2
	v_max_f32_e32 v3, v3, v3
	v_pk_add_f32 v[20:21], v[0:1], v[20:21]
	v_min_f32_e32 v0, v77, v2
	v_min_f32_e32 v1, v108, v3
	v_pk_add_f32 v[18:19], v[0:1], v[18:19]
	v_min_f32_e32 v0, v94, v2
	v_min_f32_e32 v1, v95, v3
	;; [unrolled: 3-line block ×8, first 2 shown]
	v_pk_add_f32 v[4:5], v[0:1], v[4:5]
	s_mov_b64 s[12:13], 0
	s_mov_b32 s23, 2
	s_cbranch_vccz .LBB33_20
; %bb.21:                               ;   in Loop: Header=BB33_15 Depth=1
	s_mov_b64 s[12:13], -1
	s_mov_b64 vcc, s[4:5]
	ds_write_b32 v85, v78
	ds_write2st64_b32 v83, v76, v79 offset1:4
	s_waitcnt lgkmcnt(0)
	s_barrier
                                        ; implicit-def: $vgpr76_vgpr77
	s_cbranch_vccz .LBB33_23
; %bb.22:                               ;   in Loop: Header=BB33_15 Depth=1
	v_mov_b32_e32 v76, v75
	s_mov_b64 s[12:13], 0
.LBB33_23:                              ;   in Loop: Header=BB33_15 Depth=1
	v_mov_b32_e32 v78, 0
	s_andn2_b64 vcc, exec, s[12:13]
	v_mov_b32_e32 v79, 0
	s_cbranch_vccnz .LBB33_25
; %bb.24:                               ;   in Loop: Header=BB33_15 Depth=1
	v_or_b32_e32 v74, s20, v82
	v_lshlrev_b64 v[0:1], 2, v[74:75]
	v_lshl_add_u64 v[2:3], v[68:69], 0, v[0:1]
	v_lshl_add_u64 v[0:1], s[18:19], 0, v[0:1]
	;; [unrolled: 1-line block ×3, first 2 shown]
	flat_load_dword v2, v[2:3] offset:16
	v_lshl_add_u64 v[0:1], v[72:73], 2, v[0:1]
	flat_load_dword v74, v[76:77] offset:16
	flat_load_dword v3, v[0:1] offset:16
	s_waitcnt vmcnt(0) lgkmcnt(0)
	v_mul_f32_e32 v76, s16, v74
	v_pk_mul_f32 v[78:79], s[16:17], v[2:3]
.LBB33_25:                              ;   in Loop: Header=BB33_15 Depth=1
	s_mov_b32 s23, 0
	s_mov_b64 s[12:13], -1
.LBB33_26:                              ;   Parent Loop BB33_15 Depth=1
                                        ; =>  This Inner Loop Header: Depth=2
	v_cndmask_b32_e64 v0, 0, 1, s[12:13]
	s_lshl_b32 s12, s23, 2
	v_cmp_ne_u32_e32 vcc, 1, v0
	v_add_u32_e32 v0, s12, v84
	ds_read2_b64 v[92:95], v0 offset1:16
	ds_read2_b64 v[96:99], v0 offset0:32 offset1:48
	ds_read2_b64 v[100:103], v0 offset0:64 offset1:80
	;; [unrolled: 1-line block ×3, first 2 shown]
	v_add_u32_e32 v0, s12, v86
	ds_read2st64_b64 v[108:111], v0 offset1:1
	ds_read2st64_b64 v[0:3], v0 offset0:2 offset1:3
	s_waitcnt lgkmcnt(5)
	v_max_f32_e32 v77, v92, v92
	v_max_f32_e32 v94, v94, v94
	;; [unrolled: 1-line block ×3, first 2 shown]
	s_waitcnt lgkmcnt(1)
	v_max_f32_e32 v74, v108, v108
	v_max_f32_e32 v91, v109, v109
	;; [unrolled: 1-line block ×3, first 2 shown]
	v_min_f32_e32 v92, v77, v74
	v_min_f32_e32 v93, v108, v91
	v_pk_add_f32 v[66:67], v[92:93], v[66:67]
	v_min_f32_e32 v92, v94, v74
	v_min_f32_e32 v93, v95, v91
	v_max_f32_e32 v96, v96, v96
	v_max_f32_e32 v97, v97, v97
	v_pk_add_f32 v[64:65], v[92:93], v[64:65]
	v_min_f32_e32 v92, v96, v74
	v_min_f32_e32 v93, v97, v91
	v_max_f32_e32 v98, v98, v98
	v_max_f32_e32 v99, v99, v99
	;; [unrolled: 5-line block ×5, first 2 shown]
	v_pk_add_f32 v[56:57], v[92:93], v[56:57]
	v_min_f32_e32 v92, v104, v74
	v_min_f32_e32 v93, v105, v91
	v_max_f32_e32 v106, v106, v106
	v_pk_add_f32 v[54:55], v[92:93], v[54:55]
	v_min_f32_e32 v92, v106, v74
	v_max_f32_e32 v74, v107, v107
	v_min_f32_e32 v93, v74, v91
	v_max_f32_e32 v91, v110, v110
	v_max_f32_e32 v107, v111, v111
	v_pk_add_f32 v[52:53], v[92:93], v[52:53]
	v_min_f32_e32 v92, v77, v91
	v_min_f32_e32 v93, v108, v107
	v_pk_add_f32 v[50:51], v[92:93], v[50:51]
	v_min_f32_e32 v92, v94, v91
	v_min_f32_e32 v93, v95, v107
	;; [unrolled: 3-line block ×8, first 2 shown]
	v_pk_add_f32 v[36:37], v[92:93], v[36:37]
	s_waitcnt lgkmcnt(0)
	v_max_f32_e32 v91, v0, v0
	v_max_f32_e32 v92, v1, v1
	v_min_f32_e32 v0, v77, v91
	v_min_f32_e32 v1, v108, v92
	v_pk_add_f32 v[34:35], v[0:1], v[34:35]
	v_min_f32_e32 v0, v94, v91
	v_min_f32_e32 v1, v95, v92
	v_pk_add_f32 v[32:33], v[0:1], v[32:33]
	;; [unrolled: 3-line block ×7, first 2 shown]
	v_min_f32_e32 v0, v106, v91
	v_min_f32_e32 v1, v74, v92
	v_max_f32_e32 v2, v2, v2
	v_max_f32_e32 v3, v3, v3
	v_pk_add_f32 v[20:21], v[0:1], v[20:21]
	v_min_f32_e32 v0, v77, v2
	v_min_f32_e32 v1, v108, v3
	v_pk_add_f32 v[18:19], v[0:1], v[18:19]
	v_min_f32_e32 v0, v94, v2
	v_min_f32_e32 v1, v95, v3
	;; [unrolled: 3-line block ×8, first 2 shown]
	v_pk_add_f32 v[4:5], v[0:1], v[4:5]
	s_mov_b64 s[12:13], 0
	s_mov_b32 s23, 2
	s_cbranch_vccz .LBB33_26
; %bb.27:                               ;   in Loop: Header=BB33_15 Depth=1
	s_add_i32 s20, s20, 8
	s_add_i32 s21, s21, 8
	s_cmp_ge_i32 s21, s22
	ds_write_b32 v87, v78
	ds_write2st64_b32 v88, v76, v79 offset1:4
	s_waitcnt lgkmcnt(0)
	s_barrier
	s_cbranch_scc0 .LBB33_15
.LBB33_28:
	v_mov_b32_e32 v0, 0x1400
	v_lshl_add_u32 v68, v80, 4, v0
	v_mov_b32_e32 v0, 0x800
	v_lshl_add_u32 v69, v81, 4, v0
	s_mov_b32 s12, 0
	s_mov_b64 s[4:5], -1
.LBB33_29:                              ; =>This Inner Loop Header: Depth=1
	v_cndmask_b32_e64 v0, 0, 1, s[4:5]
	s_lshl_b32 s4, s12, 2
	v_cmp_ne_u32_e32 vcc, 1, v0
	v_add_u32_e32 v0, s4, v68
	ds_read2_b64 v[70:73], v0 offset1:16
	ds_read2_b64 v[74:77], v0 offset0:32 offset1:48
	ds_read2_b64 v[82:85], v0 offset0:64 offset1:80
	;; [unrolled: 1-line block ×3, first 2 shown]
	v_add_u32_e32 v0, s4, v69
	ds_read2st64_b64 v[90:93], v0 offset1:1
	ds_read2st64_b64 v[0:3], v0 offset0:2 offset1:3
	s_waitcnt lgkmcnt(5)
	v_max_f32_e32 v79, v70, v70
	v_max_f32_e32 v72, v72, v72
	;; [unrolled: 1-line block ×3, first 2 shown]
	s_waitcnt lgkmcnt(1)
	v_max_f32_e32 v78, v90, v90
	v_max_f32_e32 v90, v91, v91
	;; [unrolled: 1-line block ×3, first 2 shown]
	v_min_f32_e32 v70, v79, v78
	v_min_f32_e32 v71, v91, v90
	v_pk_add_f32 v[66:67], v[70:71], v[66:67]
	v_min_f32_e32 v70, v72, v78
	v_min_f32_e32 v71, v73, v90
	v_max_f32_e32 v74, v74, v74
	v_max_f32_e32 v75, v75, v75
	v_pk_add_f32 v[64:65], v[70:71], v[64:65]
	v_min_f32_e32 v70, v74, v78
	v_min_f32_e32 v71, v75, v90
	v_max_f32_e32 v76, v76, v76
	v_max_f32_e32 v77, v77, v77
	;; [unrolled: 5-line block ×5, first 2 shown]
	v_pk_add_f32 v[56:57], v[70:71], v[56:57]
	v_min_f32_e32 v70, v86, v78
	v_min_f32_e32 v71, v87, v90
	v_max_f32_e32 v88, v88, v88
	v_pk_add_f32 v[54:55], v[70:71], v[54:55]
	v_min_f32_e32 v70, v88, v78
	v_max_f32_e32 v78, v89, v89
	v_min_f32_e32 v71, v78, v90
	v_max_f32_e32 v89, v92, v92
	v_max_f32_e32 v90, v93, v93
	v_pk_add_f32 v[52:53], v[70:71], v[52:53]
	v_min_f32_e32 v70, v79, v89
	v_min_f32_e32 v71, v91, v90
	v_pk_add_f32 v[50:51], v[70:71], v[50:51]
	v_min_f32_e32 v70, v72, v89
	v_min_f32_e32 v71, v73, v90
	;; [unrolled: 3-line block ×8, first 2 shown]
	v_pk_add_f32 v[36:37], v[70:71], v[36:37]
	s_waitcnt lgkmcnt(0)
	v_max_f32_e32 v70, v0, v0
	v_max_f32_e32 v71, v1, v1
	v_min_f32_e32 v0, v79, v70
	v_min_f32_e32 v1, v91, v71
	v_pk_add_f32 v[34:35], v[0:1], v[34:35]
	v_min_f32_e32 v0, v72, v70
	v_min_f32_e32 v1, v73, v71
	v_pk_add_f32 v[32:33], v[0:1], v[32:33]
	;; [unrolled: 3-line block ×7, first 2 shown]
	v_min_f32_e32 v0, v88, v70
	v_min_f32_e32 v1, v78, v71
	v_max_f32_e32 v2, v2, v2
	v_max_f32_e32 v3, v3, v3
	v_pk_add_f32 v[20:21], v[0:1], v[20:21]
	v_min_f32_e32 v0, v79, v2
	v_min_f32_e32 v1, v91, v3
	v_pk_add_f32 v[18:19], v[0:1], v[18:19]
	v_min_f32_e32 v0, v72, v2
	v_min_f32_e32 v1, v73, v3
	;; [unrolled: 3-line block ×8, first 2 shown]
	v_pk_add_f32 v[4:5], v[0:1], v[4:5]
	s_mov_b64 s[4:5], 0
	s_mov_b32 s12, 2
	s_cbranch_vccz .LBB33_29
; %bb.30:
	s_load_dword s12, s[0:1], 0x58
	v_add_u32_e32 v72, s15, v81
	v_add_u32_e32 v0, s14, v80
	v_ashrrev_i32_e32 v1, 31, v0
	v_mov_b32_e32 v73, 0
	s_waitcnt lgkmcnt(0)
	v_mad_i64_i32 v[2:3], s[4:5], v72, s12, 0
	v_lshl_add_u64 v[68:69], v[2:3], 2, s[10:11]
	v_cndmask_b32_e64 v2, 0, 1, s[6:7]
	v_cmp_ne_u32_e64 s[4:5], 1, v2
	s_andn2_b64 vcc, exec, s[6:7]
	v_mov_b32_e32 v74, 0
	s_cbranch_vccnz .LBB33_32
; %bb.31:
	v_lshl_add_u64 v[2:3], v[0:1], 2, v[68:69]
	flat_load_dword v2, v[2:3]
	s_waitcnt vmcnt(0) lgkmcnt(0)
	v_mul_f32_e32 v74, s28, v2
.LBB33_32:
	s_load_dwordx2 s[14:15], s[0:1], 0x78
	s_load_dword s6, s[0:1], 0x70
	v_add_u32_e32 v2, 8, v0
	v_add_f32_e32 v66, v66, v67
	v_ashrrev_i32_e32 v3, 31, v2
	s_waitcnt lgkmcnt(0)
	s_lshl_b64 s[0:1], s[14:15], 2
	s_add_u32 s0, s2, s0
	s_addc_u32 s1, s3, s1
	v_mad_i64_i32 v[70:71], s[2:3], v72, s6, 0
	v_lshl_add_u64 v[70:71], v[70:71], 2, s[0:1]
	v_add_f32_e32 v74, v66, v74
	v_lshl_add_u64 v[66:67], v[0:1], 2, v[70:71]
	s_and_b64 vcc, exec, s[4:5]
	flat_store_dword v[66:67], v74
	s_cbranch_vccnz .LBB33_34
; %bb.33:
	v_lshl_add_u64 v[66:67], v[2:3], 2, v[68:69]
	flat_load_dword v66, v[66:67]
	s_waitcnt vmcnt(0) lgkmcnt(0)
	v_mul_f32_e32 v73, s28, v66
.LBB33_34:
	v_add_f32_e32 v66, v64, v65
	v_add_u32_e32 v64, 16, v0
	v_add_f32_e32 v73, v66, v73
	v_lshl_add_u64 v[66:67], v[2:3], 2, v[70:71]
	v_ashrrev_i32_e32 v65, 31, v64
	flat_store_dword v[66:67], v73
	v_mov_b32_e32 v66, 0
	s_and_b64 vcc, exec, s[4:5]
	v_mov_b32_e32 v67, 0
	s_cbranch_vccnz .LBB33_36
; %bb.35:
	v_lshl_add_u64 v[74:75], v[64:65], 2, v[68:69]
	flat_load_dword v67, v[74:75]
	s_waitcnt vmcnt(0) lgkmcnt(0)
	v_mul_f32_e32 v67, s28, v67
.LBB33_36:
	v_add_f32_e32 v73, v62, v63
	v_add_u32_e32 v62, 24, v0
	v_ashrrev_i32_e32 v63, 31, v62
	v_add_f32_e32 v67, v73, v67
	v_lshl_add_u64 v[74:75], v[64:65], 2, v[70:71]
	s_and_b64 vcc, exec, s[4:5]
	flat_store_dword v[74:75], v67
	s_cbranch_vccnz .LBB33_38
; %bb.37:
	v_lshl_add_u64 v[66:67], v[62:63], 2, v[68:69]
	flat_load_dword v66, v[66:67]
	s_waitcnt vmcnt(0) lgkmcnt(0)
	v_mul_f32_e32 v66, s28, v66
.LBB33_38:
	v_add_f32_e32 v67, v60, v61
	v_add_u32_e32 v60, 32, v0
	v_add_f32_e32 v73, v67, v66
	v_lshl_add_u64 v[66:67], v[62:63], 2, v[70:71]
	v_ashrrev_i32_e32 v61, 31, v60
	flat_store_dword v[66:67], v73
	v_mov_b32_e32 v66, 0
	s_and_b64 vcc, exec, s[4:5]
	v_mov_b32_e32 v67, 0
	s_cbranch_vccnz .LBB33_40
; %bb.39:
	v_lshl_add_u64 v[74:75], v[60:61], 2, v[68:69]
	flat_load_dword v67, v[74:75]
	s_waitcnt vmcnt(0) lgkmcnt(0)
	v_mul_f32_e32 v67, s28, v67
.LBB33_40:
	v_add_f32_e32 v73, v58, v59
	v_add_u32_e32 v58, 40, v0
	v_ashrrev_i32_e32 v59, 31, v58
	;; [unrolled: 30-line block ×3, first 2 shown]
	v_add_f32_e32 v67, v73, v67
	v_lshl_add_u64 v[74:75], v[56:57], 2, v[70:71]
	s_and_b64 vcc, exec, s[4:5]
	flat_store_dword v[74:75], v67
	s_cbranch_vccnz .LBB33_46
; %bb.45:
	v_lshl_add_u64 v[66:67], v[54:55], 2, v[68:69]
	flat_load_dword v66, v[66:67]
	s_waitcnt vmcnt(0) lgkmcnt(0)
	v_mul_f32_e32 v66, s28, v66
.LBB33_46:
	v_add_f32_e32 v52, v52, v53
	v_add_f32_e32 v66, v52, v66
	v_lshl_add_u64 v[52:53], v[54:55], 2, v[70:71]
	flat_store_dword v[52:53], v66
	v_add_u32_e32 v66, 32, v72
	v_mad_i64_i32 v[52:53], s[2:3], v66, s12, 0
	v_lshl_add_u64 v[52:53], v[52:53], 2, s[10:11]
	v_mov_b32_e32 v68, 0
	s_and_b64 vcc, exec, s[4:5]
	v_mov_b32_e32 v69, 0
	s_cbranch_vccnz .LBB33_48
; %bb.47:
	v_lshl_add_u64 v[70:71], v[0:1], 2, v[52:53]
	flat_load_dword v67, v[70:71]
	s_waitcnt vmcnt(0) lgkmcnt(0)
	v_mul_f32_e32 v69, s28, v67
.LBB33_48:
	v_mad_i64_i32 v[66:67], s[2:3], v66, s6, 0
	v_lshl_add_u64 v[66:67], v[66:67], 2, s[0:1]
	v_add_f32_e32 v50, v50, v51
	v_add_f32_e32 v69, v50, v69
	v_lshl_add_u64 v[50:51], v[0:1], 2, v[66:67]
	s_and_b64 vcc, exec, s[4:5]
	flat_store_dword v[50:51], v69
	s_cbranch_vccnz .LBB33_50
; %bb.49:
	v_lshl_add_u64 v[50:51], v[2:3], 2, v[52:53]
	flat_load_dword v50, v[50:51]
	s_waitcnt vmcnt(0) lgkmcnt(0)
	v_mul_f32_e32 v68, s28, v50
.LBB33_50:
	v_add_f32_e32 v48, v48, v49
	v_add_f32_e32 v50, v48, v68
	v_lshl_add_u64 v[48:49], v[2:3], 2, v[66:67]
	flat_store_dword v[48:49], v50
	v_mov_b32_e32 v48, 0
	s_and_b64 vcc, exec, s[4:5]
	v_mov_b32_e32 v49, 0
	s_cbranch_vccnz .LBB33_52
; %bb.51:
	v_lshl_add_u64 v[50:51], v[64:65], 2, v[52:53]
	flat_load_dword v49, v[50:51]
	s_waitcnt vmcnt(0) lgkmcnt(0)
	v_mul_f32_e32 v49, s28, v49
.LBB33_52:
	v_add_f32_e32 v46, v46, v47
	v_add_f32_e32 v49, v46, v49
	v_lshl_add_u64 v[46:47], v[64:65], 2, v[66:67]
	s_and_b64 vcc, exec, s[4:5]
	flat_store_dword v[46:47], v49
	s_cbranch_vccnz .LBB33_54
; %bb.53:
	v_lshl_add_u64 v[46:47], v[62:63], 2, v[52:53]
	flat_load_dword v46, v[46:47]
	s_waitcnt vmcnt(0) lgkmcnt(0)
	v_mul_f32_e32 v48, s28, v46
.LBB33_54:
	v_add_f32_e32 v44, v44, v45
	v_add_f32_e32 v46, v44, v48
	v_lshl_add_u64 v[44:45], v[62:63], 2, v[66:67]
	flat_store_dword v[44:45], v46
	v_mov_b32_e32 v44, 0
	s_and_b64 vcc, exec, s[4:5]
	v_mov_b32_e32 v45, 0
	s_cbranch_vccnz .LBB33_56
; %bb.55:
	v_lshl_add_u64 v[46:47], v[60:61], 2, v[52:53]
	flat_load_dword v45, v[46:47]
	s_waitcnt vmcnt(0) lgkmcnt(0)
	v_mul_f32_e32 v45, s28, v45
.LBB33_56:
	;; [unrolled: 26-line block ×3, first 2 shown]
	v_add_f32_e32 v38, v38, v39
	v_add_f32_e32 v41, v38, v41
	v_lshl_add_u64 v[38:39], v[56:57], 2, v[66:67]
	s_and_b64 vcc, exec, s[4:5]
	flat_store_dword v[38:39], v41
	s_cbranch_vccnz .LBB33_62
; %bb.61:
	v_lshl_add_u64 v[38:39], v[54:55], 2, v[52:53]
	flat_load_dword v38, v[38:39]
	s_waitcnt vmcnt(0) lgkmcnt(0)
	v_mul_f32_e32 v40, s28, v38
.LBB33_62:
	v_add_f32_e32 v36, v36, v37
	v_add_f32_e32 v38, v36, v40
	v_lshl_add_u64 v[36:37], v[54:55], 2, v[66:67]
	flat_store_dword v[36:37], v38
	v_add_u32_e32 v38, 64, v72
	v_mad_i64_i32 v[36:37], s[2:3], v38, s12, 0
	v_lshl_add_u64 v[36:37], v[36:37], 2, s[10:11]
	v_mov_b32_e32 v40, 0
	s_and_b64 vcc, exec, s[4:5]
	v_mov_b32_e32 v41, 0
	s_cbranch_vccnz .LBB33_64
; %bb.63:
	v_lshl_add_u64 v[42:43], v[0:1], 2, v[36:37]
	flat_load_dword v39, v[42:43]
	s_waitcnt vmcnt(0) lgkmcnt(0)
	v_mul_f32_e32 v41, s28, v39
.LBB33_64:
	v_mad_i64_i32 v[38:39], s[2:3], v38, s6, 0
	v_lshl_add_u64 v[38:39], v[38:39], 2, s[0:1]
	v_add_f32_e32 v34, v34, v35
	v_add_f32_e32 v41, v34, v41
	v_lshl_add_u64 v[34:35], v[0:1], 2, v[38:39]
	s_and_b64 vcc, exec, s[4:5]
	flat_store_dword v[34:35], v41
	s_cbranch_vccnz .LBB33_66
; %bb.65:
	v_lshl_add_u64 v[34:35], v[2:3], 2, v[36:37]
	flat_load_dword v34, v[34:35]
	s_waitcnt vmcnt(0) lgkmcnt(0)
	v_mul_f32_e32 v40, s28, v34
.LBB33_66:
	v_add_f32_e32 v32, v32, v33
	v_add_f32_e32 v34, v32, v40
	v_lshl_add_u64 v[32:33], v[2:3], 2, v[38:39]
	flat_store_dword v[32:33], v34
	v_mov_b32_e32 v32, 0
	s_and_b64 vcc, exec, s[4:5]
	v_mov_b32_e32 v33, 0
	s_cbranch_vccnz .LBB33_68
; %bb.67:
	v_lshl_add_u64 v[34:35], v[64:65], 2, v[36:37]
	flat_load_dword v33, v[34:35]
	s_waitcnt vmcnt(0) lgkmcnt(0)
	v_mul_f32_e32 v33, s28, v33
.LBB33_68:
	v_add_f32_e32 v30, v30, v31
	v_add_f32_e32 v33, v30, v33
	v_lshl_add_u64 v[30:31], v[64:65], 2, v[38:39]
	s_and_b64 vcc, exec, s[4:5]
	flat_store_dword v[30:31], v33
	s_cbranch_vccnz .LBB33_70
; %bb.69:
	v_lshl_add_u64 v[30:31], v[62:63], 2, v[36:37]
	flat_load_dword v30, v[30:31]
	s_waitcnt vmcnt(0) lgkmcnt(0)
	v_mul_f32_e32 v32, s28, v30
.LBB33_70:
	v_add_f32_e32 v28, v28, v29
	v_add_f32_e32 v30, v28, v32
	v_lshl_add_u64 v[28:29], v[62:63], 2, v[38:39]
	flat_store_dword v[28:29], v30
	v_mov_b32_e32 v28, 0
	s_and_b64 vcc, exec, s[4:5]
	v_mov_b32_e32 v29, 0
	s_cbranch_vccnz .LBB33_72
; %bb.71:
	v_lshl_add_u64 v[30:31], v[60:61], 2, v[36:37]
	flat_load_dword v29, v[30:31]
	s_waitcnt vmcnt(0) lgkmcnt(0)
	v_mul_f32_e32 v29, s28, v29
.LBB33_72:
	v_add_f32_e32 v26, v26, v27
	v_add_f32_e32 v29, v26, v29
	v_lshl_add_u64 v[26:27], v[60:61], 2, v[38:39]
	s_and_b64 vcc, exec, s[4:5]
	flat_store_dword v[26:27], v29
	s_cbranch_vccnz .LBB33_74
; %bb.73:
	v_lshl_add_u64 v[26:27], v[58:59], 2, v[36:37]
	flat_load_dword v26, v[26:27]
	s_waitcnt vmcnt(0) lgkmcnt(0)
	v_mul_f32_e32 v28, s28, v26
.LBB33_74:
	v_add_f32_e32 v24, v24, v25
	v_add_f32_e32 v26, v24, v28
	v_lshl_add_u64 v[24:25], v[58:59], 2, v[38:39]
	flat_store_dword v[24:25], v26
	v_mov_b32_e32 v24, 0
	s_and_b64 vcc, exec, s[4:5]
	v_mov_b32_e32 v25, 0
	s_cbranch_vccnz .LBB33_76
; %bb.75:
	v_lshl_add_u64 v[26:27], v[56:57], 2, v[36:37]
	flat_load_dword v25, v[26:27]
	s_waitcnt vmcnt(0) lgkmcnt(0)
	v_mul_f32_e32 v25, s28, v25
.LBB33_76:
	v_add_f32_e32 v22, v22, v23
	v_add_f32_e32 v25, v22, v25
	v_lshl_add_u64 v[22:23], v[56:57], 2, v[38:39]
	s_and_b64 vcc, exec, s[4:5]
	flat_store_dword v[22:23], v25
	s_cbranch_vccnz .LBB33_78
; %bb.77:
	v_lshl_add_u64 v[22:23], v[54:55], 2, v[36:37]
	flat_load_dword v22, v[22:23]
	s_waitcnt vmcnt(0) lgkmcnt(0)
	v_mul_f32_e32 v24, s28, v22
.LBB33_78:
	v_add_f32_e32 v20, v20, v21
	v_add_f32_e32 v22, v20, v24
	v_lshl_add_u64 v[20:21], v[54:55], 2, v[38:39]
	flat_store_dword v[20:21], v22
	v_add_u32_e32 v22, 0x60, v72
	v_mad_i64_i32 v[20:21], s[2:3], v22, s12, 0
	v_lshl_add_u64 v[20:21], v[20:21], 2, s[10:11]
	v_mov_b32_e32 v24, 0
	s_and_b64 vcc, exec, s[4:5]
	v_mov_b32_e32 v25, 0
	s_cbranch_vccnz .LBB33_80
; %bb.79:
	v_lshl_add_u64 v[26:27], v[0:1], 2, v[20:21]
	flat_load_dword v23, v[26:27]
	s_waitcnt vmcnt(0) lgkmcnt(0)
	v_mul_f32_e32 v25, s28, v23
.LBB33_80:
	v_mad_i64_i32 v[22:23], s[2:3], v22, s6, 0
	v_lshl_add_u64 v[22:23], v[22:23], 2, s[0:1]
	v_add_f32_e32 v18, v18, v19
	v_add_f32_e32 v18, v18, v25
	v_lshl_add_u64 v[0:1], v[0:1], 2, v[22:23]
	s_and_b64 vcc, exec, s[4:5]
	flat_store_dword v[0:1], v18
	s_cbranch_vccnz .LBB33_82
; %bb.81:
	v_lshl_add_u64 v[0:1], v[2:3], 2, v[20:21]
	flat_load_dword v0, v[0:1]
	s_waitcnt vmcnt(0) lgkmcnt(0)
	v_mul_f32_e32 v24, s28, v0
.LBB33_82:
	v_add_f32_e32 v0, v16, v17
	v_add_f32_e32 v16, v0, v24
	v_lshl_add_u64 v[0:1], v[2:3], 2, v[22:23]
	flat_store_dword v[0:1], v16
	v_mov_b32_e32 v0, 0
	s_and_b64 vcc, exec, s[4:5]
	v_mov_b32_e32 v1, 0
	s_cbranch_vccnz .LBB33_84
; %bb.83:
	v_lshl_add_u64 v[2:3], v[64:65], 2, v[20:21]
	flat_load_dword v1, v[2:3]
	s_waitcnt vmcnt(0) lgkmcnt(0)
	v_mul_f32_e32 v1, s28, v1
.LBB33_84:
	v_add_f32_e32 v2, v14, v15
	v_add_f32_e32 v1, v2, v1
	v_lshl_add_u64 v[2:3], v[64:65], 2, v[22:23]
	s_and_b64 vcc, exec, s[4:5]
	flat_store_dword v[2:3], v1
	s_cbranch_vccnz .LBB33_86
; %bb.85:
	v_lshl_add_u64 v[0:1], v[62:63], 2, v[20:21]
	flat_load_dword v0, v[0:1]
	s_waitcnt vmcnt(0) lgkmcnt(0)
	v_mul_f32_e32 v0, s28, v0
.LBB33_86:
	v_add_f32_e32 v1, v12, v13
	v_add_f32_e32 v2, v1, v0
	v_lshl_add_u64 v[0:1], v[62:63], 2, v[22:23]
	flat_store_dword v[0:1], v2
	v_mov_b32_e32 v0, 0
	s_and_b64 vcc, exec, s[4:5]
	v_mov_b32_e32 v1, 0
	s_cbranch_vccnz .LBB33_88
; %bb.87:
	v_lshl_add_u64 v[2:3], v[60:61], 2, v[20:21]
	flat_load_dword v1, v[2:3]
	s_waitcnt vmcnt(0) lgkmcnt(0)
	v_mul_f32_e32 v1, s28, v1
.LBB33_88:
	v_add_f32_e32 v2, v10, v11
	v_add_f32_e32 v1, v2, v1
	v_lshl_add_u64 v[2:3], v[60:61], 2, v[22:23]
	s_and_b64 vcc, exec, s[4:5]
	flat_store_dword v[2:3], v1
	s_cbranch_vccnz .LBB33_90
; %bb.89:
	v_lshl_add_u64 v[0:1], v[58:59], 2, v[20:21]
	flat_load_dword v0, v[0:1]
	s_waitcnt vmcnt(0) lgkmcnt(0)
	v_mul_f32_e32 v0, s28, v0
.LBB33_90:
	v_add_f32_e32 v1, v8, v9
	v_add_f32_e32 v2, v1, v0
	v_lshl_add_u64 v[0:1], v[58:59], 2, v[22:23]
	flat_store_dword v[0:1], v2
	v_add_f32_e32 v0, v6, v7
	s_mov_b64 s[0:1], -1
	s_mov_b64 vcc, s[8:9]
	s_cbranch_vccz .LBB33_92
; %bb.91:
	v_add_f32_e32 v1, 0, v0
	v_lshl_add_u64 v[2:3], v[56:57], 2, v[22:23]
	flat_store_dword v[2:3], v1
	s_mov_b64 s[0:1], 0
.LBB33_92:
	s_andn2_b64 vcc, exec, s[0:1]
	v_mov_b32_e32 v1, 0
	s_cbranch_vccnz .LBB33_94
; %bb.93:
	v_lshlrev_b64 v[2:3], 2, v[56:57]
	v_lshl_add_u64 v[6:7], v[20:21], 0, v[2:3]
	flat_load_dword v1, v[6:7]
	v_lshl_add_u64 v[2:3], v[22:23], 0, v[2:3]
	s_waitcnt vmcnt(0) lgkmcnt(0)
	v_fmac_f32_e32 v0, s28, v1
	flat_store_dword v[2:3], v0
	v_lshl_add_u64 v[0:1], v[54:55], 2, v[20:21]
	flat_load_dword v0, v[0:1]
	s_waitcnt vmcnt(0) lgkmcnt(0)
	v_mul_f32_e32 v1, s28, v0
.LBB33_94:
	v_add_f32_e32 v0, v4, v5
	v_add_f32_e32 v2, v0, v1
	v_lshl_add_u64 v[0:1], v[54:55], 2, v[22:23]
	flat_store_dword v[0:1], v2
	s_endpgm
	.section	.rodata,"a",@progbits
	.p2align	6, 0x0
	.amdhsa_kernel _ZN12_GLOBAL__N_120geam_min_plus_kernelIf15HIP_vector_typeIfLj2EES2_Li8ELi32ELi64ELi128ELi4ELi4ELi64ELi4ELi64ELc84ELc78ELb0ELb0ELb0EPKfKS4_KPfEEviiiT16_PT17_ilSA_ilS8_SA_ilPT18_ili26rocblas_geam_ex_operation_
		.amdhsa_group_segment_fixed_size 6144
		.amdhsa_private_segment_fixed_size 0
		.amdhsa_kernarg_size 136
		.amdhsa_user_sgpr_count 2
		.amdhsa_user_sgpr_dispatch_ptr 0
		.amdhsa_user_sgpr_queue_ptr 0
		.amdhsa_user_sgpr_kernarg_segment_ptr 1
		.amdhsa_user_sgpr_dispatch_id 0
		.amdhsa_user_sgpr_kernarg_preload_length 0
		.amdhsa_user_sgpr_kernarg_preload_offset 0
		.amdhsa_user_sgpr_private_segment_size 0
		.amdhsa_uses_dynamic_stack 0
		.amdhsa_enable_private_segment 0
		.amdhsa_system_sgpr_workgroup_id_x 1
		.amdhsa_system_sgpr_workgroup_id_y 0
		.amdhsa_system_sgpr_workgroup_id_z 1
		.amdhsa_system_sgpr_workgroup_info 0
		.amdhsa_system_vgpr_workitem_id 1
		.amdhsa_next_free_vgpr 112
		.amdhsa_next_free_sgpr 29
		.amdhsa_accum_offset 112
		.amdhsa_reserve_vcc 1
		.amdhsa_float_round_mode_32 0
		.amdhsa_float_round_mode_16_64 0
		.amdhsa_float_denorm_mode_32 3
		.amdhsa_float_denorm_mode_16_64 3
		.amdhsa_dx10_clamp 1
		.amdhsa_ieee_mode 1
		.amdhsa_fp16_overflow 0
		.amdhsa_tg_split 0
		.amdhsa_exception_fp_ieee_invalid_op 0
		.amdhsa_exception_fp_denorm_src 0
		.amdhsa_exception_fp_ieee_div_zero 0
		.amdhsa_exception_fp_ieee_overflow 0
		.amdhsa_exception_fp_ieee_underflow 0
		.amdhsa_exception_fp_ieee_inexact 0
		.amdhsa_exception_int_div_zero 0
	.end_amdhsa_kernel
	.section	.text._ZN12_GLOBAL__N_120geam_min_plus_kernelIf15HIP_vector_typeIfLj2EES2_Li8ELi32ELi64ELi128ELi4ELi4ELi64ELi4ELi64ELc84ELc78ELb0ELb0ELb0EPKfKS4_KPfEEviiiT16_PT17_ilSA_ilS8_SA_ilPT18_ili26rocblas_geam_ex_operation_,"axG",@progbits,_ZN12_GLOBAL__N_120geam_min_plus_kernelIf15HIP_vector_typeIfLj2EES2_Li8ELi32ELi64ELi128ELi4ELi4ELi64ELi4ELi64ELc84ELc78ELb0ELb0ELb0EPKfKS4_KPfEEviiiT16_PT17_ilSA_ilS8_SA_ilPT18_ili26rocblas_geam_ex_operation_,comdat
.Lfunc_end33:
	.size	_ZN12_GLOBAL__N_120geam_min_plus_kernelIf15HIP_vector_typeIfLj2EES2_Li8ELi32ELi64ELi128ELi4ELi4ELi64ELi4ELi64ELc84ELc78ELb0ELb0ELb0EPKfKS4_KPfEEviiiT16_PT17_ilSA_ilS8_SA_ilPT18_ili26rocblas_geam_ex_operation_, .Lfunc_end33-_ZN12_GLOBAL__N_120geam_min_plus_kernelIf15HIP_vector_typeIfLj2EES2_Li8ELi32ELi64ELi128ELi4ELi4ELi64ELi4ELi64ELc84ELc78ELb0ELb0ELb0EPKfKS4_KPfEEviiiT16_PT17_ilSA_ilS8_SA_ilPT18_ili26rocblas_geam_ex_operation_
                                        ; -- End function
	.set _ZN12_GLOBAL__N_120geam_min_plus_kernelIf15HIP_vector_typeIfLj2EES2_Li8ELi32ELi64ELi128ELi4ELi4ELi64ELi4ELi64ELc84ELc78ELb0ELb0ELb0EPKfKS4_KPfEEviiiT16_PT17_ilSA_ilS8_SA_ilPT18_ili26rocblas_geam_ex_operation_.num_vgpr, 112
	.set _ZN12_GLOBAL__N_120geam_min_plus_kernelIf15HIP_vector_typeIfLj2EES2_Li8ELi32ELi64ELi128ELi4ELi4ELi64ELi4ELi64ELc84ELc78ELb0ELb0ELb0EPKfKS4_KPfEEviiiT16_PT17_ilSA_ilS8_SA_ilPT18_ili26rocblas_geam_ex_operation_.num_agpr, 0
	.set _ZN12_GLOBAL__N_120geam_min_plus_kernelIf15HIP_vector_typeIfLj2EES2_Li8ELi32ELi64ELi128ELi4ELi4ELi64ELi4ELi64ELc84ELc78ELb0ELb0ELb0EPKfKS4_KPfEEviiiT16_PT17_ilSA_ilS8_SA_ilPT18_ili26rocblas_geam_ex_operation_.numbered_sgpr, 29
	.set _ZN12_GLOBAL__N_120geam_min_plus_kernelIf15HIP_vector_typeIfLj2EES2_Li8ELi32ELi64ELi128ELi4ELi4ELi64ELi4ELi64ELc84ELc78ELb0ELb0ELb0EPKfKS4_KPfEEviiiT16_PT17_ilSA_ilS8_SA_ilPT18_ili26rocblas_geam_ex_operation_.num_named_barrier, 0
	.set _ZN12_GLOBAL__N_120geam_min_plus_kernelIf15HIP_vector_typeIfLj2EES2_Li8ELi32ELi64ELi128ELi4ELi4ELi64ELi4ELi64ELc84ELc78ELb0ELb0ELb0EPKfKS4_KPfEEviiiT16_PT17_ilSA_ilS8_SA_ilPT18_ili26rocblas_geam_ex_operation_.private_seg_size, 0
	.set _ZN12_GLOBAL__N_120geam_min_plus_kernelIf15HIP_vector_typeIfLj2EES2_Li8ELi32ELi64ELi128ELi4ELi4ELi64ELi4ELi64ELc84ELc78ELb0ELb0ELb0EPKfKS4_KPfEEviiiT16_PT17_ilSA_ilS8_SA_ilPT18_ili26rocblas_geam_ex_operation_.uses_vcc, 1
	.set _ZN12_GLOBAL__N_120geam_min_plus_kernelIf15HIP_vector_typeIfLj2EES2_Li8ELi32ELi64ELi128ELi4ELi4ELi64ELi4ELi64ELc84ELc78ELb0ELb0ELb0EPKfKS4_KPfEEviiiT16_PT17_ilSA_ilS8_SA_ilPT18_ili26rocblas_geam_ex_operation_.uses_flat_scratch, 0
	.set _ZN12_GLOBAL__N_120geam_min_plus_kernelIf15HIP_vector_typeIfLj2EES2_Li8ELi32ELi64ELi128ELi4ELi4ELi64ELi4ELi64ELc84ELc78ELb0ELb0ELb0EPKfKS4_KPfEEviiiT16_PT17_ilSA_ilS8_SA_ilPT18_ili26rocblas_geam_ex_operation_.has_dyn_sized_stack, 0
	.set _ZN12_GLOBAL__N_120geam_min_plus_kernelIf15HIP_vector_typeIfLj2EES2_Li8ELi32ELi64ELi128ELi4ELi4ELi64ELi4ELi64ELc84ELc78ELb0ELb0ELb0EPKfKS4_KPfEEviiiT16_PT17_ilSA_ilS8_SA_ilPT18_ili26rocblas_geam_ex_operation_.has_recursion, 0
	.set _ZN12_GLOBAL__N_120geam_min_plus_kernelIf15HIP_vector_typeIfLj2EES2_Li8ELi32ELi64ELi128ELi4ELi4ELi64ELi4ELi64ELc84ELc78ELb0ELb0ELb0EPKfKS4_KPfEEviiiT16_PT17_ilSA_ilS8_SA_ilPT18_ili26rocblas_geam_ex_operation_.has_indirect_call, 0
	.section	.AMDGPU.csdata,"",@progbits
; Kernel info:
; codeLenInByte = 6652
; TotalNumSgprs: 35
; NumVgprs: 112
; NumAgprs: 0
; TotalNumVgprs: 112
; ScratchSize: 0
; MemoryBound: 0
; FloatMode: 240
; IeeeMode: 1
; LDSByteSize: 6144 bytes/workgroup (compile time only)
; SGPRBlocks: 4
; VGPRBlocks: 13
; NumSGPRsForWavesPerEU: 35
; NumVGPRsForWavesPerEU: 112
; AccumOffset: 112
; Occupancy: 4
; WaveLimiterHint : 1
; COMPUTE_PGM_RSRC2:SCRATCH_EN: 0
; COMPUTE_PGM_RSRC2:USER_SGPR: 2
; COMPUTE_PGM_RSRC2:TRAP_HANDLER: 0
; COMPUTE_PGM_RSRC2:TGID_X_EN: 1
; COMPUTE_PGM_RSRC2:TGID_Y_EN: 0
; COMPUTE_PGM_RSRC2:TGID_Z_EN: 1
; COMPUTE_PGM_RSRC2:TIDIG_COMP_CNT: 1
; COMPUTE_PGM_RSRC3_GFX90A:ACCUM_OFFSET: 27
; COMPUTE_PGM_RSRC3_GFX90A:TG_SPLIT: 0
	.section	.text._ZN12_GLOBAL__N_120geam_min_plus_kernelIf15HIP_vector_typeIfLj2EES2_Li8ELi32ELi64ELi128ELi4ELi4ELi64ELi4ELi64ELc84ELc78ELb1ELb0ELb0EfKPKfKPfEEviiiT16_PT17_ilSA_ilS8_SA_ilPT18_ili26rocblas_geam_ex_operation_,"axG",@progbits,_ZN12_GLOBAL__N_120geam_min_plus_kernelIf15HIP_vector_typeIfLj2EES2_Li8ELi32ELi64ELi128ELi4ELi4ELi64ELi4ELi64ELc84ELc78ELb1ELb0ELb0EfKPKfKPfEEviiiT16_PT17_ilSA_ilS8_SA_ilPT18_ili26rocblas_geam_ex_operation_,comdat
	.globl	_ZN12_GLOBAL__N_120geam_min_plus_kernelIf15HIP_vector_typeIfLj2EES2_Li8ELi32ELi64ELi128ELi4ELi4ELi64ELi4ELi64ELc84ELc78ELb1ELb0ELb0EfKPKfKPfEEviiiT16_PT17_ilSA_ilS8_SA_ilPT18_ili26rocblas_geam_ex_operation_ ; -- Begin function _ZN12_GLOBAL__N_120geam_min_plus_kernelIf15HIP_vector_typeIfLj2EES2_Li8ELi32ELi64ELi128ELi4ELi4ELi64ELi4ELi64ELc84ELc78ELb1ELb0ELb0EfKPKfKPfEEviiiT16_PT17_ilSA_ilS8_SA_ilPT18_ili26rocblas_geam_ex_operation_
	.p2align	8
	.type	_ZN12_GLOBAL__N_120geam_min_plus_kernelIf15HIP_vector_typeIfLj2EES2_Li8ELi32ELi64ELi128ELi4ELi4ELi64ELi4ELi64ELc84ELc78ELb1ELb0ELb0EfKPKfKPfEEviiiT16_PT17_ilSA_ilS8_SA_ilPT18_ili26rocblas_geam_ex_operation_,@function
_ZN12_GLOBAL__N_120geam_min_plus_kernelIf15HIP_vector_typeIfLj2EES2_Li8ELi32ELi64ELi128ELi4ELi4ELi64ELi4ELi64ELc84ELc78ELb1ELb0ELb0EfKPKfKPfEEviiiT16_PT17_ilSA_ilS8_SA_ilPT18_ili26rocblas_geam_ex_operation_: ; @_ZN12_GLOBAL__N_120geam_min_plus_kernelIf15HIP_vector_typeIfLj2EES2_Li8ELi32ELi64ELi128ELi4ELi4ELi64ELi4ELi64ELc84ELc78ELb1ELb0ELb0EfKPKfKPfEEviiiT16_PT17_ilSA_ilS8_SA_ilPT18_ili26rocblas_geam_ex_operation_
; %bb.0:
	s_load_dwordx2 s[14:15], s[0:1], 0x8
	s_load_dwordx4 s[4:7], s[0:1], 0x20
	s_mov_b32 s8, s3
	s_mov_b32 s9, 0
	s_waitcnt lgkmcnt(0)
	v_cmp_eq_f32_e64 s[10:11], s15, 0
	s_and_b64 vcc, exec, s[10:11]
	s_cbranch_vccnz .LBB34_3
; %bb.1:
	s_load_dwordx2 s[12:13], s[0:1], 0x10
	s_lshl_b64 s[16:17], s[8:9], 3
	s_waitcnt lgkmcnt(0)
	s_add_u32 s12, s12, s16
	s_addc_u32 s13, s13, s17
	s_load_dwordx2 s[12:13], s[12:13], 0x0
	s_lshl_b64 s[4:5], s[4:5], 2
	s_waitcnt lgkmcnt(0)
	s_add_u32 s16, s12, s4
	s_addc_u32 s17, s13, s5
	s_andn2_b64 vcc, exec, s[10:11]
	s_cbranch_vccnz .LBB34_4
.LBB34_2:
	s_mov_b32 s19, 0
	s_mov_b32 s18, s8
	s_mov_b64 s[12:13], 0
	s_mov_b64 s[4:5], 0
	s_cbranch_execz .LBB34_5
	s_branch .LBB34_6
.LBB34_3:
	s_mov_b64 s[16:17], 0
	s_andn2_b64 vcc, exec, s[10:11]
	s_cbranch_vccz .LBB34_2
.LBB34_4:
	s_mov_b64 s[18:19], s[8:9]
	s_mov_b64 s[12:13], 0
	;; [unrolled: 1-line block ×3, first 2 shown]
.LBB34_5:
	s_lshl_b64 s[8:9], s[8:9], 3
	s_add_u32 s6, s6, s8
	s_load_dwordx2 s[4:5], s[0:1], 0x38
	s_addc_u32 s7, s7, s9
	s_load_dwordx2 s[6:7], s[6:7], 0x0
	s_waitcnt lgkmcnt(0)
	s_lshl_b64 s[4:5], s[4:5], 2
	s_add_u32 s4, s6, s4
	s_addc_u32 s5, s7, s5
.LBB34_6:
	s_load_dword s15, s[0:1], 0x40
	s_load_dwordx4 s[8:11], s[0:1], 0x58
	s_mov_b32 s20, 0
	s_waitcnt lgkmcnt(0)
	v_cmp_eq_f32_e64 s[6:7], s15, 0
	s_and_b64 s[6:7], exec, s[6:7]
	s_mov_b64 vcc, s[6:7]
	s_cbranch_vccnz .LBB34_8
; %bb.7:
	s_load_dwordx2 s[12:13], s[0:1], 0x48
	s_lshl_b64 s[22:23], s[18:19], 3
	s_waitcnt lgkmcnt(0)
	s_add_u32 s12, s12, s22
	s_addc_u32 s13, s13, s23
	s_load_dwordx2 s[12:13], s[12:13], 0x0
	s_lshl_b64 s[8:9], s[8:9], 2
	s_waitcnt lgkmcnt(0)
	s_add_u32 s12, s12, s8
	s_addc_u32 s13, s13, s9
.LBB34_8:
	s_load_dword s3, s[0:1], 0x0
	s_load_dword s21, s[0:1], 0x18
	;; [unrolled: 1-line block ×3, first 2 shown]
	s_lshl_b64 s[8:9], s[18:19], 3
	s_add_u32 s8, s10, s8
	s_addc_u32 s9, s11, s9
	s_waitcnt lgkmcnt(0)
	s_add_i32 s3, s3, -1
	s_ashr_i32 s10, s3, 31
	s_lshr_b32 s10, s10, 26
	s_add_i32 s3, s3, s10
	s_ashr_i32 s3, s3, 6
	s_add_i32 s10, s3, 1
	v_cvt_f32_u32_e32 v1, s10
	v_and_b32_e32 v82, 0x3ff, v0
	v_bfe_u32 v83, v0, 10, 10
	v_and_b32_e32 v84, 3, v0
	v_rcp_iflag_f32_e32 v1, v1
	s_not_b32 s3, s3
	v_lshlrev_b32_e32 v62, 2, v84
	v_mov_b32_e32 v63, 0
	v_mul_f32_e32 v0, 0x4f7ffffe, v1
	v_cvt_u32_f32_e32 v0, v0
	v_lshl_add_u32 v1, v83, 3, v82
	v_lshrrev_b32_e32 v6, 2, v1
	v_lshl_add_u64 v[2:3], s[4:5], 0, v[62:63]
	v_readfirstlane_b32 s11, v0
	s_mul_i32 s3, s3, s11
	s_mul_hi_u32 s3, s11, s3
	s_add_i32 s11, s11, s3
	s_mul_hi_u32 s3, s2, s11
	s_mul_i32 s11, s3, s10
	s_sub_i32 s11, s2, s11
	s_add_i32 s18, s3, 1
	s_sub_i32 s19, s11, s10
	s_cmp_ge_u32 s11, s10
	s_cselect_b32 s3, s18, s3
	s_cselect_b32 s11, s19, s11
	s_add_i32 s18, s3, 1
	s_cmp_ge_u32 s11, s10
	s_cselect_b32 s3, s18, s3
	s_mul_i32 s10, s3, s10
	s_lshl_b32 s19, s3, 7
	s_sub_i32 s2, s2, s10
	v_add_u32_e32 v7, s19, v6
	s_lshl_b32 s18, s2, 6
	v_mad_i64_i32 v[68:69], s[2:3], v7, s22, 0
	v_add_u32_e32 v7, 64, v7
	v_add_u32_e32 v0, s18, v6
	v_lshl_add_u64 v[4:5], v[68:69], 2, v[2:3]
	v_mad_i64_i32 v[70:71], s[2:3], v7, s22, 0
	v_mad_i64_i32 v[0:1], s[2:3], v0, s21, 0
	v_lshl_add_u64 v[2:3], v[70:71], 2, v[2:3]
	flat_load_dword v7, v[4:5]
	flat_load_dword v8, v[2:3]
	v_lshl_add_u64 v[72:73], v[0:1], 2, s[16:17]
	v_lshl_add_u64 v[0:1], v[72:73], 0, v[62:63]
	flat_load_dword v9, v[0:1]
	flat_load_dword v74, v[2:3] offset:16
	flat_load_dword v75, v[4:5] offset:16
	flat_load_dword v76, v[0:1] offset:16
	s_load_dwordx2 s[8:9], s[8:9], 0x0
	v_mov_b32_e32 v0, 0x1000
	v_lshl_or_b32 v86, v6, 4, v62
	v_cmp_neq_f32_e64 s[2:3], s15, 0
	s_mov_b64 s[10:11], -1
	v_lshl_add_u32 v85, v82, 4, v0
	v_mov_b32_e32 v66, v63
	v_mov_b32_e32 v67, v63
	;; [unrolled: 1-line block ×56, first 2 shown]
	s_waitcnt vmcnt(0) lgkmcnt(0)
	ds_write2st64_b32 v86, v7, v8 offset1:4
	ds_write_b32 v86, v9 offset:4096
	v_mov_b32_e32 v11, v63
	v_mov_b32_e32 v8, v63
	;; [unrolled: 1-line block ×7, first 2 shown]
	v_add_u32_e32 v87, 0x1000, v86
	v_lshlrev_b32_e32 v88, 4, v83
	s_waitcnt lgkmcnt(0)
	s_barrier
.LBB34_9:                               ; =>This Inner Loop Header: Depth=1
	v_cndmask_b32_e64 v0, 0, 1, s[10:11]
	s_lshl_b32 s10, s20, 2
	v_cmp_ne_u32_e32 vcc, 1, v0
	v_add_u32_e32 v0, s10, v85
	ds_read2_b64 v[78:81], v0 offset1:16
	ds_read2_b64 v[90:93], v0 offset0:32 offset1:48
	ds_read2_b64 v[94:97], v0 offset0:64 offset1:80
	;; [unrolled: 1-line block ×3, first 2 shown]
	v_add_u32_e32 v0, s10, v88
	ds_read2st64_b64 v[102:105], v0 offset1:1
	ds_read2st64_b64 v[0:3], v0 offset0:2 offset1:3
	s_waitcnt lgkmcnt(5)
	v_max_f32_e32 v89, v78, v78
	v_max_f32_e32 v80, v80, v80
	;; [unrolled: 1-line block ×3, first 2 shown]
	s_waitcnt lgkmcnt(1)
	v_max_f32_e32 v77, v102, v102
	v_max_f32_e32 v102, v103, v103
	;; [unrolled: 1-line block ×3, first 2 shown]
	v_min_f32_e32 v78, v89, v77
	v_min_f32_e32 v79, v103, v102
	v_pk_add_f32 v[62:63], v[78:79], v[62:63]
	v_min_f32_e32 v78, v80, v77
	v_min_f32_e32 v79, v81, v102
	v_max_f32_e32 v90, v90, v90
	v_max_f32_e32 v91, v91, v91
	v_pk_add_f32 v[66:67], v[78:79], v[66:67]
	v_min_f32_e32 v78, v90, v77
	v_min_f32_e32 v79, v91, v102
	v_max_f32_e32 v92, v92, v92
	v_max_f32_e32 v93, v93, v93
	;; [unrolled: 5-line block ×5, first 2 shown]
	v_pk_add_f32 v[56:57], v[78:79], v[56:57]
	v_min_f32_e32 v78, v98, v77
	v_min_f32_e32 v79, v99, v102
	v_max_f32_e32 v100, v100, v100
	v_pk_add_f32 v[54:55], v[78:79], v[54:55]
	v_min_f32_e32 v78, v100, v77
	v_max_f32_e32 v77, v101, v101
	v_min_f32_e32 v79, v77, v102
	v_max_f32_e32 v101, v104, v104
	v_max_f32_e32 v102, v105, v105
	v_pk_add_f32 v[52:53], v[78:79], v[52:53]
	v_min_f32_e32 v78, v89, v101
	v_min_f32_e32 v79, v103, v102
	v_pk_add_f32 v[50:51], v[78:79], v[50:51]
	v_min_f32_e32 v78, v80, v101
	v_min_f32_e32 v79, v81, v102
	;; [unrolled: 3-line block ×8, first 2 shown]
	v_pk_add_f32 v[36:37], v[78:79], v[36:37]
	s_waitcnt lgkmcnt(0)
	v_max_f32_e32 v78, v0, v0
	v_max_f32_e32 v79, v1, v1
	v_min_f32_e32 v0, v89, v78
	v_min_f32_e32 v1, v103, v79
	v_pk_add_f32 v[34:35], v[0:1], v[34:35]
	v_min_f32_e32 v0, v80, v78
	v_min_f32_e32 v1, v81, v79
	v_pk_add_f32 v[32:33], v[0:1], v[32:33]
	;; [unrolled: 3-line block ×7, first 2 shown]
	v_min_f32_e32 v0, v100, v78
	v_min_f32_e32 v1, v77, v79
	v_max_f32_e32 v2, v2, v2
	v_max_f32_e32 v3, v3, v3
	v_pk_add_f32 v[20:21], v[0:1], v[20:21]
	v_min_f32_e32 v0, v89, v2
	v_min_f32_e32 v1, v103, v3
	v_pk_add_f32 v[18:19], v[0:1], v[18:19]
	v_min_f32_e32 v0, v80, v2
	v_min_f32_e32 v1, v81, v3
	;; [unrolled: 3-line block ×8, first 2 shown]
	v_pk_add_f32 v[4:5], v[0:1], v[4:5]
	s_mov_b64 s[10:11], 0
	s_mov_b32 s20, 2
	s_cbranch_vccz .LBB34_9
; %bb.10:
	s_cmp_lt_i32 s14, 9
	ds_write_b32 v86, v76 offset:5120
	ds_write2st64_b32 v86, v75, v74 offset0:8 offset1:12
	s_waitcnt lgkmcnt(0)
	s_barrier
	s_cbranch_scc1 .LBB34_17
; %bb.11:
	v_mov_b32_e32 v0, 0x1400
	v_lshl_add_u32 v91, v82, 4, v0
	v_mov_b32_e32 v0, 0x800
	v_add_u32_e32 v89, 0x1400, v86
	v_add_u32_e32 v90, 0x800, v86
	s_add_i32 s14, s14, -8
	v_lshl_add_u32 v92, v83, 4, v0
	s_mov_b32 s16, 8
	s_mov_b32 s17, 0
	v_mov_b32_e32 v75, 0
.LBB34_12:                              ; =>This Loop Header: Depth=1
                                        ;     Child Loop BB34_13 Depth 2
                                        ;     Child Loop BB34_15 Depth 2
	v_or_b32_e32 v74, s16, v84
	v_lshlrev_b64 v[0:1], 2, v[74:75]
	v_lshl_add_u64 v[76:77], v[72:73], 0, v[0:1]
	v_lshl_add_u64 v[0:1], s[4:5], 0, v[0:1]
	;; [unrolled: 1-line block ×3, first 2 shown]
	flat_load_dword v74, v[76:77]
	v_lshl_add_u64 v[80:81], v[70:71], 2, v[0:1]
	flat_load_dword v93, v[78:79]
	flat_load_dword v94, v[80:81]
	s_mov_b64 s[10:11], -1
	s_mov_b32 s20, 0
.LBB34_13:                              ;   Parent Loop BB34_12 Depth=1
                                        ; =>  This Inner Loop Header: Depth=2
	v_cndmask_b32_e64 v0, 0, 1, s[10:11]
	s_lshl_b32 s10, s20, 2
	v_cmp_ne_u32_e32 vcc, 1, v0
	v_add_u32_e32 v0, s10, v91
	ds_read2_b64 v[96:99], v0 offset1:16
	ds_read2_b64 v[100:103], v0 offset0:32 offset1:48
	ds_read2_b64 v[104:107], v0 offset0:64 offset1:80
	;; [unrolled: 1-line block ×3, first 2 shown]
	v_add_u32_e32 v0, s10, v92
	ds_read2st64_b64 v[112:115], v0 offset1:1
	ds_read2st64_b64 v[0:3], v0 offset0:2 offset1:3
	s_waitcnt lgkmcnt(0)
	v_max_f32_e32 v116, v97, v97
	v_max_f32_e32 v98, v98, v98
	;; [unrolled: 1-line block ×6, first 2 shown]
	v_min_f32_e32 v96, v112, v95
	v_min_f32_e32 v97, v116, v113
	v_pk_add_f32 v[62:63], v[96:97], v[62:63]
	v_min_f32_e32 v96, v98, v95
	v_min_f32_e32 v97, v99, v113
	v_max_f32_e32 v100, v100, v100
	v_max_f32_e32 v101, v101, v101
	v_pk_add_f32 v[66:67], v[96:97], v[66:67]
	v_min_f32_e32 v96, v100, v95
	v_min_f32_e32 v97, v101, v113
	v_max_f32_e32 v102, v102, v102
	v_max_f32_e32 v103, v103, v103
	;; [unrolled: 5-line block ×5, first 2 shown]
	v_pk_add_f32 v[56:57], v[96:97], v[56:57]
	v_min_f32_e32 v96, v108, v95
	v_min_f32_e32 v97, v109, v113
	v_max_f32_e32 v110, v110, v110
	v_pk_add_f32 v[54:55], v[96:97], v[54:55]
	v_min_f32_e32 v96, v110, v95
	v_max_f32_e32 v95, v111, v111
	v_min_f32_e32 v97, v95, v113
	v_max_f32_e32 v111, v114, v114
	v_max_f32_e32 v113, v115, v115
	v_pk_add_f32 v[52:53], v[96:97], v[52:53]
	v_min_f32_e32 v96, v112, v111
	v_min_f32_e32 v97, v116, v113
	v_pk_add_f32 v[50:51], v[96:97], v[50:51]
	v_min_f32_e32 v96, v98, v111
	v_min_f32_e32 v97, v99, v113
	;; [unrolled: 3-line block ×8, first 2 shown]
	v_pk_add_f32 v[36:37], v[96:97], v[36:37]
	v_max_f32_e32 v96, v0, v0
	v_max_f32_e32 v97, v1, v1
	v_min_f32_e32 v0, v112, v96
	v_min_f32_e32 v1, v116, v97
	v_pk_add_f32 v[34:35], v[0:1], v[34:35]
	v_min_f32_e32 v0, v98, v96
	v_min_f32_e32 v1, v99, v97
	v_pk_add_f32 v[32:33], v[0:1], v[32:33]
	v_min_f32_e32 v0, v100, v96
	v_min_f32_e32 v1, v101, v97
	v_pk_add_f32 v[30:31], v[0:1], v[30:31]
	v_min_f32_e32 v0, v102, v96
	v_min_f32_e32 v1, v103, v97
	v_pk_add_f32 v[28:29], v[0:1], v[28:29]
	v_min_f32_e32 v0, v104, v96
	v_min_f32_e32 v1, v105, v97
	v_pk_add_f32 v[26:27], v[0:1], v[26:27]
	v_min_f32_e32 v0, v106, v96
	v_min_f32_e32 v1, v107, v97
	v_pk_add_f32 v[24:25], v[0:1], v[24:25]
	v_min_f32_e32 v0, v108, v96
	v_min_f32_e32 v1, v109, v97
	v_pk_add_f32 v[22:23], v[0:1], v[22:23]
	v_min_f32_e32 v0, v110, v96
	v_min_f32_e32 v1, v95, v97
	v_max_f32_e32 v2, v2, v2
	v_max_f32_e32 v3, v3, v3
	v_pk_add_f32 v[20:21], v[0:1], v[20:21]
	v_min_f32_e32 v0, v112, v2
	v_min_f32_e32 v1, v116, v3
	v_pk_add_f32 v[18:19], v[0:1], v[18:19]
	v_min_f32_e32 v0, v98, v2
	v_min_f32_e32 v1, v99, v3
	v_pk_add_f32 v[16:17], v[0:1], v[16:17]
	v_min_f32_e32 v0, v100, v2
	v_min_f32_e32 v1, v101, v3
	v_pk_add_f32 v[14:15], v[0:1], v[14:15]
	v_min_f32_e32 v0, v102, v2
	v_min_f32_e32 v1, v103, v3
	v_pk_add_f32 v[12:13], v[0:1], v[12:13]
	v_min_f32_e32 v0, v104, v2
	v_min_f32_e32 v1, v105, v3
	v_pk_add_f32 v[10:11], v[0:1], v[10:11]
	v_min_f32_e32 v0, v106, v2
	v_min_f32_e32 v1, v107, v3
	v_pk_add_f32 v[8:9], v[0:1], v[8:9]
	v_min_f32_e32 v0, v108, v2
	v_min_f32_e32 v1, v109, v3
	v_pk_add_f32 v[6:7], v[0:1], v[6:7]
	v_min_f32_e32 v0, v110, v2
	v_min_f32_e32 v1, v95, v3
	v_pk_add_f32 v[4:5], v[0:1], v[4:5]
	s_mov_b64 s[10:11], 0
	s_mov_b32 s20, 2
	s_cbranch_vccz .LBB34_13
; %bb.14:                               ;   in Loop: Header=BB34_12 Depth=1
	s_waitcnt vmcnt(0)
	ds_write_b32 v87, v74
	ds_write2st64_b32 v86, v93, v94 offset1:4
	s_waitcnt lgkmcnt(0)
	s_barrier
	flat_load_dword v74, v[76:77] offset:16
	flat_load_dword v93, v[78:79] offset:16
	;; [unrolled: 1-line block ×3, first 2 shown]
	s_mov_b32 s20, 0
	s_mov_b64 s[10:11], -1
.LBB34_15:                              ;   Parent Loop BB34_12 Depth=1
                                        ; =>  This Inner Loop Header: Depth=2
	v_cndmask_b32_e64 v0, 0, 1, s[10:11]
	s_lshl_b32 s10, s20, 2
	v_cmp_ne_u32_e32 vcc, 1, v0
	v_add_u32_e32 v0, s10, v85
	ds_read2_b64 v[76:79], v0 offset1:16
	ds_read2_b64 v[96:99], v0 offset0:32 offset1:48
	ds_read2_b64 v[100:103], v0 offset0:64 offset1:80
	;; [unrolled: 1-line block ×3, first 2 shown]
	v_add_u32_e32 v0, s10, v88
	ds_read2st64_b64 v[108:111], v0 offset1:1
	ds_read2st64_b64 v[0:3], v0 offset0:2 offset1:3
	s_waitcnt lgkmcnt(0)
	v_max_f32_e32 v81, v76, v76
	v_max_f32_e32 v78, v78, v78
	;; [unrolled: 1-line block ×6, first 2 shown]
	v_min_f32_e32 v76, v81, v80
	v_min_f32_e32 v77, v108, v95
	v_pk_add_f32 v[62:63], v[76:77], v[62:63]
	v_min_f32_e32 v76, v78, v80
	v_min_f32_e32 v77, v79, v95
	v_max_f32_e32 v96, v96, v96
	v_max_f32_e32 v97, v97, v97
	v_pk_add_f32 v[66:67], v[76:77], v[66:67]
	v_min_f32_e32 v76, v96, v80
	v_min_f32_e32 v77, v97, v95
	v_max_f32_e32 v98, v98, v98
	v_max_f32_e32 v99, v99, v99
	;; [unrolled: 5-line block ×5, first 2 shown]
	v_pk_add_f32 v[56:57], v[76:77], v[56:57]
	v_min_f32_e32 v76, v104, v80
	v_min_f32_e32 v77, v105, v95
	v_max_f32_e32 v106, v106, v106
	v_pk_add_f32 v[54:55], v[76:77], v[54:55]
	v_min_f32_e32 v76, v106, v80
	v_max_f32_e32 v80, v107, v107
	v_min_f32_e32 v77, v80, v95
	v_max_f32_e32 v95, v110, v110
	v_max_f32_e32 v107, v111, v111
	v_pk_add_f32 v[52:53], v[76:77], v[52:53]
	v_min_f32_e32 v76, v81, v95
	v_min_f32_e32 v77, v108, v107
	v_pk_add_f32 v[50:51], v[76:77], v[50:51]
	v_min_f32_e32 v76, v78, v95
	v_min_f32_e32 v77, v79, v107
	;; [unrolled: 3-line block ×8, first 2 shown]
	v_pk_add_f32 v[36:37], v[76:77], v[36:37]
	v_max_f32_e32 v76, v0, v0
	v_max_f32_e32 v77, v1, v1
	v_min_f32_e32 v0, v81, v76
	v_min_f32_e32 v1, v108, v77
	v_pk_add_f32 v[34:35], v[0:1], v[34:35]
	v_min_f32_e32 v0, v78, v76
	v_min_f32_e32 v1, v79, v77
	v_pk_add_f32 v[32:33], v[0:1], v[32:33]
	;; [unrolled: 3-line block ×7, first 2 shown]
	v_min_f32_e32 v0, v106, v76
	v_min_f32_e32 v1, v80, v77
	v_max_f32_e32 v2, v2, v2
	v_max_f32_e32 v3, v3, v3
	v_pk_add_f32 v[20:21], v[0:1], v[20:21]
	v_min_f32_e32 v0, v81, v2
	v_min_f32_e32 v1, v108, v3
	v_pk_add_f32 v[18:19], v[0:1], v[18:19]
	v_min_f32_e32 v0, v78, v2
	v_min_f32_e32 v1, v79, v3
	;; [unrolled: 3-line block ×8, first 2 shown]
	v_pk_add_f32 v[4:5], v[0:1], v[4:5]
	s_mov_b64 s[10:11], 0
	s_mov_b32 s20, 2
	s_cbranch_vccz .LBB34_15
; %bb.16:                               ;   in Loop: Header=BB34_12 Depth=1
	s_add_i32 s16, s16, 8
	s_add_i32 s17, s17, 8
	s_cmp_ge_i32 s17, s14
	s_waitcnt vmcnt(0)
	ds_write_b32 v89, v74
	ds_write2st64_b32 v90, v93, v94 offset1:4
	s_waitcnt lgkmcnt(0)
	s_barrier
	s_cbranch_scc0 .LBB34_12
.LBB34_17:
	v_mov_b32_e32 v0, 0x1400
	v_lshl_add_u32 v68, v82, 4, v0
	v_mov_b32_e32 v0, 0x800
	v_lshl_add_u32 v69, v83, 4, v0
	s_mov_b32 s10, 0
	s_mov_b64 s[4:5], -1
.LBB34_18:                              ; =>This Inner Loop Header: Depth=1
	v_cndmask_b32_e64 v0, 0, 1, s[4:5]
	s_lshl_b32 s4, s10, 2
	v_cmp_ne_u32_e32 vcc, 1, v0
	v_add_u32_e32 v0, s4, v68
	ds_read2_b64 v[70:73], v0 offset1:16
	ds_read2_b64 v[74:77], v0 offset0:32 offset1:48
	ds_read2_b64 v[78:81], v0 offset0:64 offset1:80
	;; [unrolled: 1-line block ×3, first 2 shown]
	v_add_u32_e32 v0, s4, v69
	ds_read2st64_b64 v[88:91], v0 offset1:1
	ds_read2st64_b64 v[0:3], v0 offset0:2 offset1:3
	s_waitcnt lgkmcnt(5)
	v_max_f32_e32 v92, v70, v70
	v_max_f32_e32 v93, v71, v71
	;; [unrolled: 1-line block ×3, first 2 shown]
	s_waitcnt lgkmcnt(1)
	v_max_f32_e32 v88, v88, v88
	v_max_f32_e32 v89, v89, v89
	v_min_f32_e32 v70, v92, v88
	v_min_f32_e32 v71, v93, v89
	v_max_f32_e32 v73, v73, v73
	v_pk_add_f32 v[62:63], v[70:71], v[62:63]
	v_min_f32_e32 v70, v72, v88
	v_min_f32_e32 v71, v73, v89
	v_max_f32_e32 v74, v74, v74
	v_max_f32_e32 v75, v75, v75
	v_pk_add_f32 v[66:67], v[70:71], v[66:67]
	v_min_f32_e32 v70, v74, v88
	v_min_f32_e32 v71, v75, v89
	v_max_f32_e32 v76, v76, v76
	;; [unrolled: 5-line block ×7, first 2 shown]
	v_max_f32_e32 v89, v91, v91
	v_pk_add_f32 v[52:53], v[70:71], v[52:53]
	v_min_f32_e32 v70, v92, v88
	v_min_f32_e32 v71, v93, v89
	v_pk_add_f32 v[50:51], v[70:71], v[50:51]
	v_min_f32_e32 v70, v72, v88
	v_min_f32_e32 v71, v73, v89
	;; [unrolled: 3-line block ×8, first 2 shown]
	v_pk_add_f32 v[36:37], v[70:71], v[36:37]
	s_waitcnt lgkmcnt(0)
	v_max_f32_e32 v70, v0, v0
	v_max_f32_e32 v71, v1, v1
	v_min_f32_e32 v0, v92, v70
	v_min_f32_e32 v1, v93, v71
	v_pk_add_f32 v[34:35], v[0:1], v[34:35]
	v_min_f32_e32 v0, v72, v70
	v_min_f32_e32 v1, v73, v71
	v_pk_add_f32 v[32:33], v[0:1], v[32:33]
	;; [unrolled: 3-line block ×7, first 2 shown]
	v_min_f32_e32 v0, v86, v70
	v_min_f32_e32 v1, v87, v71
	v_max_f32_e32 v2, v2, v2
	v_max_f32_e32 v3, v3, v3
	v_pk_add_f32 v[20:21], v[0:1], v[20:21]
	v_min_f32_e32 v0, v92, v2
	v_min_f32_e32 v1, v93, v3
	v_pk_add_f32 v[18:19], v[0:1], v[18:19]
	v_min_f32_e32 v0, v72, v2
	v_min_f32_e32 v1, v73, v3
	;; [unrolled: 3-line block ×8, first 2 shown]
	v_pk_add_f32 v[4:5], v[0:1], v[4:5]
	s_mov_b64 s[4:5], 0
	s_mov_b32 s10, 2
	s_cbranch_vccz .LBB34_18
; %bb.19:
	s_load_dword s10, s[0:1], 0x50
	v_add_u32_e32 v72, s19, v83
	v_add_u32_e32 v0, s18, v82
	v_ashrrev_i32_e32 v1, 31, v0
	v_mov_b32_e32 v73, 0
	s_waitcnt lgkmcnt(0)
	v_mad_i64_i32 v[2:3], s[4:5], v72, s10, 0
	v_lshl_add_u64 v[68:69], v[2:3], 2, s[12:13]
	v_cndmask_b32_e64 v2, 0, 1, s[2:3]
	v_cmp_ne_u32_e64 s[4:5], 1, v2
	s_andn2_b64 vcc, exec, s[2:3]
	v_mov_b32_e32 v74, 0
	s_cbranch_vccnz .LBB34_21
; %bb.20:
	v_lshl_add_u64 v[2:3], v[0:1], 2, v[68:69]
	flat_load_dword v2, v[2:3]
	s_waitcnt vmcnt(0) lgkmcnt(0)
	v_mul_f32_e32 v74, s15, v2
.LBB34_21:
	s_load_dwordx2 s[16:17], s[0:1], 0x70
	s_load_dword s2, s[0:1], 0x68
	v_add_u32_e32 v2, 8, v0
	v_add_f32_e32 v62, v62, v63
	v_ashrrev_i32_e32 v3, 31, v2
	s_waitcnt lgkmcnt(0)
	s_lshl_b64 s[0:1], s[16:17], 2
	s_add_u32 s0, s8, s0
	s_addc_u32 s1, s9, s1
	v_mad_i64_i32 v[70:71], s[8:9], v72, s2, 0
	v_lshl_add_u64 v[70:71], v[70:71], 2, s[0:1]
	v_add_f32_e32 v74, v62, v74
	v_lshl_add_u64 v[62:63], v[0:1], 2, v[70:71]
	s_and_b64 vcc, exec, s[4:5]
	flat_store_dword v[62:63], v74
	s_cbranch_vccnz .LBB34_23
; %bb.22:
	v_lshl_add_u64 v[62:63], v[2:3], 2, v[68:69]
	flat_load_dword v62, v[62:63]
	s_waitcnt vmcnt(0) lgkmcnt(0)
	v_mul_f32_e32 v73, s15, v62
.LBB34_23:
	v_add_f32_e32 v66, v66, v67
	v_add_u32_e32 v62, 16, v0
	v_add_f32_e32 v73, v66, v73
	v_lshl_add_u64 v[66:67], v[2:3], 2, v[70:71]
	v_ashrrev_i32_e32 v63, 31, v62
	flat_store_dword v[66:67], v73
	v_mov_b32_e32 v66, 0
	s_and_b64 vcc, exec, s[4:5]
	v_mov_b32_e32 v67, 0
	s_cbranch_vccnz .LBB34_25
; %bb.24:
	v_lshl_add_u64 v[74:75], v[62:63], 2, v[68:69]
	flat_load_dword v67, v[74:75]
	s_waitcnt vmcnt(0) lgkmcnt(0)
	v_mul_f32_e32 v67, s15, v67
.LBB34_25:
	v_add_f32_e32 v73, v64, v65
	v_add_u32_e32 v64, 24, v0
	v_ashrrev_i32_e32 v65, 31, v64
	v_add_f32_e32 v67, v73, v67
	v_lshl_add_u64 v[74:75], v[62:63], 2, v[70:71]
	s_and_b64 vcc, exec, s[4:5]
	flat_store_dword v[74:75], v67
	s_cbranch_vccnz .LBB34_27
; %bb.26:
	v_lshl_add_u64 v[66:67], v[64:65], 2, v[68:69]
	flat_load_dword v66, v[66:67]
	s_waitcnt vmcnt(0) lgkmcnt(0)
	v_mul_f32_e32 v66, s15, v66
.LBB34_27:
	v_add_f32_e32 v67, v60, v61
	v_add_u32_e32 v60, 32, v0
	v_add_f32_e32 v73, v67, v66
	v_lshl_add_u64 v[66:67], v[64:65], 2, v[70:71]
	v_ashrrev_i32_e32 v61, 31, v60
	flat_store_dword v[66:67], v73
	v_mov_b32_e32 v66, 0
	s_and_b64 vcc, exec, s[4:5]
	v_mov_b32_e32 v67, 0
	s_cbranch_vccnz .LBB34_29
; %bb.28:
	v_lshl_add_u64 v[74:75], v[60:61], 2, v[68:69]
	flat_load_dword v67, v[74:75]
	s_waitcnt vmcnt(0) lgkmcnt(0)
	v_mul_f32_e32 v67, s15, v67
.LBB34_29:
	v_add_f32_e32 v73, v58, v59
	v_add_u32_e32 v58, 40, v0
	v_ashrrev_i32_e32 v59, 31, v58
	;; [unrolled: 30-line block ×3, first 2 shown]
	v_add_f32_e32 v67, v73, v67
	v_lshl_add_u64 v[74:75], v[56:57], 2, v[70:71]
	s_and_b64 vcc, exec, s[4:5]
	flat_store_dword v[74:75], v67
	s_cbranch_vccnz .LBB34_35
; %bb.34:
	v_lshl_add_u64 v[66:67], v[54:55], 2, v[68:69]
	flat_load_dword v66, v[66:67]
	s_waitcnt vmcnt(0) lgkmcnt(0)
	v_mul_f32_e32 v66, s15, v66
.LBB34_35:
	v_add_f32_e32 v52, v52, v53
	v_add_f32_e32 v66, v52, v66
	v_lshl_add_u64 v[52:53], v[54:55], 2, v[70:71]
	flat_store_dword v[52:53], v66
	v_add_u32_e32 v66, 32, v72
	v_mad_i64_i32 v[52:53], s[8:9], v66, s10, 0
	v_lshl_add_u64 v[52:53], v[52:53], 2, s[12:13]
	v_mov_b32_e32 v68, 0
	s_and_b64 vcc, exec, s[4:5]
	v_mov_b32_e32 v69, 0
	s_cbranch_vccnz .LBB34_37
; %bb.36:
	v_lshl_add_u64 v[70:71], v[0:1], 2, v[52:53]
	flat_load_dword v67, v[70:71]
	s_waitcnt vmcnt(0) lgkmcnt(0)
	v_mul_f32_e32 v69, s15, v67
.LBB34_37:
	v_mad_i64_i32 v[66:67], s[8:9], v66, s2, 0
	v_lshl_add_u64 v[66:67], v[66:67], 2, s[0:1]
	v_add_f32_e32 v50, v50, v51
	v_add_f32_e32 v69, v50, v69
	v_lshl_add_u64 v[50:51], v[0:1], 2, v[66:67]
	s_and_b64 vcc, exec, s[4:5]
	flat_store_dword v[50:51], v69
	s_cbranch_vccnz .LBB34_39
; %bb.38:
	v_lshl_add_u64 v[50:51], v[2:3], 2, v[52:53]
	flat_load_dword v50, v[50:51]
	s_waitcnt vmcnt(0) lgkmcnt(0)
	v_mul_f32_e32 v68, s15, v50
.LBB34_39:
	v_add_f32_e32 v48, v48, v49
	v_add_f32_e32 v50, v48, v68
	v_lshl_add_u64 v[48:49], v[2:3], 2, v[66:67]
	flat_store_dword v[48:49], v50
	v_mov_b32_e32 v48, 0
	s_and_b64 vcc, exec, s[4:5]
	v_mov_b32_e32 v49, 0
	s_cbranch_vccnz .LBB34_41
; %bb.40:
	v_lshl_add_u64 v[50:51], v[62:63], 2, v[52:53]
	flat_load_dword v49, v[50:51]
	s_waitcnt vmcnt(0) lgkmcnt(0)
	v_mul_f32_e32 v49, s15, v49
.LBB34_41:
	v_add_f32_e32 v46, v46, v47
	v_add_f32_e32 v49, v46, v49
	v_lshl_add_u64 v[46:47], v[62:63], 2, v[66:67]
	s_and_b64 vcc, exec, s[4:5]
	flat_store_dword v[46:47], v49
	s_cbranch_vccnz .LBB34_43
; %bb.42:
	v_lshl_add_u64 v[46:47], v[64:65], 2, v[52:53]
	flat_load_dword v46, v[46:47]
	s_waitcnt vmcnt(0) lgkmcnt(0)
	v_mul_f32_e32 v48, s15, v46
.LBB34_43:
	v_add_f32_e32 v44, v44, v45
	v_add_f32_e32 v46, v44, v48
	v_lshl_add_u64 v[44:45], v[64:65], 2, v[66:67]
	flat_store_dword v[44:45], v46
	v_mov_b32_e32 v44, 0
	s_and_b64 vcc, exec, s[4:5]
	v_mov_b32_e32 v45, 0
	s_cbranch_vccnz .LBB34_45
; %bb.44:
	v_lshl_add_u64 v[46:47], v[60:61], 2, v[52:53]
	flat_load_dword v45, v[46:47]
	s_waitcnt vmcnt(0) lgkmcnt(0)
	v_mul_f32_e32 v45, s15, v45
.LBB34_45:
	;; [unrolled: 26-line block ×3, first 2 shown]
	v_add_f32_e32 v38, v38, v39
	v_add_f32_e32 v41, v38, v41
	v_lshl_add_u64 v[38:39], v[56:57], 2, v[66:67]
	s_and_b64 vcc, exec, s[4:5]
	flat_store_dword v[38:39], v41
	s_cbranch_vccnz .LBB34_51
; %bb.50:
	v_lshl_add_u64 v[38:39], v[54:55], 2, v[52:53]
	flat_load_dword v38, v[38:39]
	s_waitcnt vmcnt(0) lgkmcnt(0)
	v_mul_f32_e32 v40, s15, v38
.LBB34_51:
	v_add_f32_e32 v36, v36, v37
	v_add_f32_e32 v38, v36, v40
	v_lshl_add_u64 v[36:37], v[54:55], 2, v[66:67]
	flat_store_dword v[36:37], v38
	v_add_u32_e32 v38, 64, v72
	v_mad_i64_i32 v[36:37], s[8:9], v38, s10, 0
	v_lshl_add_u64 v[36:37], v[36:37], 2, s[12:13]
	v_mov_b32_e32 v40, 0
	s_and_b64 vcc, exec, s[4:5]
	v_mov_b32_e32 v41, 0
	s_cbranch_vccnz .LBB34_53
; %bb.52:
	v_lshl_add_u64 v[42:43], v[0:1], 2, v[36:37]
	flat_load_dword v39, v[42:43]
	s_waitcnt vmcnt(0) lgkmcnt(0)
	v_mul_f32_e32 v41, s15, v39
.LBB34_53:
	v_mad_i64_i32 v[38:39], s[8:9], v38, s2, 0
	v_lshl_add_u64 v[38:39], v[38:39], 2, s[0:1]
	v_add_f32_e32 v34, v34, v35
	v_add_f32_e32 v41, v34, v41
	v_lshl_add_u64 v[34:35], v[0:1], 2, v[38:39]
	s_and_b64 vcc, exec, s[4:5]
	flat_store_dword v[34:35], v41
	s_cbranch_vccnz .LBB34_55
; %bb.54:
	v_lshl_add_u64 v[34:35], v[2:3], 2, v[36:37]
	flat_load_dword v34, v[34:35]
	s_waitcnt vmcnt(0) lgkmcnt(0)
	v_mul_f32_e32 v40, s15, v34
.LBB34_55:
	v_add_f32_e32 v32, v32, v33
	v_add_f32_e32 v34, v32, v40
	v_lshl_add_u64 v[32:33], v[2:3], 2, v[38:39]
	flat_store_dword v[32:33], v34
	v_mov_b32_e32 v32, 0
	s_and_b64 vcc, exec, s[4:5]
	v_mov_b32_e32 v33, 0
	s_cbranch_vccnz .LBB34_57
; %bb.56:
	v_lshl_add_u64 v[34:35], v[62:63], 2, v[36:37]
	flat_load_dword v33, v[34:35]
	s_waitcnt vmcnt(0) lgkmcnt(0)
	v_mul_f32_e32 v33, s15, v33
.LBB34_57:
	v_add_f32_e32 v30, v30, v31
	v_add_f32_e32 v33, v30, v33
	v_lshl_add_u64 v[30:31], v[62:63], 2, v[38:39]
	s_and_b64 vcc, exec, s[4:5]
	flat_store_dword v[30:31], v33
	s_cbranch_vccnz .LBB34_59
; %bb.58:
	v_lshl_add_u64 v[30:31], v[64:65], 2, v[36:37]
	flat_load_dword v30, v[30:31]
	s_waitcnt vmcnt(0) lgkmcnt(0)
	v_mul_f32_e32 v32, s15, v30
.LBB34_59:
	v_add_f32_e32 v28, v28, v29
	v_add_f32_e32 v30, v28, v32
	v_lshl_add_u64 v[28:29], v[64:65], 2, v[38:39]
	flat_store_dword v[28:29], v30
	v_mov_b32_e32 v28, 0
	s_and_b64 vcc, exec, s[4:5]
	v_mov_b32_e32 v29, 0
	s_cbranch_vccnz .LBB34_61
; %bb.60:
	v_lshl_add_u64 v[30:31], v[60:61], 2, v[36:37]
	flat_load_dword v29, v[30:31]
	s_waitcnt vmcnt(0) lgkmcnt(0)
	v_mul_f32_e32 v29, s15, v29
.LBB34_61:
	;; [unrolled: 26-line block ×3, first 2 shown]
	v_add_f32_e32 v22, v22, v23
	v_add_f32_e32 v25, v22, v25
	v_lshl_add_u64 v[22:23], v[56:57], 2, v[38:39]
	s_and_b64 vcc, exec, s[4:5]
	flat_store_dword v[22:23], v25
	s_cbranch_vccnz .LBB34_67
; %bb.66:
	v_lshl_add_u64 v[22:23], v[54:55], 2, v[36:37]
	flat_load_dword v22, v[22:23]
	s_waitcnt vmcnt(0) lgkmcnt(0)
	v_mul_f32_e32 v24, s15, v22
.LBB34_67:
	v_add_f32_e32 v20, v20, v21
	v_add_f32_e32 v22, v20, v24
	v_lshl_add_u64 v[20:21], v[54:55], 2, v[38:39]
	flat_store_dword v[20:21], v22
	v_add_u32_e32 v22, 0x60, v72
	v_mad_i64_i32 v[20:21], s[8:9], v22, s10, 0
	v_lshl_add_u64 v[20:21], v[20:21], 2, s[12:13]
	v_mov_b32_e32 v24, 0
	s_and_b64 vcc, exec, s[4:5]
	v_mov_b32_e32 v25, 0
	s_cbranch_vccnz .LBB34_69
; %bb.68:
	v_lshl_add_u64 v[26:27], v[0:1], 2, v[20:21]
	flat_load_dword v23, v[26:27]
	s_waitcnt vmcnt(0) lgkmcnt(0)
	v_mul_f32_e32 v25, s15, v23
.LBB34_69:
	v_mad_i64_i32 v[22:23], s[2:3], v22, s2, 0
	v_lshl_add_u64 v[22:23], v[22:23], 2, s[0:1]
	v_add_f32_e32 v18, v18, v19
	v_add_f32_e32 v18, v18, v25
	v_lshl_add_u64 v[0:1], v[0:1], 2, v[22:23]
	s_and_b64 vcc, exec, s[4:5]
	flat_store_dword v[0:1], v18
	s_cbranch_vccnz .LBB34_71
; %bb.70:
	v_lshl_add_u64 v[0:1], v[2:3], 2, v[20:21]
	flat_load_dword v0, v[0:1]
	s_waitcnt vmcnt(0) lgkmcnt(0)
	v_mul_f32_e32 v24, s15, v0
.LBB34_71:
	v_add_f32_e32 v0, v16, v17
	v_add_f32_e32 v16, v0, v24
	v_lshl_add_u64 v[0:1], v[2:3], 2, v[22:23]
	flat_store_dword v[0:1], v16
	v_mov_b32_e32 v0, 0
	s_and_b64 vcc, exec, s[4:5]
	v_mov_b32_e32 v1, 0
	s_cbranch_vccnz .LBB34_73
; %bb.72:
	v_lshl_add_u64 v[2:3], v[62:63], 2, v[20:21]
	flat_load_dword v1, v[2:3]
	s_waitcnt vmcnt(0) lgkmcnt(0)
	v_mul_f32_e32 v1, s15, v1
.LBB34_73:
	v_add_f32_e32 v2, v14, v15
	v_add_f32_e32 v1, v2, v1
	v_lshl_add_u64 v[2:3], v[62:63], 2, v[22:23]
	s_and_b64 vcc, exec, s[4:5]
	flat_store_dword v[2:3], v1
	s_cbranch_vccnz .LBB34_75
; %bb.74:
	v_lshl_add_u64 v[0:1], v[64:65], 2, v[20:21]
	flat_load_dword v0, v[0:1]
	s_waitcnt vmcnt(0) lgkmcnt(0)
	v_mul_f32_e32 v0, s15, v0
.LBB34_75:
	v_add_f32_e32 v1, v12, v13
	v_add_f32_e32 v2, v1, v0
	v_lshl_add_u64 v[0:1], v[64:65], 2, v[22:23]
	flat_store_dword v[0:1], v2
	v_mov_b32_e32 v0, 0
	s_and_b64 vcc, exec, s[4:5]
	v_mov_b32_e32 v1, 0
	s_cbranch_vccnz .LBB34_77
; %bb.76:
	v_lshl_add_u64 v[2:3], v[60:61], 2, v[20:21]
	flat_load_dword v1, v[2:3]
	s_waitcnt vmcnt(0) lgkmcnt(0)
	v_mul_f32_e32 v1, s15, v1
.LBB34_77:
	v_add_f32_e32 v2, v10, v11
	v_add_f32_e32 v1, v2, v1
	v_lshl_add_u64 v[2:3], v[60:61], 2, v[22:23]
	s_and_b64 vcc, exec, s[4:5]
	flat_store_dword v[2:3], v1
	s_cbranch_vccnz .LBB34_79
; %bb.78:
	v_lshl_add_u64 v[0:1], v[58:59], 2, v[20:21]
	flat_load_dword v0, v[0:1]
	s_waitcnt vmcnt(0) lgkmcnt(0)
	v_mul_f32_e32 v0, s15, v0
.LBB34_79:
	v_add_f32_e32 v1, v8, v9
	v_add_f32_e32 v2, v1, v0
	v_lshl_add_u64 v[0:1], v[58:59], 2, v[22:23]
	flat_store_dword v[0:1], v2
	v_add_f32_e32 v0, v6, v7
	s_mov_b64 s[0:1], -1
	s_mov_b64 vcc, s[6:7]
	s_cbranch_vccz .LBB34_81
; %bb.80:
	v_add_f32_e32 v1, 0, v0
	v_lshl_add_u64 v[2:3], v[56:57], 2, v[22:23]
	flat_store_dword v[2:3], v1
	s_mov_b64 s[0:1], 0
.LBB34_81:
	s_andn2_b64 vcc, exec, s[0:1]
	v_mov_b32_e32 v1, 0
	s_cbranch_vccnz .LBB34_83
; %bb.82:
	v_lshlrev_b64 v[2:3], 2, v[56:57]
	v_lshl_add_u64 v[6:7], v[20:21], 0, v[2:3]
	flat_load_dword v1, v[6:7]
	v_lshl_add_u64 v[2:3], v[22:23], 0, v[2:3]
	s_waitcnt vmcnt(0) lgkmcnt(0)
	v_fmac_f32_e32 v0, s15, v1
	flat_store_dword v[2:3], v0
	v_lshl_add_u64 v[0:1], v[54:55], 2, v[20:21]
	flat_load_dword v0, v[0:1]
	s_waitcnt vmcnt(0) lgkmcnt(0)
	v_mul_f32_e32 v1, s15, v0
.LBB34_83:
	v_add_f32_e32 v0, v4, v5
	v_add_f32_e32 v2, v0, v1
	v_lshl_add_u64 v[0:1], v[54:55], 2, v[22:23]
	flat_store_dword v[0:1], v2
	s_endpgm
	.section	.rodata,"a",@progbits
	.p2align	6, 0x0
	.amdhsa_kernel _ZN12_GLOBAL__N_120geam_min_plus_kernelIf15HIP_vector_typeIfLj2EES2_Li8ELi32ELi64ELi128ELi4ELi4ELi64ELi4ELi64ELc84ELc78ELb1ELb0ELb0EfKPKfKPfEEviiiT16_PT17_ilSA_ilS8_SA_ilPT18_ili26rocblas_geam_ex_operation_
		.amdhsa_group_segment_fixed_size 6144
		.amdhsa_private_segment_fixed_size 0
		.amdhsa_kernarg_size 128
		.amdhsa_user_sgpr_count 2
		.amdhsa_user_sgpr_dispatch_ptr 0
		.amdhsa_user_sgpr_queue_ptr 0
		.amdhsa_user_sgpr_kernarg_segment_ptr 1
		.amdhsa_user_sgpr_dispatch_id 0
		.amdhsa_user_sgpr_kernarg_preload_length 0
		.amdhsa_user_sgpr_kernarg_preload_offset 0
		.amdhsa_user_sgpr_private_segment_size 0
		.amdhsa_uses_dynamic_stack 0
		.amdhsa_enable_private_segment 0
		.amdhsa_system_sgpr_workgroup_id_x 1
		.amdhsa_system_sgpr_workgroup_id_y 0
		.amdhsa_system_sgpr_workgroup_id_z 1
		.amdhsa_system_sgpr_workgroup_info 0
		.amdhsa_system_vgpr_workitem_id 1
		.amdhsa_next_free_vgpr 117
		.amdhsa_next_free_sgpr 24
		.amdhsa_accum_offset 120
		.amdhsa_reserve_vcc 1
		.amdhsa_float_round_mode_32 0
		.amdhsa_float_round_mode_16_64 0
		.amdhsa_float_denorm_mode_32 3
		.amdhsa_float_denorm_mode_16_64 3
		.amdhsa_dx10_clamp 1
		.amdhsa_ieee_mode 1
		.amdhsa_fp16_overflow 0
		.amdhsa_tg_split 0
		.amdhsa_exception_fp_ieee_invalid_op 0
		.amdhsa_exception_fp_denorm_src 0
		.amdhsa_exception_fp_ieee_div_zero 0
		.amdhsa_exception_fp_ieee_overflow 0
		.amdhsa_exception_fp_ieee_underflow 0
		.amdhsa_exception_fp_ieee_inexact 0
		.amdhsa_exception_int_div_zero 0
	.end_amdhsa_kernel
	.section	.text._ZN12_GLOBAL__N_120geam_min_plus_kernelIf15HIP_vector_typeIfLj2EES2_Li8ELi32ELi64ELi128ELi4ELi4ELi64ELi4ELi64ELc84ELc78ELb1ELb0ELb0EfKPKfKPfEEviiiT16_PT17_ilSA_ilS8_SA_ilPT18_ili26rocblas_geam_ex_operation_,"axG",@progbits,_ZN12_GLOBAL__N_120geam_min_plus_kernelIf15HIP_vector_typeIfLj2EES2_Li8ELi32ELi64ELi128ELi4ELi4ELi64ELi4ELi64ELc84ELc78ELb1ELb0ELb0EfKPKfKPfEEviiiT16_PT17_ilSA_ilS8_SA_ilPT18_ili26rocblas_geam_ex_operation_,comdat
.Lfunc_end34:
	.size	_ZN12_GLOBAL__N_120geam_min_plus_kernelIf15HIP_vector_typeIfLj2EES2_Li8ELi32ELi64ELi128ELi4ELi4ELi64ELi4ELi64ELc84ELc78ELb1ELb0ELb0EfKPKfKPfEEviiiT16_PT17_ilSA_ilS8_SA_ilPT18_ili26rocblas_geam_ex_operation_, .Lfunc_end34-_ZN12_GLOBAL__N_120geam_min_plus_kernelIf15HIP_vector_typeIfLj2EES2_Li8ELi32ELi64ELi128ELi4ELi4ELi64ELi4ELi64ELc84ELc78ELb1ELb0ELb0EfKPKfKPfEEviiiT16_PT17_ilSA_ilS8_SA_ilPT18_ili26rocblas_geam_ex_operation_
                                        ; -- End function
	.set _ZN12_GLOBAL__N_120geam_min_plus_kernelIf15HIP_vector_typeIfLj2EES2_Li8ELi32ELi64ELi128ELi4ELi4ELi64ELi4ELi64ELc84ELc78ELb1ELb0ELb0EfKPKfKPfEEviiiT16_PT17_ilSA_ilS8_SA_ilPT18_ili26rocblas_geam_ex_operation_.num_vgpr, 117
	.set _ZN12_GLOBAL__N_120geam_min_plus_kernelIf15HIP_vector_typeIfLj2EES2_Li8ELi32ELi64ELi128ELi4ELi4ELi64ELi4ELi64ELc84ELc78ELb1ELb0ELb0EfKPKfKPfEEviiiT16_PT17_ilSA_ilS8_SA_ilPT18_ili26rocblas_geam_ex_operation_.num_agpr, 0
	.set _ZN12_GLOBAL__N_120geam_min_plus_kernelIf15HIP_vector_typeIfLj2EES2_Li8ELi32ELi64ELi128ELi4ELi4ELi64ELi4ELi64ELc84ELc78ELb1ELb0ELb0EfKPKfKPfEEviiiT16_PT17_ilSA_ilS8_SA_ilPT18_ili26rocblas_geam_ex_operation_.numbered_sgpr, 24
	.set _ZN12_GLOBAL__N_120geam_min_plus_kernelIf15HIP_vector_typeIfLj2EES2_Li8ELi32ELi64ELi128ELi4ELi4ELi64ELi4ELi64ELc84ELc78ELb1ELb0ELb0EfKPKfKPfEEviiiT16_PT17_ilSA_ilS8_SA_ilPT18_ili26rocblas_geam_ex_operation_.num_named_barrier, 0
	.set _ZN12_GLOBAL__N_120geam_min_plus_kernelIf15HIP_vector_typeIfLj2EES2_Li8ELi32ELi64ELi128ELi4ELi4ELi64ELi4ELi64ELc84ELc78ELb1ELb0ELb0EfKPKfKPfEEviiiT16_PT17_ilSA_ilS8_SA_ilPT18_ili26rocblas_geam_ex_operation_.private_seg_size, 0
	.set _ZN12_GLOBAL__N_120geam_min_plus_kernelIf15HIP_vector_typeIfLj2EES2_Li8ELi32ELi64ELi128ELi4ELi4ELi64ELi4ELi64ELc84ELc78ELb1ELb0ELb0EfKPKfKPfEEviiiT16_PT17_ilSA_ilS8_SA_ilPT18_ili26rocblas_geam_ex_operation_.uses_vcc, 1
	.set _ZN12_GLOBAL__N_120geam_min_plus_kernelIf15HIP_vector_typeIfLj2EES2_Li8ELi32ELi64ELi128ELi4ELi4ELi64ELi4ELi64ELc84ELc78ELb1ELb0ELb0EfKPKfKPfEEviiiT16_PT17_ilSA_ilS8_SA_ilPT18_ili26rocblas_geam_ex_operation_.uses_flat_scratch, 0
	.set _ZN12_GLOBAL__N_120geam_min_plus_kernelIf15HIP_vector_typeIfLj2EES2_Li8ELi32ELi64ELi128ELi4ELi4ELi64ELi4ELi64ELc84ELc78ELb1ELb0ELb0EfKPKfKPfEEviiiT16_PT17_ilSA_ilS8_SA_ilPT18_ili26rocblas_geam_ex_operation_.has_dyn_sized_stack, 0
	.set _ZN12_GLOBAL__N_120geam_min_plus_kernelIf15HIP_vector_typeIfLj2EES2_Li8ELi32ELi64ELi128ELi4ELi4ELi64ELi4ELi64ELc84ELc78ELb1ELb0ELb0EfKPKfKPfEEviiiT16_PT17_ilSA_ilS8_SA_ilPT18_ili26rocblas_geam_ex_operation_.has_recursion, 0
	.set _ZN12_GLOBAL__N_120geam_min_plus_kernelIf15HIP_vector_typeIfLj2EES2_Li8ELi32ELi64ELi128ELi4ELi4ELi64ELi4ELi64ELc84ELc78ELb1ELb0ELb0EfKPKfKPfEEviiiT16_PT17_ilSA_ilS8_SA_ilPT18_ili26rocblas_geam_ex_operation_.has_indirect_call, 0
	.section	.AMDGPU.csdata,"",@progbits
; Kernel info:
; codeLenInByte = 6288
; TotalNumSgprs: 30
; NumVgprs: 117
; NumAgprs: 0
; TotalNumVgprs: 117
; ScratchSize: 0
; MemoryBound: 0
; FloatMode: 240
; IeeeMode: 1
; LDSByteSize: 6144 bytes/workgroup (compile time only)
; SGPRBlocks: 3
; VGPRBlocks: 14
; NumSGPRsForWavesPerEU: 30
; NumVGPRsForWavesPerEU: 117
; AccumOffset: 120
; Occupancy: 4
; WaveLimiterHint : 1
; COMPUTE_PGM_RSRC2:SCRATCH_EN: 0
; COMPUTE_PGM_RSRC2:USER_SGPR: 2
; COMPUTE_PGM_RSRC2:TRAP_HANDLER: 0
; COMPUTE_PGM_RSRC2:TGID_X_EN: 1
; COMPUTE_PGM_RSRC2:TGID_Y_EN: 0
; COMPUTE_PGM_RSRC2:TGID_Z_EN: 1
; COMPUTE_PGM_RSRC2:TIDIG_COMP_CNT: 1
; COMPUTE_PGM_RSRC3_GFX90A:ACCUM_OFFSET: 29
; COMPUTE_PGM_RSRC3_GFX90A:TG_SPLIT: 0
	.section	.text._ZN12_GLOBAL__N_120geam_min_plus_kernelIf15HIP_vector_typeIfLj2EES2_Li8ELi32ELi64ELi128ELi4ELi4ELi64ELi4ELi64ELc84ELc78ELb0ELb0ELb0EfKPKfKPfEEviiiT16_PT17_ilSA_ilS8_SA_ilPT18_ili26rocblas_geam_ex_operation_,"axG",@progbits,_ZN12_GLOBAL__N_120geam_min_plus_kernelIf15HIP_vector_typeIfLj2EES2_Li8ELi32ELi64ELi128ELi4ELi4ELi64ELi4ELi64ELc84ELc78ELb0ELb0ELb0EfKPKfKPfEEviiiT16_PT17_ilSA_ilS8_SA_ilPT18_ili26rocblas_geam_ex_operation_,comdat
	.globl	_ZN12_GLOBAL__N_120geam_min_plus_kernelIf15HIP_vector_typeIfLj2EES2_Li8ELi32ELi64ELi128ELi4ELi4ELi64ELi4ELi64ELc84ELc78ELb0ELb0ELb0EfKPKfKPfEEviiiT16_PT17_ilSA_ilS8_SA_ilPT18_ili26rocblas_geam_ex_operation_ ; -- Begin function _ZN12_GLOBAL__N_120geam_min_plus_kernelIf15HIP_vector_typeIfLj2EES2_Li8ELi32ELi64ELi128ELi4ELi4ELi64ELi4ELi64ELc84ELc78ELb0ELb0ELb0EfKPKfKPfEEviiiT16_PT17_ilSA_ilS8_SA_ilPT18_ili26rocblas_geam_ex_operation_
	.p2align	8
	.type	_ZN12_GLOBAL__N_120geam_min_plus_kernelIf15HIP_vector_typeIfLj2EES2_Li8ELi32ELi64ELi128ELi4ELi4ELi64ELi4ELi64ELc84ELc78ELb0ELb0ELb0EfKPKfKPfEEviiiT16_PT17_ilSA_ilS8_SA_ilPT18_ili26rocblas_geam_ex_operation_,@function
_ZN12_GLOBAL__N_120geam_min_plus_kernelIf15HIP_vector_typeIfLj2EES2_Li8ELi32ELi64ELi128ELi4ELi4ELi64ELi4ELi64ELc84ELc78ELb0ELb0ELb0EfKPKfKPfEEviiiT16_PT17_ilSA_ilS8_SA_ilPT18_ili26rocblas_geam_ex_operation_: ; @_ZN12_GLOBAL__N_120geam_min_plus_kernelIf15HIP_vector_typeIfLj2EES2_Li8ELi32ELi64ELi128ELi4ELi4ELi64ELi4ELi64ELc84ELc78ELb0ELb0ELb0EfKPKfKPfEEviiiT16_PT17_ilSA_ilS8_SA_ilPT18_ili26rocblas_geam_ex_operation_
; %bb.0:
	s_load_dwordx2 s[18:19], s[0:1], 0x8
	s_load_dwordx4 s[8:11], s[0:1], 0x20
	s_mov_b32 s6, s3
	s_mov_b32 s7, 0
	s_waitcnt lgkmcnt(0)
	v_cmp_eq_f32_e64 s[12:13], s19, 0
	s_and_b64 s[4:5], exec, s[12:13]
	s_mov_b64 vcc, s[4:5]
	s_cbranch_vccnz .LBB35_3
; %bb.1:
	s_load_dwordx2 s[14:15], s[0:1], 0x10
	s_lshl_b64 s[16:17], s[6:7], 3
	s_waitcnt lgkmcnt(0)
	s_add_u32 s14, s14, s16
	s_addc_u32 s15, s15, s17
	s_load_dwordx2 s[14:15], s[14:15], 0x0
	s_lshl_b64 s[8:9], s[8:9], 2
	s_waitcnt lgkmcnt(0)
	s_add_u32 s22, s14, s8
	s_addc_u32 s23, s15, s9
	s_andn2_b64 vcc, exec, s[12:13]
	s_cbranch_vccnz .LBB35_4
.LBB35_2:
	s_mov_b32 s27, 0
	s_mov_b32 s26, s6
	s_mov_b64 s[16:17], 0
	s_mov_b64 s[20:21], 0
	s_cbranch_execz .LBB35_5
	s_branch .LBB35_6
.LBB35_3:
	s_mov_b64 s[22:23], 0
	s_andn2_b64 vcc, exec, s[12:13]
	s_cbranch_vccz .LBB35_2
.LBB35_4:
	s_mov_b64 s[26:27], s[6:7]
	s_mov_b64 s[16:17], 0
	;; [unrolled: 1-line block ×3, first 2 shown]
.LBB35_5:
	s_lshl_b64 s[6:7], s[6:7], 3
	s_add_u32 s6, s10, s6
	s_load_dwordx2 s[8:9], s[0:1], 0x38
	s_addc_u32 s7, s11, s7
	s_load_dwordx2 s[6:7], s[6:7], 0x0
	s_waitcnt lgkmcnt(0)
	s_lshl_b64 s[8:9], s[8:9], 2
	s_add_u32 s20, s6, s8
	s_addc_u32 s21, s7, s9
.LBB35_6:
	s_load_dword s28, s[0:1], 0x40
	s_load_dwordx4 s[12:15], s[0:1], 0x58
	v_cmp_neq_f32_e64 s[24:25], s19, 0
	s_waitcnt lgkmcnt(0)
	v_cmp_eq_f32_e64 s[6:7], s28, 0
	s_and_b64 s[8:9], exec, s[6:7]
	s_mov_b64 vcc, s[8:9]
	s_cbranch_vccnz .LBB35_8
; %bb.7:
	s_load_dwordx2 s[6:7], s[0:1], 0x48
	s_lshl_b64 s[10:11], s[26:27], 3
	s_waitcnt lgkmcnt(0)
	s_add_u32 s6, s6, s10
	s_addc_u32 s7, s7, s11
	s_load_dwordx2 s[6:7], s[6:7], 0x0
	s_lshl_b64 s[10:11], s[12:13], 2
	s_waitcnt lgkmcnt(0)
	s_add_u32 s16, s6, s10
	s_addc_u32 s17, s7, s11
.LBB35_8:
	s_load_dword s3, s[0:1], 0x0
	s_load_dword s30, s[0:1], 0x18
	;; [unrolled: 1-line block ×3, first 2 shown]
	s_lshl_b64 s[6:7], s[26:27], 3
	s_add_u32 s10, s14, s6
	s_addc_u32 s11, s15, s7
	s_waitcnt lgkmcnt(0)
	s_add_i32 s3, s3, -1
	s_ashr_i32 s6, s3, 31
	s_lshr_b32 s6, s6, 26
	s_add_i32 s3, s3, s6
	s_ashr_i32 s3, s3, 6
	s_add_i32 s6, s3, 1
	v_cvt_f32_u32_e32 v1, s6
	v_and_b32_e32 v80, 0x3ff, v0
	v_bfe_u32 v81, v0, 10, 10
	v_and_b32_e32 v82, 3, v0
	v_rcp_iflag_f32_e32 v1, v1
	s_not_b32 s3, s3
	v_mov_b32_e32 v76, 0
	v_lshlrev_b32_e32 v68, 2, v82
	v_mul_f32_e32 v0, 0x4f7ffffe, v1
	v_cvt_u32_f32_e32 v0, v0
	v_lshl_add_u32 v1, v81, 3, v80
	v_lshrrev_b32_e32 v72, 2, v1
	v_mov_b32_e32 v2, 0
	v_readfirstlane_b32 s7, v0
	s_mul_i32 s3, s3, s7
	s_mul_hi_u32 s3, s7, s3
	s_add_i32 s7, s7, s3
	s_mul_hi_u32 s3, s2, s7
	s_mul_i32 s7, s3, s6
	s_sub_i32 s7, s2, s7
	s_add_i32 s12, s3, 1
	s_sub_i32 s13, s7, s6
	s_cmp_ge_u32 s7, s6
	s_cselect_b32 s3, s12, s3
	s_cselect_b32 s7, s13, s7
	s_add_i32 s12, s3, 1
	s_cmp_ge_u32 s7, s6
	s_cselect_b32 s3, s12, s3
	s_mul_i32 s6, s3, s6
	s_sub_i32 s2, s2, s6
	s_lshl_b32 s13, s3, 7
	s_lshl_b32 s12, s2, 6
	v_cndmask_b32_e64 v0, 0, 1, s[24:25]
	v_add_u32_e32 v74, s13, v72
	v_cmp_ne_u32_e64 s[6:7], 1, v0
	s_andn2_b64 vcc, exec, s[24:25]
	v_add_u32_e32 v75, s12, v72
	v_add_u32_e32 v73, 64, v74
	v_mov_b32_e32 v0, 0
	v_mov_b32_e32 v1, 0
	s_cbranch_vccnz .LBB35_10
; %bb.9:
	v_mad_i64_i32 v[0:1], s[2:3], v75, s30, 0
	v_mov_b32_e32 v69, 0
	v_lshl_add_u64 v[0:1], v[0:1], 2, s[22:23]
	v_lshl_add_u64 v[2:3], s[20:21], 0, v[68:69]
	v_mad_i64_i32 v[4:5], s[2:3], v74, s29, 0
	v_lshl_add_u64 v[0:1], v[0:1], 0, v[68:69]
	v_lshl_add_u64 v[4:5], v[4:5], 2, v[2:3]
	v_mad_i64_i32 v[6:7], s[2:3], v73, s29, 0
	flat_load_dword v0, v[0:1]
	v_lshl_add_u64 v[2:3], v[6:7], 2, v[2:3]
	flat_load_dword v6, v[4:5]
	flat_load_dword v1, v[2:3]
	s_mov_b32 s2, s19
	s_waitcnt vmcnt(0) lgkmcnt(0)
	v_mul_f32_e32 v2, s19, v6
	v_pk_mul_f32 v[0:1], s[2:3], v[0:1] op_sel_hi:[0,1]
.LBB35_10:
	s_load_dwordx2 s[2:3], s[10:11], 0x0
	s_and_b64 vcc, exec, s[6:7]
	v_mov_b32_e32 v70, 0
	v_mov_b32_e32 v71, 0
	s_cbranch_vccnz .LBB35_12
; %bb.11:
	v_mad_i64_i32 v[4:5], s[6:7], v75, s30, 0
	v_mov_b32_e32 v69, 0
	v_lshl_add_u64 v[4:5], v[4:5], 2, s[22:23]
	v_lshl_add_u64 v[6:7], s[20:21], 0, v[68:69]
	v_mad_i64_i32 v[8:9], s[6:7], v74, s29, 0
	v_lshl_add_u64 v[4:5], v[4:5], 0, v[68:69]
	v_lshl_add_u64 v[8:9], v[8:9], 2, v[6:7]
	v_mad_i64_i32 v[10:11], s[6:7], v73, s29, 0
	flat_load_dword v4, v[4:5] offset:16
	v_lshl_add_u64 v[6:7], v[10:11], 2, v[6:7]
	flat_load_dword v3, v[8:9] offset:16
	flat_load_dword v5, v[6:7] offset:16
	s_mov_b32 s6, s19
	s_waitcnt vmcnt(0) lgkmcnt(0)
	v_mul_f32_e32 v76, s19, v3
	v_pk_mul_f32 v[70:71], s[6:7], v[4:5] op_sel_hi:[0,1]
.LBB35_12:
	v_lshlrev_b32_e32 v3, 4, v72
	v_lshl_or_b32 v83, v82, 2, v3
	ds_write_b32 v83, v0 offset:4096
	ds_write2st64_b32 v83, v2, v1 offset1:4
	v_mov_b32_e32 v0, 0x1000
	v_mov_b32_e32 v66, 0
	v_cmp_neq_f32_e64 s[6:7], s28, 0
	v_lshl_add_u32 v84, v80, 4, v0
	s_mov_b32 s14, 0
	s_mov_b64 s[10:11], -1
	v_mov_b32_e32 v67, v66
	v_mov_b32_e32 v64, v66
	;; [unrolled: 1-line block ×63, first 2 shown]
	v_add_u32_e32 v85, 0x1000, v83
	v_lshlrev_b32_e32 v86, 4, v81
	s_waitcnt lgkmcnt(0)
	s_barrier
.LBB35_13:                              ; =>This Inner Loop Header: Depth=1
	v_cndmask_b32_e64 v0, 0, 1, s[10:11]
	s_lshl_b32 s10, s14, 2
	v_cmp_ne_u32_e32 vcc, 1, v0
	v_add_u32_e32 v0, s10, v84
	ds_read2_b64 v[88:91], v0 offset1:16
	ds_read2_b64 v[92:95], v0 offset0:32 offset1:48
	ds_read2_b64 v[96:99], v0 offset0:64 offset1:80
	;; [unrolled: 1-line block ×3, first 2 shown]
	v_add_u32_e32 v0, s10, v86
	ds_read2st64_b64 v[104:107], v0 offset1:1
	ds_read2st64_b64 v[0:3], v0 offset0:2 offset1:3
	s_waitcnt lgkmcnt(5)
	v_max_f32_e32 v77, v88, v88
	v_max_f32_e32 v88, v89, v89
	;; [unrolled: 1-line block ×3, first 2 shown]
	s_waitcnt lgkmcnt(1)
	v_max_f32_e32 v69, v104, v104
	v_max_f32_e32 v87, v105, v105
	v_min_f32_e32 v78, v77, v69
	v_min_f32_e32 v79, v88, v87
	v_max_f32_e32 v90, v91, v91
	v_pk_add_f32 v[66:67], v[78:79], v[66:67]
	v_min_f32_e32 v78, v89, v69
	v_min_f32_e32 v79, v90, v87
	v_max_f32_e32 v91, v92, v92
	v_max_f32_e32 v92, v93, v93
	v_pk_add_f32 v[64:65], v[78:79], v[64:65]
	v_min_f32_e32 v78, v91, v69
	v_min_f32_e32 v79, v92, v87
	v_max_f32_e32 v93, v94, v94
	;; [unrolled: 5-line block ×6, first 2 shown]
	v_pk_add_f32 v[54:55], v[78:79], v[54:55]
	v_min_f32_e32 v78, v101, v69
	v_max_f32_e32 v69, v103, v103
	v_min_f32_e32 v79, v69, v87
	v_max_f32_e32 v87, v106, v106
	v_max_f32_e32 v102, v107, v107
	v_pk_add_f32 v[52:53], v[78:79], v[52:53]
	v_min_f32_e32 v78, v77, v87
	v_min_f32_e32 v79, v88, v102
	v_pk_add_f32 v[50:51], v[78:79], v[50:51]
	v_min_f32_e32 v78, v89, v87
	v_min_f32_e32 v79, v90, v102
	;; [unrolled: 3-line block ×8, first 2 shown]
	v_pk_add_f32 v[36:37], v[78:79], v[36:37]
	s_waitcnt lgkmcnt(0)
	v_max_f32_e32 v78, v0, v0
	v_max_f32_e32 v79, v1, v1
	v_min_f32_e32 v0, v77, v78
	v_min_f32_e32 v1, v88, v79
	v_pk_add_f32 v[34:35], v[0:1], v[34:35]
	v_min_f32_e32 v0, v89, v78
	v_min_f32_e32 v1, v90, v79
	v_pk_add_f32 v[32:33], v[0:1], v[32:33]
	;; [unrolled: 3-line block ×7, first 2 shown]
	v_min_f32_e32 v0, v101, v78
	v_min_f32_e32 v1, v69, v79
	v_max_f32_e32 v2, v2, v2
	v_max_f32_e32 v3, v3, v3
	v_pk_add_f32 v[20:21], v[0:1], v[20:21]
	v_min_f32_e32 v0, v77, v2
	v_min_f32_e32 v1, v88, v3
	v_pk_add_f32 v[18:19], v[0:1], v[18:19]
	v_min_f32_e32 v0, v89, v2
	v_min_f32_e32 v1, v90, v3
	v_pk_add_f32 v[16:17], v[0:1], v[16:17]
	v_min_f32_e32 v0, v91, v2
	v_min_f32_e32 v1, v92, v3
	v_pk_add_f32 v[14:15], v[0:1], v[14:15]
	v_min_f32_e32 v0, v93, v2
	v_min_f32_e32 v1, v94, v3
	v_pk_add_f32 v[12:13], v[0:1], v[12:13]
	v_min_f32_e32 v0, v95, v2
	v_min_f32_e32 v1, v96, v3
	v_pk_add_f32 v[10:11], v[0:1], v[10:11]
	v_min_f32_e32 v0, v97, v2
	v_min_f32_e32 v1, v98, v3
	v_pk_add_f32 v[8:9], v[0:1], v[8:9]
	v_min_f32_e32 v0, v99, v2
	v_min_f32_e32 v1, v100, v3
	v_pk_add_f32 v[6:7], v[0:1], v[6:7]
	v_min_f32_e32 v0, v101, v2
	v_min_f32_e32 v1, v69, v3
	v_pk_add_f32 v[4:5], v[0:1], v[4:5]
	s_mov_b64 s[10:11], 0
	s_mov_b32 s14, 2
	s_cbranch_vccz .LBB35_13
; %bb.14:
	v_lshl_or_b32 v0, v72, 4, v68
	s_cmp_lt_i32 s18, 9
	ds_write_b32 v0, v70 offset:5120
	ds_write2st64_b32 v0, v76, v71 offset0:8 offset1:12
	s_waitcnt lgkmcnt(0)
	s_barrier
	s_cbranch_scc1 .LBB35_29
; %bb.15:
	v_add_u32_e32 v87, 0x1400, v0
	v_add_u32_e32 v88, 0x800, v0
	v_mad_i64_i32 v[0:1], s[10:11], v75, s30, 0
	v_lshl_add_u64 v[68:69], v[0:1], 2, s[22:23]
	v_mov_b32_e32 v0, 0x1400
	v_lshl_add_u32 v89, v80, 4, v0
	v_mov_b32_e32 v0, 0x800
	s_add_i32 s14, s18, -8
	v_mad_i64_i32 v[70:71], s[10:11], v74, s29, 0
	v_mad_i64_i32 v[72:73], s[10:11], v73, s29, 0
	v_lshl_add_u32 v90, v81, 4, v0
	s_mov_b32 s18, s19
	s_mov_b32 s15, 8
	;; [unrolled: 1-line block ×3, first 2 shown]
	v_mov_b32_e32 v75, 0
.LBB35_16:                              ; =>This Loop Header: Depth=1
                                        ;     Child Loop BB35_21 Depth 2
                                        ;     Child Loop BB35_27 Depth 2
	s_mov_b64 s[10:11], -1
	s_mov_b64 vcc, s[4:5]
                                        ; implicit-def: $vgpr76_vgpr77
	s_cbranch_vccz .LBB35_18
; %bb.17:                               ;   in Loop: Header=BB35_16 Depth=1
	v_mov_b32_e32 v76, v75
	s_mov_b64 s[10:11], 0
.LBB35_18:                              ;   in Loop: Header=BB35_16 Depth=1
	v_mov_b32_e32 v78, 0
	s_andn2_b64 vcc, exec, s[10:11]
	v_mov_b32_e32 v79, 0
	s_cbranch_vccnz .LBB35_20
; %bb.19:                               ;   in Loop: Header=BB35_16 Depth=1
	v_or_b32_e32 v74, s15, v82
	v_lshlrev_b64 v[0:1], 2, v[74:75]
	v_lshl_add_u64 v[2:3], v[68:69], 0, v[0:1]
	v_lshl_add_u64 v[0:1], s[20:21], 0, v[0:1]
	;; [unrolled: 1-line block ×3, first 2 shown]
	flat_load_dword v2, v[2:3]
	v_lshl_add_u64 v[0:1], v[72:73], 2, v[0:1]
	flat_load_dword v74, v[76:77]
	flat_load_dword v3, v[0:1]
	s_waitcnt vmcnt(0) lgkmcnt(0)
	v_mul_f32_e32 v76, s19, v74
	v_pk_mul_f32 v[78:79], s[18:19], v[2:3]
.LBB35_20:                              ;   in Loop: Header=BB35_16 Depth=1
	s_mov_b32 s23, 0
	s_mov_b64 s[10:11], -1
.LBB35_21:                              ;   Parent Loop BB35_16 Depth=1
                                        ; =>  This Inner Loop Header: Depth=2
	v_cndmask_b32_e64 v0, 0, 1, s[10:11]
	s_lshl_b32 s10, s23, 2
	v_cmp_ne_u32_e32 vcc, 1, v0
	v_add_u32_e32 v0, s10, v89
	ds_read2_b64 v[92:95], v0 offset1:16
	ds_read2_b64 v[96:99], v0 offset0:32 offset1:48
	ds_read2_b64 v[100:103], v0 offset0:64 offset1:80
	;; [unrolled: 1-line block ×3, first 2 shown]
	v_add_u32_e32 v0, s10, v90
	ds_read2st64_b64 v[108:111], v0 offset1:1
	ds_read2st64_b64 v[0:3], v0 offset0:2 offset1:3
	s_waitcnt lgkmcnt(5)
	v_max_f32_e32 v77, v92, v92
	v_max_f32_e32 v94, v94, v94
	;; [unrolled: 1-line block ×3, first 2 shown]
	s_waitcnt lgkmcnt(1)
	v_max_f32_e32 v74, v108, v108
	v_max_f32_e32 v91, v109, v109
	v_max_f32_e32 v108, v93, v93
	v_min_f32_e32 v92, v77, v74
	v_min_f32_e32 v93, v108, v91
	v_pk_add_f32 v[66:67], v[92:93], v[66:67]
	v_min_f32_e32 v92, v94, v74
	v_min_f32_e32 v93, v95, v91
	v_max_f32_e32 v96, v96, v96
	v_max_f32_e32 v97, v97, v97
	v_pk_add_f32 v[64:65], v[92:93], v[64:65]
	v_min_f32_e32 v92, v96, v74
	v_min_f32_e32 v93, v97, v91
	v_max_f32_e32 v98, v98, v98
	v_max_f32_e32 v99, v99, v99
	;; [unrolled: 5-line block ×5, first 2 shown]
	v_pk_add_f32 v[56:57], v[92:93], v[56:57]
	v_min_f32_e32 v92, v104, v74
	v_min_f32_e32 v93, v105, v91
	v_max_f32_e32 v106, v106, v106
	v_pk_add_f32 v[54:55], v[92:93], v[54:55]
	v_min_f32_e32 v92, v106, v74
	v_max_f32_e32 v74, v107, v107
	v_min_f32_e32 v93, v74, v91
	v_max_f32_e32 v91, v110, v110
	v_max_f32_e32 v107, v111, v111
	v_pk_add_f32 v[52:53], v[92:93], v[52:53]
	v_min_f32_e32 v92, v77, v91
	v_min_f32_e32 v93, v108, v107
	v_pk_add_f32 v[50:51], v[92:93], v[50:51]
	v_min_f32_e32 v92, v94, v91
	v_min_f32_e32 v93, v95, v107
	;; [unrolled: 3-line block ×8, first 2 shown]
	v_pk_add_f32 v[36:37], v[92:93], v[36:37]
	s_waitcnt lgkmcnt(0)
	v_max_f32_e32 v91, v0, v0
	v_max_f32_e32 v92, v1, v1
	v_min_f32_e32 v0, v77, v91
	v_min_f32_e32 v1, v108, v92
	v_pk_add_f32 v[34:35], v[0:1], v[34:35]
	v_min_f32_e32 v0, v94, v91
	v_min_f32_e32 v1, v95, v92
	v_pk_add_f32 v[32:33], v[0:1], v[32:33]
	;; [unrolled: 3-line block ×7, first 2 shown]
	v_min_f32_e32 v0, v106, v91
	v_min_f32_e32 v1, v74, v92
	v_max_f32_e32 v2, v2, v2
	v_max_f32_e32 v3, v3, v3
	v_pk_add_f32 v[20:21], v[0:1], v[20:21]
	v_min_f32_e32 v0, v77, v2
	v_min_f32_e32 v1, v108, v3
	v_pk_add_f32 v[18:19], v[0:1], v[18:19]
	v_min_f32_e32 v0, v94, v2
	v_min_f32_e32 v1, v95, v3
	;; [unrolled: 3-line block ×8, first 2 shown]
	v_pk_add_f32 v[4:5], v[0:1], v[4:5]
	s_mov_b64 s[10:11], 0
	s_mov_b32 s23, 2
	s_cbranch_vccz .LBB35_21
; %bb.22:                               ;   in Loop: Header=BB35_16 Depth=1
	s_mov_b64 s[10:11], -1
	s_mov_b64 vcc, s[4:5]
	ds_write_b32 v85, v78
	ds_write2st64_b32 v83, v76, v79 offset1:4
	s_waitcnt lgkmcnt(0)
	s_barrier
                                        ; implicit-def: $vgpr76_vgpr77
	s_cbranch_vccz .LBB35_24
; %bb.23:                               ;   in Loop: Header=BB35_16 Depth=1
	v_mov_b32_e32 v76, v75
	s_mov_b64 s[10:11], 0
.LBB35_24:                              ;   in Loop: Header=BB35_16 Depth=1
	v_mov_b32_e32 v78, 0
	s_andn2_b64 vcc, exec, s[10:11]
	v_mov_b32_e32 v79, 0
	s_cbranch_vccnz .LBB35_26
; %bb.25:                               ;   in Loop: Header=BB35_16 Depth=1
	v_or_b32_e32 v74, s15, v82
	v_lshlrev_b64 v[0:1], 2, v[74:75]
	v_lshl_add_u64 v[2:3], v[68:69], 0, v[0:1]
	v_lshl_add_u64 v[0:1], s[20:21], 0, v[0:1]
	;; [unrolled: 1-line block ×3, first 2 shown]
	flat_load_dword v2, v[2:3] offset:16
	v_lshl_add_u64 v[0:1], v[72:73], 2, v[0:1]
	flat_load_dword v74, v[76:77] offset:16
	flat_load_dword v3, v[0:1] offset:16
	s_waitcnt vmcnt(0) lgkmcnt(0)
	v_mul_f32_e32 v76, s19, v74
	v_pk_mul_f32 v[78:79], s[18:19], v[2:3]
.LBB35_26:                              ;   in Loop: Header=BB35_16 Depth=1
	s_mov_b32 s23, 0
	s_mov_b64 s[10:11], -1
.LBB35_27:                              ;   Parent Loop BB35_16 Depth=1
                                        ; =>  This Inner Loop Header: Depth=2
	v_cndmask_b32_e64 v0, 0, 1, s[10:11]
	s_lshl_b32 s10, s23, 2
	v_cmp_ne_u32_e32 vcc, 1, v0
	v_add_u32_e32 v0, s10, v84
	ds_read2_b64 v[92:95], v0 offset1:16
	ds_read2_b64 v[96:99], v0 offset0:32 offset1:48
	ds_read2_b64 v[100:103], v0 offset0:64 offset1:80
	ds_read2_b64 v[104:107], v0 offset0:96 offset1:112
	v_add_u32_e32 v0, s10, v86
	ds_read2st64_b64 v[108:111], v0 offset1:1
	ds_read2st64_b64 v[0:3], v0 offset0:2 offset1:3
	s_waitcnt lgkmcnt(5)
	v_max_f32_e32 v77, v92, v92
	v_max_f32_e32 v94, v94, v94
	v_max_f32_e32 v95, v95, v95
	s_waitcnt lgkmcnt(1)
	v_max_f32_e32 v74, v108, v108
	v_max_f32_e32 v91, v109, v109
	;; [unrolled: 1-line block ×3, first 2 shown]
	v_min_f32_e32 v92, v77, v74
	v_min_f32_e32 v93, v108, v91
	v_pk_add_f32 v[66:67], v[92:93], v[66:67]
	v_min_f32_e32 v92, v94, v74
	v_min_f32_e32 v93, v95, v91
	v_max_f32_e32 v96, v96, v96
	v_max_f32_e32 v97, v97, v97
	v_pk_add_f32 v[64:65], v[92:93], v[64:65]
	v_min_f32_e32 v92, v96, v74
	v_min_f32_e32 v93, v97, v91
	v_max_f32_e32 v98, v98, v98
	v_max_f32_e32 v99, v99, v99
	;; [unrolled: 5-line block ×5, first 2 shown]
	v_pk_add_f32 v[56:57], v[92:93], v[56:57]
	v_min_f32_e32 v92, v104, v74
	v_min_f32_e32 v93, v105, v91
	v_max_f32_e32 v106, v106, v106
	v_pk_add_f32 v[54:55], v[92:93], v[54:55]
	v_min_f32_e32 v92, v106, v74
	v_max_f32_e32 v74, v107, v107
	v_min_f32_e32 v93, v74, v91
	v_max_f32_e32 v91, v110, v110
	v_max_f32_e32 v107, v111, v111
	v_pk_add_f32 v[52:53], v[92:93], v[52:53]
	v_min_f32_e32 v92, v77, v91
	v_min_f32_e32 v93, v108, v107
	v_pk_add_f32 v[50:51], v[92:93], v[50:51]
	v_min_f32_e32 v92, v94, v91
	v_min_f32_e32 v93, v95, v107
	;; [unrolled: 3-line block ×8, first 2 shown]
	v_pk_add_f32 v[36:37], v[92:93], v[36:37]
	s_waitcnt lgkmcnt(0)
	v_max_f32_e32 v91, v0, v0
	v_max_f32_e32 v92, v1, v1
	v_min_f32_e32 v0, v77, v91
	v_min_f32_e32 v1, v108, v92
	v_pk_add_f32 v[34:35], v[0:1], v[34:35]
	v_min_f32_e32 v0, v94, v91
	v_min_f32_e32 v1, v95, v92
	v_pk_add_f32 v[32:33], v[0:1], v[32:33]
	;; [unrolled: 3-line block ×7, first 2 shown]
	v_min_f32_e32 v0, v106, v91
	v_min_f32_e32 v1, v74, v92
	v_max_f32_e32 v2, v2, v2
	v_max_f32_e32 v3, v3, v3
	v_pk_add_f32 v[20:21], v[0:1], v[20:21]
	v_min_f32_e32 v0, v77, v2
	v_min_f32_e32 v1, v108, v3
	v_pk_add_f32 v[18:19], v[0:1], v[18:19]
	v_min_f32_e32 v0, v94, v2
	v_min_f32_e32 v1, v95, v3
	v_pk_add_f32 v[16:17], v[0:1], v[16:17]
	v_min_f32_e32 v0, v96, v2
	v_min_f32_e32 v1, v97, v3
	v_pk_add_f32 v[14:15], v[0:1], v[14:15]
	v_min_f32_e32 v0, v98, v2
	v_min_f32_e32 v1, v99, v3
	v_pk_add_f32 v[12:13], v[0:1], v[12:13]
	v_min_f32_e32 v0, v100, v2
	v_min_f32_e32 v1, v101, v3
	v_pk_add_f32 v[10:11], v[0:1], v[10:11]
	v_min_f32_e32 v0, v102, v2
	v_min_f32_e32 v1, v103, v3
	v_pk_add_f32 v[8:9], v[0:1], v[8:9]
	v_min_f32_e32 v0, v104, v2
	v_min_f32_e32 v1, v105, v3
	v_pk_add_f32 v[6:7], v[0:1], v[6:7]
	v_min_f32_e32 v0, v106, v2
	v_min_f32_e32 v1, v74, v3
	v_pk_add_f32 v[4:5], v[0:1], v[4:5]
	s_mov_b64 s[10:11], 0
	s_mov_b32 s23, 2
	s_cbranch_vccz .LBB35_27
; %bb.28:                               ;   in Loop: Header=BB35_16 Depth=1
	s_add_i32 s15, s15, 8
	s_add_i32 s22, s22, 8
	s_cmp_ge_i32 s22, s14
	ds_write_b32 v87, v78
	ds_write2st64_b32 v88, v76, v79 offset1:4
	s_waitcnt lgkmcnt(0)
	s_barrier
	s_cbranch_scc0 .LBB35_16
.LBB35_29:
	v_mov_b32_e32 v0, 0x1400
	v_lshl_add_u32 v68, v80, 4, v0
	v_mov_b32_e32 v0, 0x800
	v_lshl_add_u32 v69, v81, 4, v0
	s_mov_b32 s10, 0
	s_mov_b64 s[4:5], -1
.LBB35_30:                              ; =>This Inner Loop Header: Depth=1
	v_cndmask_b32_e64 v0, 0, 1, s[4:5]
	s_lshl_b32 s4, s10, 2
	v_cmp_ne_u32_e32 vcc, 1, v0
	v_add_u32_e32 v0, s4, v68
	ds_read2_b64 v[70:73], v0 offset1:16
	ds_read2_b64 v[74:77], v0 offset0:32 offset1:48
	ds_read2_b64 v[82:85], v0 offset0:64 offset1:80
	;; [unrolled: 1-line block ×3, first 2 shown]
	v_add_u32_e32 v0, s4, v69
	ds_read2st64_b64 v[90:93], v0 offset1:1
	ds_read2st64_b64 v[0:3], v0 offset0:2 offset1:3
	s_waitcnt lgkmcnt(5)
	v_max_f32_e32 v79, v70, v70
	v_max_f32_e32 v72, v72, v72
	;; [unrolled: 1-line block ×3, first 2 shown]
	s_waitcnt lgkmcnt(1)
	v_max_f32_e32 v78, v90, v90
	v_max_f32_e32 v90, v91, v91
	;; [unrolled: 1-line block ×3, first 2 shown]
	v_min_f32_e32 v70, v79, v78
	v_min_f32_e32 v71, v91, v90
	v_pk_add_f32 v[66:67], v[70:71], v[66:67]
	v_min_f32_e32 v70, v72, v78
	v_min_f32_e32 v71, v73, v90
	v_max_f32_e32 v74, v74, v74
	v_max_f32_e32 v75, v75, v75
	v_pk_add_f32 v[64:65], v[70:71], v[64:65]
	v_min_f32_e32 v70, v74, v78
	v_min_f32_e32 v71, v75, v90
	v_max_f32_e32 v76, v76, v76
	v_max_f32_e32 v77, v77, v77
	v_pk_add_f32 v[62:63], v[70:71], v[62:63]
	v_min_f32_e32 v70, v76, v78
	v_min_f32_e32 v71, v77, v90
	v_max_f32_e32 v82, v82, v82
	v_max_f32_e32 v83, v83, v83
	v_pk_add_f32 v[60:61], v[70:71], v[60:61]
	v_min_f32_e32 v70, v82, v78
	v_min_f32_e32 v71, v83, v90
	v_max_f32_e32 v84, v84, v84
	v_max_f32_e32 v85, v85, v85
	v_pk_add_f32 v[58:59], v[70:71], v[58:59]
	v_min_f32_e32 v70, v84, v78
	v_min_f32_e32 v71, v85, v90
	v_max_f32_e32 v86, v86, v86
	v_max_f32_e32 v87, v87, v87
	v_pk_add_f32 v[56:57], v[70:71], v[56:57]
	v_min_f32_e32 v70, v86, v78
	v_min_f32_e32 v71, v87, v90
	v_max_f32_e32 v88, v88, v88
	v_pk_add_f32 v[54:55], v[70:71], v[54:55]
	v_min_f32_e32 v70, v88, v78
	v_max_f32_e32 v78, v89, v89
	v_min_f32_e32 v71, v78, v90
	v_max_f32_e32 v89, v92, v92
	v_max_f32_e32 v90, v93, v93
	v_pk_add_f32 v[52:53], v[70:71], v[52:53]
	v_min_f32_e32 v70, v79, v89
	v_min_f32_e32 v71, v91, v90
	v_pk_add_f32 v[50:51], v[70:71], v[50:51]
	v_min_f32_e32 v70, v72, v89
	v_min_f32_e32 v71, v73, v90
	;; [unrolled: 3-line block ×8, first 2 shown]
	v_pk_add_f32 v[36:37], v[70:71], v[36:37]
	s_waitcnt lgkmcnt(0)
	v_max_f32_e32 v70, v0, v0
	v_max_f32_e32 v71, v1, v1
	v_min_f32_e32 v0, v79, v70
	v_min_f32_e32 v1, v91, v71
	v_pk_add_f32 v[34:35], v[0:1], v[34:35]
	v_min_f32_e32 v0, v72, v70
	v_min_f32_e32 v1, v73, v71
	v_pk_add_f32 v[32:33], v[0:1], v[32:33]
	;; [unrolled: 3-line block ×7, first 2 shown]
	v_min_f32_e32 v0, v88, v70
	v_min_f32_e32 v1, v78, v71
	v_max_f32_e32 v2, v2, v2
	v_max_f32_e32 v3, v3, v3
	v_pk_add_f32 v[20:21], v[0:1], v[20:21]
	v_min_f32_e32 v0, v79, v2
	v_min_f32_e32 v1, v91, v3
	v_pk_add_f32 v[18:19], v[0:1], v[18:19]
	v_min_f32_e32 v0, v72, v2
	v_min_f32_e32 v1, v73, v3
	;; [unrolled: 3-line block ×8, first 2 shown]
	v_pk_add_f32 v[4:5], v[0:1], v[4:5]
	s_mov_b64 s[4:5], 0
	s_mov_b32 s10, 2
	s_cbranch_vccz .LBB35_30
; %bb.31:
	s_load_dword s10, s[0:1], 0x50
	v_add_u32_e32 v72, s13, v81
	v_add_u32_e32 v0, s12, v80
	v_ashrrev_i32_e32 v1, 31, v0
	v_mov_b32_e32 v73, 0
	s_waitcnt lgkmcnt(0)
	v_mad_i64_i32 v[2:3], s[4:5], v72, s10, 0
	v_lshl_add_u64 v[68:69], v[2:3], 2, s[16:17]
	v_cndmask_b32_e64 v2, 0, 1, s[6:7]
	v_cmp_ne_u32_e64 s[4:5], 1, v2
	s_andn2_b64 vcc, exec, s[6:7]
	v_mov_b32_e32 v74, 0
	s_cbranch_vccnz .LBB35_33
; %bb.32:
	v_lshl_add_u64 v[2:3], v[0:1], 2, v[68:69]
	flat_load_dword v2, v[2:3]
	s_waitcnt vmcnt(0) lgkmcnt(0)
	v_mul_f32_e32 v74, s28, v2
.LBB35_33:
	s_load_dwordx2 s[12:13], s[0:1], 0x70
	s_load_dword s6, s[0:1], 0x68
	v_add_u32_e32 v2, 8, v0
	v_add_f32_e32 v66, v66, v67
	v_ashrrev_i32_e32 v3, 31, v2
	s_waitcnt lgkmcnt(0)
	s_lshl_b64 s[0:1], s[12:13], 2
	s_add_u32 s0, s2, s0
	s_addc_u32 s1, s3, s1
	v_mad_i64_i32 v[70:71], s[2:3], v72, s6, 0
	v_lshl_add_u64 v[70:71], v[70:71], 2, s[0:1]
	v_add_f32_e32 v74, v66, v74
	v_lshl_add_u64 v[66:67], v[0:1], 2, v[70:71]
	s_and_b64 vcc, exec, s[4:5]
	flat_store_dword v[66:67], v74
	s_cbranch_vccnz .LBB35_35
; %bb.34:
	v_lshl_add_u64 v[66:67], v[2:3], 2, v[68:69]
	flat_load_dword v66, v[66:67]
	s_waitcnt vmcnt(0) lgkmcnt(0)
	v_mul_f32_e32 v73, s28, v66
.LBB35_35:
	v_add_f32_e32 v66, v64, v65
	v_add_u32_e32 v64, 16, v0
	v_add_f32_e32 v73, v66, v73
	v_lshl_add_u64 v[66:67], v[2:3], 2, v[70:71]
	v_ashrrev_i32_e32 v65, 31, v64
	flat_store_dword v[66:67], v73
	v_mov_b32_e32 v66, 0
	s_and_b64 vcc, exec, s[4:5]
	v_mov_b32_e32 v67, 0
	s_cbranch_vccnz .LBB35_37
; %bb.36:
	v_lshl_add_u64 v[74:75], v[64:65], 2, v[68:69]
	flat_load_dword v67, v[74:75]
	s_waitcnt vmcnt(0) lgkmcnt(0)
	v_mul_f32_e32 v67, s28, v67
.LBB35_37:
	v_add_f32_e32 v73, v62, v63
	v_add_u32_e32 v62, 24, v0
	v_ashrrev_i32_e32 v63, 31, v62
	v_add_f32_e32 v67, v73, v67
	v_lshl_add_u64 v[74:75], v[64:65], 2, v[70:71]
	s_and_b64 vcc, exec, s[4:5]
	flat_store_dword v[74:75], v67
	s_cbranch_vccnz .LBB35_39
; %bb.38:
	v_lshl_add_u64 v[66:67], v[62:63], 2, v[68:69]
	flat_load_dword v66, v[66:67]
	s_waitcnt vmcnt(0) lgkmcnt(0)
	v_mul_f32_e32 v66, s28, v66
.LBB35_39:
	v_add_f32_e32 v67, v60, v61
	v_add_u32_e32 v60, 32, v0
	v_add_f32_e32 v73, v67, v66
	v_lshl_add_u64 v[66:67], v[62:63], 2, v[70:71]
	v_ashrrev_i32_e32 v61, 31, v60
	flat_store_dword v[66:67], v73
	v_mov_b32_e32 v66, 0
	s_and_b64 vcc, exec, s[4:5]
	v_mov_b32_e32 v67, 0
	s_cbranch_vccnz .LBB35_41
; %bb.40:
	v_lshl_add_u64 v[74:75], v[60:61], 2, v[68:69]
	flat_load_dword v67, v[74:75]
	s_waitcnt vmcnt(0) lgkmcnt(0)
	v_mul_f32_e32 v67, s28, v67
.LBB35_41:
	v_add_f32_e32 v73, v58, v59
	v_add_u32_e32 v58, 40, v0
	v_ashrrev_i32_e32 v59, 31, v58
	;; [unrolled: 30-line block ×3, first 2 shown]
	v_add_f32_e32 v67, v73, v67
	v_lshl_add_u64 v[74:75], v[56:57], 2, v[70:71]
	s_and_b64 vcc, exec, s[4:5]
	flat_store_dword v[74:75], v67
	s_cbranch_vccnz .LBB35_47
; %bb.46:
	v_lshl_add_u64 v[66:67], v[54:55], 2, v[68:69]
	flat_load_dword v66, v[66:67]
	s_waitcnt vmcnt(0) lgkmcnt(0)
	v_mul_f32_e32 v66, s28, v66
.LBB35_47:
	v_add_f32_e32 v52, v52, v53
	v_add_f32_e32 v66, v52, v66
	v_lshl_add_u64 v[52:53], v[54:55], 2, v[70:71]
	flat_store_dword v[52:53], v66
	v_add_u32_e32 v66, 32, v72
	v_mad_i64_i32 v[52:53], s[2:3], v66, s10, 0
	v_lshl_add_u64 v[52:53], v[52:53], 2, s[16:17]
	v_mov_b32_e32 v68, 0
	s_and_b64 vcc, exec, s[4:5]
	v_mov_b32_e32 v69, 0
	s_cbranch_vccnz .LBB35_49
; %bb.48:
	v_lshl_add_u64 v[70:71], v[0:1], 2, v[52:53]
	flat_load_dword v67, v[70:71]
	s_waitcnt vmcnt(0) lgkmcnt(0)
	v_mul_f32_e32 v69, s28, v67
.LBB35_49:
	v_mad_i64_i32 v[66:67], s[2:3], v66, s6, 0
	v_lshl_add_u64 v[66:67], v[66:67], 2, s[0:1]
	v_add_f32_e32 v50, v50, v51
	v_add_f32_e32 v69, v50, v69
	v_lshl_add_u64 v[50:51], v[0:1], 2, v[66:67]
	s_and_b64 vcc, exec, s[4:5]
	flat_store_dword v[50:51], v69
	s_cbranch_vccnz .LBB35_51
; %bb.50:
	v_lshl_add_u64 v[50:51], v[2:3], 2, v[52:53]
	flat_load_dword v50, v[50:51]
	s_waitcnt vmcnt(0) lgkmcnt(0)
	v_mul_f32_e32 v68, s28, v50
.LBB35_51:
	v_add_f32_e32 v48, v48, v49
	v_add_f32_e32 v50, v48, v68
	v_lshl_add_u64 v[48:49], v[2:3], 2, v[66:67]
	flat_store_dword v[48:49], v50
	v_mov_b32_e32 v48, 0
	s_and_b64 vcc, exec, s[4:5]
	v_mov_b32_e32 v49, 0
	s_cbranch_vccnz .LBB35_53
; %bb.52:
	v_lshl_add_u64 v[50:51], v[64:65], 2, v[52:53]
	flat_load_dword v49, v[50:51]
	s_waitcnt vmcnt(0) lgkmcnt(0)
	v_mul_f32_e32 v49, s28, v49
.LBB35_53:
	v_add_f32_e32 v46, v46, v47
	v_add_f32_e32 v49, v46, v49
	v_lshl_add_u64 v[46:47], v[64:65], 2, v[66:67]
	s_and_b64 vcc, exec, s[4:5]
	flat_store_dword v[46:47], v49
	s_cbranch_vccnz .LBB35_55
; %bb.54:
	v_lshl_add_u64 v[46:47], v[62:63], 2, v[52:53]
	flat_load_dword v46, v[46:47]
	s_waitcnt vmcnt(0) lgkmcnt(0)
	v_mul_f32_e32 v48, s28, v46
.LBB35_55:
	v_add_f32_e32 v44, v44, v45
	v_add_f32_e32 v46, v44, v48
	v_lshl_add_u64 v[44:45], v[62:63], 2, v[66:67]
	flat_store_dword v[44:45], v46
	v_mov_b32_e32 v44, 0
	s_and_b64 vcc, exec, s[4:5]
	v_mov_b32_e32 v45, 0
	s_cbranch_vccnz .LBB35_57
; %bb.56:
	v_lshl_add_u64 v[46:47], v[60:61], 2, v[52:53]
	flat_load_dword v45, v[46:47]
	s_waitcnt vmcnt(0) lgkmcnt(0)
	v_mul_f32_e32 v45, s28, v45
.LBB35_57:
	;; [unrolled: 26-line block ×3, first 2 shown]
	v_add_f32_e32 v38, v38, v39
	v_add_f32_e32 v41, v38, v41
	v_lshl_add_u64 v[38:39], v[56:57], 2, v[66:67]
	s_and_b64 vcc, exec, s[4:5]
	flat_store_dword v[38:39], v41
	s_cbranch_vccnz .LBB35_63
; %bb.62:
	v_lshl_add_u64 v[38:39], v[54:55], 2, v[52:53]
	flat_load_dword v38, v[38:39]
	s_waitcnt vmcnt(0) lgkmcnt(0)
	v_mul_f32_e32 v40, s28, v38
.LBB35_63:
	v_add_f32_e32 v36, v36, v37
	v_add_f32_e32 v38, v36, v40
	v_lshl_add_u64 v[36:37], v[54:55], 2, v[66:67]
	flat_store_dword v[36:37], v38
	v_add_u32_e32 v38, 64, v72
	v_mad_i64_i32 v[36:37], s[2:3], v38, s10, 0
	v_lshl_add_u64 v[36:37], v[36:37], 2, s[16:17]
	v_mov_b32_e32 v40, 0
	s_and_b64 vcc, exec, s[4:5]
	v_mov_b32_e32 v41, 0
	s_cbranch_vccnz .LBB35_65
; %bb.64:
	v_lshl_add_u64 v[42:43], v[0:1], 2, v[36:37]
	flat_load_dword v39, v[42:43]
	s_waitcnt vmcnt(0) lgkmcnt(0)
	v_mul_f32_e32 v41, s28, v39
.LBB35_65:
	v_mad_i64_i32 v[38:39], s[2:3], v38, s6, 0
	v_lshl_add_u64 v[38:39], v[38:39], 2, s[0:1]
	v_add_f32_e32 v34, v34, v35
	v_add_f32_e32 v41, v34, v41
	v_lshl_add_u64 v[34:35], v[0:1], 2, v[38:39]
	s_and_b64 vcc, exec, s[4:5]
	flat_store_dword v[34:35], v41
	s_cbranch_vccnz .LBB35_67
; %bb.66:
	v_lshl_add_u64 v[34:35], v[2:3], 2, v[36:37]
	flat_load_dword v34, v[34:35]
	s_waitcnt vmcnt(0) lgkmcnt(0)
	v_mul_f32_e32 v40, s28, v34
.LBB35_67:
	v_add_f32_e32 v32, v32, v33
	v_add_f32_e32 v34, v32, v40
	v_lshl_add_u64 v[32:33], v[2:3], 2, v[38:39]
	flat_store_dword v[32:33], v34
	v_mov_b32_e32 v32, 0
	s_and_b64 vcc, exec, s[4:5]
	v_mov_b32_e32 v33, 0
	s_cbranch_vccnz .LBB35_69
; %bb.68:
	v_lshl_add_u64 v[34:35], v[64:65], 2, v[36:37]
	flat_load_dword v33, v[34:35]
	s_waitcnt vmcnt(0) lgkmcnt(0)
	v_mul_f32_e32 v33, s28, v33
.LBB35_69:
	v_add_f32_e32 v30, v30, v31
	v_add_f32_e32 v33, v30, v33
	v_lshl_add_u64 v[30:31], v[64:65], 2, v[38:39]
	s_and_b64 vcc, exec, s[4:5]
	flat_store_dword v[30:31], v33
	s_cbranch_vccnz .LBB35_71
; %bb.70:
	v_lshl_add_u64 v[30:31], v[62:63], 2, v[36:37]
	flat_load_dword v30, v[30:31]
	s_waitcnt vmcnt(0) lgkmcnt(0)
	v_mul_f32_e32 v32, s28, v30
.LBB35_71:
	v_add_f32_e32 v28, v28, v29
	v_add_f32_e32 v30, v28, v32
	v_lshl_add_u64 v[28:29], v[62:63], 2, v[38:39]
	flat_store_dword v[28:29], v30
	v_mov_b32_e32 v28, 0
	s_and_b64 vcc, exec, s[4:5]
	v_mov_b32_e32 v29, 0
	s_cbranch_vccnz .LBB35_73
; %bb.72:
	v_lshl_add_u64 v[30:31], v[60:61], 2, v[36:37]
	flat_load_dword v29, v[30:31]
	s_waitcnt vmcnt(0) lgkmcnt(0)
	v_mul_f32_e32 v29, s28, v29
.LBB35_73:
	;; [unrolled: 26-line block ×3, first 2 shown]
	v_add_f32_e32 v22, v22, v23
	v_add_f32_e32 v25, v22, v25
	v_lshl_add_u64 v[22:23], v[56:57], 2, v[38:39]
	s_and_b64 vcc, exec, s[4:5]
	flat_store_dword v[22:23], v25
	s_cbranch_vccnz .LBB35_79
; %bb.78:
	v_lshl_add_u64 v[22:23], v[54:55], 2, v[36:37]
	flat_load_dword v22, v[22:23]
	s_waitcnt vmcnt(0) lgkmcnt(0)
	v_mul_f32_e32 v24, s28, v22
.LBB35_79:
	v_add_f32_e32 v20, v20, v21
	v_add_f32_e32 v22, v20, v24
	v_lshl_add_u64 v[20:21], v[54:55], 2, v[38:39]
	flat_store_dword v[20:21], v22
	v_add_u32_e32 v22, 0x60, v72
	v_mad_i64_i32 v[20:21], s[2:3], v22, s10, 0
	v_lshl_add_u64 v[20:21], v[20:21], 2, s[16:17]
	v_mov_b32_e32 v24, 0
	s_and_b64 vcc, exec, s[4:5]
	v_mov_b32_e32 v25, 0
	s_cbranch_vccnz .LBB35_81
; %bb.80:
	v_lshl_add_u64 v[26:27], v[0:1], 2, v[20:21]
	flat_load_dword v23, v[26:27]
	s_waitcnt vmcnt(0) lgkmcnt(0)
	v_mul_f32_e32 v25, s28, v23
.LBB35_81:
	v_mad_i64_i32 v[22:23], s[2:3], v22, s6, 0
	v_lshl_add_u64 v[22:23], v[22:23], 2, s[0:1]
	v_add_f32_e32 v18, v18, v19
	v_add_f32_e32 v18, v18, v25
	v_lshl_add_u64 v[0:1], v[0:1], 2, v[22:23]
	s_and_b64 vcc, exec, s[4:5]
	flat_store_dword v[0:1], v18
	s_cbranch_vccnz .LBB35_83
; %bb.82:
	v_lshl_add_u64 v[0:1], v[2:3], 2, v[20:21]
	flat_load_dword v0, v[0:1]
	s_waitcnt vmcnt(0) lgkmcnt(0)
	v_mul_f32_e32 v24, s28, v0
.LBB35_83:
	v_add_f32_e32 v0, v16, v17
	v_add_f32_e32 v16, v0, v24
	v_lshl_add_u64 v[0:1], v[2:3], 2, v[22:23]
	flat_store_dword v[0:1], v16
	v_mov_b32_e32 v0, 0
	s_and_b64 vcc, exec, s[4:5]
	v_mov_b32_e32 v1, 0
	s_cbranch_vccnz .LBB35_85
; %bb.84:
	v_lshl_add_u64 v[2:3], v[64:65], 2, v[20:21]
	flat_load_dword v1, v[2:3]
	s_waitcnt vmcnt(0) lgkmcnt(0)
	v_mul_f32_e32 v1, s28, v1
.LBB35_85:
	v_add_f32_e32 v2, v14, v15
	v_add_f32_e32 v1, v2, v1
	v_lshl_add_u64 v[2:3], v[64:65], 2, v[22:23]
	s_and_b64 vcc, exec, s[4:5]
	flat_store_dword v[2:3], v1
	s_cbranch_vccnz .LBB35_87
; %bb.86:
	v_lshl_add_u64 v[0:1], v[62:63], 2, v[20:21]
	flat_load_dword v0, v[0:1]
	s_waitcnt vmcnt(0) lgkmcnt(0)
	v_mul_f32_e32 v0, s28, v0
.LBB35_87:
	v_add_f32_e32 v1, v12, v13
	v_add_f32_e32 v2, v1, v0
	v_lshl_add_u64 v[0:1], v[62:63], 2, v[22:23]
	flat_store_dword v[0:1], v2
	v_mov_b32_e32 v0, 0
	s_and_b64 vcc, exec, s[4:5]
	v_mov_b32_e32 v1, 0
	s_cbranch_vccnz .LBB35_89
; %bb.88:
	v_lshl_add_u64 v[2:3], v[60:61], 2, v[20:21]
	flat_load_dword v1, v[2:3]
	s_waitcnt vmcnt(0) lgkmcnt(0)
	v_mul_f32_e32 v1, s28, v1
.LBB35_89:
	v_add_f32_e32 v2, v10, v11
	v_add_f32_e32 v1, v2, v1
	v_lshl_add_u64 v[2:3], v[60:61], 2, v[22:23]
	s_and_b64 vcc, exec, s[4:5]
	flat_store_dword v[2:3], v1
	s_cbranch_vccnz .LBB35_91
; %bb.90:
	v_lshl_add_u64 v[0:1], v[58:59], 2, v[20:21]
	flat_load_dword v0, v[0:1]
	s_waitcnt vmcnt(0) lgkmcnt(0)
	v_mul_f32_e32 v0, s28, v0
.LBB35_91:
	v_add_f32_e32 v1, v8, v9
	v_add_f32_e32 v2, v1, v0
	v_lshl_add_u64 v[0:1], v[58:59], 2, v[22:23]
	flat_store_dword v[0:1], v2
	v_add_f32_e32 v0, v6, v7
	s_mov_b64 s[0:1], -1
	s_mov_b64 vcc, s[8:9]
	s_cbranch_vccz .LBB35_93
; %bb.92:
	v_add_f32_e32 v1, 0, v0
	v_lshl_add_u64 v[2:3], v[56:57], 2, v[22:23]
	flat_store_dword v[2:3], v1
	s_mov_b64 s[0:1], 0
.LBB35_93:
	s_andn2_b64 vcc, exec, s[0:1]
	v_mov_b32_e32 v1, 0
	s_cbranch_vccnz .LBB35_95
; %bb.94:
	v_lshlrev_b64 v[2:3], 2, v[56:57]
	v_lshl_add_u64 v[6:7], v[20:21], 0, v[2:3]
	flat_load_dword v1, v[6:7]
	v_lshl_add_u64 v[2:3], v[22:23], 0, v[2:3]
	s_waitcnt vmcnt(0) lgkmcnt(0)
	v_fmac_f32_e32 v0, s28, v1
	flat_store_dword v[2:3], v0
	v_lshl_add_u64 v[0:1], v[54:55], 2, v[20:21]
	flat_load_dword v0, v[0:1]
	s_waitcnt vmcnt(0) lgkmcnt(0)
	v_mul_f32_e32 v1, s28, v0
.LBB35_95:
	v_add_f32_e32 v0, v4, v5
	v_add_f32_e32 v2, v0, v1
	v_lshl_add_u64 v[0:1], v[54:55], 2, v[22:23]
	flat_store_dword v[0:1], v2
	s_endpgm
	.section	.rodata,"a",@progbits
	.p2align	6, 0x0
	.amdhsa_kernel _ZN12_GLOBAL__N_120geam_min_plus_kernelIf15HIP_vector_typeIfLj2EES2_Li8ELi32ELi64ELi128ELi4ELi4ELi64ELi4ELi64ELc84ELc78ELb0ELb0ELb0EfKPKfKPfEEviiiT16_PT17_ilSA_ilS8_SA_ilPT18_ili26rocblas_geam_ex_operation_
		.amdhsa_group_segment_fixed_size 6144
		.amdhsa_private_segment_fixed_size 0
		.amdhsa_kernarg_size 128
		.amdhsa_user_sgpr_count 2
		.amdhsa_user_sgpr_dispatch_ptr 0
		.amdhsa_user_sgpr_queue_ptr 0
		.amdhsa_user_sgpr_kernarg_segment_ptr 1
		.amdhsa_user_sgpr_dispatch_id 0
		.amdhsa_user_sgpr_kernarg_preload_length 0
		.amdhsa_user_sgpr_kernarg_preload_offset 0
		.amdhsa_user_sgpr_private_segment_size 0
		.amdhsa_uses_dynamic_stack 0
		.amdhsa_enable_private_segment 0
		.amdhsa_system_sgpr_workgroup_id_x 1
		.amdhsa_system_sgpr_workgroup_id_y 0
		.amdhsa_system_sgpr_workgroup_id_z 1
		.amdhsa_system_sgpr_workgroup_info 0
		.amdhsa_system_vgpr_workitem_id 1
		.amdhsa_next_free_vgpr 112
		.amdhsa_next_free_sgpr 31
		.amdhsa_accum_offset 112
		.amdhsa_reserve_vcc 1
		.amdhsa_float_round_mode_32 0
		.amdhsa_float_round_mode_16_64 0
		.amdhsa_float_denorm_mode_32 3
		.amdhsa_float_denorm_mode_16_64 3
		.amdhsa_dx10_clamp 1
		.amdhsa_ieee_mode 1
		.amdhsa_fp16_overflow 0
		.amdhsa_tg_split 0
		.amdhsa_exception_fp_ieee_invalid_op 0
		.amdhsa_exception_fp_denorm_src 0
		.amdhsa_exception_fp_ieee_div_zero 0
		.amdhsa_exception_fp_ieee_overflow 0
		.amdhsa_exception_fp_ieee_underflow 0
		.amdhsa_exception_fp_ieee_inexact 0
		.amdhsa_exception_int_div_zero 0
	.end_amdhsa_kernel
	.section	.text._ZN12_GLOBAL__N_120geam_min_plus_kernelIf15HIP_vector_typeIfLj2EES2_Li8ELi32ELi64ELi128ELi4ELi4ELi64ELi4ELi64ELc84ELc78ELb0ELb0ELb0EfKPKfKPfEEviiiT16_PT17_ilSA_ilS8_SA_ilPT18_ili26rocblas_geam_ex_operation_,"axG",@progbits,_ZN12_GLOBAL__N_120geam_min_plus_kernelIf15HIP_vector_typeIfLj2EES2_Li8ELi32ELi64ELi128ELi4ELi4ELi64ELi4ELi64ELc84ELc78ELb0ELb0ELb0EfKPKfKPfEEviiiT16_PT17_ilSA_ilS8_SA_ilPT18_ili26rocblas_geam_ex_operation_,comdat
.Lfunc_end35:
	.size	_ZN12_GLOBAL__N_120geam_min_plus_kernelIf15HIP_vector_typeIfLj2EES2_Li8ELi32ELi64ELi128ELi4ELi4ELi64ELi4ELi64ELc84ELc78ELb0ELb0ELb0EfKPKfKPfEEviiiT16_PT17_ilSA_ilS8_SA_ilPT18_ili26rocblas_geam_ex_operation_, .Lfunc_end35-_ZN12_GLOBAL__N_120geam_min_plus_kernelIf15HIP_vector_typeIfLj2EES2_Li8ELi32ELi64ELi128ELi4ELi4ELi64ELi4ELi64ELc84ELc78ELb0ELb0ELb0EfKPKfKPfEEviiiT16_PT17_ilSA_ilS8_SA_ilPT18_ili26rocblas_geam_ex_operation_
                                        ; -- End function
	.set _ZN12_GLOBAL__N_120geam_min_plus_kernelIf15HIP_vector_typeIfLj2EES2_Li8ELi32ELi64ELi128ELi4ELi4ELi64ELi4ELi64ELc84ELc78ELb0ELb0ELb0EfKPKfKPfEEviiiT16_PT17_ilSA_ilS8_SA_ilPT18_ili26rocblas_geam_ex_operation_.num_vgpr, 112
	.set _ZN12_GLOBAL__N_120geam_min_plus_kernelIf15HIP_vector_typeIfLj2EES2_Li8ELi32ELi64ELi128ELi4ELi4ELi64ELi4ELi64ELc84ELc78ELb0ELb0ELb0EfKPKfKPfEEviiiT16_PT17_ilSA_ilS8_SA_ilPT18_ili26rocblas_geam_ex_operation_.num_agpr, 0
	.set _ZN12_GLOBAL__N_120geam_min_plus_kernelIf15HIP_vector_typeIfLj2EES2_Li8ELi32ELi64ELi128ELi4ELi4ELi64ELi4ELi64ELc84ELc78ELb0ELb0ELb0EfKPKfKPfEEviiiT16_PT17_ilSA_ilS8_SA_ilPT18_ili26rocblas_geam_ex_operation_.numbered_sgpr, 31
	.set _ZN12_GLOBAL__N_120geam_min_plus_kernelIf15HIP_vector_typeIfLj2EES2_Li8ELi32ELi64ELi128ELi4ELi4ELi64ELi4ELi64ELc84ELc78ELb0ELb0ELb0EfKPKfKPfEEviiiT16_PT17_ilSA_ilS8_SA_ilPT18_ili26rocblas_geam_ex_operation_.num_named_barrier, 0
	.set _ZN12_GLOBAL__N_120geam_min_plus_kernelIf15HIP_vector_typeIfLj2EES2_Li8ELi32ELi64ELi128ELi4ELi4ELi64ELi4ELi64ELc84ELc78ELb0ELb0ELb0EfKPKfKPfEEviiiT16_PT17_ilSA_ilS8_SA_ilPT18_ili26rocblas_geam_ex_operation_.private_seg_size, 0
	.set _ZN12_GLOBAL__N_120geam_min_plus_kernelIf15HIP_vector_typeIfLj2EES2_Li8ELi32ELi64ELi128ELi4ELi4ELi64ELi4ELi64ELc84ELc78ELb0ELb0ELb0EfKPKfKPfEEviiiT16_PT17_ilSA_ilS8_SA_ilPT18_ili26rocblas_geam_ex_operation_.uses_vcc, 1
	.set _ZN12_GLOBAL__N_120geam_min_plus_kernelIf15HIP_vector_typeIfLj2EES2_Li8ELi32ELi64ELi128ELi4ELi4ELi64ELi4ELi64ELc84ELc78ELb0ELb0ELb0EfKPKfKPfEEviiiT16_PT17_ilSA_ilS8_SA_ilPT18_ili26rocblas_geam_ex_operation_.uses_flat_scratch, 0
	.set _ZN12_GLOBAL__N_120geam_min_plus_kernelIf15HIP_vector_typeIfLj2EES2_Li8ELi32ELi64ELi128ELi4ELi4ELi64ELi4ELi64ELc84ELc78ELb0ELb0ELb0EfKPKfKPfEEviiiT16_PT17_ilSA_ilS8_SA_ilPT18_ili26rocblas_geam_ex_operation_.has_dyn_sized_stack, 0
	.set _ZN12_GLOBAL__N_120geam_min_plus_kernelIf15HIP_vector_typeIfLj2EES2_Li8ELi32ELi64ELi128ELi4ELi4ELi64ELi4ELi64ELc84ELc78ELb0ELb0ELb0EfKPKfKPfEEviiiT16_PT17_ilSA_ilS8_SA_ilPT18_ili26rocblas_geam_ex_operation_.has_recursion, 0
	.set _ZN12_GLOBAL__N_120geam_min_plus_kernelIf15HIP_vector_typeIfLj2EES2_Li8ELi32ELi64ELi128ELi4ELi4ELi64ELi4ELi64ELc84ELc78ELb0ELb0ELb0EfKPKfKPfEEviiiT16_PT17_ilSA_ilS8_SA_ilPT18_ili26rocblas_geam_ex_operation_.has_indirect_call, 0
	.section	.AMDGPU.csdata,"",@progbits
; Kernel info:
; codeLenInByte = 6668
; TotalNumSgprs: 37
; NumVgprs: 112
; NumAgprs: 0
; TotalNumVgprs: 112
; ScratchSize: 0
; MemoryBound: 0
; FloatMode: 240
; IeeeMode: 1
; LDSByteSize: 6144 bytes/workgroup (compile time only)
; SGPRBlocks: 4
; VGPRBlocks: 13
; NumSGPRsForWavesPerEU: 37
; NumVGPRsForWavesPerEU: 112
; AccumOffset: 112
; Occupancy: 4
; WaveLimiterHint : 1
; COMPUTE_PGM_RSRC2:SCRATCH_EN: 0
; COMPUTE_PGM_RSRC2:USER_SGPR: 2
; COMPUTE_PGM_RSRC2:TRAP_HANDLER: 0
; COMPUTE_PGM_RSRC2:TGID_X_EN: 1
; COMPUTE_PGM_RSRC2:TGID_Y_EN: 0
; COMPUTE_PGM_RSRC2:TGID_Z_EN: 1
; COMPUTE_PGM_RSRC2:TIDIG_COMP_CNT: 1
; COMPUTE_PGM_RSRC3_GFX90A:ACCUM_OFFSET: 27
; COMPUTE_PGM_RSRC3_GFX90A:TG_SPLIT: 0
	.section	.text._ZN12_GLOBAL__N_120geam_min_plus_kernelIf15HIP_vector_typeIfLj2EES2_Li8ELi32ELi64ELi128ELi4ELi4ELi64ELi4ELi64ELc84ELc78ELb0ELb1ELb0EPKfKS4_KPfEEviiiT16_PT17_ilSA_ilS8_SA_ilPT18_ili26rocblas_geam_ex_operation_,"axG",@progbits,_ZN12_GLOBAL__N_120geam_min_plus_kernelIf15HIP_vector_typeIfLj2EES2_Li8ELi32ELi64ELi128ELi4ELi4ELi64ELi4ELi64ELc84ELc78ELb0ELb1ELb0EPKfKS4_KPfEEviiiT16_PT17_ilSA_ilS8_SA_ilPT18_ili26rocblas_geam_ex_operation_,comdat
	.globl	_ZN12_GLOBAL__N_120geam_min_plus_kernelIf15HIP_vector_typeIfLj2EES2_Li8ELi32ELi64ELi128ELi4ELi4ELi64ELi4ELi64ELc84ELc78ELb0ELb1ELb0EPKfKS4_KPfEEviiiT16_PT17_ilSA_ilS8_SA_ilPT18_ili26rocblas_geam_ex_operation_ ; -- Begin function _ZN12_GLOBAL__N_120geam_min_plus_kernelIf15HIP_vector_typeIfLj2EES2_Li8ELi32ELi64ELi128ELi4ELi4ELi64ELi4ELi64ELc84ELc78ELb0ELb1ELb0EPKfKS4_KPfEEviiiT16_PT17_ilSA_ilS8_SA_ilPT18_ili26rocblas_geam_ex_operation_
	.p2align	8
	.type	_ZN12_GLOBAL__N_120geam_min_plus_kernelIf15HIP_vector_typeIfLj2EES2_Li8ELi32ELi64ELi128ELi4ELi4ELi64ELi4ELi64ELc84ELc78ELb0ELb1ELb0EPKfKS4_KPfEEviiiT16_PT17_ilSA_ilS8_SA_ilPT18_ili26rocblas_geam_ex_operation_,@function
_ZN12_GLOBAL__N_120geam_min_plus_kernelIf15HIP_vector_typeIfLj2EES2_Li8ELi32ELi64ELi128ELi4ELi4ELi64ELi4ELi64ELc84ELc78ELb0ELb1ELb0EPKfKS4_KPfEEviiiT16_PT17_ilSA_ilS8_SA_ilPT18_ili26rocblas_geam_ex_operation_: ; @_ZN12_GLOBAL__N_120geam_min_plus_kernelIf15HIP_vector_typeIfLj2EES2_Li8ELi32ELi64ELi128ELi4ELi4ELi64ELi4ELi64ELc84ELc78ELb0ELb1ELb0EPKfKS4_KPfEEviiiT16_PT17_ilSA_ilS8_SA_ilPT18_ili26rocblas_geam_ex_operation_
; %bb.0:
	s_load_dwordx4 s[12:15], s[0:1], 0x10
	s_load_dwordx4 s[8:11], s[0:1], 0x28
	;; [unrolled: 1-line block ×3, first 2 shown]
	s_mov_b32 s26, s3
	s_mov_b32 s27, 0
	s_lshl_b64 s[16:17], s[26:27], 2
	s_waitcnt lgkmcnt(0)
	s_add_u32 s12, s12, s16
	s_addc_u32 s13, s13, s17
	s_load_dword s29, s[12:13], 0x0
	s_load_dwordx2 s[20:21], s[0:1], 0x50
	s_add_u32 s6, s6, s16
	s_addc_u32 s7, s7, s17
	s_mov_b64 s[16:17], 0
	s_waitcnt lgkmcnt(0)
	v_cmp_eq_f32_e64 s[18:19], s29, 0
	v_cmp_neq_f32_e64 s[12:13], s29, 0
	s_and_b64 vcc, exec, s[18:19]
	s_mov_b64 s[18:19], 0
	s_cbranch_vccnz .LBB36_2
; %bb.1:
	s_lshl_b64 s[18:19], s[26:27], 3
	s_add_u32 s14, s14, s18
	s_addc_u32 s15, s15, s19
	s_load_dwordx2 s[14:15], s[14:15], 0x0
	s_lshl_b64 s[8:9], s[8:9], 2
	s_waitcnt lgkmcnt(0)
	s_add_u32 s18, s14, s8
	s_addc_u32 s19, s15, s9
.LBB36_2:
	s_load_dword s28, s[6:7], 0x0
	s_andn2_b64 vcc, exec, s[12:13]
	s_cbranch_vccnz .LBB36_4
; %bb.3:
	s_lshl_b64 s[6:7], s[26:27], 3
	s_add_u32 s6, s10, s6
	s_addc_u32 s7, s11, s7
	s_load_dwordx2 s[6:7], s[6:7], 0x0
	s_lshl_b64 s[4:5], s[4:5], 2
	s_waitcnt lgkmcnt(0)
	s_add_u32 s16, s6, s4
	s_addc_u32 s17, s7, s5
.LBB36_4:
	s_load_dwordx4 s[4:7], s[0:1], 0x60
	s_waitcnt lgkmcnt(0)
	v_cmp_eq_f32_e64 s[10:11], s28, 0
	v_cmp_neq_f32_e64 s[8:9], s28, 0
	s_and_b64 vcc, exec, s[10:11]
	s_cbranch_vccnz .LBB36_6
; %bb.5:
	s_lshl_b64 s[10:11], s[26:27], 3
	s_add_u32 s10, s20, s10
	s_addc_u32 s11, s21, s11
	s_load_dwordx2 s[10:11], s[10:11], 0x0
	s_lshl_b64 s[4:5], s[4:5], 2
	s_waitcnt lgkmcnt(0)
	s_add_u32 s24, s10, s4
	s_addc_u32 s25, s11, s5
	s_branch .LBB36_7
.LBB36_6:
	s_mov_b64 s[24:25], 0
.LBB36_7:
	s_load_dwordx4 s[20:23], s[0:1], 0x0
	s_load_dword s31, s[0:1], 0x20
	s_lshl_b64 s[4:5], s[26:27], 3
	s_add_u32 s14, s6, s4
	s_addc_u32 s15, s7, s5
	s_waitcnt lgkmcnt(0)
	s_add_i32 s3, s20, -1
	s_ashr_i32 s4, s3, 31
	s_lshr_b32 s4, s4, 26
	s_add_i32 s3, s3, s4
	s_ashr_i32 s3, s3, 6
	s_add_i32 s4, s3, 1
	v_cvt_f32_u32_e32 v1, s4
	s_not_b32 s3, s3
	v_and_b32_e32 v76, 0x3ff, v0
	v_bfe_u32 v77, v0, 10, 10
	v_rcp_iflag_f32_e32 v1, v1
	v_and_b32_e32 v78, 3, v0
	v_lshl_add_u32 v0, v77, 3, v76
	v_lshrrev_b32_e32 v70, 2, v0
	v_mul_f32_e32 v1, 0x4f7ffffe, v1
	v_cvt_u32_f32_e32 v1, v1
	v_cmp_gt_i32_e32 vcc, s22, v78
	v_mov_b32_e32 v2, 0
	v_lshlrev_b32_e32 v68, 2, v78
	v_readfirstlane_b32 s5, v1
	s_mul_i32 s3, s3, s5
	s_mul_hi_u32 s3, s5, s3
	s_add_i32 s5, s5, s3
	s_mul_hi_u32 s3, s2, s5
	s_mul_i32 s5, s3, s4
	s_sub_i32 s5, s2, s5
	s_add_i32 s6, s3, 1
	s_sub_i32 s7, s5, s4
	s_cmp_ge_u32 s5, s4
	s_cselect_b32 s3, s6, s3
	s_cselect_b32 s5, s7, s5
	s_add_i32 s6, s3, 1
	s_cmp_ge_u32 s5, s4
	s_cselect_b32 s6, s6, s3
	s_mul_i32 s3, s6, s4
	s_sub_i32 s2, s2, s3
	s_lshl_b32 s23, s2, 6
	v_add_u32_e32 v71, s23, v70
	v_cmp_gt_i32_e64 s[2:3], s20, v71
	s_and_b64 s[4:5], vcc, s[2:3]
	s_and_b64 s[10:11], s[12:13], s[4:5]
	v_mov_b32_e32 v3, 0
	s_and_saveexec_b64 s[4:5], s[10:11]
	s_cbranch_execz .LBB36_9
; %bb.8:
	v_mad_i64_i32 v[0:1], s[10:11], v71, s31, 0
	v_lshl_add_u64 v[0:1], v[0:1], 2, s[18:19]
	v_mov_b32_e32 v69, 0
	v_lshl_add_u64 v[0:1], v[0:1], 0, v[68:69]
	flat_load_dword v0, v[0:1]
	s_waitcnt vmcnt(0) lgkmcnt(0)
	v_mul_f32_e32 v3, s29, v0
.LBB36_9:
	s_or_b64 exec, exec, s[4:5]
	s_load_dword s33, s[0:1], 0x38
	s_lshl_b32 s26, s6, 7
	v_add_u32_e32 v72, s26, v70
	s_add_i32 s27, s22, -1
	v_min_i32_e32 v0, s27, v78
	v_cmp_le_i32_e64 s[4:5], s21, v72
	s_xor_b64 s[10:11], s[12:13], -1
	v_cmp_le_i32_e32 vcc, s22, v78
	v_ashrrev_i32_e32 v1, 31, v0
	s_or_b64 s[6:7], s[4:5], s[10:11]
	v_lshl_add_u64 v[0:1], v[0:1], 2, s[16:17]
	s_nor_b64 s[34:35], vcc, s[6:7]
	s_and_saveexec_b64 s[4:5], s[34:35]
	s_cbranch_execz .LBB36_11
; %bb.10:
	s_waitcnt lgkmcnt(0)
	v_mad_i64_i32 v[4:5], s[34:35], v72, s33, 0
	v_lshl_add_u64 v[4:5], v[4:5], 2, v[0:1]
	flat_load_dword v2, v[4:5]
	s_waitcnt vmcnt(0) lgkmcnt(0)
	v_mul_f32_e32 v2, s29, v2
.LBB36_11:
	s_or_b64 exec, exec, s[4:5]
	v_add_u32_e32 v73, 64, v72
	v_cmp_le_i32_e64 s[4:5], s21, v73
	s_or_b64 s[10:11], s[4:5], s[10:11]
	s_nor_b64 s[34:35], vcc, s[10:11]
	v_mov_b32_e32 v69, 0
	v_mov_b32_e32 v4, 0
	s_and_saveexec_b64 s[4:5], s[34:35]
	s_cbranch_execz .LBB36_13
; %bb.12:
	s_waitcnt lgkmcnt(0)
	v_mad_i64_i32 v[4:5], s[34:35], v73, s33, 0
	v_lshl_add_u64 v[0:1], v[4:5], 2, v[0:1]
	flat_load_dword v0, v[0:1]
	s_waitcnt vmcnt(0) lgkmcnt(0)
	v_mul_f32_e32 v4, s29, v0
.LBB36_13:
	s_or_b64 exec, exec, s[4:5]
	v_or_b32_e32 v0, 4, v78
	v_cmp_gt_i32_e32 vcc, s22, v0
	s_and_b64 s[4:5], vcc, s[2:3]
	s_and_b64 s[34:35], s[12:13], s[4:5]
	s_and_saveexec_b64 s[4:5], s[34:35]
	s_cbranch_execz .LBB36_15
; %bb.14:
	v_mad_i64_i32 v[6:7], s[34:35], v71, s31, 0
	v_lshl_add_u64 v[6:7], v[6:7], 2, s[18:19]
	v_mov_b32_e32 v69, 0
	v_lshl_add_u64 v[6:7], v[6:7], 0, v[68:69]
	flat_load_dword v1, v[6:7] offset:16
	s_waitcnt vmcnt(0) lgkmcnt(0)
	v_mul_f32_e32 v69, s29, v1
.LBB36_15:
	s_or_b64 exec, exec, s[4:5]
	v_cmp_le_i32_e32 vcc, s22, v0
	v_min_i32_e32 v0, s27, v0
	v_ashrrev_i32_e32 v1, 31, v0
	v_lshl_add_u64 v[0:1], v[0:1], 2, s[16:17]
	s_nor_b64 s[34:35], vcc, s[6:7]
	v_mov_b32_e32 v74, 0
	v_mov_b32_e32 v75, 0
	s_and_saveexec_b64 s[4:5], s[34:35]
	s_cbranch_execz .LBB36_17
; %bb.16:
	s_waitcnt lgkmcnt(0)
	v_mad_i64_i32 v[6:7], s[34:35], v72, s33, 0
	v_lshl_add_u64 v[6:7], v[6:7], 2, v[0:1]
	flat_load_dword v5, v[6:7]
	s_waitcnt vmcnt(0) lgkmcnt(0)
	v_mul_f32_e32 v75, s29, v5
.LBB36_17:
	s_or_b64 exec, exec, s[4:5]
	s_load_dwordx2 s[4:5], s[14:15], 0x0
	s_nor_b64 s[34:35], vcc, s[10:11]
	s_and_saveexec_b64 s[14:15], s[34:35]
	s_cbranch_execz .LBB36_19
; %bb.18:
	s_waitcnt lgkmcnt(0)
	v_mad_i64_i32 v[6:7], s[34:35], v73, s33, 0
	v_lshl_add_u64 v[0:1], v[6:7], 2, v[0:1]
	flat_load_dword v0, v[0:1]
	s_waitcnt vmcnt(0) lgkmcnt(0)
	v_mul_f32_e32 v74, s29, v0
.LBB36_19:
	s_or_b64 exec, exec, s[14:15]
	v_lshlrev_b32_e32 v0, 4, v70
	v_lshl_or_b32 v79, v78, 2, v0
	v_mov_b32_e32 v0, 0x1000
	v_mov_b32_e32 v66, 0
	ds_write_b32 v79, v3 offset:4096
	ds_write2st64_b32 v79, v2, v4 offset1:4
	v_lshl_add_u32 v80, v76, 4, v0
	s_mov_b32 s30, 0
	s_mov_b64 s[14:15], -1
	v_mov_b32_e32 v67, v66
	v_mov_b32_e32 v64, v66
	;; [unrolled: 1-line block ×63, first 2 shown]
	v_add_u32_e32 v81, 0x1000, v79
	v_lshlrev_b32_e32 v82, 4, v77
	s_waitcnt lgkmcnt(0)
	s_barrier
.LBB36_20:                              ; =>This Inner Loop Header: Depth=1
	v_cndmask_b32_e64 v0, 0, 1, s[14:15]
	s_lshl_b32 s14, s30, 2
	v_cmp_ne_u32_e32 vcc, 1, v0
	v_add_u32_e32 v0, s14, v80
	ds_read2_b64 v[84:87], v0 offset1:16
	ds_read2_b64 v[88:91], v0 offset0:32 offset1:48
	ds_read2_b64 v[92:95], v0 offset0:64 offset1:80
	;; [unrolled: 1-line block ×3, first 2 shown]
	v_add_u32_e32 v0, s14, v82
	ds_read2st64_b64 v[100:103], v0 offset1:1
	ds_read2st64_b64 v[0:3], v0 offset0:2 offset1:3
	s_waitcnt lgkmcnt(5)
	v_max_f32_e32 v104, v85, v85
	v_max_f32_e32 v86, v86, v86
	;; [unrolled: 1-line block ×3, first 2 shown]
	s_waitcnt lgkmcnt(1)
	v_max_f32_e32 v83, v100, v100
	v_max_f32_e32 v100, v84, v84
	;; [unrolled: 1-line block ×3, first 2 shown]
	v_min_f32_e32 v84, v100, v83
	v_min_f32_e32 v85, v104, v101
	v_pk_add_f32 v[66:67], v[66:67], v[84:85]
	v_min_f32_e32 v84, v86, v83
	v_min_f32_e32 v85, v87, v101
	v_max_f32_e32 v88, v88, v88
	v_max_f32_e32 v89, v89, v89
	v_pk_add_f32 v[64:65], v[64:65], v[84:85]
	v_min_f32_e32 v84, v88, v83
	v_min_f32_e32 v85, v89, v101
	v_max_f32_e32 v90, v90, v90
	v_max_f32_e32 v91, v91, v91
	;; [unrolled: 5-line block ×5, first 2 shown]
	v_pk_add_f32 v[56:57], v[56:57], v[84:85]
	v_min_f32_e32 v84, v96, v83
	v_min_f32_e32 v85, v97, v101
	v_max_f32_e32 v98, v98, v98
	v_pk_add_f32 v[54:55], v[54:55], v[84:85]
	v_min_f32_e32 v84, v98, v83
	v_max_f32_e32 v83, v99, v99
	v_min_f32_e32 v85, v83, v101
	v_max_f32_e32 v99, v102, v102
	v_max_f32_e32 v101, v103, v103
	v_pk_add_f32 v[52:53], v[52:53], v[84:85]
	v_min_f32_e32 v84, v100, v99
	v_min_f32_e32 v85, v104, v101
	v_pk_add_f32 v[50:51], v[50:51], v[84:85]
	v_min_f32_e32 v84, v86, v99
	v_min_f32_e32 v85, v87, v101
	;; [unrolled: 3-line block ×8, first 2 shown]
	v_pk_add_f32 v[36:37], v[36:37], v[84:85]
	s_waitcnt lgkmcnt(0)
	v_max_f32_e32 v84, v0, v0
	v_max_f32_e32 v85, v1, v1
	v_min_f32_e32 v0, v100, v84
	v_min_f32_e32 v1, v104, v85
	v_pk_add_f32 v[34:35], v[34:35], v[0:1]
	v_min_f32_e32 v0, v86, v84
	v_min_f32_e32 v1, v87, v85
	v_pk_add_f32 v[32:33], v[32:33], v[0:1]
	;; [unrolled: 3-line block ×7, first 2 shown]
	v_min_f32_e32 v0, v98, v84
	v_min_f32_e32 v1, v83, v85
	v_max_f32_e32 v2, v2, v2
	v_max_f32_e32 v3, v3, v3
	v_pk_add_f32 v[20:21], v[20:21], v[0:1]
	v_min_f32_e32 v0, v100, v2
	v_min_f32_e32 v1, v104, v3
	v_pk_add_f32 v[18:19], v[18:19], v[0:1]
	v_min_f32_e32 v0, v86, v2
	v_min_f32_e32 v1, v87, v3
	;; [unrolled: 3-line block ×8, first 2 shown]
	v_pk_add_f32 v[4:5], v[4:5], v[0:1]
	s_mov_b64 s[14:15], 0
	s_mov_b32 s30, 2
	s_cbranch_vccz .LBB36_20
; %bb.21:
	v_lshl_or_b32 v0, v70, 4, v68
	s_cmp_lt_i32 s22, 9
	ds_write_b32 v0, v69 offset:5120
	ds_write2st64_b32 v0, v75, v74 offset0:8 offset1:12
	s_waitcnt lgkmcnt(0)
	s_barrier
	s_cbranch_scc1 .LBB36_40
; %bb.22:
	v_add_u32_e32 v83, 0x1400, v0
	v_add_u32_e32 v84, 0x800, v0
	v_mad_i64_i32 v[0:1], s[14:15], v71, s31, 0
	v_lshl_add_u64 v[68:69], v[0:1], 2, s[18:19]
	v_mov_b32_e32 v0, 0x1400
	v_lshl_add_u32 v85, v76, 4, v0
	v_mov_b32_e32 v0, 0x800
	s_add_i32 s30, s22, -8
	v_mad_i64_i32 v[70:71], s[14:15], v72, s33, 0
	v_mad_i64_i32 v[72:73], s[14:15], v73, s33, 0
	v_lshl_add_u32 v86, v77, 4, v0
	s_mov_b32 s18, 8
	s_mov_b32 s19, 0
	v_mov_b32_e32 v75, 0
.LBB36_23:                              ; =>This Loop Header: Depth=1
                                        ;     Child Loop BB36_30 Depth 2
                                        ;     Child Loop BB36_38 Depth 2
	v_or_b32_e32 v74, s18, v78
	v_cmp_gt_i32_e32 vcc, s22, v74
	s_and_b64 s[14:15], vcc, s[2:3]
	s_and_b64 s[34:35], s[12:13], s[14:15]
	v_mov_b32_e32 v87, 0
	s_and_saveexec_b64 s[14:15], s[34:35]
	s_cbranch_execz .LBB36_25
; %bb.24:                               ;   in Loop: Header=BB36_23 Depth=1
	v_lshl_add_u64 v[0:1], v[74:75], 2, v[68:69]
	flat_load_dword v0, v[0:1]
	s_waitcnt vmcnt(0) lgkmcnt(0)
	v_mul_f32_e32 v87, s29, v0
.LBB36_25:                              ;   in Loop: Header=BB36_23 Depth=1
	s_or_b64 exec, exec, s[14:15]
	v_min_i32_e32 v0, s27, v74
	v_cmp_le_i32_e32 vcc, s22, v74
	v_ashrrev_i32_e32 v1, 31, v0
	v_lshl_add_u64 v[0:1], v[0:1], 2, s[16:17]
	s_nor_b64 s[34:35], s[6:7], vcc
	v_mov_b32_e32 v88, 0
	v_mov_b32_e32 v89, 0
	s_and_saveexec_b64 s[14:15], s[34:35]
	s_cbranch_execz .LBB36_27
; %bb.26:                               ;   in Loop: Header=BB36_23 Depth=1
	v_lshl_add_u64 v[2:3], v[70:71], 2, v[0:1]
	flat_load_dword v2, v[2:3]
	s_waitcnt vmcnt(0) lgkmcnt(0)
	v_mul_f32_e32 v89, s29, v2
.LBB36_27:                              ;   in Loop: Header=BB36_23 Depth=1
	s_or_b64 exec, exec, s[14:15]
	s_nor_b64 s[34:35], s[10:11], vcc
	s_and_saveexec_b64 s[14:15], s[34:35]
	s_cbranch_execz .LBB36_29
; %bb.28:                               ;   in Loop: Header=BB36_23 Depth=1
	v_lshl_add_u64 v[0:1], v[72:73], 2, v[0:1]
	flat_load_dword v0, v[0:1]
	s_waitcnt vmcnt(0) lgkmcnt(0)
	v_mul_f32_e32 v88, s29, v0
.LBB36_29:                              ;   in Loop: Header=BB36_23 Depth=1
	s_or_b64 exec, exec, s[14:15]
	s_mov_b32 s31, 0
	s_mov_b64 s[14:15], -1
.LBB36_30:                              ;   Parent Loop BB36_23 Depth=1
                                        ; =>  This Inner Loop Header: Depth=2
	v_cndmask_b32_e64 v0, 0, 1, s[14:15]
	s_lshl_b32 s14, s31, 2
	v_cmp_ne_u32_e32 vcc, 1, v0
	v_add_u32_e32 v0, s14, v85
	ds_read2_b64 v[90:93], v0 offset1:16
	ds_read2_b64 v[94:97], v0 offset0:32 offset1:48
	ds_read2_b64 v[98:101], v0 offset0:64 offset1:80
	;; [unrolled: 1-line block ×3, first 2 shown]
	v_add_u32_e32 v0, s14, v86
	ds_read2st64_b64 v[106:109], v0 offset1:1
	ds_read2st64_b64 v[0:3], v0 offset0:2 offset1:3
	s_waitcnt lgkmcnt(5)
	v_max_f32_e32 v110, v90, v90
	v_max_f32_e32 v111, v91, v91
	;; [unrolled: 1-line block ×3, first 2 shown]
	s_waitcnt lgkmcnt(1)
	v_max_f32_e32 v106, v106, v106
	v_max_f32_e32 v107, v107, v107
	v_min_f32_e32 v90, v110, v106
	v_min_f32_e32 v91, v111, v107
	v_max_f32_e32 v93, v93, v93
	v_pk_add_f32 v[66:67], v[66:67], v[90:91]
	v_min_f32_e32 v90, v92, v106
	v_min_f32_e32 v91, v93, v107
	v_max_f32_e32 v94, v94, v94
	v_max_f32_e32 v95, v95, v95
	v_pk_add_f32 v[64:65], v[64:65], v[90:91]
	v_min_f32_e32 v90, v94, v106
	v_min_f32_e32 v91, v95, v107
	v_max_f32_e32 v96, v96, v96
	;; [unrolled: 5-line block ×7, first 2 shown]
	v_max_f32_e32 v107, v109, v109
	v_pk_add_f32 v[52:53], v[52:53], v[90:91]
	v_min_f32_e32 v90, v110, v106
	v_min_f32_e32 v91, v111, v107
	v_pk_add_f32 v[50:51], v[50:51], v[90:91]
	v_min_f32_e32 v90, v92, v106
	v_min_f32_e32 v91, v93, v107
	;; [unrolled: 3-line block ×8, first 2 shown]
	v_pk_add_f32 v[36:37], v[36:37], v[90:91]
	s_waitcnt lgkmcnt(0)
	v_max_f32_e32 v90, v0, v0
	v_max_f32_e32 v91, v1, v1
	v_min_f32_e32 v0, v110, v90
	v_min_f32_e32 v1, v111, v91
	v_pk_add_f32 v[34:35], v[34:35], v[0:1]
	v_min_f32_e32 v0, v92, v90
	v_min_f32_e32 v1, v93, v91
	v_pk_add_f32 v[32:33], v[32:33], v[0:1]
	v_min_f32_e32 v0, v94, v90
	v_min_f32_e32 v1, v95, v91
	v_pk_add_f32 v[30:31], v[30:31], v[0:1]
	v_min_f32_e32 v0, v96, v90
	v_min_f32_e32 v1, v97, v91
	v_pk_add_f32 v[28:29], v[28:29], v[0:1]
	v_min_f32_e32 v0, v98, v90
	v_min_f32_e32 v1, v99, v91
	v_pk_add_f32 v[26:27], v[26:27], v[0:1]
	v_min_f32_e32 v0, v100, v90
	v_min_f32_e32 v1, v101, v91
	v_pk_add_f32 v[24:25], v[24:25], v[0:1]
	v_min_f32_e32 v0, v102, v90
	v_min_f32_e32 v1, v103, v91
	v_pk_add_f32 v[22:23], v[22:23], v[0:1]
	v_min_f32_e32 v0, v104, v90
	v_min_f32_e32 v1, v105, v91
	v_max_f32_e32 v2, v2, v2
	v_max_f32_e32 v3, v3, v3
	v_pk_add_f32 v[20:21], v[20:21], v[0:1]
	v_min_f32_e32 v0, v110, v2
	v_min_f32_e32 v1, v111, v3
	v_pk_add_f32 v[18:19], v[18:19], v[0:1]
	v_min_f32_e32 v0, v92, v2
	v_min_f32_e32 v1, v93, v3
	;; [unrolled: 3-line block ×8, first 2 shown]
	v_pk_add_f32 v[4:5], v[4:5], v[0:1]
	s_mov_b64 s[14:15], 0
	s_mov_b32 s31, 2
	s_cbranch_vccz .LBB36_30
; %bb.31:                               ;   in Loop: Header=BB36_23 Depth=1
	v_or_b32_e32 v0, 4, v74
	v_cmp_gt_i32_e32 vcc, s22, v0
	s_and_b64 s[14:15], vcc, s[2:3]
	ds_write_b32 v81, v87
	ds_write2st64_b32 v79, v89, v88 offset1:4
	s_and_b64 s[34:35], s[12:13], s[14:15]
	v_mov_b32_e32 v87, 0
	v_mov_b32_e32 v88, 0
	s_waitcnt lgkmcnt(0)
	s_barrier
	s_and_saveexec_b64 s[14:15], s[34:35]
	s_cbranch_execz .LBB36_33
; %bb.32:                               ;   in Loop: Header=BB36_23 Depth=1
	v_lshl_add_u64 v[2:3], v[74:75], 2, v[68:69]
	flat_load_dword v1, v[2:3] offset:16
	s_waitcnt vmcnt(0) lgkmcnt(0)
	v_mul_f32_e32 v88, s29, v1
.LBB36_33:                              ;   in Loop: Header=BB36_23 Depth=1
	s_or_b64 exec, exec, s[14:15]
	v_cmp_le_i32_e32 vcc, s22, v0
	v_min_i32_e32 v0, s27, v0
	v_ashrrev_i32_e32 v1, 31, v0
	v_lshl_add_u64 v[0:1], v[0:1], 2, s[16:17]
	s_nor_b64 s[34:35], s[6:7], vcc
	s_and_saveexec_b64 s[14:15], s[34:35]
	s_cbranch_execz .LBB36_35
; %bb.34:                               ;   in Loop: Header=BB36_23 Depth=1
	v_lshl_add_u64 v[2:3], v[70:71], 2, v[0:1]
	flat_load_dword v2, v[2:3]
	s_waitcnt vmcnt(0) lgkmcnt(0)
	v_mul_f32_e32 v87, s29, v2
.LBB36_35:                              ;   in Loop: Header=BB36_23 Depth=1
	s_or_b64 exec, exec, s[14:15]
	s_nor_b64 s[34:35], s[10:11], vcc
	v_mov_b32_e32 v74, 0
	s_and_saveexec_b64 s[14:15], s[34:35]
	s_cbranch_execz .LBB36_37
; %bb.36:                               ;   in Loop: Header=BB36_23 Depth=1
	v_lshl_add_u64 v[0:1], v[72:73], 2, v[0:1]
	flat_load_dword v0, v[0:1]
	s_waitcnt vmcnt(0) lgkmcnt(0)
	v_mul_f32_e32 v74, s29, v0
.LBB36_37:                              ;   in Loop: Header=BB36_23 Depth=1
	s_or_b64 exec, exec, s[14:15]
	s_mov_b32 s31, 0
	s_mov_b64 s[14:15], -1
.LBB36_38:                              ;   Parent Loop BB36_23 Depth=1
                                        ; =>  This Inner Loop Header: Depth=2
	v_cndmask_b32_e64 v0, 0, 1, s[14:15]
	s_lshl_b32 s14, s31, 2
	v_cmp_ne_u32_e32 vcc, 1, v0
	v_add_u32_e32 v0, s14, v80
	ds_read2_b64 v[90:93], v0 offset1:16
	ds_read2_b64 v[94:97], v0 offset0:32 offset1:48
	ds_read2_b64 v[98:101], v0 offset0:64 offset1:80
	;; [unrolled: 1-line block ×3, first 2 shown]
	v_add_u32_e32 v0, s14, v82
	ds_read2st64_b64 v[106:109], v0 offset1:1
	ds_read2st64_b64 v[0:3], v0 offset0:2 offset1:3
	s_waitcnt lgkmcnt(5)
	v_max_f32_e32 v110, v91, v91
	v_max_f32_e32 v92, v92, v92
	;; [unrolled: 1-line block ×3, first 2 shown]
	s_waitcnt lgkmcnt(1)
	v_max_f32_e32 v89, v106, v106
	v_max_f32_e32 v106, v90, v90
	;; [unrolled: 1-line block ×3, first 2 shown]
	v_min_f32_e32 v90, v106, v89
	v_min_f32_e32 v91, v110, v107
	v_pk_add_f32 v[66:67], v[66:67], v[90:91]
	v_min_f32_e32 v90, v92, v89
	v_min_f32_e32 v91, v93, v107
	v_max_f32_e32 v94, v94, v94
	v_max_f32_e32 v95, v95, v95
	v_pk_add_f32 v[64:65], v[64:65], v[90:91]
	v_min_f32_e32 v90, v94, v89
	v_min_f32_e32 v91, v95, v107
	v_max_f32_e32 v96, v96, v96
	v_max_f32_e32 v97, v97, v97
	;; [unrolled: 5-line block ×5, first 2 shown]
	v_pk_add_f32 v[56:57], v[56:57], v[90:91]
	v_min_f32_e32 v90, v102, v89
	v_min_f32_e32 v91, v103, v107
	v_max_f32_e32 v104, v104, v104
	v_pk_add_f32 v[54:55], v[54:55], v[90:91]
	v_min_f32_e32 v90, v104, v89
	v_max_f32_e32 v89, v105, v105
	v_min_f32_e32 v91, v89, v107
	v_max_f32_e32 v105, v108, v108
	v_max_f32_e32 v107, v109, v109
	v_pk_add_f32 v[52:53], v[52:53], v[90:91]
	v_min_f32_e32 v90, v106, v105
	v_min_f32_e32 v91, v110, v107
	v_pk_add_f32 v[50:51], v[50:51], v[90:91]
	v_min_f32_e32 v90, v92, v105
	v_min_f32_e32 v91, v93, v107
	;; [unrolled: 3-line block ×8, first 2 shown]
	v_pk_add_f32 v[36:37], v[36:37], v[90:91]
	s_waitcnt lgkmcnt(0)
	v_max_f32_e32 v90, v0, v0
	v_max_f32_e32 v91, v1, v1
	v_min_f32_e32 v0, v106, v90
	v_min_f32_e32 v1, v110, v91
	v_pk_add_f32 v[34:35], v[34:35], v[0:1]
	v_min_f32_e32 v0, v92, v90
	v_min_f32_e32 v1, v93, v91
	v_pk_add_f32 v[32:33], v[32:33], v[0:1]
	;; [unrolled: 3-line block ×7, first 2 shown]
	v_min_f32_e32 v0, v104, v90
	v_min_f32_e32 v1, v89, v91
	v_max_f32_e32 v2, v2, v2
	v_max_f32_e32 v3, v3, v3
	v_pk_add_f32 v[20:21], v[20:21], v[0:1]
	v_min_f32_e32 v0, v106, v2
	v_min_f32_e32 v1, v110, v3
	v_pk_add_f32 v[18:19], v[18:19], v[0:1]
	v_min_f32_e32 v0, v92, v2
	v_min_f32_e32 v1, v93, v3
	;; [unrolled: 3-line block ×8, first 2 shown]
	v_pk_add_f32 v[4:5], v[4:5], v[0:1]
	s_mov_b64 s[14:15], 0
	s_mov_b32 s31, 2
	s_cbranch_vccz .LBB36_38
; %bb.39:                               ;   in Loop: Header=BB36_23 Depth=1
	s_add_i32 s18, s18, 8
	s_add_i32 s19, s19, 8
	s_cmp_ge_i32 s19, s30
	ds_write_b32 v83, v88
	ds_write2st64_b32 v84, v87, v74 offset1:4
	s_waitcnt lgkmcnt(0)
	s_barrier
	s_cbranch_scc0 .LBB36_23
.LBB36_40:
	v_mov_b32_e32 v0, 0x1400
	v_lshl_add_u32 v68, v76, 4, v0
	v_mov_b32_e32 v0, 0x800
	v_lshl_add_u32 v69, v77, 4, v0
	s_mov_b32 s6, 0
	s_mov_b64 s[2:3], -1
.LBB36_41:                              ; =>This Inner Loop Header: Depth=1
	v_cndmask_b32_e64 v0, 0, 1, s[2:3]
	s_lshl_b32 s2, s6, 2
	v_cmp_ne_u32_e32 vcc, 1, v0
	v_add_u32_e32 v0, s2, v68
	ds_read2_b64 v[70:73], v0 offset1:16
	ds_read2_b64 v[78:81], v0 offset0:32 offset1:48
	ds_read2_b64 v[82:85], v0 offset0:64 offset1:80
	;; [unrolled: 1-line block ×3, first 2 shown]
	v_add_u32_e32 v0, s2, v69
	ds_read2st64_b64 v[90:93], v0 offset1:1
	ds_read2st64_b64 v[0:3], v0 offset0:2 offset1:3
	s_waitcnt lgkmcnt(5)
	v_max_f32_e32 v75, v70, v70
	v_max_f32_e32 v72, v72, v72
	;; [unrolled: 1-line block ×3, first 2 shown]
	s_waitcnt lgkmcnt(1)
	v_max_f32_e32 v74, v90, v90
	v_max_f32_e32 v90, v91, v91
	;; [unrolled: 1-line block ×3, first 2 shown]
	v_min_f32_e32 v70, v75, v74
	v_min_f32_e32 v71, v91, v90
	v_pk_add_f32 v[66:67], v[66:67], v[70:71]
	v_min_f32_e32 v70, v72, v74
	v_min_f32_e32 v71, v73, v90
	v_max_f32_e32 v78, v78, v78
	v_max_f32_e32 v79, v79, v79
	v_pk_add_f32 v[64:65], v[64:65], v[70:71]
	v_min_f32_e32 v70, v78, v74
	v_min_f32_e32 v71, v79, v90
	v_max_f32_e32 v80, v80, v80
	v_max_f32_e32 v81, v81, v81
	;; [unrolled: 5-line block ×5, first 2 shown]
	v_pk_add_f32 v[56:57], v[56:57], v[70:71]
	v_min_f32_e32 v70, v86, v74
	v_min_f32_e32 v71, v87, v90
	v_max_f32_e32 v88, v88, v88
	v_pk_add_f32 v[54:55], v[54:55], v[70:71]
	v_min_f32_e32 v70, v88, v74
	v_max_f32_e32 v74, v89, v89
	v_min_f32_e32 v71, v74, v90
	v_max_f32_e32 v89, v92, v92
	v_max_f32_e32 v90, v93, v93
	v_pk_add_f32 v[52:53], v[52:53], v[70:71]
	v_min_f32_e32 v70, v75, v89
	v_min_f32_e32 v71, v91, v90
	v_pk_add_f32 v[50:51], v[50:51], v[70:71]
	v_min_f32_e32 v70, v72, v89
	v_min_f32_e32 v71, v73, v90
	;; [unrolled: 3-line block ×8, first 2 shown]
	v_pk_add_f32 v[36:37], v[36:37], v[70:71]
	s_waitcnt lgkmcnt(0)
	v_max_f32_e32 v70, v0, v0
	v_max_f32_e32 v71, v1, v1
	v_min_f32_e32 v0, v75, v70
	v_min_f32_e32 v1, v91, v71
	v_pk_add_f32 v[34:35], v[34:35], v[0:1]
	v_min_f32_e32 v0, v72, v70
	v_min_f32_e32 v1, v73, v71
	v_pk_add_f32 v[32:33], v[32:33], v[0:1]
	;; [unrolled: 3-line block ×7, first 2 shown]
	v_min_f32_e32 v0, v88, v70
	v_min_f32_e32 v1, v74, v71
	v_max_f32_e32 v2, v2, v2
	v_max_f32_e32 v3, v3, v3
	v_pk_add_f32 v[20:21], v[20:21], v[0:1]
	v_min_f32_e32 v0, v75, v2
	v_min_f32_e32 v1, v91, v3
	v_pk_add_f32 v[18:19], v[18:19], v[0:1]
	v_min_f32_e32 v0, v72, v2
	v_min_f32_e32 v1, v73, v3
	;; [unrolled: 3-line block ×8, first 2 shown]
	v_pk_add_f32 v[4:5], v[4:5], v[0:1]
	s_mov_b64 s[2:3], 0
	s_mov_b32 s6, 2
	s_cbranch_vccz .LBB36_41
; %bb.42:
	s_load_dwordx2 s[2:3], s[0:1], 0x78
	s_load_dword s30, s[0:1], 0x58
	s_load_dword s29, s[0:1], 0x70
	v_add_u32_e32 v72, s26, v77
	v_add_u32_e32 v0, s23, v76
	s_waitcnt lgkmcnt(0)
	s_lshl_b64 s[0:1], s[2:3], 2
	s_add_u32 s22, s4, s0
	s_addc_u32 s23, s5, s1
	v_mad_i64_i32 v[2:3], s[0:1], v72, s30, 0
	v_lshl_add_u64 v[70:71], v[2:3], 2, s[24:25]
	v_mad_i64_i32 v[2:3], s[0:1], v72, s29, 0
	v_cmp_gt_i32_e64 s[18:19], s21, v72
	v_lshl_add_u64 v[68:69], v[2:3], 2, s[22:23]
	v_cmp_gt_i32_e64 s[2:3], s20, v0
	v_cndmask_b32_e64 v2, 0, 1, s[8:9]
	s_and_b64 s[6:7], s[2:3], s[18:19]
	v_ashrrev_i32_e32 v1, 31, v0
	v_cmp_ne_u32_e64 s[0:1], 1, v2
	s_and_saveexec_b64 s[4:5], s[6:7]
	s_cbranch_execz .LBB36_47
; %bb.43:
	s_and_b64 vcc, exec, s[0:1]
	s_cbranch_vccnz .LBB36_45
; %bb.44:
	v_lshl_add_u64 v[2:3], v[0:1], 2, v[70:71]
	flat_load_dword v2, v[2:3]
	s_waitcnt vmcnt(0) lgkmcnt(0)
	v_mul_f32_e32 v2, s28, v2
	s_branch .LBB36_46
.LBB36_45:
	v_mov_b32_e32 v2, 0
.LBB36_46:
	v_add_f32_e32 v3, v66, v67
	v_add_f32_e32 v66, v3, v2
	v_lshl_add_u64 v[2:3], v[0:1], 2, v[68:69]
	flat_store_dword v[2:3], v66
.LBB36_47:
	s_or_b64 exec, exec, s[4:5]
	v_add_u32_e32 v2, 8, v0
	v_cmp_gt_i32_e64 s[4:5], s20, v2
	s_and_b64 s[8:9], s[4:5], s[18:19]
	v_ashrrev_i32_e32 v3, 31, v2
	s_and_saveexec_b64 s[6:7], s[8:9]
	s_cbranch_execz .LBB36_52
; %bb.48:
	s_and_b64 vcc, exec, s[0:1]
	s_cbranch_vccnz .LBB36_50
; %bb.49:
	v_lshl_add_u64 v[66:67], v[2:3], 2, v[70:71]
	flat_load_dword v66, v[66:67]
	s_waitcnt vmcnt(0) lgkmcnt(0)
	v_mul_f32_e32 v66, s28, v66
	s_branch .LBB36_51
.LBB36_50:
	v_mov_b32_e32 v66, 0
.LBB36_51:
	v_add_f32_e32 v64, v64, v65
	v_add_f32_e32 v66, v64, v66
	v_lshl_add_u64 v[64:65], v[2:3], 2, v[68:69]
	flat_store_dword v[64:65], v66
.LBB36_52:
	s_or_b64 exec, exec, s[6:7]
	v_add_u32_e32 v64, 16, v0
	v_cmp_gt_i32_e64 s[6:7], s20, v64
	s_and_b64 s[10:11], s[6:7], s[18:19]
	v_ashrrev_i32_e32 v65, 31, v64
	s_and_saveexec_b64 s[8:9], s[10:11]
	s_cbranch_execz .LBB36_57
; %bb.53:
	s_and_b64 vcc, exec, s[0:1]
	s_cbranch_vccnz .LBB36_55
; %bb.54:
	v_lshl_add_u64 v[66:67], v[64:65], 2, v[70:71]
	flat_load_dword v66, v[66:67]
	s_waitcnt vmcnt(0) lgkmcnt(0)
	v_mul_f32_e32 v66, s28, v66
	s_branch .LBB36_56
.LBB36_55:
	v_mov_b32_e32 v66, 0
.LBB36_56:
	v_add_f32_e32 v62, v62, v63
	v_add_f32_e32 v66, v62, v66
	v_lshl_add_u64 v[62:63], v[64:65], 2, v[68:69]
	flat_store_dword v[62:63], v66
.LBB36_57:
	s_or_b64 exec, exec, s[8:9]
	v_add_u32_e32 v62, 24, v0
	v_cmp_gt_i32_e64 s[8:9], s20, v62
	s_and_b64 s[12:13], s[8:9], s[18:19]
	v_ashrrev_i32_e32 v63, 31, v62
	s_and_saveexec_b64 s[10:11], s[12:13]
	s_cbranch_execz .LBB36_62
; %bb.58:
	s_and_b64 vcc, exec, s[0:1]
	s_cbranch_vccnz .LBB36_60
; %bb.59:
	v_lshl_add_u64 v[66:67], v[62:63], 2, v[70:71]
	flat_load_dword v66, v[66:67]
	s_waitcnt vmcnt(0) lgkmcnt(0)
	v_mul_f32_e32 v66, s28, v66
	s_branch .LBB36_61
.LBB36_60:
	v_mov_b32_e32 v66, 0
.LBB36_61:
	v_add_f32_e32 v60, v60, v61
	v_add_f32_e32 v66, v60, v66
	v_lshl_add_u64 v[60:61], v[62:63], 2, v[68:69]
	flat_store_dword v[60:61], v66
.LBB36_62:
	s_or_b64 exec, exec, s[10:11]
	v_add_u32_e32 v60, 32, v0
	v_cmp_gt_i32_e64 s[10:11], s20, v60
	s_and_b64 s[14:15], s[10:11], s[18:19]
	v_ashrrev_i32_e32 v61, 31, v60
	s_and_saveexec_b64 s[12:13], s[14:15]
	s_cbranch_execz .LBB36_67
; %bb.63:
	s_and_b64 vcc, exec, s[0:1]
	s_cbranch_vccnz .LBB36_65
; %bb.64:
	v_lshl_add_u64 v[66:67], v[60:61], 2, v[70:71]
	flat_load_dword v66, v[66:67]
	s_waitcnt vmcnt(0) lgkmcnt(0)
	v_mul_f32_e32 v66, s28, v66
	s_branch .LBB36_66
.LBB36_65:
	v_mov_b32_e32 v66, 0
.LBB36_66:
	v_add_f32_e32 v58, v58, v59
	v_add_f32_e32 v66, v58, v66
	v_lshl_add_u64 v[58:59], v[60:61], 2, v[68:69]
	flat_store_dword v[58:59], v66
.LBB36_67:
	s_or_b64 exec, exec, s[12:13]
	v_add_u32_e32 v58, 40, v0
	v_cmp_gt_i32_e64 s[12:13], s20, v58
	s_and_b64 s[16:17], s[12:13], s[18:19]
	v_ashrrev_i32_e32 v59, 31, v58
	s_and_saveexec_b64 s[14:15], s[16:17]
	s_cbranch_execz .LBB36_72
; %bb.68:
	s_and_b64 vcc, exec, s[0:1]
	s_cbranch_vccnz .LBB36_70
; %bb.69:
	v_lshl_add_u64 v[66:67], v[58:59], 2, v[70:71]
	flat_load_dword v66, v[66:67]
	s_waitcnt vmcnt(0) lgkmcnt(0)
	v_mul_f32_e32 v66, s28, v66
	s_branch .LBB36_71
.LBB36_70:
	v_mov_b32_e32 v66, 0
.LBB36_71:
	v_add_f32_e32 v56, v56, v57
	v_add_f32_e32 v66, v56, v66
	v_lshl_add_u64 v[56:57], v[58:59], 2, v[68:69]
	flat_store_dword v[56:57], v66
.LBB36_72:
	s_or_b64 exec, exec, s[14:15]
	v_add_u32_e32 v56, 48, v0
	v_cmp_gt_i32_e64 s[14:15], s20, v56
	s_and_b64 s[26:27], s[14:15], s[18:19]
	v_ashrrev_i32_e32 v57, 31, v56
	s_and_saveexec_b64 s[16:17], s[26:27]
	s_cbranch_execz .LBB36_77
; %bb.73:
	s_and_b64 vcc, exec, s[0:1]
	s_cbranch_vccnz .LBB36_75
; %bb.74:
	v_lshl_add_u64 v[66:67], v[56:57], 2, v[70:71]
	flat_load_dword v66, v[66:67]
	s_waitcnt vmcnt(0) lgkmcnt(0)
	v_mul_f32_e32 v66, s28, v66
	s_branch .LBB36_76
.LBB36_75:
	v_mov_b32_e32 v66, 0
.LBB36_76:
	v_add_f32_e32 v54, v54, v55
	v_add_f32_e32 v66, v54, v66
	v_lshl_add_u64 v[54:55], v[56:57], 2, v[68:69]
	flat_store_dword v[54:55], v66
.LBB36_77:
	s_or_b64 exec, exec, s[16:17]
	v_add_u32_e32 v54, 56, v0
	v_cmp_gt_i32_e64 s[16:17], s20, v54
	s_and_b64 s[26:27], s[16:17], s[18:19]
	v_ashrrev_i32_e32 v55, 31, v54
	s_and_saveexec_b64 s[18:19], s[26:27]
	s_cbranch_execz .LBB36_82
; %bb.78:
	s_and_b64 vcc, exec, s[0:1]
	s_cbranch_vccnz .LBB36_80
; %bb.79:
	v_lshl_add_u64 v[66:67], v[54:55], 2, v[70:71]
	flat_load_dword v66, v[66:67]
	s_waitcnt vmcnt(0) lgkmcnt(0)
	v_mul_f32_e32 v66, s28, v66
	s_branch .LBB36_81
.LBB36_80:
	v_mov_b32_e32 v66, 0
.LBB36_81:
	v_add_f32_e32 v52, v52, v53
	v_add_f32_e32 v66, v52, v66
	v_lshl_add_u64 v[52:53], v[54:55], 2, v[68:69]
	flat_store_dword v[52:53], v66
.LBB36_82:
	s_or_b64 exec, exec, s[18:19]
	v_add_u32_e32 v68, 32, v72
	v_mad_i64_i32 v[52:53], s[26:27], v68, s30, 0
	v_cmp_gt_i32_e64 s[18:19], s21, v68
	v_lshl_add_u64 v[66:67], v[52:53], 2, s[24:25]
	v_mad_i64_i32 v[52:53], s[26:27], v68, s29, 0
	v_lshl_add_u64 v[52:53], v[52:53], 2, s[22:23]
	s_and_b64 s[34:35], s[2:3], s[18:19]
	s_and_saveexec_b64 s[26:27], s[34:35]
	s_cbranch_execnz .LBB36_90
; %bb.83:
	s_or_b64 exec, exec, s[26:27]
	s_and_b64 s[34:35], s[4:5], s[18:19]
	s_and_saveexec_b64 s[26:27], s[34:35]
	s_cbranch_execnz .LBB36_94
.LBB36_84:
	s_or_b64 exec, exec, s[26:27]
	s_and_b64 s[34:35], s[6:7], s[18:19]
	s_and_saveexec_b64 s[26:27], s[34:35]
	s_cbranch_execnz .LBB36_98
.LBB36_85:
	s_or_b64 exec, exec, s[26:27]
	s_and_b64 s[34:35], s[8:9], s[18:19]
	s_and_saveexec_b64 s[26:27], s[34:35]
	s_cbranch_execnz .LBB36_102
.LBB36_86:
	s_or_b64 exec, exec, s[26:27]
	s_and_b64 s[34:35], s[10:11], s[18:19]
	s_and_saveexec_b64 s[26:27], s[34:35]
	s_cbranch_execnz .LBB36_106
.LBB36_87:
	s_or_b64 exec, exec, s[26:27]
	s_and_b64 s[34:35], s[12:13], s[18:19]
	s_and_saveexec_b64 s[26:27], s[34:35]
	s_cbranch_execnz .LBB36_110
.LBB36_88:
	s_or_b64 exec, exec, s[26:27]
	s_and_b64 s[34:35], s[14:15], s[18:19]
	s_and_saveexec_b64 s[26:27], s[34:35]
	s_cbranch_execnz .LBB36_114
.LBB36_89:
	s_or_b64 exec, exec, s[26:27]
	s_and_b64 s[26:27], s[16:17], s[18:19]
	s_and_saveexec_b64 s[18:19], s[26:27]
	s_cbranch_execnz .LBB36_118
	s_branch .LBB36_122
.LBB36_90:
	s_and_b64 vcc, exec, s[0:1]
	s_cbranch_vccnz .LBB36_92
; %bb.91:
	v_lshl_add_u64 v[68:69], v[0:1], 2, v[66:67]
	flat_load_dword v68, v[68:69]
	s_waitcnt vmcnt(0) lgkmcnt(0)
	v_mul_f32_e32 v68, s28, v68
	s_branch .LBB36_93
.LBB36_92:
	v_mov_b32_e32 v68, 0
.LBB36_93:
	v_add_f32_e32 v50, v50, v51
	v_add_f32_e32 v68, v50, v68
	v_lshl_add_u64 v[50:51], v[0:1], 2, v[52:53]
	flat_store_dword v[50:51], v68
	s_or_b64 exec, exec, s[26:27]
	s_and_b64 s[34:35], s[4:5], s[18:19]
	s_and_saveexec_b64 s[26:27], s[34:35]
	s_cbranch_execz .LBB36_84
.LBB36_94:
	s_and_b64 vcc, exec, s[0:1]
	s_cbranch_vccnz .LBB36_96
; %bb.95:
	v_lshl_add_u64 v[50:51], v[2:3], 2, v[66:67]
	flat_load_dword v50, v[50:51]
	s_waitcnt vmcnt(0) lgkmcnt(0)
	v_mul_f32_e32 v50, s28, v50
	s_branch .LBB36_97
.LBB36_96:
	v_mov_b32_e32 v50, 0
.LBB36_97:
	v_add_f32_e32 v48, v48, v49
	v_add_f32_e32 v50, v48, v50
	v_lshl_add_u64 v[48:49], v[2:3], 2, v[52:53]
	flat_store_dword v[48:49], v50
	s_or_b64 exec, exec, s[26:27]
	s_and_b64 s[34:35], s[6:7], s[18:19]
	s_and_saveexec_b64 s[26:27], s[34:35]
	s_cbranch_execz .LBB36_85
.LBB36_98:
	s_and_b64 vcc, exec, s[0:1]
	s_cbranch_vccnz .LBB36_100
; %bb.99:
	v_lshl_add_u64 v[48:49], v[64:65], 2, v[66:67]
	flat_load_dword v48, v[48:49]
	s_waitcnt vmcnt(0) lgkmcnt(0)
	v_mul_f32_e32 v48, s28, v48
	s_branch .LBB36_101
.LBB36_100:
	v_mov_b32_e32 v48, 0
.LBB36_101:
	v_add_f32_e32 v46, v46, v47
	v_add_f32_e32 v48, v46, v48
	v_lshl_add_u64 v[46:47], v[64:65], 2, v[52:53]
	flat_store_dword v[46:47], v48
	s_or_b64 exec, exec, s[26:27]
	s_and_b64 s[34:35], s[8:9], s[18:19]
	s_and_saveexec_b64 s[26:27], s[34:35]
	s_cbranch_execz .LBB36_86
.LBB36_102:
	s_and_b64 vcc, exec, s[0:1]
	s_cbranch_vccnz .LBB36_104
; %bb.103:
	v_lshl_add_u64 v[46:47], v[62:63], 2, v[66:67]
	flat_load_dword v46, v[46:47]
	s_waitcnt vmcnt(0) lgkmcnt(0)
	v_mul_f32_e32 v46, s28, v46
	s_branch .LBB36_105
.LBB36_104:
	v_mov_b32_e32 v46, 0
.LBB36_105:
	v_add_f32_e32 v44, v44, v45
	v_add_f32_e32 v46, v44, v46
	v_lshl_add_u64 v[44:45], v[62:63], 2, v[52:53]
	flat_store_dword v[44:45], v46
	s_or_b64 exec, exec, s[26:27]
	s_and_b64 s[34:35], s[10:11], s[18:19]
	s_and_saveexec_b64 s[26:27], s[34:35]
	s_cbranch_execz .LBB36_87
.LBB36_106:
	s_and_b64 vcc, exec, s[0:1]
	s_cbranch_vccnz .LBB36_108
; %bb.107:
	v_lshl_add_u64 v[44:45], v[60:61], 2, v[66:67]
	flat_load_dword v44, v[44:45]
	s_waitcnt vmcnt(0) lgkmcnt(0)
	v_mul_f32_e32 v44, s28, v44
	s_branch .LBB36_109
.LBB36_108:
	v_mov_b32_e32 v44, 0
.LBB36_109:
	v_add_f32_e32 v42, v42, v43
	v_add_f32_e32 v44, v42, v44
	v_lshl_add_u64 v[42:43], v[60:61], 2, v[52:53]
	flat_store_dword v[42:43], v44
	s_or_b64 exec, exec, s[26:27]
	s_and_b64 s[34:35], s[12:13], s[18:19]
	s_and_saveexec_b64 s[26:27], s[34:35]
	s_cbranch_execz .LBB36_88
.LBB36_110:
	s_and_b64 vcc, exec, s[0:1]
	s_cbranch_vccnz .LBB36_112
; %bb.111:
	v_lshl_add_u64 v[42:43], v[58:59], 2, v[66:67]
	flat_load_dword v42, v[42:43]
	s_waitcnt vmcnt(0) lgkmcnt(0)
	v_mul_f32_e32 v42, s28, v42
	s_branch .LBB36_113
.LBB36_112:
	v_mov_b32_e32 v42, 0
.LBB36_113:
	v_add_f32_e32 v40, v40, v41
	v_add_f32_e32 v42, v40, v42
	v_lshl_add_u64 v[40:41], v[58:59], 2, v[52:53]
	flat_store_dword v[40:41], v42
	s_or_b64 exec, exec, s[26:27]
	s_and_b64 s[34:35], s[14:15], s[18:19]
	s_and_saveexec_b64 s[26:27], s[34:35]
	s_cbranch_execz .LBB36_89
.LBB36_114:
	s_and_b64 vcc, exec, s[0:1]
	s_cbranch_vccnz .LBB36_116
; %bb.115:
	v_lshl_add_u64 v[40:41], v[56:57], 2, v[66:67]
	flat_load_dword v40, v[40:41]
	s_waitcnt vmcnt(0) lgkmcnt(0)
	v_mul_f32_e32 v40, s28, v40
	s_branch .LBB36_117
.LBB36_116:
	v_mov_b32_e32 v40, 0
.LBB36_117:
	v_add_f32_e32 v38, v38, v39
	v_add_f32_e32 v40, v38, v40
	v_lshl_add_u64 v[38:39], v[56:57], 2, v[52:53]
	flat_store_dword v[38:39], v40
	s_or_b64 exec, exec, s[26:27]
	s_and_b64 s[26:27], s[16:17], s[18:19]
	s_and_saveexec_b64 s[18:19], s[26:27]
	s_cbranch_execz .LBB36_122
.LBB36_118:
	s_and_b64 vcc, exec, s[0:1]
	s_cbranch_vccnz .LBB36_120
; %bb.119:
	v_lshl_add_u64 v[38:39], v[54:55], 2, v[66:67]
	flat_load_dword v38, v[38:39]
	s_waitcnt vmcnt(0) lgkmcnt(0)
	v_mul_f32_e32 v38, s28, v38
	s_branch .LBB36_121
.LBB36_120:
	v_mov_b32_e32 v38, 0
.LBB36_121:
	v_add_f32_e32 v36, v36, v37
	v_add_f32_e32 v38, v36, v38
	v_lshl_add_u64 v[36:37], v[54:55], 2, v[52:53]
	flat_store_dword v[36:37], v38
.LBB36_122:
	s_or_b64 exec, exec, s[18:19]
	v_add_u32_e32 v40, 64, v72
	v_mad_i64_i32 v[36:37], s[26:27], v40, s30, 0
	v_cmp_gt_i32_e64 s[18:19], s21, v40
	v_lshl_add_u64 v[38:39], v[36:37], 2, s[24:25]
	v_mad_i64_i32 v[36:37], s[26:27], v40, s29, 0
	v_lshl_add_u64 v[36:37], v[36:37], 2, s[22:23]
	s_and_b64 s[34:35], s[2:3], s[18:19]
	s_and_saveexec_b64 s[26:27], s[34:35]
	s_cbranch_execnz .LBB36_130
; %bb.123:
	s_or_b64 exec, exec, s[26:27]
	s_and_b64 s[34:35], s[4:5], s[18:19]
	s_and_saveexec_b64 s[26:27], s[34:35]
	s_cbranch_execnz .LBB36_134
.LBB36_124:
	s_or_b64 exec, exec, s[26:27]
	s_and_b64 s[34:35], s[6:7], s[18:19]
	s_and_saveexec_b64 s[26:27], s[34:35]
	s_cbranch_execnz .LBB36_138
.LBB36_125:
	s_or_b64 exec, exec, s[26:27]
	s_and_b64 s[34:35], s[8:9], s[18:19]
	s_and_saveexec_b64 s[26:27], s[34:35]
	s_cbranch_execnz .LBB36_142
.LBB36_126:
	s_or_b64 exec, exec, s[26:27]
	s_and_b64 s[34:35], s[10:11], s[18:19]
	s_and_saveexec_b64 s[26:27], s[34:35]
	s_cbranch_execnz .LBB36_146
.LBB36_127:
	s_or_b64 exec, exec, s[26:27]
	s_and_b64 s[34:35], s[12:13], s[18:19]
	s_and_saveexec_b64 s[26:27], s[34:35]
	s_cbranch_execnz .LBB36_150
.LBB36_128:
	s_or_b64 exec, exec, s[26:27]
	s_and_b64 s[34:35], s[14:15], s[18:19]
	s_and_saveexec_b64 s[26:27], s[34:35]
	s_cbranch_execnz .LBB36_154
.LBB36_129:
	s_or_b64 exec, exec, s[26:27]
	s_and_b64 s[26:27], s[16:17], s[18:19]
	s_and_saveexec_b64 s[18:19], s[26:27]
	s_cbranch_execnz .LBB36_158
	s_branch .LBB36_162
.LBB36_130:
	s_and_b64 vcc, exec, s[0:1]
	s_cbranch_vccnz .LBB36_132
; %bb.131:
	v_lshl_add_u64 v[40:41], v[0:1], 2, v[38:39]
	flat_load_dword v40, v[40:41]
	s_waitcnt vmcnt(0) lgkmcnt(0)
	v_mul_f32_e32 v40, s28, v40
	s_branch .LBB36_133
.LBB36_132:
	v_mov_b32_e32 v40, 0
.LBB36_133:
	v_add_f32_e32 v34, v34, v35
	v_add_f32_e32 v40, v34, v40
	v_lshl_add_u64 v[34:35], v[0:1], 2, v[36:37]
	flat_store_dword v[34:35], v40
	s_or_b64 exec, exec, s[26:27]
	s_and_b64 s[34:35], s[4:5], s[18:19]
	s_and_saveexec_b64 s[26:27], s[34:35]
	s_cbranch_execz .LBB36_124
.LBB36_134:
	s_and_b64 vcc, exec, s[0:1]
	s_cbranch_vccnz .LBB36_136
; %bb.135:
	v_lshl_add_u64 v[34:35], v[2:3], 2, v[38:39]
	flat_load_dword v34, v[34:35]
	s_waitcnt vmcnt(0) lgkmcnt(0)
	v_mul_f32_e32 v34, s28, v34
	s_branch .LBB36_137
.LBB36_136:
	v_mov_b32_e32 v34, 0
.LBB36_137:
	v_add_f32_e32 v32, v32, v33
	v_add_f32_e32 v34, v32, v34
	v_lshl_add_u64 v[32:33], v[2:3], 2, v[36:37]
	flat_store_dword v[32:33], v34
	s_or_b64 exec, exec, s[26:27]
	s_and_b64 s[34:35], s[6:7], s[18:19]
	s_and_saveexec_b64 s[26:27], s[34:35]
	s_cbranch_execz .LBB36_125
.LBB36_138:
	s_and_b64 vcc, exec, s[0:1]
	s_cbranch_vccnz .LBB36_140
; %bb.139:
	v_lshl_add_u64 v[32:33], v[64:65], 2, v[38:39]
	flat_load_dword v32, v[32:33]
	s_waitcnt vmcnt(0) lgkmcnt(0)
	v_mul_f32_e32 v32, s28, v32
	s_branch .LBB36_141
.LBB36_140:
	v_mov_b32_e32 v32, 0
.LBB36_141:
	v_add_f32_e32 v30, v30, v31
	v_add_f32_e32 v32, v30, v32
	v_lshl_add_u64 v[30:31], v[64:65], 2, v[36:37]
	flat_store_dword v[30:31], v32
	s_or_b64 exec, exec, s[26:27]
	s_and_b64 s[34:35], s[8:9], s[18:19]
	s_and_saveexec_b64 s[26:27], s[34:35]
	s_cbranch_execz .LBB36_126
.LBB36_142:
	s_and_b64 vcc, exec, s[0:1]
	s_cbranch_vccnz .LBB36_144
; %bb.143:
	v_lshl_add_u64 v[30:31], v[62:63], 2, v[38:39]
	flat_load_dword v30, v[30:31]
	s_waitcnt vmcnt(0) lgkmcnt(0)
	v_mul_f32_e32 v30, s28, v30
	s_branch .LBB36_145
.LBB36_144:
	v_mov_b32_e32 v30, 0
.LBB36_145:
	v_add_f32_e32 v28, v28, v29
	v_add_f32_e32 v30, v28, v30
	v_lshl_add_u64 v[28:29], v[62:63], 2, v[36:37]
	flat_store_dword v[28:29], v30
	s_or_b64 exec, exec, s[26:27]
	s_and_b64 s[34:35], s[10:11], s[18:19]
	s_and_saveexec_b64 s[26:27], s[34:35]
	s_cbranch_execz .LBB36_127
.LBB36_146:
	s_and_b64 vcc, exec, s[0:1]
	s_cbranch_vccnz .LBB36_148
; %bb.147:
	v_lshl_add_u64 v[28:29], v[60:61], 2, v[38:39]
	flat_load_dword v28, v[28:29]
	s_waitcnt vmcnt(0) lgkmcnt(0)
	v_mul_f32_e32 v28, s28, v28
	s_branch .LBB36_149
.LBB36_148:
	v_mov_b32_e32 v28, 0
.LBB36_149:
	v_add_f32_e32 v26, v26, v27
	v_add_f32_e32 v28, v26, v28
	v_lshl_add_u64 v[26:27], v[60:61], 2, v[36:37]
	flat_store_dword v[26:27], v28
	s_or_b64 exec, exec, s[26:27]
	s_and_b64 s[34:35], s[12:13], s[18:19]
	s_and_saveexec_b64 s[26:27], s[34:35]
	s_cbranch_execz .LBB36_128
.LBB36_150:
	s_and_b64 vcc, exec, s[0:1]
	s_cbranch_vccnz .LBB36_152
; %bb.151:
	v_lshl_add_u64 v[26:27], v[58:59], 2, v[38:39]
	flat_load_dword v26, v[26:27]
	s_waitcnt vmcnt(0) lgkmcnt(0)
	v_mul_f32_e32 v26, s28, v26
	s_branch .LBB36_153
.LBB36_152:
	v_mov_b32_e32 v26, 0
.LBB36_153:
	v_add_f32_e32 v24, v24, v25
	v_add_f32_e32 v26, v24, v26
	v_lshl_add_u64 v[24:25], v[58:59], 2, v[36:37]
	flat_store_dword v[24:25], v26
	s_or_b64 exec, exec, s[26:27]
	s_and_b64 s[34:35], s[14:15], s[18:19]
	s_and_saveexec_b64 s[26:27], s[34:35]
	s_cbranch_execz .LBB36_129
.LBB36_154:
	s_and_b64 vcc, exec, s[0:1]
	s_cbranch_vccnz .LBB36_156
; %bb.155:
	v_lshl_add_u64 v[24:25], v[56:57], 2, v[38:39]
	flat_load_dword v24, v[24:25]
	s_waitcnt vmcnt(0) lgkmcnt(0)
	v_mul_f32_e32 v24, s28, v24
	s_branch .LBB36_157
.LBB36_156:
	v_mov_b32_e32 v24, 0
.LBB36_157:
	v_add_f32_e32 v22, v22, v23
	v_add_f32_e32 v24, v22, v24
	v_lshl_add_u64 v[22:23], v[56:57], 2, v[36:37]
	flat_store_dword v[22:23], v24
	s_or_b64 exec, exec, s[26:27]
	s_and_b64 s[26:27], s[16:17], s[18:19]
	s_and_saveexec_b64 s[18:19], s[26:27]
	s_cbranch_execz .LBB36_162
.LBB36_158:
	s_and_b64 vcc, exec, s[0:1]
	s_cbranch_vccnz .LBB36_160
; %bb.159:
	v_lshl_add_u64 v[22:23], v[54:55], 2, v[38:39]
	flat_load_dword v22, v[22:23]
	s_waitcnt vmcnt(0) lgkmcnt(0)
	v_mul_f32_e32 v22, s28, v22
	s_branch .LBB36_161
.LBB36_160:
	v_mov_b32_e32 v22, 0
.LBB36_161:
	v_add_f32_e32 v20, v20, v21
	v_add_f32_e32 v22, v20, v22
	v_lshl_add_u64 v[20:21], v[54:55], 2, v[36:37]
	flat_store_dword v[20:21], v22
.LBB36_162:
	s_or_b64 exec, exec, s[18:19]
	v_add_u32_e32 v24, 0x60, v72
	v_cmp_gt_i32_e64 s[18:19], s21, v24
	v_mad_i64_i32 v[20:21], s[20:21], v24, s30, 0
	v_lshl_add_u64 v[22:23], v[20:21], 2, s[24:25]
	v_mad_i64_i32 v[20:21], s[20:21], v24, s29, 0
	v_lshl_add_u64 v[20:21], v[20:21], 2, s[22:23]
	s_and_b64 s[20:21], s[2:3], s[18:19]
	s_and_saveexec_b64 s[2:3], s[20:21]
	s_cbranch_execnz .LBB36_171
; %bb.163:
	s_or_b64 exec, exec, s[2:3]
	s_and_b64 s[4:5], s[4:5], s[18:19]
	s_and_saveexec_b64 s[2:3], s[4:5]
	s_cbranch_execnz .LBB36_175
.LBB36_164:
	s_or_b64 exec, exec, s[2:3]
	s_and_b64 s[4:5], s[6:7], s[18:19]
	s_and_saveexec_b64 s[2:3], s[4:5]
	s_cbranch_execnz .LBB36_179
.LBB36_165:
	s_or_b64 exec, exec, s[2:3]
	s_and_b64 s[4:5], s[8:9], s[18:19]
	s_and_saveexec_b64 s[2:3], s[4:5]
	s_cbranch_execnz .LBB36_183
.LBB36_166:
	s_or_b64 exec, exec, s[2:3]
	s_and_b64 s[4:5], s[10:11], s[18:19]
	s_and_saveexec_b64 s[2:3], s[4:5]
	s_cbranch_execnz .LBB36_187
.LBB36_167:
	s_or_b64 exec, exec, s[2:3]
	s_and_b64 s[4:5], s[12:13], s[18:19]
	s_and_saveexec_b64 s[2:3], s[4:5]
	s_cbranch_execnz .LBB36_191
.LBB36_168:
	s_or_b64 exec, exec, s[2:3]
	s_and_b64 s[4:5], s[14:15], s[18:19]
	s_and_saveexec_b64 s[2:3], s[4:5]
	s_cbranch_execnz .LBB36_195
.LBB36_169:
	s_or_b64 exec, exec, s[2:3]
	s_and_b64 s[2:3], s[16:17], s[18:19]
	s_and_saveexec_b64 s[4:5], s[2:3]
	s_cbranch_execnz .LBB36_199
.LBB36_170:
	s_endpgm
.LBB36_171:
	s_and_b64 vcc, exec, s[0:1]
	s_cbranch_vccnz .LBB36_173
; %bb.172:
	v_lshl_add_u64 v[24:25], v[0:1], 2, v[22:23]
	flat_load_dword v24, v[24:25]
	s_waitcnt vmcnt(0) lgkmcnt(0)
	v_mul_f32_e32 v24, s28, v24
	s_branch .LBB36_174
.LBB36_173:
	v_mov_b32_e32 v24, 0
.LBB36_174:
	v_add_f32_e32 v18, v18, v19
	v_add_f32_e32 v18, v18, v24
	v_lshl_add_u64 v[0:1], v[0:1], 2, v[20:21]
	flat_store_dword v[0:1], v18
	s_or_b64 exec, exec, s[2:3]
	s_and_b64 s[4:5], s[4:5], s[18:19]
	s_and_saveexec_b64 s[2:3], s[4:5]
	s_cbranch_execz .LBB36_164
.LBB36_175:
	s_and_b64 vcc, exec, s[0:1]
	s_cbranch_vccnz .LBB36_177
; %bb.176:
	v_lshl_add_u64 v[0:1], v[2:3], 2, v[22:23]
	flat_load_dword v0, v[0:1]
	s_waitcnt vmcnt(0) lgkmcnt(0)
	v_mul_f32_e32 v0, s28, v0
	s_branch .LBB36_178
.LBB36_177:
	v_mov_b32_e32 v0, 0
.LBB36_178:
	v_add_f32_e32 v1, v16, v17
	v_add_f32_e32 v16, v1, v0
	v_lshl_add_u64 v[0:1], v[2:3], 2, v[20:21]
	flat_store_dword v[0:1], v16
	s_or_b64 exec, exec, s[2:3]
	s_and_b64 s[4:5], s[6:7], s[18:19]
	s_and_saveexec_b64 s[2:3], s[4:5]
	s_cbranch_execz .LBB36_165
.LBB36_179:
	s_and_b64 vcc, exec, s[0:1]
	s_cbranch_vccnz .LBB36_181
; %bb.180:
	v_lshl_add_u64 v[0:1], v[64:65], 2, v[22:23]
	flat_load_dword v0, v[0:1]
	s_waitcnt vmcnt(0) lgkmcnt(0)
	v_mul_f32_e32 v0, s28, v0
	s_branch .LBB36_182
.LBB36_181:
	v_mov_b32_e32 v0, 0
.LBB36_182:
	v_add_f32_e32 v1, v14, v15
	v_add_f32_e32 v2, v1, v0
	v_lshl_add_u64 v[0:1], v[64:65], 2, v[20:21]
	flat_store_dword v[0:1], v2
	s_or_b64 exec, exec, s[2:3]
	s_and_b64 s[4:5], s[8:9], s[18:19]
	s_and_saveexec_b64 s[2:3], s[4:5]
	s_cbranch_execz .LBB36_166
.LBB36_183:
	s_and_b64 vcc, exec, s[0:1]
	s_cbranch_vccnz .LBB36_185
; %bb.184:
	v_lshl_add_u64 v[0:1], v[62:63], 2, v[22:23]
	flat_load_dword v0, v[0:1]
	s_waitcnt vmcnt(0) lgkmcnt(0)
	v_mul_f32_e32 v0, s28, v0
	s_branch .LBB36_186
.LBB36_185:
	v_mov_b32_e32 v0, 0
.LBB36_186:
	v_add_f32_e32 v1, v12, v13
	v_add_f32_e32 v2, v1, v0
	v_lshl_add_u64 v[0:1], v[62:63], 2, v[20:21]
	flat_store_dword v[0:1], v2
	s_or_b64 exec, exec, s[2:3]
	s_and_b64 s[4:5], s[10:11], s[18:19]
	s_and_saveexec_b64 s[2:3], s[4:5]
	s_cbranch_execz .LBB36_167
.LBB36_187:
	s_and_b64 vcc, exec, s[0:1]
	s_cbranch_vccnz .LBB36_189
; %bb.188:
	v_lshl_add_u64 v[0:1], v[60:61], 2, v[22:23]
	flat_load_dword v0, v[0:1]
	s_waitcnt vmcnt(0) lgkmcnt(0)
	v_mul_f32_e32 v0, s28, v0
	s_branch .LBB36_190
.LBB36_189:
	v_mov_b32_e32 v0, 0
.LBB36_190:
	v_add_f32_e32 v1, v10, v11
	v_add_f32_e32 v2, v1, v0
	v_lshl_add_u64 v[0:1], v[60:61], 2, v[20:21]
	flat_store_dword v[0:1], v2
	s_or_b64 exec, exec, s[2:3]
	s_and_b64 s[4:5], s[12:13], s[18:19]
	s_and_saveexec_b64 s[2:3], s[4:5]
	s_cbranch_execz .LBB36_168
.LBB36_191:
	s_and_b64 vcc, exec, s[0:1]
	s_cbranch_vccnz .LBB36_193
; %bb.192:
	v_lshl_add_u64 v[0:1], v[58:59], 2, v[22:23]
	flat_load_dword v0, v[0:1]
	s_waitcnt vmcnt(0) lgkmcnt(0)
	v_mul_f32_e32 v0, s28, v0
	s_branch .LBB36_194
.LBB36_193:
	v_mov_b32_e32 v0, 0
.LBB36_194:
	v_add_f32_e32 v1, v8, v9
	v_add_f32_e32 v2, v1, v0
	v_lshl_add_u64 v[0:1], v[58:59], 2, v[20:21]
	flat_store_dword v[0:1], v2
	s_or_b64 exec, exec, s[2:3]
	s_and_b64 s[4:5], s[14:15], s[18:19]
	s_and_saveexec_b64 s[2:3], s[4:5]
	s_cbranch_execz .LBB36_169
.LBB36_195:
	s_and_b64 vcc, exec, s[0:1]
	s_cbranch_vccnz .LBB36_197
; %bb.196:
	v_lshl_add_u64 v[0:1], v[56:57], 2, v[22:23]
	flat_load_dword v0, v[0:1]
	s_waitcnt vmcnt(0) lgkmcnt(0)
	v_mul_f32_e32 v0, s28, v0
	s_branch .LBB36_198
.LBB36_197:
	v_mov_b32_e32 v0, 0
.LBB36_198:
	v_add_f32_e32 v1, v6, v7
	v_add_f32_e32 v2, v1, v0
	v_lshl_add_u64 v[0:1], v[56:57], 2, v[20:21]
	flat_store_dword v[0:1], v2
	s_or_b64 exec, exec, s[2:3]
	s_and_b64 s[2:3], s[16:17], s[18:19]
	s_and_saveexec_b64 s[4:5], s[2:3]
	s_cbranch_execz .LBB36_170
.LBB36_199:
	s_and_b64 vcc, exec, s[0:1]
	s_cbranch_vccnz .LBB36_201
; %bb.200:
	v_lshl_add_u64 v[0:1], v[54:55], 2, v[22:23]
	flat_load_dword v0, v[0:1]
	s_waitcnt vmcnt(0) lgkmcnt(0)
	v_mul_f32_e32 v0, s28, v0
	s_branch .LBB36_202
.LBB36_201:
	v_mov_b32_e32 v0, 0
.LBB36_202:
	v_add_f32_e32 v1, v4, v5
	v_add_f32_e32 v2, v1, v0
	v_lshl_add_u64 v[0:1], v[54:55], 2, v[20:21]
	flat_store_dword v[0:1], v2
	s_endpgm
	.section	.rodata,"a",@progbits
	.p2align	6, 0x0
	.amdhsa_kernel _ZN12_GLOBAL__N_120geam_min_plus_kernelIf15HIP_vector_typeIfLj2EES2_Li8ELi32ELi64ELi128ELi4ELi4ELi64ELi4ELi64ELc84ELc78ELb0ELb1ELb0EPKfKS4_KPfEEviiiT16_PT17_ilSA_ilS8_SA_ilPT18_ili26rocblas_geam_ex_operation_
		.amdhsa_group_segment_fixed_size 6144
		.amdhsa_private_segment_fixed_size 0
		.amdhsa_kernarg_size 136
		.amdhsa_user_sgpr_count 2
		.amdhsa_user_sgpr_dispatch_ptr 0
		.amdhsa_user_sgpr_queue_ptr 0
		.amdhsa_user_sgpr_kernarg_segment_ptr 1
		.amdhsa_user_sgpr_dispatch_id 0
		.amdhsa_user_sgpr_kernarg_preload_length 0
		.amdhsa_user_sgpr_kernarg_preload_offset 0
		.amdhsa_user_sgpr_private_segment_size 0
		.amdhsa_uses_dynamic_stack 0
		.amdhsa_enable_private_segment 0
		.amdhsa_system_sgpr_workgroup_id_x 1
		.amdhsa_system_sgpr_workgroup_id_y 0
		.amdhsa_system_sgpr_workgroup_id_z 1
		.amdhsa_system_sgpr_workgroup_info 0
		.amdhsa_system_vgpr_workitem_id 1
		.amdhsa_next_free_vgpr 112
		.amdhsa_next_free_sgpr 36
		.amdhsa_accum_offset 112
		.amdhsa_reserve_vcc 1
		.amdhsa_float_round_mode_32 0
		.amdhsa_float_round_mode_16_64 0
		.amdhsa_float_denorm_mode_32 3
		.amdhsa_float_denorm_mode_16_64 3
		.amdhsa_dx10_clamp 1
		.amdhsa_ieee_mode 1
		.amdhsa_fp16_overflow 0
		.amdhsa_tg_split 0
		.amdhsa_exception_fp_ieee_invalid_op 0
		.amdhsa_exception_fp_denorm_src 0
		.amdhsa_exception_fp_ieee_div_zero 0
		.amdhsa_exception_fp_ieee_overflow 0
		.amdhsa_exception_fp_ieee_underflow 0
		.amdhsa_exception_fp_ieee_inexact 0
		.amdhsa_exception_int_div_zero 0
	.end_amdhsa_kernel
	.section	.text._ZN12_GLOBAL__N_120geam_min_plus_kernelIf15HIP_vector_typeIfLj2EES2_Li8ELi32ELi64ELi128ELi4ELi4ELi64ELi4ELi64ELc84ELc78ELb0ELb1ELb0EPKfKS4_KPfEEviiiT16_PT17_ilSA_ilS8_SA_ilPT18_ili26rocblas_geam_ex_operation_,"axG",@progbits,_ZN12_GLOBAL__N_120geam_min_plus_kernelIf15HIP_vector_typeIfLj2EES2_Li8ELi32ELi64ELi128ELi4ELi4ELi64ELi4ELi64ELc84ELc78ELb0ELb1ELb0EPKfKS4_KPfEEviiiT16_PT17_ilSA_ilS8_SA_ilPT18_ili26rocblas_geam_ex_operation_,comdat
.Lfunc_end36:
	.size	_ZN12_GLOBAL__N_120geam_min_plus_kernelIf15HIP_vector_typeIfLj2EES2_Li8ELi32ELi64ELi128ELi4ELi4ELi64ELi4ELi64ELc84ELc78ELb0ELb1ELb0EPKfKS4_KPfEEviiiT16_PT17_ilSA_ilS8_SA_ilPT18_ili26rocblas_geam_ex_operation_, .Lfunc_end36-_ZN12_GLOBAL__N_120geam_min_plus_kernelIf15HIP_vector_typeIfLj2EES2_Li8ELi32ELi64ELi128ELi4ELi4ELi64ELi4ELi64ELc84ELc78ELb0ELb1ELb0EPKfKS4_KPfEEviiiT16_PT17_ilSA_ilS8_SA_ilPT18_ili26rocblas_geam_ex_operation_
                                        ; -- End function
	.set _ZN12_GLOBAL__N_120geam_min_plus_kernelIf15HIP_vector_typeIfLj2EES2_Li8ELi32ELi64ELi128ELi4ELi4ELi64ELi4ELi64ELc84ELc78ELb0ELb1ELb0EPKfKS4_KPfEEviiiT16_PT17_ilSA_ilS8_SA_ilPT18_ili26rocblas_geam_ex_operation_.num_vgpr, 112
	.set _ZN12_GLOBAL__N_120geam_min_plus_kernelIf15HIP_vector_typeIfLj2EES2_Li8ELi32ELi64ELi128ELi4ELi4ELi64ELi4ELi64ELc84ELc78ELb0ELb1ELb0EPKfKS4_KPfEEviiiT16_PT17_ilSA_ilS8_SA_ilPT18_ili26rocblas_geam_ex_operation_.num_agpr, 0
	.set _ZN12_GLOBAL__N_120geam_min_plus_kernelIf15HIP_vector_typeIfLj2EES2_Li8ELi32ELi64ELi128ELi4ELi4ELi64ELi4ELi64ELc84ELc78ELb0ELb1ELb0EPKfKS4_KPfEEviiiT16_PT17_ilSA_ilS8_SA_ilPT18_ili26rocblas_geam_ex_operation_.numbered_sgpr, 36
	.set _ZN12_GLOBAL__N_120geam_min_plus_kernelIf15HIP_vector_typeIfLj2EES2_Li8ELi32ELi64ELi128ELi4ELi4ELi64ELi4ELi64ELc84ELc78ELb0ELb1ELb0EPKfKS4_KPfEEviiiT16_PT17_ilSA_ilS8_SA_ilPT18_ili26rocblas_geam_ex_operation_.num_named_barrier, 0
	.set _ZN12_GLOBAL__N_120geam_min_plus_kernelIf15HIP_vector_typeIfLj2EES2_Li8ELi32ELi64ELi128ELi4ELi4ELi64ELi4ELi64ELc84ELc78ELb0ELb1ELb0EPKfKS4_KPfEEviiiT16_PT17_ilSA_ilS8_SA_ilPT18_ili26rocblas_geam_ex_operation_.private_seg_size, 0
	.set _ZN12_GLOBAL__N_120geam_min_plus_kernelIf15HIP_vector_typeIfLj2EES2_Li8ELi32ELi64ELi128ELi4ELi4ELi64ELi4ELi64ELc84ELc78ELb0ELb1ELb0EPKfKS4_KPfEEviiiT16_PT17_ilSA_ilS8_SA_ilPT18_ili26rocblas_geam_ex_operation_.uses_vcc, 1
	.set _ZN12_GLOBAL__N_120geam_min_plus_kernelIf15HIP_vector_typeIfLj2EES2_Li8ELi32ELi64ELi128ELi4ELi4ELi64ELi4ELi64ELc84ELc78ELb0ELb1ELb0EPKfKS4_KPfEEviiiT16_PT17_ilSA_ilS8_SA_ilPT18_ili26rocblas_geam_ex_operation_.uses_flat_scratch, 0
	.set _ZN12_GLOBAL__N_120geam_min_plus_kernelIf15HIP_vector_typeIfLj2EES2_Li8ELi32ELi64ELi128ELi4ELi4ELi64ELi4ELi64ELc84ELc78ELb0ELb1ELb0EPKfKS4_KPfEEviiiT16_PT17_ilSA_ilS8_SA_ilPT18_ili26rocblas_geam_ex_operation_.has_dyn_sized_stack, 0
	.set _ZN12_GLOBAL__N_120geam_min_plus_kernelIf15HIP_vector_typeIfLj2EES2_Li8ELi32ELi64ELi128ELi4ELi4ELi64ELi4ELi64ELc84ELc78ELb0ELb1ELb0EPKfKS4_KPfEEviiiT16_PT17_ilSA_ilS8_SA_ilPT18_ili26rocblas_geam_ex_operation_.has_recursion, 0
	.set _ZN12_GLOBAL__N_120geam_min_plus_kernelIf15HIP_vector_typeIfLj2EES2_Li8ELi32ELi64ELi128ELi4ELi4ELi64ELi4ELi64ELc84ELc78ELb0ELb1ELb0EPKfKS4_KPfEEviiiT16_PT17_ilSA_ilS8_SA_ilPT18_ili26rocblas_geam_ex_operation_.has_indirect_call, 0
	.section	.AMDGPU.csdata,"",@progbits
; Kernel info:
; codeLenInByte = 7948
; TotalNumSgprs: 42
; NumVgprs: 112
; NumAgprs: 0
; TotalNumVgprs: 112
; ScratchSize: 0
; MemoryBound: 0
; FloatMode: 240
; IeeeMode: 1
; LDSByteSize: 6144 bytes/workgroup (compile time only)
; SGPRBlocks: 5
; VGPRBlocks: 13
; NumSGPRsForWavesPerEU: 42
; NumVGPRsForWavesPerEU: 112
; AccumOffset: 112
; Occupancy: 4
; WaveLimiterHint : 1
; COMPUTE_PGM_RSRC2:SCRATCH_EN: 0
; COMPUTE_PGM_RSRC2:USER_SGPR: 2
; COMPUTE_PGM_RSRC2:TRAP_HANDLER: 0
; COMPUTE_PGM_RSRC2:TGID_X_EN: 1
; COMPUTE_PGM_RSRC2:TGID_Y_EN: 0
; COMPUTE_PGM_RSRC2:TGID_Z_EN: 1
; COMPUTE_PGM_RSRC2:TIDIG_COMP_CNT: 1
; COMPUTE_PGM_RSRC3_GFX90A:ACCUM_OFFSET: 27
; COMPUTE_PGM_RSRC3_GFX90A:TG_SPLIT: 0
	.section	.text._ZN12_GLOBAL__N_120geam_min_plus_kernelIf15HIP_vector_typeIfLj2EES2_Li8ELi32ELi64ELi128ELi4ELi4ELi64ELi4ELi64ELc84ELc78ELb1ELb1ELb0EfKPKfKPfEEviiiT16_PT17_ilSA_ilS8_SA_ilPT18_ili26rocblas_geam_ex_operation_,"axG",@progbits,_ZN12_GLOBAL__N_120geam_min_plus_kernelIf15HIP_vector_typeIfLj2EES2_Li8ELi32ELi64ELi128ELi4ELi4ELi64ELi4ELi64ELc84ELc78ELb1ELb1ELb0EfKPKfKPfEEviiiT16_PT17_ilSA_ilS8_SA_ilPT18_ili26rocblas_geam_ex_operation_,comdat
	.globl	_ZN12_GLOBAL__N_120geam_min_plus_kernelIf15HIP_vector_typeIfLj2EES2_Li8ELi32ELi64ELi128ELi4ELi4ELi64ELi4ELi64ELc84ELc78ELb1ELb1ELb0EfKPKfKPfEEviiiT16_PT17_ilSA_ilS8_SA_ilPT18_ili26rocblas_geam_ex_operation_ ; -- Begin function _ZN12_GLOBAL__N_120geam_min_plus_kernelIf15HIP_vector_typeIfLj2EES2_Li8ELi32ELi64ELi128ELi4ELi4ELi64ELi4ELi64ELc84ELc78ELb1ELb1ELb0EfKPKfKPfEEviiiT16_PT17_ilSA_ilS8_SA_ilPT18_ili26rocblas_geam_ex_operation_
	.p2align	8
	.type	_ZN12_GLOBAL__N_120geam_min_plus_kernelIf15HIP_vector_typeIfLj2EES2_Li8ELi32ELi64ELi128ELi4ELi4ELi64ELi4ELi64ELc84ELc78ELb1ELb1ELb0EfKPKfKPfEEviiiT16_PT17_ilSA_ilS8_SA_ilPT18_ili26rocblas_geam_ex_operation_,@function
_ZN12_GLOBAL__N_120geam_min_plus_kernelIf15HIP_vector_typeIfLj2EES2_Li8ELi32ELi64ELi128ELi4ELi4ELi64ELi4ELi64ELc84ELc78ELb1ELb1ELb0EfKPKfKPfEEviiiT16_PT17_ilSA_ilS8_SA_ilPT18_ili26rocblas_geam_ex_operation_: ; @_ZN12_GLOBAL__N_120geam_min_plus_kernelIf15HIP_vector_typeIfLj2EES2_Li8ELi32ELi64ELi128ELi4ELi4ELi64ELi4ELi64ELc84ELc78ELb1ELb1ELb0EfKPKfKPfEEviiiT16_PT17_ilSA_ilS8_SA_ilPT18_ili26rocblas_geam_ex_operation_
; %bb.0:
	s_load_dwordx4 s[20:23], s[0:1], 0x0
	s_load_dwordx4 s[4:7], s[0:1], 0x20
	s_mov_b32 s8, s3
	s_mov_b32 s9, 0
	s_waitcnt lgkmcnt(0)
	v_cmp_eq_f32_e64 s[10:11], s23, 0
	s_and_b64 vcc, exec, s[10:11]
	s_cbranch_vccnz .LBB37_3
; %bb.1:
	s_load_dwordx2 s[12:13], s[0:1], 0x10
	s_lshl_b64 s[14:15], s[8:9], 3
	s_waitcnt lgkmcnt(0)
	s_add_u32 s12, s12, s14
	s_addc_u32 s13, s13, s15
	s_load_dwordx2 s[12:13], s[12:13], 0x0
	s_lshl_b64 s[4:5], s[4:5], 2
	s_waitcnt lgkmcnt(0)
	s_add_u32 s14, s12, s4
	s_addc_u32 s15, s13, s5
	s_andn2_b64 vcc, exec, s[10:11]
	s_cbranch_vccnz .LBB37_4
.LBB37_2:
	s_mov_b32 s11, 0
	s_mov_b32 s10, s8
	s_mov_b64 s[24:25], 0
	s_mov_b64 s[12:13], 0
	s_cbranch_execz .LBB37_5
	s_branch .LBB37_6
.LBB37_3:
	s_mov_b64 s[14:15], 0
	s_andn2_b64 vcc, exec, s[10:11]
	s_cbranch_vccz .LBB37_2
.LBB37_4:
	s_mov_b64 s[10:11], s[8:9]
	s_mov_b64 s[24:25], 0
	;; [unrolled: 1-line block ×3, first 2 shown]
.LBB37_5:
	s_lshl_b64 s[8:9], s[8:9], 3
	s_add_u32 s6, s6, s8
	s_load_dwordx2 s[4:5], s[0:1], 0x38
	s_addc_u32 s7, s7, s9
	s_load_dwordx2 s[6:7], s[6:7], 0x0
	s_waitcnt lgkmcnt(0)
	s_lshl_b64 s[4:5], s[4:5], 2
	s_add_u32 s12, s6, s4
	s_addc_u32 s13, s7, s5
.LBB37_6:
	s_load_dword s28, s[0:1], 0x40
	s_load_dwordx4 s[4:7], s[0:1], 0x58
	s_waitcnt lgkmcnt(0)
	v_cmp_eq_f32_e64 s[16:17], s28, 0
	v_cmp_neq_f32_e64 s[8:9], s28, 0
	s_and_b64 vcc, exec, s[16:17]
	s_cbranch_vccnz .LBB37_8
; %bb.7:
	s_load_dwordx2 s[16:17], s[0:1], 0x48
	s_lshl_b64 s[18:19], s[10:11], 3
	s_waitcnt lgkmcnt(0)
	s_add_u32 s16, s16, s18
	s_addc_u32 s17, s17, s19
	s_load_dwordx2 s[16:17], s[16:17], 0x0
	s_lshl_b64 s[4:5], s[4:5], 2
	s_waitcnt lgkmcnt(0)
	s_add_u32 s24, s16, s4
	s_addc_u32 s25, s17, s5
.LBB37_8:
	s_lshl_b64 s[4:5], s[10:11], 3
	s_add_u32 s10, s6, s4
	s_addc_u32 s11, s7, s5
	s_add_i32 s3, s20, -1
	s_ashr_i32 s4, s3, 31
	s_lshr_b32 s4, s4, 26
	s_add_i32 s3, s3, s4
	s_ashr_i32 s3, s3, 6
	s_add_i32 s4, s3, 1
	v_cvt_f32_u32_e32 v1, s4
	s_not_b32 s3, s3
	v_and_b32_e32 v69, 0x3ff, v0
	v_bfe_u32 v84, v0, 10, 10
	v_rcp_iflag_f32_e32 v1, v1
	s_load_dword s23, s[0:1], 0x18
	v_and_b32_e32 v68, 3, v0
	v_lshl_add_u32 v0, v84, 3, v69
	v_mul_f32_e32 v1, 0x4f7ffffe, v1
	v_cvt_u32_f32_e32 v1, v1
	v_lshrrev_b32_e32 v75, 2, v0
	v_cmp_le_i32_e32 vcc, s22, v68
	v_mov_b32_e32 v71, 0
	v_readfirstlane_b32 s5, v1
	s_mul_i32 s3, s3, s5
	s_mul_hi_u32 s3, s5, s3
	s_add_i32 s5, s5, s3
	s_mul_hi_u32 s3, s2, s5
	s_mul_i32 s5, s3, s4
	s_sub_i32 s5, s2, s5
	s_add_i32 s6, s3, 1
	s_sub_i32 s7, s5, s4
	s_cmp_ge_u32 s5, s4
	s_cselect_b32 s3, s6, s3
	s_cselect_b32 s5, s7, s5
	s_add_i32 s6, s3, 1
	s_cmp_ge_u32 s5, s4
	s_cselect_b32 s6, s6, s3
	s_mul_i32 s3, s6, s4
	s_sub_i32 s2, s2, s3
	s_lshl_b32 s18, s2, 6
	v_add_u32_e32 v74, s18, v75
	v_cmp_le_i32_e64 s[2:3], s20, v74
	s_nor_b64 s[4:5], vcc, s[2:3]
	v_lshlrev_b32_e32 v70, 2, v68
                                        ; implicit-def: $vgpr5
	s_and_saveexec_b64 s[16:17], s[4:5]
	s_xor_b64 s[4:5], exec, s[16:17]
	s_cbranch_execz .LBB37_10
; %bb.9:
	s_waitcnt lgkmcnt(0)
	v_mad_i64_i32 v[0:1], s[16:17], v74, s23, 0
	v_lshl_add_u64 v[0:1], v[0:1], 2, s[14:15]
	v_lshl_add_u64 v[0:1], v[0:1], 0, v[70:71]
	flat_load_dword v5, v[0:1]
.LBB37_10:
	s_andn2_saveexec_b64 s[4:5], s[4:5]
	s_cbranch_execz .LBB37_12
; %bb.11:
	s_waitcnt vmcnt(0) lgkmcnt(0)
	v_mov_b32_e32 v5, 0
.LBB37_12:
	s_or_b64 exec, exec, s[4:5]
	s_load_dword s26, s[0:1], 0x30
	s_lshl_b32 s19, s6, 7
	v_add_u32_e32 v76, s19, v75
	v_lshlrev_b32_e32 v0, 2, v68
	v_mov_b32_e32 v1, 0
	v_cmp_le_i32_e64 s[4:5], s21, v76
	v_lshl_add_u64 v[2:3], s[12:13], 0, v[0:1]
	s_nor_b64 s[16:17], vcc, s[4:5]
	v_mov_b32_e32 v4, 0
	s_and_saveexec_b64 s[6:7], s[16:17]
	s_cbranch_execz .LBB37_14
; %bb.13:
	s_waitcnt lgkmcnt(0)
	v_mad_i64_i32 v[6:7], s[16:17], v76, s26, 0
	v_lshl_add_u64 v[6:7], v[6:7], 2, v[2:3]
	flat_load_dword v4, v[6:7]
.LBB37_14:
	s_or_b64 exec, exec, s[6:7]
	v_add_u32_e32 v77, 64, v76
	v_cmp_le_i32_e64 s[6:7], s21, v77
	s_nor_b64 s[30:31], vcc, s[6:7]
	s_and_saveexec_b64 s[16:17], s[30:31]
	s_cbranch_execz .LBB37_16
; %bb.15:
	s_waitcnt lgkmcnt(0)
	v_mad_i64_i32 v[0:1], s[30:31], v77, s26, 0
	v_lshl_add_u64 v[0:1], v[0:1], 2, v[2:3]
	flat_load_dword v1, v[0:1]
.LBB37_16:
	s_or_b64 exec, exec, s[16:17]
	v_or_b32_e32 v0, 4, v68
	v_cmp_le_i32_e32 vcc, s22, v0
	s_nor_b64 s[16:17], vcc, s[2:3]
	v_mov_b32_e32 v71, 0
                                        ; implicit-def: $vgpr78
	s_and_saveexec_b64 s[30:31], s[16:17]
	s_xor_b64 s[16:17], exec, s[30:31]
	s_cbranch_execz .LBB37_18
; %bb.17:
	s_waitcnt lgkmcnt(0)
	v_mad_i64_i32 v[2:3], s[30:31], v74, s23, 0
	v_lshl_add_u64 v[2:3], v[2:3], 2, s[14:15]
	v_lshl_add_u64 v[2:3], v[2:3], 0, v[70:71]
	flat_load_dword v78, v[2:3] offset:16
.LBB37_18:
	s_andn2_saveexec_b64 s[16:17], s[16:17]
	s_cbranch_execz .LBB37_20
; %bb.19:
	s_waitcnt vmcnt(0) lgkmcnt(0)
	v_mov_b32_e32 v78, 0
.LBB37_20:
	s_or_b64 exec, exec, s[16:17]
	v_lshlrev_b32_e32 v72, 2, v0
	v_mov_b32_e32 v73, 0
	v_lshl_add_u64 v[2:3], s[12:13], 0, v[72:73]
	s_nor_b64 s[30:31], vcc, s[4:5]
	v_mov_b32_e32 v71, 0
	s_and_saveexec_b64 s[16:17], s[30:31]
	s_cbranch_execz .LBB37_22
; %bb.21:
	s_waitcnt lgkmcnt(0)
	v_mad_i64_i32 v[6:7], s[30:31], v76, s26, 0
	v_lshl_add_u64 v[6:7], v[6:7], 2, v[2:3]
	flat_load_dword v71, v[6:7]
.LBB37_22:
	s_or_b64 exec, exec, s[16:17]
	s_load_dwordx2 s[10:11], s[10:11], 0x0
	s_nor_b64 s[30:31], vcc, s[6:7]
	s_and_saveexec_b64 s[16:17], s[30:31]
	s_cbranch_execz .LBB37_24
; %bb.23:
	s_waitcnt lgkmcnt(0)
	v_mad_i64_i32 v[6:7], s[30:31], v77, s26, 0
	v_lshl_add_u64 v[2:3], v[6:7], 2, v[2:3]
	flat_load_dword v73, v[2:3]
.LBB37_24:
	s_or_b64 exec, exec, s[16:17]
	v_lshlrev_b32_e32 v0, 4, v75
	v_lshl_or_b32 v85, v68, 2, v0
	v_mov_b32_e32 v0, 0x1000
	v_mov_b32_e32 v66, 0
	s_waitcnt vmcnt(0) lgkmcnt(0)
	ds_write_b32 v85, v5 offset:4096
	ds_write2st64_b32 v85, v4, v1 offset1:4
	v_lshl_add_u32 v86, v69, 4, v0
	s_mov_b32 s27, 0
	s_mov_b64 s[16:17], -1
	v_mov_b32_e32 v67, v66
	v_mov_b32_e32 v64, v66
	;; [unrolled: 1-line block ×63, first 2 shown]
	v_add_u32_e32 v87, 0x1000, v85
	v_lshlrev_b32_e32 v88, 4, v84
	s_waitcnt lgkmcnt(0)
	s_barrier
.LBB37_25:                              ; =>This Inner Loop Header: Depth=1
	v_cndmask_b32_e64 v0, 0, 1, s[16:17]
	s_lshl_b32 s16, s27, 2
	v_cmp_ne_u32_e32 vcc, 1, v0
	v_add_u32_e32 v0, s16, v86
	ds_read2_b64 v[80:83], v0 offset1:16
	ds_read2_b64 v[90:93], v0 offset0:32 offset1:48
	ds_read2_b64 v[94:97], v0 offset0:64 offset1:80
	;; [unrolled: 1-line block ×3, first 2 shown]
	v_add_u32_e32 v0, s16, v88
	ds_read2st64_b64 v[102:105], v0 offset1:1
	ds_read2st64_b64 v[0:3], v0 offset0:2 offset1:3
	s_waitcnt lgkmcnt(5)
	v_max_f32_e32 v79, v80, v80
	v_max_f32_e32 v82, v82, v82
	;; [unrolled: 1-line block ×3, first 2 shown]
	s_waitcnt lgkmcnt(1)
	v_max_f32_e32 v72, v102, v102
	v_max_f32_e32 v89, v103, v103
	v_max_f32_e32 v102, v81, v81
	v_min_f32_e32 v80, v79, v72
	v_min_f32_e32 v81, v102, v89
	v_pk_add_f32 v[66:67], v[66:67], v[80:81]
	v_min_f32_e32 v80, v82, v72
	v_min_f32_e32 v81, v83, v89
	v_max_f32_e32 v90, v90, v90
	v_max_f32_e32 v91, v91, v91
	v_pk_add_f32 v[64:65], v[64:65], v[80:81]
	v_min_f32_e32 v80, v90, v72
	v_min_f32_e32 v81, v91, v89
	v_max_f32_e32 v92, v92, v92
	v_max_f32_e32 v93, v93, v93
	;; [unrolled: 5-line block ×5, first 2 shown]
	v_pk_add_f32 v[56:57], v[56:57], v[80:81]
	v_min_f32_e32 v80, v98, v72
	v_min_f32_e32 v81, v99, v89
	v_max_f32_e32 v100, v100, v100
	v_pk_add_f32 v[54:55], v[54:55], v[80:81]
	v_min_f32_e32 v80, v100, v72
	v_max_f32_e32 v72, v101, v101
	v_min_f32_e32 v81, v72, v89
	v_max_f32_e32 v89, v104, v104
	v_max_f32_e32 v101, v105, v105
	v_pk_add_f32 v[52:53], v[52:53], v[80:81]
	v_min_f32_e32 v80, v79, v89
	v_min_f32_e32 v81, v102, v101
	v_pk_add_f32 v[50:51], v[50:51], v[80:81]
	v_min_f32_e32 v80, v82, v89
	v_min_f32_e32 v81, v83, v101
	v_pk_add_f32 v[48:49], v[48:49], v[80:81]
	v_min_f32_e32 v80, v90, v89
	v_min_f32_e32 v81, v91, v101
	v_pk_add_f32 v[46:47], v[46:47], v[80:81]
	v_min_f32_e32 v80, v92, v89
	v_min_f32_e32 v81, v93, v101
	v_pk_add_f32 v[44:45], v[44:45], v[80:81]
	v_min_f32_e32 v80, v94, v89
	v_min_f32_e32 v81, v95, v101
	v_pk_add_f32 v[42:43], v[42:43], v[80:81]
	v_min_f32_e32 v80, v96, v89
	v_min_f32_e32 v81, v97, v101
	v_pk_add_f32 v[40:41], v[40:41], v[80:81]
	v_min_f32_e32 v80, v98, v89
	v_min_f32_e32 v81, v99, v101
	v_pk_add_f32 v[38:39], v[38:39], v[80:81]
	v_min_f32_e32 v80, v100, v89
	v_min_f32_e32 v81, v72, v101
	v_pk_add_f32 v[36:37], v[36:37], v[80:81]
	s_waitcnt lgkmcnt(0)
	v_max_f32_e32 v80, v0, v0
	v_max_f32_e32 v81, v1, v1
	v_min_f32_e32 v0, v79, v80
	v_min_f32_e32 v1, v102, v81
	v_pk_add_f32 v[34:35], v[34:35], v[0:1]
	v_min_f32_e32 v0, v82, v80
	v_min_f32_e32 v1, v83, v81
	v_pk_add_f32 v[32:33], v[32:33], v[0:1]
	;; [unrolled: 3-line block ×7, first 2 shown]
	v_min_f32_e32 v0, v100, v80
	v_min_f32_e32 v1, v72, v81
	v_max_f32_e32 v2, v2, v2
	v_max_f32_e32 v3, v3, v3
	v_pk_add_f32 v[20:21], v[20:21], v[0:1]
	v_min_f32_e32 v0, v79, v2
	v_min_f32_e32 v1, v102, v3
	v_pk_add_f32 v[18:19], v[18:19], v[0:1]
	v_min_f32_e32 v0, v82, v2
	v_min_f32_e32 v1, v83, v3
	;; [unrolled: 3-line block ×8, first 2 shown]
	v_pk_add_f32 v[4:5], v[4:5], v[0:1]
	s_mov_b64 s[16:17], 0
	s_mov_b32 s27, 2
	s_cbranch_vccz .LBB37_25
; %bb.26:
	v_lshl_or_b32 v0, v75, 4, v70
	s_cmp_lt_i32 s22, 9
	ds_write_b32 v0, v78 offset:5120
	ds_write2st64_b32 v0, v71, v73 offset0:8 offset1:12
	s_waitcnt lgkmcnt(0)
	s_barrier
	s_cbranch_scc1 .LBB37_45
; %bb.27:
	v_add_u32_e32 v89, 0x1400, v0
	v_add_u32_e32 v90, 0x800, v0
	v_mad_i64_i32 v[0:1], s[30:31], v74, s23, 0
	v_lshl_add_u64 v[70:71], v[0:1], 2, s[14:15]
	v_mov_b32_e32 v0, 0x1400
	v_lshl_add_u32 v91, v69, 4, v0
	v_mov_b32_e32 v0, 0x800
	s_add_i32 s16, s22, -8
	v_mad_i64_i32 v[72:73], s[14:15], v76, s26, 0
	v_mad_i64_i32 v[74:75], s[14:15], v77, s26, 0
	v_lshl_add_u32 v92, v84, 4, v0
	s_mov_b32 s17, 8
	s_mov_b32 s23, 0
	v_mov_b32_e32 v77, 0
.LBB37_28:                              ; =>This Loop Header: Depth=1
                                        ;     Child Loop BB37_35 Depth 2
                                        ;     Child Loop BB37_43 Depth 2
	v_or_b32_e32 v76, s17, v68
	v_cmp_le_i32_e32 vcc, s22, v76
	s_nor_b64 s[26:27], vcc, s[2:3]
	v_lshl_add_u64 v[78:79], v[76:77], 2, v[70:71]
	v_mov_b32_e32 v95, v77
	s_and_saveexec_b64 s[14:15], s[26:27]
	s_cbranch_execz .LBB37_30
; %bb.29:                               ;   in Loop: Header=BB37_28 Depth=1
	flat_load_dword v95, v[78:79]
.LBB37_30:                              ;   in Loop: Header=BB37_28 Depth=1
	s_or_b64 exec, exec, s[14:15]
	v_lshl_add_u64 v[0:1], v[76:77], 2, s[12:13]
	s_nor_b64 s[26:27], s[4:5], vcc
	v_mov_b32_e32 v93, 0
	v_lshl_add_u64 v[82:83], v[72:73], 2, v[0:1]
	v_mov_b32_e32 v94, 0
	s_and_saveexec_b64 s[14:15], s[26:27]
	s_cbranch_execz .LBB37_32
; %bb.31:                               ;   in Loop: Header=BB37_28 Depth=1
	flat_load_dword v94, v[82:83]
.LBB37_32:                              ;   in Loop: Header=BB37_28 Depth=1
	s_or_b64 exec, exec, s[14:15]
	s_nor_b64 s[26:27], s[6:7], vcc
	v_lshl_add_u64 v[80:81], v[74:75], 2, v[0:1]
	s_and_saveexec_b64 s[14:15], s[26:27]
	s_cbranch_execz .LBB37_34
; %bb.33:                               ;   in Loop: Header=BB37_28 Depth=1
	flat_load_dword v93, v[80:81]
.LBB37_34:                              ;   in Loop: Header=BB37_28 Depth=1
	s_or_b64 exec, exec, s[14:15]
	s_mov_b32 s26, 0
	s_mov_b64 s[14:15], -1
.LBB37_35:                              ;   Parent Loop BB37_28 Depth=1
                                        ; =>  This Inner Loop Header: Depth=2
	v_cndmask_b32_e64 v0, 0, 1, s[14:15]
	s_lshl_b32 s14, s26, 2
	v_cmp_ne_u32_e32 vcc, 1, v0
	v_add_u32_e32 v0, s14, v91
	ds_read2_b64 v[96:99], v0 offset1:16
	ds_read2_b64 v[100:103], v0 offset0:32 offset1:48
	ds_read2_b64 v[104:107], v0 offset0:64 offset1:80
	;; [unrolled: 1-line block ×3, first 2 shown]
	v_add_u32_e32 v0, s14, v92
	ds_read2st64_b64 v[112:115], v0 offset1:1
	ds_read2st64_b64 v[0:3], v0 offset0:2 offset1:3
	s_waitcnt lgkmcnt(0)
	v_max_f32_e32 v116, v96, v96
	v_max_f32_e32 v117, v97, v97
	;; [unrolled: 1-line block ×5, first 2 shown]
	v_min_f32_e32 v96, v116, v112
	v_min_f32_e32 v97, v117, v113
	v_max_f32_e32 v99, v99, v99
	v_pk_add_f32 v[66:67], v[66:67], v[96:97]
	v_min_f32_e32 v96, v98, v112
	v_min_f32_e32 v97, v99, v113
	v_max_f32_e32 v100, v100, v100
	v_max_f32_e32 v101, v101, v101
	v_pk_add_f32 v[64:65], v[64:65], v[96:97]
	v_min_f32_e32 v96, v100, v112
	v_min_f32_e32 v97, v101, v113
	v_max_f32_e32 v102, v102, v102
	;; [unrolled: 5-line block ×7, first 2 shown]
	v_max_f32_e32 v113, v115, v115
	v_pk_add_f32 v[52:53], v[52:53], v[96:97]
	v_min_f32_e32 v96, v116, v112
	v_min_f32_e32 v97, v117, v113
	v_pk_add_f32 v[50:51], v[50:51], v[96:97]
	v_min_f32_e32 v96, v98, v112
	v_min_f32_e32 v97, v99, v113
	;; [unrolled: 3-line block ×8, first 2 shown]
	v_pk_add_f32 v[36:37], v[36:37], v[96:97]
	v_max_f32_e32 v96, v0, v0
	v_max_f32_e32 v97, v1, v1
	v_min_f32_e32 v0, v116, v96
	v_min_f32_e32 v1, v117, v97
	v_pk_add_f32 v[34:35], v[34:35], v[0:1]
	v_min_f32_e32 v0, v98, v96
	v_min_f32_e32 v1, v99, v97
	v_pk_add_f32 v[32:33], v[32:33], v[0:1]
	;; [unrolled: 3-line block ×7, first 2 shown]
	v_min_f32_e32 v0, v110, v96
	v_min_f32_e32 v1, v111, v97
	v_max_f32_e32 v2, v2, v2
	v_max_f32_e32 v3, v3, v3
	v_pk_add_f32 v[20:21], v[20:21], v[0:1]
	v_min_f32_e32 v0, v116, v2
	v_min_f32_e32 v1, v117, v3
	v_pk_add_f32 v[18:19], v[18:19], v[0:1]
	v_min_f32_e32 v0, v98, v2
	v_min_f32_e32 v1, v99, v3
	;; [unrolled: 3-line block ×8, first 2 shown]
	v_pk_add_f32 v[4:5], v[4:5], v[0:1]
	s_mov_b64 s[14:15], 0
	s_mov_b32 s26, 2
	s_cbranch_vccz .LBB37_35
; %bb.36:                               ;   in Loop: Header=BB37_28 Depth=1
	v_or_b32_e32 v0, 4, v76
	v_cmp_le_i32_e32 vcc, s22, v0
	s_waitcnt vmcnt(0)
	ds_write_b32 v87, v95
	ds_write2st64_b32 v85, v94, v93 offset1:4
	s_nor_b64 s[26:27], vcc, s[2:3]
	v_mov_b32_e32 v76, 0
	v_mov_b32_e32 v93, 0
	s_waitcnt lgkmcnt(0)
	s_barrier
	s_and_saveexec_b64 s[14:15], s[26:27]
	s_cbranch_execz .LBB37_38
; %bb.37:                               ;   in Loop: Header=BB37_28 Depth=1
	flat_load_dword v93, v[78:79] offset:16
.LBB37_38:                              ;   in Loop: Header=BB37_28 Depth=1
	s_or_b64 exec, exec, s[14:15]
	s_nor_b64 s[26:27], s[4:5], vcc
	s_and_saveexec_b64 s[14:15], s[26:27]
	s_cbranch_execz .LBB37_40
; %bb.39:                               ;   in Loop: Header=BB37_28 Depth=1
	flat_load_dword v76, v[82:83] offset:16
.LBB37_40:                              ;   in Loop: Header=BB37_28 Depth=1
	s_or_b64 exec, exec, s[14:15]
	s_nor_b64 s[26:27], s[6:7], vcc
	v_mov_b32_e32 v78, 0
	s_and_saveexec_b64 s[14:15], s[26:27]
	s_cbranch_execz .LBB37_42
; %bb.41:                               ;   in Loop: Header=BB37_28 Depth=1
	flat_load_dword v78, v[80:81] offset:16
.LBB37_42:                              ;   in Loop: Header=BB37_28 Depth=1
	s_or_b64 exec, exec, s[14:15]
	s_mov_b32 s26, 0
	s_mov_b64 s[14:15], -1
.LBB37_43:                              ;   Parent Loop BB37_28 Depth=1
                                        ; =>  This Inner Loop Header: Depth=2
	v_cndmask_b32_e64 v0, 0, 1, s[14:15]
	s_lshl_b32 s14, s26, 2
	v_cmp_ne_u32_e32 vcc, 1, v0
	v_add_u32_e32 v0, s14, v86
	ds_read2_b64 v[80:83], v0 offset1:16
	ds_read2_b64 v[94:97], v0 offset0:32 offset1:48
	ds_read2_b64 v[98:101], v0 offset0:64 offset1:80
	ds_read2_b64 v[102:105], v0 offset0:96 offset1:112
	v_add_u32_e32 v0, s14, v88
	ds_read2st64_b64 v[106:109], v0 offset1:1
	ds_read2st64_b64 v[0:3], v0 offset0:2 offset1:3
	s_waitcnt lgkmcnt(0)
	v_max_f32_e32 v110, v81, v81
	v_max_f32_e32 v82, v82, v82
	;; [unrolled: 1-line block ×6, first 2 shown]
	v_min_f32_e32 v80, v106, v79
	v_min_f32_e32 v81, v110, v107
	v_pk_add_f32 v[66:67], v[66:67], v[80:81]
	v_min_f32_e32 v80, v82, v79
	v_min_f32_e32 v81, v83, v107
	v_max_f32_e32 v94, v94, v94
	v_max_f32_e32 v95, v95, v95
	v_pk_add_f32 v[64:65], v[64:65], v[80:81]
	v_min_f32_e32 v80, v94, v79
	v_min_f32_e32 v81, v95, v107
	v_max_f32_e32 v96, v96, v96
	v_max_f32_e32 v97, v97, v97
	;; [unrolled: 5-line block ×5, first 2 shown]
	v_pk_add_f32 v[56:57], v[56:57], v[80:81]
	v_min_f32_e32 v80, v102, v79
	v_min_f32_e32 v81, v103, v107
	v_max_f32_e32 v104, v104, v104
	v_pk_add_f32 v[54:55], v[54:55], v[80:81]
	v_min_f32_e32 v80, v104, v79
	v_max_f32_e32 v79, v105, v105
	v_min_f32_e32 v81, v79, v107
	v_max_f32_e32 v105, v108, v108
	v_max_f32_e32 v107, v109, v109
	v_pk_add_f32 v[52:53], v[52:53], v[80:81]
	v_min_f32_e32 v80, v106, v105
	v_min_f32_e32 v81, v110, v107
	v_pk_add_f32 v[50:51], v[50:51], v[80:81]
	v_min_f32_e32 v80, v82, v105
	v_min_f32_e32 v81, v83, v107
	;; [unrolled: 3-line block ×8, first 2 shown]
	v_pk_add_f32 v[36:37], v[36:37], v[80:81]
	v_max_f32_e32 v80, v0, v0
	v_max_f32_e32 v81, v1, v1
	v_min_f32_e32 v0, v106, v80
	v_min_f32_e32 v1, v110, v81
	v_pk_add_f32 v[34:35], v[34:35], v[0:1]
	v_min_f32_e32 v0, v82, v80
	v_min_f32_e32 v1, v83, v81
	v_pk_add_f32 v[32:33], v[32:33], v[0:1]
	v_min_f32_e32 v0, v94, v80
	v_min_f32_e32 v1, v95, v81
	v_pk_add_f32 v[30:31], v[30:31], v[0:1]
	v_min_f32_e32 v0, v96, v80
	v_min_f32_e32 v1, v97, v81
	v_pk_add_f32 v[28:29], v[28:29], v[0:1]
	v_min_f32_e32 v0, v98, v80
	v_min_f32_e32 v1, v99, v81
	v_pk_add_f32 v[26:27], v[26:27], v[0:1]
	v_min_f32_e32 v0, v100, v80
	v_min_f32_e32 v1, v101, v81
	v_pk_add_f32 v[24:25], v[24:25], v[0:1]
	v_min_f32_e32 v0, v102, v80
	v_min_f32_e32 v1, v103, v81
	v_pk_add_f32 v[22:23], v[22:23], v[0:1]
	v_min_f32_e32 v0, v104, v80
	v_min_f32_e32 v1, v79, v81
	v_max_f32_e32 v2, v2, v2
	v_max_f32_e32 v3, v3, v3
	v_pk_add_f32 v[20:21], v[20:21], v[0:1]
	v_min_f32_e32 v0, v106, v2
	v_min_f32_e32 v1, v110, v3
	v_pk_add_f32 v[18:19], v[18:19], v[0:1]
	v_min_f32_e32 v0, v82, v2
	v_min_f32_e32 v1, v83, v3
	;; [unrolled: 3-line block ×8, first 2 shown]
	v_pk_add_f32 v[4:5], v[4:5], v[0:1]
	s_mov_b64 s[14:15], 0
	s_mov_b32 s26, 2
	s_cbranch_vccz .LBB37_43
; %bb.44:                               ;   in Loop: Header=BB37_28 Depth=1
	s_add_i32 s17, s17, 8
	s_add_i32 s23, s23, 8
	s_cmp_ge_i32 s23, s16
	s_waitcnt vmcnt(0)
	ds_write_b32 v89, v93
	ds_write2st64_b32 v90, v76, v78 offset1:4
	s_waitcnt lgkmcnt(0)
	s_barrier
	s_cbranch_scc0 .LBB37_28
.LBB37_45:
	v_mov_b32_e32 v0, 0x1400
	v_lshl_add_u32 v68, v69, 4, v0
	v_mov_b32_e32 v0, 0x800
	v_lshl_add_u32 v70, v84, 4, v0
	s_mov_b32 s4, 0
	s_mov_b64 s[2:3], -1
.LBB37_46:                              ; =>This Inner Loop Header: Depth=1
	v_cndmask_b32_e64 v0, 0, 1, s[2:3]
	s_lshl_b32 s2, s4, 2
	v_cmp_ne_u32_e32 vcc, 1, v0
	v_add_u32_e32 v0, s2, v68
	ds_read2_b64 v[72:75], v0 offset1:16
	ds_read2_b64 v[76:79], v0 offset0:32 offset1:48
	ds_read2_b64 v[80:83], v0 offset0:64 offset1:80
	;; [unrolled: 1-line block ×3, first 2 shown]
	v_add_u32_e32 v0, s2, v70
	ds_read2st64_b64 v[90:93], v0 offset1:1
	ds_read2st64_b64 v[0:3], v0 offset0:2 offset1:3
	s_waitcnt lgkmcnt(5)
	v_max_f32_e32 v85, v72, v72
	v_max_f32_e32 v74, v74, v74
	;; [unrolled: 1-line block ×3, first 2 shown]
	s_waitcnt lgkmcnt(1)
	v_max_f32_e32 v71, v90, v90
	v_max_f32_e32 v90, v91, v91
	v_max_f32_e32 v91, v73, v73
	v_min_f32_e32 v72, v85, v71
	v_min_f32_e32 v73, v91, v90
	v_pk_add_f32 v[66:67], v[66:67], v[72:73]
	v_min_f32_e32 v72, v74, v71
	v_min_f32_e32 v73, v75, v90
	v_max_f32_e32 v76, v76, v76
	v_max_f32_e32 v77, v77, v77
	v_pk_add_f32 v[64:65], v[64:65], v[72:73]
	v_min_f32_e32 v72, v76, v71
	v_min_f32_e32 v73, v77, v90
	v_max_f32_e32 v78, v78, v78
	v_max_f32_e32 v79, v79, v79
	;; [unrolled: 5-line block ×5, first 2 shown]
	v_pk_add_f32 v[56:57], v[56:57], v[72:73]
	v_min_f32_e32 v72, v86, v71
	v_min_f32_e32 v73, v87, v90
	v_max_f32_e32 v88, v88, v88
	v_pk_add_f32 v[54:55], v[54:55], v[72:73]
	v_min_f32_e32 v72, v88, v71
	v_max_f32_e32 v71, v89, v89
	v_min_f32_e32 v73, v71, v90
	v_max_f32_e32 v89, v92, v92
	v_max_f32_e32 v90, v93, v93
	v_pk_add_f32 v[52:53], v[52:53], v[72:73]
	v_min_f32_e32 v72, v85, v89
	v_min_f32_e32 v73, v91, v90
	v_pk_add_f32 v[50:51], v[50:51], v[72:73]
	v_min_f32_e32 v72, v74, v89
	v_min_f32_e32 v73, v75, v90
	;; [unrolled: 3-line block ×8, first 2 shown]
	v_pk_add_f32 v[36:37], v[36:37], v[72:73]
	s_waitcnt lgkmcnt(0)
	v_max_f32_e32 v72, v0, v0
	v_max_f32_e32 v73, v1, v1
	v_min_f32_e32 v0, v85, v72
	v_min_f32_e32 v1, v91, v73
	v_pk_add_f32 v[34:35], v[34:35], v[0:1]
	v_min_f32_e32 v0, v74, v72
	v_min_f32_e32 v1, v75, v73
	v_pk_add_f32 v[32:33], v[32:33], v[0:1]
	;; [unrolled: 3-line block ×7, first 2 shown]
	v_min_f32_e32 v0, v88, v72
	v_min_f32_e32 v1, v71, v73
	v_max_f32_e32 v2, v2, v2
	v_max_f32_e32 v3, v3, v3
	v_pk_add_f32 v[20:21], v[20:21], v[0:1]
	v_min_f32_e32 v0, v85, v2
	v_min_f32_e32 v1, v91, v3
	v_pk_add_f32 v[18:19], v[18:19], v[0:1]
	v_min_f32_e32 v0, v74, v2
	v_min_f32_e32 v1, v75, v3
	;; [unrolled: 3-line block ×8, first 2 shown]
	v_pk_add_f32 v[4:5], v[4:5], v[0:1]
	s_mov_b64 s[2:3], 0
	s_mov_b32 s4, 2
	s_cbranch_vccz .LBB37_46
; %bb.47:
	s_load_dwordx2 s[2:3], s[0:1], 0x70
	s_load_dword s30, s[0:1], 0x50
	s_load_dword s29, s[0:1], 0x68
	v_add_u32_e32 v72, s19, v84
	v_add_u32_e32 v0, s18, v69
	s_waitcnt lgkmcnt(0)
	s_lshl_b64 s[0:1], s[2:3], 2
	s_add_u32 s22, s10, s0
	s_addc_u32 s23, s11, s1
	v_mad_i64_i32 v[2:3], s[0:1], v72, s30, 0
	v_lshl_add_u64 v[70:71], v[2:3], 2, s[24:25]
	v_mad_i64_i32 v[2:3], s[0:1], v72, s29, 0
	v_cmp_gt_i32_e64 s[18:19], s21, v72
	v_lshl_add_u64 v[68:69], v[2:3], 2, s[22:23]
	v_cmp_gt_i32_e64 s[2:3], s20, v0
	v_cndmask_b32_e64 v2, 0, 1, s[8:9]
	s_and_b64 s[6:7], s[2:3], s[18:19]
	v_ashrrev_i32_e32 v1, 31, v0
	v_cmp_ne_u32_e64 s[0:1], 1, v2
	s_and_saveexec_b64 s[4:5], s[6:7]
	s_cbranch_execz .LBB37_52
; %bb.48:
	s_and_b64 vcc, exec, s[0:1]
	s_cbranch_vccnz .LBB37_50
; %bb.49:
	v_lshl_add_u64 v[2:3], v[0:1], 2, v[70:71]
	flat_load_dword v2, v[2:3]
	s_waitcnt vmcnt(0) lgkmcnt(0)
	v_mul_f32_e32 v2, s28, v2
	s_branch .LBB37_51
.LBB37_50:
	v_mov_b32_e32 v2, 0
.LBB37_51:
	v_add_f32_e32 v3, v66, v67
	v_add_f32_e32 v66, v3, v2
	v_lshl_add_u64 v[2:3], v[0:1], 2, v[68:69]
	flat_store_dword v[2:3], v66
.LBB37_52:
	s_or_b64 exec, exec, s[4:5]
	v_add_u32_e32 v2, 8, v0
	v_cmp_gt_i32_e64 s[4:5], s20, v2
	s_and_b64 s[8:9], s[4:5], s[18:19]
	v_ashrrev_i32_e32 v3, 31, v2
	s_and_saveexec_b64 s[6:7], s[8:9]
	s_cbranch_execz .LBB37_57
; %bb.53:
	s_and_b64 vcc, exec, s[0:1]
	s_cbranch_vccnz .LBB37_55
; %bb.54:
	v_lshl_add_u64 v[66:67], v[2:3], 2, v[70:71]
	flat_load_dword v66, v[66:67]
	s_waitcnt vmcnt(0) lgkmcnt(0)
	v_mul_f32_e32 v66, s28, v66
	s_branch .LBB37_56
.LBB37_55:
	v_mov_b32_e32 v66, 0
.LBB37_56:
	v_add_f32_e32 v64, v64, v65
	v_add_f32_e32 v66, v64, v66
	v_lshl_add_u64 v[64:65], v[2:3], 2, v[68:69]
	flat_store_dword v[64:65], v66
.LBB37_57:
	s_or_b64 exec, exec, s[6:7]
	v_add_u32_e32 v64, 16, v0
	v_cmp_gt_i32_e64 s[6:7], s20, v64
	s_and_b64 s[10:11], s[6:7], s[18:19]
	v_ashrrev_i32_e32 v65, 31, v64
	;; [unrolled: 24-line block ×7, first 2 shown]
	s_and_saveexec_b64 s[18:19], s[26:27]
	s_cbranch_execz .LBB37_87
; %bb.83:
	s_and_b64 vcc, exec, s[0:1]
	s_cbranch_vccnz .LBB37_85
; %bb.84:
	v_lshl_add_u64 v[66:67], v[54:55], 2, v[70:71]
	flat_load_dword v66, v[66:67]
	s_waitcnt vmcnt(0) lgkmcnt(0)
	v_mul_f32_e32 v66, s28, v66
	s_branch .LBB37_86
.LBB37_85:
	v_mov_b32_e32 v66, 0
.LBB37_86:
	v_add_f32_e32 v52, v52, v53
	v_add_f32_e32 v66, v52, v66
	v_lshl_add_u64 v[52:53], v[54:55], 2, v[68:69]
	flat_store_dword v[52:53], v66
.LBB37_87:
	s_or_b64 exec, exec, s[18:19]
	v_add_u32_e32 v68, 32, v72
	v_mad_i64_i32 v[52:53], s[26:27], v68, s30, 0
	v_cmp_gt_i32_e64 s[18:19], s21, v68
	v_lshl_add_u64 v[66:67], v[52:53], 2, s[24:25]
	v_mad_i64_i32 v[52:53], s[26:27], v68, s29, 0
	v_lshl_add_u64 v[52:53], v[52:53], 2, s[22:23]
	s_and_b64 s[34:35], s[2:3], s[18:19]
	s_and_saveexec_b64 s[26:27], s[34:35]
	s_cbranch_execnz .LBB37_95
; %bb.88:
	s_or_b64 exec, exec, s[26:27]
	s_and_b64 s[34:35], s[4:5], s[18:19]
	s_and_saveexec_b64 s[26:27], s[34:35]
	s_cbranch_execnz .LBB37_99
.LBB37_89:
	s_or_b64 exec, exec, s[26:27]
	s_and_b64 s[34:35], s[6:7], s[18:19]
	s_and_saveexec_b64 s[26:27], s[34:35]
	s_cbranch_execnz .LBB37_103
.LBB37_90:
	s_or_b64 exec, exec, s[26:27]
	s_and_b64 s[34:35], s[8:9], s[18:19]
	s_and_saveexec_b64 s[26:27], s[34:35]
	s_cbranch_execnz .LBB37_107
.LBB37_91:
	s_or_b64 exec, exec, s[26:27]
	s_and_b64 s[34:35], s[10:11], s[18:19]
	s_and_saveexec_b64 s[26:27], s[34:35]
	s_cbranch_execnz .LBB37_111
.LBB37_92:
	s_or_b64 exec, exec, s[26:27]
	s_and_b64 s[34:35], s[12:13], s[18:19]
	s_and_saveexec_b64 s[26:27], s[34:35]
	s_cbranch_execnz .LBB37_115
.LBB37_93:
	s_or_b64 exec, exec, s[26:27]
	s_and_b64 s[34:35], s[14:15], s[18:19]
	s_and_saveexec_b64 s[26:27], s[34:35]
	s_cbranch_execnz .LBB37_119
.LBB37_94:
	s_or_b64 exec, exec, s[26:27]
	s_and_b64 s[26:27], s[16:17], s[18:19]
	s_and_saveexec_b64 s[18:19], s[26:27]
	s_cbranch_execnz .LBB37_123
	s_branch .LBB37_127
.LBB37_95:
	s_and_b64 vcc, exec, s[0:1]
	s_cbranch_vccnz .LBB37_97
; %bb.96:
	v_lshl_add_u64 v[68:69], v[0:1], 2, v[66:67]
	flat_load_dword v68, v[68:69]
	s_waitcnt vmcnt(0) lgkmcnt(0)
	v_mul_f32_e32 v68, s28, v68
	s_branch .LBB37_98
.LBB37_97:
	v_mov_b32_e32 v68, 0
.LBB37_98:
	v_add_f32_e32 v50, v50, v51
	v_add_f32_e32 v68, v50, v68
	v_lshl_add_u64 v[50:51], v[0:1], 2, v[52:53]
	flat_store_dword v[50:51], v68
	s_or_b64 exec, exec, s[26:27]
	s_and_b64 s[34:35], s[4:5], s[18:19]
	s_and_saveexec_b64 s[26:27], s[34:35]
	s_cbranch_execz .LBB37_89
.LBB37_99:
	s_and_b64 vcc, exec, s[0:1]
	s_cbranch_vccnz .LBB37_101
; %bb.100:
	v_lshl_add_u64 v[50:51], v[2:3], 2, v[66:67]
	flat_load_dword v50, v[50:51]
	s_waitcnt vmcnt(0) lgkmcnt(0)
	v_mul_f32_e32 v50, s28, v50
	s_branch .LBB37_102
.LBB37_101:
	v_mov_b32_e32 v50, 0
.LBB37_102:
	v_add_f32_e32 v48, v48, v49
	v_add_f32_e32 v50, v48, v50
	v_lshl_add_u64 v[48:49], v[2:3], 2, v[52:53]
	flat_store_dword v[48:49], v50
	s_or_b64 exec, exec, s[26:27]
	s_and_b64 s[34:35], s[6:7], s[18:19]
	s_and_saveexec_b64 s[26:27], s[34:35]
	s_cbranch_execz .LBB37_90
.LBB37_103:
	s_and_b64 vcc, exec, s[0:1]
	s_cbranch_vccnz .LBB37_105
; %bb.104:
	v_lshl_add_u64 v[48:49], v[64:65], 2, v[66:67]
	flat_load_dword v48, v[48:49]
	s_waitcnt vmcnt(0) lgkmcnt(0)
	v_mul_f32_e32 v48, s28, v48
	s_branch .LBB37_106
.LBB37_105:
	v_mov_b32_e32 v48, 0
.LBB37_106:
	v_add_f32_e32 v46, v46, v47
	v_add_f32_e32 v48, v46, v48
	v_lshl_add_u64 v[46:47], v[64:65], 2, v[52:53]
	flat_store_dword v[46:47], v48
	s_or_b64 exec, exec, s[26:27]
	s_and_b64 s[34:35], s[8:9], s[18:19]
	s_and_saveexec_b64 s[26:27], s[34:35]
	s_cbranch_execz .LBB37_91
.LBB37_107:
	s_and_b64 vcc, exec, s[0:1]
	s_cbranch_vccnz .LBB37_109
; %bb.108:
	v_lshl_add_u64 v[46:47], v[62:63], 2, v[66:67]
	flat_load_dword v46, v[46:47]
	s_waitcnt vmcnt(0) lgkmcnt(0)
	v_mul_f32_e32 v46, s28, v46
	s_branch .LBB37_110
.LBB37_109:
	v_mov_b32_e32 v46, 0
.LBB37_110:
	v_add_f32_e32 v44, v44, v45
	v_add_f32_e32 v46, v44, v46
	v_lshl_add_u64 v[44:45], v[62:63], 2, v[52:53]
	flat_store_dword v[44:45], v46
	s_or_b64 exec, exec, s[26:27]
	s_and_b64 s[34:35], s[10:11], s[18:19]
	s_and_saveexec_b64 s[26:27], s[34:35]
	s_cbranch_execz .LBB37_92
.LBB37_111:
	s_and_b64 vcc, exec, s[0:1]
	s_cbranch_vccnz .LBB37_113
; %bb.112:
	v_lshl_add_u64 v[44:45], v[60:61], 2, v[66:67]
	flat_load_dword v44, v[44:45]
	s_waitcnt vmcnt(0) lgkmcnt(0)
	v_mul_f32_e32 v44, s28, v44
	s_branch .LBB37_114
.LBB37_113:
	v_mov_b32_e32 v44, 0
.LBB37_114:
	v_add_f32_e32 v42, v42, v43
	v_add_f32_e32 v44, v42, v44
	v_lshl_add_u64 v[42:43], v[60:61], 2, v[52:53]
	flat_store_dword v[42:43], v44
	s_or_b64 exec, exec, s[26:27]
	s_and_b64 s[34:35], s[12:13], s[18:19]
	s_and_saveexec_b64 s[26:27], s[34:35]
	s_cbranch_execz .LBB37_93
.LBB37_115:
	s_and_b64 vcc, exec, s[0:1]
	s_cbranch_vccnz .LBB37_117
; %bb.116:
	v_lshl_add_u64 v[42:43], v[58:59], 2, v[66:67]
	flat_load_dword v42, v[42:43]
	s_waitcnt vmcnt(0) lgkmcnt(0)
	v_mul_f32_e32 v42, s28, v42
	s_branch .LBB37_118
.LBB37_117:
	v_mov_b32_e32 v42, 0
.LBB37_118:
	v_add_f32_e32 v40, v40, v41
	v_add_f32_e32 v42, v40, v42
	v_lshl_add_u64 v[40:41], v[58:59], 2, v[52:53]
	flat_store_dword v[40:41], v42
	s_or_b64 exec, exec, s[26:27]
	s_and_b64 s[34:35], s[14:15], s[18:19]
	s_and_saveexec_b64 s[26:27], s[34:35]
	s_cbranch_execz .LBB37_94
.LBB37_119:
	s_and_b64 vcc, exec, s[0:1]
	s_cbranch_vccnz .LBB37_121
; %bb.120:
	v_lshl_add_u64 v[40:41], v[56:57], 2, v[66:67]
	flat_load_dword v40, v[40:41]
	s_waitcnt vmcnt(0) lgkmcnt(0)
	v_mul_f32_e32 v40, s28, v40
	s_branch .LBB37_122
.LBB37_121:
	v_mov_b32_e32 v40, 0
.LBB37_122:
	v_add_f32_e32 v38, v38, v39
	v_add_f32_e32 v40, v38, v40
	v_lshl_add_u64 v[38:39], v[56:57], 2, v[52:53]
	flat_store_dword v[38:39], v40
	s_or_b64 exec, exec, s[26:27]
	s_and_b64 s[26:27], s[16:17], s[18:19]
	s_and_saveexec_b64 s[18:19], s[26:27]
	s_cbranch_execz .LBB37_127
.LBB37_123:
	s_and_b64 vcc, exec, s[0:1]
	s_cbranch_vccnz .LBB37_125
; %bb.124:
	v_lshl_add_u64 v[38:39], v[54:55], 2, v[66:67]
	flat_load_dword v38, v[38:39]
	s_waitcnt vmcnt(0) lgkmcnt(0)
	v_mul_f32_e32 v38, s28, v38
	s_branch .LBB37_126
.LBB37_125:
	v_mov_b32_e32 v38, 0
.LBB37_126:
	v_add_f32_e32 v36, v36, v37
	v_add_f32_e32 v38, v36, v38
	v_lshl_add_u64 v[36:37], v[54:55], 2, v[52:53]
	flat_store_dword v[36:37], v38
.LBB37_127:
	s_or_b64 exec, exec, s[18:19]
	v_add_u32_e32 v40, 64, v72
	v_mad_i64_i32 v[36:37], s[26:27], v40, s30, 0
	v_cmp_gt_i32_e64 s[18:19], s21, v40
	v_lshl_add_u64 v[38:39], v[36:37], 2, s[24:25]
	v_mad_i64_i32 v[36:37], s[26:27], v40, s29, 0
	v_lshl_add_u64 v[36:37], v[36:37], 2, s[22:23]
	s_and_b64 s[34:35], s[2:3], s[18:19]
	s_and_saveexec_b64 s[26:27], s[34:35]
	s_cbranch_execnz .LBB37_135
; %bb.128:
	s_or_b64 exec, exec, s[26:27]
	s_and_b64 s[34:35], s[4:5], s[18:19]
	s_and_saveexec_b64 s[26:27], s[34:35]
	s_cbranch_execnz .LBB37_139
.LBB37_129:
	s_or_b64 exec, exec, s[26:27]
	s_and_b64 s[34:35], s[6:7], s[18:19]
	s_and_saveexec_b64 s[26:27], s[34:35]
	s_cbranch_execnz .LBB37_143
.LBB37_130:
	s_or_b64 exec, exec, s[26:27]
	s_and_b64 s[34:35], s[8:9], s[18:19]
	s_and_saveexec_b64 s[26:27], s[34:35]
	s_cbranch_execnz .LBB37_147
.LBB37_131:
	s_or_b64 exec, exec, s[26:27]
	s_and_b64 s[34:35], s[10:11], s[18:19]
	s_and_saveexec_b64 s[26:27], s[34:35]
	s_cbranch_execnz .LBB37_151
.LBB37_132:
	s_or_b64 exec, exec, s[26:27]
	s_and_b64 s[34:35], s[12:13], s[18:19]
	s_and_saveexec_b64 s[26:27], s[34:35]
	s_cbranch_execnz .LBB37_155
.LBB37_133:
	s_or_b64 exec, exec, s[26:27]
	s_and_b64 s[34:35], s[14:15], s[18:19]
	s_and_saveexec_b64 s[26:27], s[34:35]
	s_cbranch_execnz .LBB37_159
.LBB37_134:
	s_or_b64 exec, exec, s[26:27]
	s_and_b64 s[26:27], s[16:17], s[18:19]
	s_and_saveexec_b64 s[18:19], s[26:27]
	s_cbranch_execnz .LBB37_163
	s_branch .LBB37_167
.LBB37_135:
	s_and_b64 vcc, exec, s[0:1]
	s_cbranch_vccnz .LBB37_137
; %bb.136:
	v_lshl_add_u64 v[40:41], v[0:1], 2, v[38:39]
	flat_load_dword v40, v[40:41]
	s_waitcnt vmcnt(0) lgkmcnt(0)
	v_mul_f32_e32 v40, s28, v40
	s_branch .LBB37_138
.LBB37_137:
	v_mov_b32_e32 v40, 0
.LBB37_138:
	v_add_f32_e32 v34, v34, v35
	v_add_f32_e32 v40, v34, v40
	v_lshl_add_u64 v[34:35], v[0:1], 2, v[36:37]
	flat_store_dword v[34:35], v40
	s_or_b64 exec, exec, s[26:27]
	s_and_b64 s[34:35], s[4:5], s[18:19]
	s_and_saveexec_b64 s[26:27], s[34:35]
	s_cbranch_execz .LBB37_129
.LBB37_139:
	s_and_b64 vcc, exec, s[0:1]
	s_cbranch_vccnz .LBB37_141
; %bb.140:
	v_lshl_add_u64 v[34:35], v[2:3], 2, v[38:39]
	flat_load_dword v34, v[34:35]
	s_waitcnt vmcnt(0) lgkmcnt(0)
	v_mul_f32_e32 v34, s28, v34
	s_branch .LBB37_142
.LBB37_141:
	v_mov_b32_e32 v34, 0
.LBB37_142:
	v_add_f32_e32 v32, v32, v33
	v_add_f32_e32 v34, v32, v34
	v_lshl_add_u64 v[32:33], v[2:3], 2, v[36:37]
	flat_store_dword v[32:33], v34
	s_or_b64 exec, exec, s[26:27]
	s_and_b64 s[34:35], s[6:7], s[18:19]
	s_and_saveexec_b64 s[26:27], s[34:35]
	s_cbranch_execz .LBB37_130
.LBB37_143:
	s_and_b64 vcc, exec, s[0:1]
	s_cbranch_vccnz .LBB37_145
; %bb.144:
	v_lshl_add_u64 v[32:33], v[64:65], 2, v[38:39]
	flat_load_dword v32, v[32:33]
	s_waitcnt vmcnt(0) lgkmcnt(0)
	v_mul_f32_e32 v32, s28, v32
	s_branch .LBB37_146
.LBB37_145:
	v_mov_b32_e32 v32, 0
.LBB37_146:
	v_add_f32_e32 v30, v30, v31
	v_add_f32_e32 v32, v30, v32
	v_lshl_add_u64 v[30:31], v[64:65], 2, v[36:37]
	flat_store_dword v[30:31], v32
	s_or_b64 exec, exec, s[26:27]
	s_and_b64 s[34:35], s[8:9], s[18:19]
	s_and_saveexec_b64 s[26:27], s[34:35]
	s_cbranch_execz .LBB37_131
.LBB37_147:
	s_and_b64 vcc, exec, s[0:1]
	s_cbranch_vccnz .LBB37_149
; %bb.148:
	v_lshl_add_u64 v[30:31], v[62:63], 2, v[38:39]
	flat_load_dword v30, v[30:31]
	s_waitcnt vmcnt(0) lgkmcnt(0)
	v_mul_f32_e32 v30, s28, v30
	s_branch .LBB37_150
.LBB37_149:
	v_mov_b32_e32 v30, 0
.LBB37_150:
	v_add_f32_e32 v28, v28, v29
	v_add_f32_e32 v30, v28, v30
	v_lshl_add_u64 v[28:29], v[62:63], 2, v[36:37]
	flat_store_dword v[28:29], v30
	s_or_b64 exec, exec, s[26:27]
	s_and_b64 s[34:35], s[10:11], s[18:19]
	s_and_saveexec_b64 s[26:27], s[34:35]
	s_cbranch_execz .LBB37_132
.LBB37_151:
	s_and_b64 vcc, exec, s[0:1]
	s_cbranch_vccnz .LBB37_153
; %bb.152:
	v_lshl_add_u64 v[28:29], v[60:61], 2, v[38:39]
	flat_load_dword v28, v[28:29]
	s_waitcnt vmcnt(0) lgkmcnt(0)
	v_mul_f32_e32 v28, s28, v28
	s_branch .LBB37_154
.LBB37_153:
	v_mov_b32_e32 v28, 0
.LBB37_154:
	v_add_f32_e32 v26, v26, v27
	v_add_f32_e32 v28, v26, v28
	v_lshl_add_u64 v[26:27], v[60:61], 2, v[36:37]
	flat_store_dword v[26:27], v28
	s_or_b64 exec, exec, s[26:27]
	s_and_b64 s[34:35], s[12:13], s[18:19]
	s_and_saveexec_b64 s[26:27], s[34:35]
	s_cbranch_execz .LBB37_133
.LBB37_155:
	s_and_b64 vcc, exec, s[0:1]
	s_cbranch_vccnz .LBB37_157
; %bb.156:
	v_lshl_add_u64 v[26:27], v[58:59], 2, v[38:39]
	flat_load_dword v26, v[26:27]
	s_waitcnt vmcnt(0) lgkmcnt(0)
	v_mul_f32_e32 v26, s28, v26
	s_branch .LBB37_158
.LBB37_157:
	v_mov_b32_e32 v26, 0
.LBB37_158:
	v_add_f32_e32 v24, v24, v25
	v_add_f32_e32 v26, v24, v26
	v_lshl_add_u64 v[24:25], v[58:59], 2, v[36:37]
	flat_store_dword v[24:25], v26
	s_or_b64 exec, exec, s[26:27]
	s_and_b64 s[34:35], s[14:15], s[18:19]
	s_and_saveexec_b64 s[26:27], s[34:35]
	s_cbranch_execz .LBB37_134
.LBB37_159:
	s_and_b64 vcc, exec, s[0:1]
	s_cbranch_vccnz .LBB37_161
; %bb.160:
	v_lshl_add_u64 v[24:25], v[56:57], 2, v[38:39]
	flat_load_dword v24, v[24:25]
	s_waitcnt vmcnt(0) lgkmcnt(0)
	v_mul_f32_e32 v24, s28, v24
	s_branch .LBB37_162
.LBB37_161:
	v_mov_b32_e32 v24, 0
.LBB37_162:
	v_add_f32_e32 v22, v22, v23
	v_add_f32_e32 v24, v22, v24
	v_lshl_add_u64 v[22:23], v[56:57], 2, v[36:37]
	flat_store_dword v[22:23], v24
	s_or_b64 exec, exec, s[26:27]
	s_and_b64 s[26:27], s[16:17], s[18:19]
	s_and_saveexec_b64 s[18:19], s[26:27]
	s_cbranch_execz .LBB37_167
.LBB37_163:
	s_and_b64 vcc, exec, s[0:1]
	s_cbranch_vccnz .LBB37_165
; %bb.164:
	v_lshl_add_u64 v[22:23], v[54:55], 2, v[38:39]
	flat_load_dword v22, v[22:23]
	s_waitcnt vmcnt(0) lgkmcnt(0)
	v_mul_f32_e32 v22, s28, v22
	s_branch .LBB37_166
.LBB37_165:
	v_mov_b32_e32 v22, 0
.LBB37_166:
	v_add_f32_e32 v20, v20, v21
	v_add_f32_e32 v22, v20, v22
	v_lshl_add_u64 v[20:21], v[54:55], 2, v[36:37]
	flat_store_dword v[20:21], v22
.LBB37_167:
	s_or_b64 exec, exec, s[18:19]
	v_add_u32_e32 v24, 0x60, v72
	v_cmp_gt_i32_e64 s[18:19], s21, v24
	v_mad_i64_i32 v[20:21], s[20:21], v24, s30, 0
	v_lshl_add_u64 v[22:23], v[20:21], 2, s[24:25]
	v_mad_i64_i32 v[20:21], s[20:21], v24, s29, 0
	v_lshl_add_u64 v[20:21], v[20:21], 2, s[22:23]
	s_and_b64 s[20:21], s[2:3], s[18:19]
	s_and_saveexec_b64 s[2:3], s[20:21]
	s_cbranch_execnz .LBB37_176
; %bb.168:
	s_or_b64 exec, exec, s[2:3]
	s_and_b64 s[4:5], s[4:5], s[18:19]
	s_and_saveexec_b64 s[2:3], s[4:5]
	s_cbranch_execnz .LBB37_180
.LBB37_169:
	s_or_b64 exec, exec, s[2:3]
	s_and_b64 s[4:5], s[6:7], s[18:19]
	s_and_saveexec_b64 s[2:3], s[4:5]
	s_cbranch_execnz .LBB37_184
.LBB37_170:
	s_or_b64 exec, exec, s[2:3]
	s_and_b64 s[4:5], s[8:9], s[18:19]
	s_and_saveexec_b64 s[2:3], s[4:5]
	s_cbranch_execnz .LBB37_188
.LBB37_171:
	s_or_b64 exec, exec, s[2:3]
	s_and_b64 s[4:5], s[10:11], s[18:19]
	s_and_saveexec_b64 s[2:3], s[4:5]
	s_cbranch_execnz .LBB37_192
.LBB37_172:
	s_or_b64 exec, exec, s[2:3]
	s_and_b64 s[4:5], s[12:13], s[18:19]
	s_and_saveexec_b64 s[2:3], s[4:5]
	s_cbranch_execnz .LBB37_196
.LBB37_173:
	s_or_b64 exec, exec, s[2:3]
	s_and_b64 s[4:5], s[14:15], s[18:19]
	s_and_saveexec_b64 s[2:3], s[4:5]
	s_cbranch_execnz .LBB37_200
.LBB37_174:
	s_or_b64 exec, exec, s[2:3]
	s_and_b64 s[2:3], s[16:17], s[18:19]
	s_and_saveexec_b64 s[4:5], s[2:3]
	s_cbranch_execnz .LBB37_204
.LBB37_175:
	s_endpgm
.LBB37_176:
	s_and_b64 vcc, exec, s[0:1]
	s_cbranch_vccnz .LBB37_178
; %bb.177:
	v_lshl_add_u64 v[24:25], v[0:1], 2, v[22:23]
	flat_load_dword v24, v[24:25]
	s_waitcnt vmcnt(0) lgkmcnt(0)
	v_mul_f32_e32 v24, s28, v24
	s_branch .LBB37_179
.LBB37_178:
	v_mov_b32_e32 v24, 0
.LBB37_179:
	v_add_f32_e32 v18, v18, v19
	v_add_f32_e32 v18, v18, v24
	v_lshl_add_u64 v[0:1], v[0:1], 2, v[20:21]
	flat_store_dword v[0:1], v18
	s_or_b64 exec, exec, s[2:3]
	s_and_b64 s[4:5], s[4:5], s[18:19]
	s_and_saveexec_b64 s[2:3], s[4:5]
	s_cbranch_execz .LBB37_169
.LBB37_180:
	s_and_b64 vcc, exec, s[0:1]
	s_cbranch_vccnz .LBB37_182
; %bb.181:
	v_lshl_add_u64 v[0:1], v[2:3], 2, v[22:23]
	flat_load_dword v0, v[0:1]
	s_waitcnt vmcnt(0) lgkmcnt(0)
	v_mul_f32_e32 v0, s28, v0
	s_branch .LBB37_183
.LBB37_182:
	v_mov_b32_e32 v0, 0
.LBB37_183:
	v_add_f32_e32 v1, v16, v17
	v_add_f32_e32 v16, v1, v0
	v_lshl_add_u64 v[0:1], v[2:3], 2, v[20:21]
	flat_store_dword v[0:1], v16
	s_or_b64 exec, exec, s[2:3]
	s_and_b64 s[4:5], s[6:7], s[18:19]
	s_and_saveexec_b64 s[2:3], s[4:5]
	s_cbranch_execz .LBB37_170
.LBB37_184:
	s_and_b64 vcc, exec, s[0:1]
	s_cbranch_vccnz .LBB37_186
; %bb.185:
	v_lshl_add_u64 v[0:1], v[64:65], 2, v[22:23]
	flat_load_dword v0, v[0:1]
	s_waitcnt vmcnt(0) lgkmcnt(0)
	v_mul_f32_e32 v0, s28, v0
	s_branch .LBB37_187
.LBB37_186:
	v_mov_b32_e32 v0, 0
.LBB37_187:
	v_add_f32_e32 v1, v14, v15
	v_add_f32_e32 v2, v1, v0
	v_lshl_add_u64 v[0:1], v[64:65], 2, v[20:21]
	flat_store_dword v[0:1], v2
	s_or_b64 exec, exec, s[2:3]
	s_and_b64 s[4:5], s[8:9], s[18:19]
	s_and_saveexec_b64 s[2:3], s[4:5]
	s_cbranch_execz .LBB37_171
.LBB37_188:
	s_and_b64 vcc, exec, s[0:1]
	s_cbranch_vccnz .LBB37_190
; %bb.189:
	v_lshl_add_u64 v[0:1], v[62:63], 2, v[22:23]
	flat_load_dword v0, v[0:1]
	s_waitcnt vmcnt(0) lgkmcnt(0)
	v_mul_f32_e32 v0, s28, v0
	s_branch .LBB37_191
.LBB37_190:
	v_mov_b32_e32 v0, 0
.LBB37_191:
	v_add_f32_e32 v1, v12, v13
	v_add_f32_e32 v2, v1, v0
	v_lshl_add_u64 v[0:1], v[62:63], 2, v[20:21]
	flat_store_dword v[0:1], v2
	s_or_b64 exec, exec, s[2:3]
	s_and_b64 s[4:5], s[10:11], s[18:19]
	s_and_saveexec_b64 s[2:3], s[4:5]
	s_cbranch_execz .LBB37_172
.LBB37_192:
	s_and_b64 vcc, exec, s[0:1]
	s_cbranch_vccnz .LBB37_194
; %bb.193:
	v_lshl_add_u64 v[0:1], v[60:61], 2, v[22:23]
	flat_load_dword v0, v[0:1]
	s_waitcnt vmcnt(0) lgkmcnt(0)
	v_mul_f32_e32 v0, s28, v0
	s_branch .LBB37_195
.LBB37_194:
	v_mov_b32_e32 v0, 0
.LBB37_195:
	v_add_f32_e32 v1, v10, v11
	v_add_f32_e32 v2, v1, v0
	v_lshl_add_u64 v[0:1], v[60:61], 2, v[20:21]
	flat_store_dword v[0:1], v2
	s_or_b64 exec, exec, s[2:3]
	s_and_b64 s[4:5], s[12:13], s[18:19]
	s_and_saveexec_b64 s[2:3], s[4:5]
	s_cbranch_execz .LBB37_173
.LBB37_196:
	s_and_b64 vcc, exec, s[0:1]
	s_cbranch_vccnz .LBB37_198
; %bb.197:
	v_lshl_add_u64 v[0:1], v[58:59], 2, v[22:23]
	flat_load_dword v0, v[0:1]
	s_waitcnt vmcnt(0) lgkmcnt(0)
	v_mul_f32_e32 v0, s28, v0
	s_branch .LBB37_199
.LBB37_198:
	v_mov_b32_e32 v0, 0
.LBB37_199:
	v_add_f32_e32 v1, v8, v9
	v_add_f32_e32 v2, v1, v0
	v_lshl_add_u64 v[0:1], v[58:59], 2, v[20:21]
	flat_store_dword v[0:1], v2
	s_or_b64 exec, exec, s[2:3]
	s_and_b64 s[4:5], s[14:15], s[18:19]
	s_and_saveexec_b64 s[2:3], s[4:5]
	s_cbranch_execz .LBB37_174
.LBB37_200:
	s_and_b64 vcc, exec, s[0:1]
	s_cbranch_vccnz .LBB37_202
; %bb.201:
	v_lshl_add_u64 v[0:1], v[56:57], 2, v[22:23]
	flat_load_dword v0, v[0:1]
	s_waitcnt vmcnt(0) lgkmcnt(0)
	v_mul_f32_e32 v0, s28, v0
	s_branch .LBB37_203
.LBB37_202:
	v_mov_b32_e32 v0, 0
.LBB37_203:
	v_add_f32_e32 v1, v6, v7
	v_add_f32_e32 v2, v1, v0
	v_lshl_add_u64 v[0:1], v[56:57], 2, v[20:21]
	flat_store_dword v[0:1], v2
	s_or_b64 exec, exec, s[2:3]
	s_and_b64 s[2:3], s[16:17], s[18:19]
	s_and_saveexec_b64 s[4:5], s[2:3]
	s_cbranch_execz .LBB37_175
.LBB37_204:
	s_and_b64 vcc, exec, s[0:1]
	s_cbranch_vccnz .LBB37_206
; %bb.205:
	v_lshl_add_u64 v[0:1], v[54:55], 2, v[22:23]
	flat_load_dword v0, v[0:1]
	s_waitcnt vmcnt(0) lgkmcnt(0)
	v_mul_f32_e32 v0, s28, v0
	s_branch .LBB37_207
.LBB37_206:
	v_mov_b32_e32 v0, 0
.LBB37_207:
	v_add_f32_e32 v1, v4, v5
	v_add_f32_e32 v2, v1, v0
	v_lshl_add_u64 v[0:1], v[54:55], 2, v[20:21]
	flat_store_dword v[0:1], v2
	s_endpgm
	.section	.rodata,"a",@progbits
	.p2align	6, 0x0
	.amdhsa_kernel _ZN12_GLOBAL__N_120geam_min_plus_kernelIf15HIP_vector_typeIfLj2EES2_Li8ELi32ELi64ELi128ELi4ELi4ELi64ELi4ELi64ELc84ELc78ELb1ELb1ELb0EfKPKfKPfEEviiiT16_PT17_ilSA_ilS8_SA_ilPT18_ili26rocblas_geam_ex_operation_
		.amdhsa_group_segment_fixed_size 6144
		.amdhsa_private_segment_fixed_size 0
		.amdhsa_kernarg_size 128
		.amdhsa_user_sgpr_count 2
		.amdhsa_user_sgpr_dispatch_ptr 0
		.amdhsa_user_sgpr_queue_ptr 0
		.amdhsa_user_sgpr_kernarg_segment_ptr 1
		.amdhsa_user_sgpr_dispatch_id 0
		.amdhsa_user_sgpr_kernarg_preload_length 0
		.amdhsa_user_sgpr_kernarg_preload_offset 0
		.amdhsa_user_sgpr_private_segment_size 0
		.amdhsa_uses_dynamic_stack 0
		.amdhsa_enable_private_segment 0
		.amdhsa_system_sgpr_workgroup_id_x 1
		.amdhsa_system_sgpr_workgroup_id_y 0
		.amdhsa_system_sgpr_workgroup_id_z 1
		.amdhsa_system_sgpr_workgroup_info 0
		.amdhsa_system_vgpr_workitem_id 1
		.amdhsa_next_free_vgpr 118
		.amdhsa_next_free_sgpr 36
		.amdhsa_accum_offset 120
		.amdhsa_reserve_vcc 1
		.amdhsa_float_round_mode_32 0
		.amdhsa_float_round_mode_16_64 0
		.amdhsa_float_denorm_mode_32 3
		.amdhsa_float_denorm_mode_16_64 3
		.amdhsa_dx10_clamp 1
		.amdhsa_ieee_mode 1
		.amdhsa_fp16_overflow 0
		.amdhsa_tg_split 0
		.amdhsa_exception_fp_ieee_invalid_op 0
		.amdhsa_exception_fp_denorm_src 0
		.amdhsa_exception_fp_ieee_div_zero 0
		.amdhsa_exception_fp_ieee_overflow 0
		.amdhsa_exception_fp_ieee_underflow 0
		.amdhsa_exception_fp_ieee_inexact 0
		.amdhsa_exception_int_div_zero 0
	.end_amdhsa_kernel
	.section	.text._ZN12_GLOBAL__N_120geam_min_plus_kernelIf15HIP_vector_typeIfLj2EES2_Li8ELi32ELi64ELi128ELi4ELi4ELi64ELi4ELi64ELc84ELc78ELb1ELb1ELb0EfKPKfKPfEEviiiT16_PT17_ilSA_ilS8_SA_ilPT18_ili26rocblas_geam_ex_operation_,"axG",@progbits,_ZN12_GLOBAL__N_120geam_min_plus_kernelIf15HIP_vector_typeIfLj2EES2_Li8ELi32ELi64ELi128ELi4ELi4ELi64ELi4ELi64ELc84ELc78ELb1ELb1ELb0EfKPKfKPfEEviiiT16_PT17_ilSA_ilS8_SA_ilPT18_ili26rocblas_geam_ex_operation_,comdat
.Lfunc_end37:
	.size	_ZN12_GLOBAL__N_120geam_min_plus_kernelIf15HIP_vector_typeIfLj2EES2_Li8ELi32ELi64ELi128ELi4ELi4ELi64ELi4ELi64ELc84ELc78ELb1ELb1ELb0EfKPKfKPfEEviiiT16_PT17_ilSA_ilS8_SA_ilPT18_ili26rocblas_geam_ex_operation_, .Lfunc_end37-_ZN12_GLOBAL__N_120geam_min_plus_kernelIf15HIP_vector_typeIfLj2EES2_Li8ELi32ELi64ELi128ELi4ELi4ELi64ELi4ELi64ELc84ELc78ELb1ELb1ELb0EfKPKfKPfEEviiiT16_PT17_ilSA_ilS8_SA_ilPT18_ili26rocblas_geam_ex_operation_
                                        ; -- End function
	.set _ZN12_GLOBAL__N_120geam_min_plus_kernelIf15HIP_vector_typeIfLj2EES2_Li8ELi32ELi64ELi128ELi4ELi4ELi64ELi4ELi64ELc84ELc78ELb1ELb1ELb0EfKPKfKPfEEviiiT16_PT17_ilSA_ilS8_SA_ilPT18_ili26rocblas_geam_ex_operation_.num_vgpr, 118
	.set _ZN12_GLOBAL__N_120geam_min_plus_kernelIf15HIP_vector_typeIfLj2EES2_Li8ELi32ELi64ELi128ELi4ELi4ELi64ELi4ELi64ELc84ELc78ELb1ELb1ELb0EfKPKfKPfEEviiiT16_PT17_ilSA_ilS8_SA_ilPT18_ili26rocblas_geam_ex_operation_.num_agpr, 0
	.set _ZN12_GLOBAL__N_120geam_min_plus_kernelIf15HIP_vector_typeIfLj2EES2_Li8ELi32ELi64ELi128ELi4ELi4ELi64ELi4ELi64ELc84ELc78ELb1ELb1ELb0EfKPKfKPfEEviiiT16_PT17_ilSA_ilS8_SA_ilPT18_ili26rocblas_geam_ex_operation_.numbered_sgpr, 36
	.set _ZN12_GLOBAL__N_120geam_min_plus_kernelIf15HIP_vector_typeIfLj2EES2_Li8ELi32ELi64ELi128ELi4ELi4ELi64ELi4ELi64ELc84ELc78ELb1ELb1ELb0EfKPKfKPfEEviiiT16_PT17_ilSA_ilS8_SA_ilPT18_ili26rocblas_geam_ex_operation_.num_named_barrier, 0
	.set _ZN12_GLOBAL__N_120geam_min_plus_kernelIf15HIP_vector_typeIfLj2EES2_Li8ELi32ELi64ELi128ELi4ELi4ELi64ELi4ELi64ELc84ELc78ELb1ELb1ELb0EfKPKfKPfEEviiiT16_PT17_ilSA_ilS8_SA_ilPT18_ili26rocblas_geam_ex_operation_.private_seg_size, 0
	.set _ZN12_GLOBAL__N_120geam_min_plus_kernelIf15HIP_vector_typeIfLj2EES2_Li8ELi32ELi64ELi128ELi4ELi4ELi64ELi4ELi64ELc84ELc78ELb1ELb1ELb0EfKPKfKPfEEviiiT16_PT17_ilSA_ilS8_SA_ilPT18_ili26rocblas_geam_ex_operation_.uses_vcc, 1
	.set _ZN12_GLOBAL__N_120geam_min_plus_kernelIf15HIP_vector_typeIfLj2EES2_Li8ELi32ELi64ELi128ELi4ELi4ELi64ELi4ELi64ELc84ELc78ELb1ELb1ELb0EfKPKfKPfEEviiiT16_PT17_ilSA_ilS8_SA_ilPT18_ili26rocblas_geam_ex_operation_.uses_flat_scratch, 0
	.set _ZN12_GLOBAL__N_120geam_min_plus_kernelIf15HIP_vector_typeIfLj2EES2_Li8ELi32ELi64ELi128ELi4ELi4ELi64ELi4ELi64ELc84ELc78ELb1ELb1ELb0EfKPKfKPfEEviiiT16_PT17_ilSA_ilS8_SA_ilPT18_ili26rocblas_geam_ex_operation_.has_dyn_sized_stack, 0
	.set _ZN12_GLOBAL__N_120geam_min_plus_kernelIf15HIP_vector_typeIfLj2EES2_Li8ELi32ELi64ELi128ELi4ELi4ELi64ELi4ELi64ELc84ELc78ELb1ELb1ELb0EfKPKfKPfEEviiiT16_PT17_ilSA_ilS8_SA_ilPT18_ili26rocblas_geam_ex_operation_.has_recursion, 0
	.set _ZN12_GLOBAL__N_120geam_min_plus_kernelIf15HIP_vector_typeIfLj2EES2_Li8ELi32ELi64ELi128ELi4ELi4ELi64ELi4ELi64ELc84ELc78ELb1ELb1ELb0EfKPKfKPfEEviiiT16_PT17_ilSA_ilS8_SA_ilPT18_ili26rocblas_geam_ex_operation_.has_indirect_call, 0
	.section	.AMDGPU.csdata,"",@progbits
; Kernel info:
; codeLenInByte = 7780
; TotalNumSgprs: 42
; NumVgprs: 118
; NumAgprs: 0
; TotalNumVgprs: 118
; ScratchSize: 0
; MemoryBound: 0
; FloatMode: 240
; IeeeMode: 1
; LDSByteSize: 6144 bytes/workgroup (compile time only)
; SGPRBlocks: 5
; VGPRBlocks: 14
; NumSGPRsForWavesPerEU: 42
; NumVGPRsForWavesPerEU: 118
; AccumOffset: 120
; Occupancy: 4
; WaveLimiterHint : 1
; COMPUTE_PGM_RSRC2:SCRATCH_EN: 0
; COMPUTE_PGM_RSRC2:USER_SGPR: 2
; COMPUTE_PGM_RSRC2:TRAP_HANDLER: 0
; COMPUTE_PGM_RSRC2:TGID_X_EN: 1
; COMPUTE_PGM_RSRC2:TGID_Y_EN: 0
; COMPUTE_PGM_RSRC2:TGID_Z_EN: 1
; COMPUTE_PGM_RSRC2:TIDIG_COMP_CNT: 1
; COMPUTE_PGM_RSRC3_GFX90A:ACCUM_OFFSET: 29
; COMPUTE_PGM_RSRC3_GFX90A:TG_SPLIT: 0
	.section	.text._ZN12_GLOBAL__N_120geam_min_plus_kernelIf15HIP_vector_typeIfLj2EES2_Li8ELi32ELi64ELi128ELi4ELi4ELi64ELi4ELi64ELc84ELc78ELb0ELb1ELb0EfKPKfKPfEEviiiT16_PT17_ilSA_ilS8_SA_ilPT18_ili26rocblas_geam_ex_operation_,"axG",@progbits,_ZN12_GLOBAL__N_120geam_min_plus_kernelIf15HIP_vector_typeIfLj2EES2_Li8ELi32ELi64ELi128ELi4ELi4ELi64ELi4ELi64ELc84ELc78ELb0ELb1ELb0EfKPKfKPfEEviiiT16_PT17_ilSA_ilS8_SA_ilPT18_ili26rocblas_geam_ex_operation_,comdat
	.globl	_ZN12_GLOBAL__N_120geam_min_plus_kernelIf15HIP_vector_typeIfLj2EES2_Li8ELi32ELi64ELi128ELi4ELi4ELi64ELi4ELi64ELc84ELc78ELb0ELb1ELb0EfKPKfKPfEEviiiT16_PT17_ilSA_ilS8_SA_ilPT18_ili26rocblas_geam_ex_operation_ ; -- Begin function _ZN12_GLOBAL__N_120geam_min_plus_kernelIf15HIP_vector_typeIfLj2EES2_Li8ELi32ELi64ELi128ELi4ELi4ELi64ELi4ELi64ELc84ELc78ELb0ELb1ELb0EfKPKfKPfEEviiiT16_PT17_ilSA_ilS8_SA_ilPT18_ili26rocblas_geam_ex_operation_
	.p2align	8
	.type	_ZN12_GLOBAL__N_120geam_min_plus_kernelIf15HIP_vector_typeIfLj2EES2_Li8ELi32ELi64ELi128ELi4ELi4ELi64ELi4ELi64ELc84ELc78ELb0ELb1ELb0EfKPKfKPfEEviiiT16_PT17_ilSA_ilS8_SA_ilPT18_ili26rocblas_geam_ex_operation_,@function
_ZN12_GLOBAL__N_120geam_min_plus_kernelIf15HIP_vector_typeIfLj2EES2_Li8ELi32ELi64ELi128ELi4ELi4ELi64ELi4ELi64ELc84ELc78ELb0ELb1ELb0EfKPKfKPfEEviiiT16_PT17_ilSA_ilS8_SA_ilPT18_ili26rocblas_geam_ex_operation_: ; @_ZN12_GLOBAL__N_120geam_min_plus_kernelIf15HIP_vector_typeIfLj2EES2_Li8ELi32ELi64ELi128ELi4ELi4ELi64ELi4ELi64ELc84ELc78ELb0ELb1ELb0EfKPKfKPfEEviiiT16_PT17_ilSA_ilS8_SA_ilPT18_ili26rocblas_geam_ex_operation_
; %bb.0:
	s_load_dwordx4 s[20:23], s[0:1], 0x0
	s_load_dwordx4 s[4:7], s[0:1], 0x20
	s_mov_b32 s8, s3
	s_mov_b32 s9, 0
	s_waitcnt lgkmcnt(0)
	v_cmp_eq_f32_e64 s[12:13], s23, 0
	v_cmp_neq_f32_e64 s[10:11], s23, 0
	s_and_b64 vcc, exec, s[12:13]
	s_cbranch_vccnz .LBB38_3
; %bb.1:
	s_load_dwordx2 s[14:15], s[0:1], 0x10
	s_lshl_b64 s[16:17], s[8:9], 3
	s_waitcnt lgkmcnt(0)
	s_add_u32 s14, s14, s16
	s_addc_u32 s15, s15, s17
	s_load_dwordx2 s[14:15], s[14:15], 0x0
	s_lshl_b64 s[4:5], s[4:5], 2
	s_waitcnt lgkmcnt(0)
	s_add_u32 s16, s14, s4
	s_addc_u32 s17, s15, s5
	s_andn2_b64 vcc, exec, s[12:13]
	s_cbranch_vccnz .LBB38_4
.LBB38_2:
	s_mov_b32 s15, 0
	s_mov_b32 s14, s8
	s_mov_b64 s[24:25], 0
	s_mov_b64 s[12:13], 0
	s_cbranch_execz .LBB38_5
	s_branch .LBB38_6
.LBB38_3:
	s_mov_b64 s[16:17], 0
	s_andn2_b64 vcc, exec, s[12:13]
	s_cbranch_vccz .LBB38_2
.LBB38_4:
	s_mov_b64 s[14:15], s[8:9]
	s_mov_b64 s[24:25], 0
	;; [unrolled: 1-line block ×3, first 2 shown]
.LBB38_5:
	s_lshl_b64 s[8:9], s[8:9], 3
	s_add_u32 s6, s6, s8
	s_load_dwordx2 s[4:5], s[0:1], 0x38
	s_addc_u32 s7, s7, s9
	s_load_dwordx2 s[6:7], s[6:7], 0x0
	s_waitcnt lgkmcnt(0)
	s_lshl_b64 s[4:5], s[4:5], 2
	s_add_u32 s12, s6, s4
	s_addc_u32 s13, s7, s5
.LBB38_6:
	s_load_dword s28, s[0:1], 0x40
	s_load_dwordx4 s[4:7], s[0:1], 0x58
	s_waitcnt lgkmcnt(0)
	v_cmp_eq_f32_e64 s[18:19], s28, 0
	v_cmp_neq_f32_e64 s[8:9], s28, 0
	s_and_b64 vcc, exec, s[18:19]
	s_cbranch_vccnz .LBB38_8
; %bb.7:
	s_load_dwordx2 s[18:19], s[0:1], 0x48
	s_lshl_b64 s[24:25], s[14:15], 3
	s_waitcnt lgkmcnt(0)
	s_add_u32 s18, s18, s24
	s_addc_u32 s19, s19, s25
	s_load_dwordx2 s[18:19], s[18:19], 0x0
	s_lshl_b64 s[4:5], s[4:5], 2
	s_waitcnt lgkmcnt(0)
	s_add_u32 s24, s18, s4
	s_addc_u32 s25, s19, s5
.LBB38_8:
	s_lshl_b64 s[4:5], s[14:15], 3
	s_add_u32 s18, s6, s4
	s_addc_u32 s19, s7, s5
	s_add_i32 s3, s20, -1
	s_ashr_i32 s4, s3, 31
	s_lshr_b32 s4, s4, 26
	s_add_i32 s3, s3, s4
	s_ashr_i32 s3, s3, 6
	s_add_i32 s4, s3, 1
	v_cvt_f32_u32_e32 v1, s4
	s_not_b32 s3, s3
	v_and_b32_e32 v76, 0x3ff, v0
	v_bfe_u32 v77, v0, 10, 10
	v_rcp_iflag_f32_e32 v1, v1
	v_and_b32_e32 v78, 3, v0
	v_lshl_add_u32 v0, v77, 3, v76
	s_load_dword s30, s[0:1], 0x18
	v_mul_f32_e32 v1, 0x4f7ffffe, v1
	v_cvt_u32_f32_e32 v1, v1
	v_lshrrev_b32_e32 v71, 2, v0
	v_cmp_gt_i32_e32 vcc, s22, v78
	v_mov_b32_e32 v2, 0
	v_readfirstlane_b32 s5, v1
	s_mul_i32 s3, s3, s5
	s_mul_hi_u32 s3, s5, s3
	s_add_i32 s5, s5, s3
	s_mul_hi_u32 s3, s2, s5
	s_mul_i32 s5, s3, s4
	s_sub_i32 s5, s2, s5
	s_add_i32 s6, s3, 1
	s_sub_i32 s7, s5, s4
	s_cmp_ge_u32 s5, s4
	s_cselect_b32 s3, s6, s3
	s_cselect_b32 s5, s7, s5
	s_add_i32 s6, s3, 1
	s_cmp_ge_u32 s5, s4
	s_cselect_b32 s6, s6, s3
	s_mul_i32 s3, s6, s4
	s_sub_i32 s2, s2, s3
	s_lshl_b32 s26, s2, 6
	v_add_u32_e32 v70, s26, v71
	v_cmp_gt_i32_e64 s[2:3], s20, v70
	s_and_b64 s[4:5], vcc, s[2:3]
	s_and_b64 s[14:15], s[10:11], s[4:5]
	v_lshlrev_b32_e32 v68, 2, v78
	v_mov_b32_e32 v3, 0
	s_and_saveexec_b64 s[4:5], s[14:15]
	s_cbranch_execz .LBB38_10
; %bb.9:
	s_waitcnt lgkmcnt(0)
	v_mad_i64_i32 v[0:1], s[14:15], v70, s30, 0
	v_lshl_add_u64 v[0:1], v[0:1], 2, s[16:17]
	v_mov_b32_e32 v69, 0
	v_lshl_add_u64 v[0:1], v[0:1], 0, v[68:69]
	flat_load_dword v0, v[0:1]
	s_waitcnt vmcnt(0) lgkmcnt(0)
	v_mul_f32_e32 v3, s23, v0
.LBB38_10:
	s_or_b64 exec, exec, s[4:5]
	s_load_dword s31, s[0:1], 0x30
	s_lshl_b32 s27, s6, 7
	v_add_u32_e32 v72, s27, v71
	s_add_i32 s29, s22, -1
	v_min_i32_e32 v0, s29, v78
	v_cmp_le_i32_e64 s[4:5], s21, v72
	s_xor_b64 s[14:15], s[10:11], -1
	v_cmp_le_i32_e32 vcc, s22, v78
	v_ashrrev_i32_e32 v1, 31, v0
	s_or_b64 s[6:7], s[4:5], s[14:15]
	v_lshl_add_u64 v[0:1], v[0:1], 2, s[12:13]
	s_nor_b64 s[34:35], vcc, s[6:7]
	s_and_saveexec_b64 s[4:5], s[34:35]
	s_cbranch_execz .LBB38_12
; %bb.11:
	s_waitcnt lgkmcnt(0)
	v_mad_i64_i32 v[4:5], s[34:35], v72, s31, 0
	v_lshl_add_u64 v[4:5], v[4:5], 2, v[0:1]
	flat_load_dword v2, v[4:5]
	s_waitcnt vmcnt(0) lgkmcnt(0)
	v_mul_f32_e32 v2, s23, v2
.LBB38_12:
	s_or_b64 exec, exec, s[4:5]
	v_add_u32_e32 v73, 64, v72
	v_cmp_le_i32_e64 s[4:5], s21, v73
	s_or_b64 s[14:15], s[4:5], s[14:15]
	s_nor_b64 s[34:35], vcc, s[14:15]
	v_mov_b32_e32 v69, 0
	v_mov_b32_e32 v4, 0
	s_and_saveexec_b64 s[4:5], s[34:35]
	s_cbranch_execz .LBB38_14
; %bb.13:
	s_waitcnt lgkmcnt(0)
	v_mad_i64_i32 v[4:5], s[34:35], v73, s31, 0
	v_lshl_add_u64 v[0:1], v[4:5], 2, v[0:1]
	flat_load_dword v0, v[0:1]
	s_waitcnt vmcnt(0) lgkmcnt(0)
	v_mul_f32_e32 v4, s23, v0
.LBB38_14:
	s_or_b64 exec, exec, s[4:5]
	v_or_b32_e32 v0, 4, v78
	v_cmp_gt_i32_e32 vcc, s22, v0
	s_and_b64 s[4:5], vcc, s[2:3]
	s_and_b64 s[34:35], s[10:11], s[4:5]
	s_and_saveexec_b64 s[4:5], s[34:35]
	s_cbranch_execz .LBB38_16
; %bb.15:
	s_waitcnt lgkmcnt(0)
	v_mad_i64_i32 v[6:7], s[34:35], v70, s30, 0
	v_lshl_add_u64 v[6:7], v[6:7], 2, s[16:17]
	v_mov_b32_e32 v69, 0
	v_lshl_add_u64 v[6:7], v[6:7], 0, v[68:69]
	flat_load_dword v1, v[6:7] offset:16
	s_waitcnt vmcnt(0) lgkmcnt(0)
	v_mul_f32_e32 v69, s23, v1
.LBB38_16:
	s_or_b64 exec, exec, s[4:5]
	v_cmp_le_i32_e32 vcc, s22, v0
	v_min_i32_e32 v0, s29, v0
	v_ashrrev_i32_e32 v1, 31, v0
	v_lshl_add_u64 v[0:1], v[0:1], 2, s[12:13]
	s_nor_b64 s[34:35], vcc, s[6:7]
	v_mov_b32_e32 v74, 0
	v_mov_b32_e32 v75, 0
	s_and_saveexec_b64 s[4:5], s[34:35]
	s_cbranch_execz .LBB38_18
; %bb.17:
	s_waitcnt lgkmcnt(0)
	v_mad_i64_i32 v[6:7], s[34:35], v72, s31, 0
	v_lshl_add_u64 v[6:7], v[6:7], 2, v[0:1]
	flat_load_dword v5, v[6:7]
	s_waitcnt vmcnt(0) lgkmcnt(0)
	v_mul_f32_e32 v75, s23, v5
.LBB38_18:
	s_or_b64 exec, exec, s[4:5]
	s_load_dwordx2 s[4:5], s[18:19], 0x0
	s_nor_b64 s[34:35], vcc, s[14:15]
	s_and_saveexec_b64 s[18:19], s[34:35]
	s_cbranch_execz .LBB38_20
; %bb.19:
	s_waitcnt lgkmcnt(0)
	v_mad_i64_i32 v[6:7], s[34:35], v73, s31, 0
	v_lshl_add_u64 v[0:1], v[6:7], 2, v[0:1]
	flat_load_dword v0, v[0:1]
	s_waitcnt vmcnt(0) lgkmcnt(0)
	v_mul_f32_e32 v74, s23, v0
.LBB38_20:
	s_or_b64 exec, exec, s[18:19]
	v_lshlrev_b32_e32 v0, 4, v71
	v_lshl_or_b32 v79, v78, 2, v0
	v_mov_b32_e32 v0, 0x1000
	v_mov_b32_e32 v66, 0
	ds_write_b32 v79, v3 offset:4096
	ds_write2st64_b32 v79, v2, v4 offset1:4
	v_lshl_add_u32 v80, v76, 4, v0
	s_mov_b32 s33, 0
	s_mov_b64 s[18:19], -1
	v_mov_b32_e32 v67, v66
	v_mov_b32_e32 v64, v66
	;; [unrolled: 1-line block ×63, first 2 shown]
	v_add_u32_e32 v81, 0x1000, v79
	v_lshlrev_b32_e32 v82, 4, v77
	s_waitcnt lgkmcnt(0)
	s_barrier
.LBB38_21:                              ; =>This Inner Loop Header: Depth=1
	v_cndmask_b32_e64 v0, 0, 1, s[18:19]
	s_lshl_b32 s18, s33, 2
	v_cmp_ne_u32_e32 vcc, 1, v0
	v_add_u32_e32 v0, s18, v80
	ds_read2_b64 v[84:87], v0 offset1:16
	ds_read2_b64 v[88:91], v0 offset0:32 offset1:48
	ds_read2_b64 v[92:95], v0 offset0:64 offset1:80
	;; [unrolled: 1-line block ×3, first 2 shown]
	v_add_u32_e32 v0, s18, v82
	ds_read2st64_b64 v[100:103], v0 offset1:1
	ds_read2st64_b64 v[0:3], v0 offset0:2 offset1:3
	s_waitcnt lgkmcnt(5)
	v_max_f32_e32 v104, v85, v85
	v_max_f32_e32 v86, v86, v86
	;; [unrolled: 1-line block ×3, first 2 shown]
	s_waitcnt lgkmcnt(1)
	v_max_f32_e32 v83, v100, v100
	v_max_f32_e32 v100, v84, v84
	;; [unrolled: 1-line block ×3, first 2 shown]
	v_min_f32_e32 v84, v100, v83
	v_min_f32_e32 v85, v104, v101
	v_pk_add_f32 v[66:67], v[66:67], v[84:85]
	v_min_f32_e32 v84, v86, v83
	v_min_f32_e32 v85, v87, v101
	v_max_f32_e32 v88, v88, v88
	v_max_f32_e32 v89, v89, v89
	v_pk_add_f32 v[64:65], v[64:65], v[84:85]
	v_min_f32_e32 v84, v88, v83
	v_min_f32_e32 v85, v89, v101
	v_max_f32_e32 v90, v90, v90
	v_max_f32_e32 v91, v91, v91
	;; [unrolled: 5-line block ×5, first 2 shown]
	v_pk_add_f32 v[56:57], v[56:57], v[84:85]
	v_min_f32_e32 v84, v96, v83
	v_min_f32_e32 v85, v97, v101
	v_max_f32_e32 v98, v98, v98
	v_pk_add_f32 v[54:55], v[54:55], v[84:85]
	v_min_f32_e32 v84, v98, v83
	v_max_f32_e32 v83, v99, v99
	v_min_f32_e32 v85, v83, v101
	v_max_f32_e32 v99, v102, v102
	v_max_f32_e32 v101, v103, v103
	v_pk_add_f32 v[52:53], v[52:53], v[84:85]
	v_min_f32_e32 v84, v100, v99
	v_min_f32_e32 v85, v104, v101
	v_pk_add_f32 v[50:51], v[50:51], v[84:85]
	v_min_f32_e32 v84, v86, v99
	v_min_f32_e32 v85, v87, v101
	;; [unrolled: 3-line block ×8, first 2 shown]
	v_pk_add_f32 v[36:37], v[36:37], v[84:85]
	s_waitcnt lgkmcnt(0)
	v_max_f32_e32 v84, v0, v0
	v_max_f32_e32 v85, v1, v1
	v_min_f32_e32 v0, v100, v84
	v_min_f32_e32 v1, v104, v85
	v_pk_add_f32 v[34:35], v[34:35], v[0:1]
	v_min_f32_e32 v0, v86, v84
	v_min_f32_e32 v1, v87, v85
	v_pk_add_f32 v[32:33], v[32:33], v[0:1]
	;; [unrolled: 3-line block ×7, first 2 shown]
	v_min_f32_e32 v0, v98, v84
	v_min_f32_e32 v1, v83, v85
	v_max_f32_e32 v2, v2, v2
	v_max_f32_e32 v3, v3, v3
	v_pk_add_f32 v[20:21], v[20:21], v[0:1]
	v_min_f32_e32 v0, v100, v2
	v_min_f32_e32 v1, v104, v3
	v_pk_add_f32 v[18:19], v[18:19], v[0:1]
	v_min_f32_e32 v0, v86, v2
	v_min_f32_e32 v1, v87, v3
	;; [unrolled: 3-line block ×8, first 2 shown]
	v_pk_add_f32 v[4:5], v[4:5], v[0:1]
	s_mov_b64 s[18:19], 0
	s_mov_b32 s33, 2
	s_cbranch_vccz .LBB38_21
; %bb.22:
	v_lshl_or_b32 v0, v71, 4, v68
	s_cmp_lt_i32 s22, 9
	ds_write_b32 v0, v69 offset:5120
	ds_write2st64_b32 v0, v75, v74 offset0:8 offset1:12
	s_waitcnt lgkmcnt(0)
	s_barrier
	s_cbranch_scc1 .LBB38_41
; %bb.23:
	v_add_u32_e32 v83, 0x1400, v0
	v_add_u32_e32 v84, 0x800, v0
	v_mad_i64_i32 v[0:1], s[34:35], v70, s30, 0
	v_lshl_add_u64 v[68:69], v[0:1], 2, s[16:17]
	v_mov_b32_e32 v0, 0x1400
	v_lshl_add_u32 v85, v76, 4, v0
	v_mov_b32_e32 v0, 0x800
	s_add_i32 s18, s22, -8
	v_mad_i64_i32 v[70:71], s[16:17], v72, s31, 0
	v_mad_i64_i32 v[72:73], s[16:17], v73, s31, 0
	v_lshl_add_u32 v86, v77, 4, v0
	s_mov_b32 s19, 8
	s_mov_b32 s30, 0
	v_mov_b32_e32 v75, 0
.LBB38_24:                              ; =>This Loop Header: Depth=1
                                        ;     Child Loop BB38_31 Depth 2
                                        ;     Child Loop BB38_39 Depth 2
	v_or_b32_e32 v74, s19, v78
	v_cmp_gt_i32_e32 vcc, s22, v74
	s_and_b64 s[16:17], vcc, s[2:3]
	s_and_b64 s[34:35], s[10:11], s[16:17]
	v_mov_b32_e32 v87, 0
	s_and_saveexec_b64 s[16:17], s[34:35]
	s_cbranch_execz .LBB38_26
; %bb.25:                               ;   in Loop: Header=BB38_24 Depth=1
	v_lshl_add_u64 v[0:1], v[74:75], 2, v[68:69]
	flat_load_dword v0, v[0:1]
	s_waitcnt vmcnt(0) lgkmcnt(0)
	v_mul_f32_e32 v87, s23, v0
.LBB38_26:                              ;   in Loop: Header=BB38_24 Depth=1
	s_or_b64 exec, exec, s[16:17]
	v_min_i32_e32 v0, s29, v74
	v_cmp_le_i32_e32 vcc, s22, v74
	v_ashrrev_i32_e32 v1, 31, v0
	v_lshl_add_u64 v[0:1], v[0:1], 2, s[12:13]
	s_nor_b64 s[34:35], s[6:7], vcc
	v_mov_b32_e32 v88, 0
	v_mov_b32_e32 v89, 0
	s_and_saveexec_b64 s[16:17], s[34:35]
	s_cbranch_execz .LBB38_28
; %bb.27:                               ;   in Loop: Header=BB38_24 Depth=1
	v_lshl_add_u64 v[2:3], v[70:71], 2, v[0:1]
	flat_load_dword v2, v[2:3]
	s_waitcnt vmcnt(0) lgkmcnt(0)
	v_mul_f32_e32 v89, s23, v2
.LBB38_28:                              ;   in Loop: Header=BB38_24 Depth=1
	s_or_b64 exec, exec, s[16:17]
	s_nor_b64 s[34:35], s[14:15], vcc
	s_and_saveexec_b64 s[16:17], s[34:35]
	s_cbranch_execz .LBB38_30
; %bb.29:                               ;   in Loop: Header=BB38_24 Depth=1
	v_lshl_add_u64 v[0:1], v[72:73], 2, v[0:1]
	flat_load_dword v0, v[0:1]
	s_waitcnt vmcnt(0) lgkmcnt(0)
	v_mul_f32_e32 v88, s23, v0
.LBB38_30:                              ;   in Loop: Header=BB38_24 Depth=1
	s_or_b64 exec, exec, s[16:17]
	s_mov_b32 s31, 0
	s_mov_b64 s[16:17], -1
.LBB38_31:                              ;   Parent Loop BB38_24 Depth=1
                                        ; =>  This Inner Loop Header: Depth=2
	v_cndmask_b32_e64 v0, 0, 1, s[16:17]
	s_lshl_b32 s16, s31, 2
	v_cmp_ne_u32_e32 vcc, 1, v0
	v_add_u32_e32 v0, s16, v85
	ds_read2_b64 v[90:93], v0 offset1:16
	ds_read2_b64 v[94:97], v0 offset0:32 offset1:48
	ds_read2_b64 v[98:101], v0 offset0:64 offset1:80
	;; [unrolled: 1-line block ×3, first 2 shown]
	v_add_u32_e32 v0, s16, v86
	ds_read2st64_b64 v[106:109], v0 offset1:1
	ds_read2st64_b64 v[0:3], v0 offset0:2 offset1:3
	s_waitcnt lgkmcnt(5)
	v_max_f32_e32 v110, v90, v90
	v_max_f32_e32 v111, v91, v91
	;; [unrolled: 1-line block ×3, first 2 shown]
	s_waitcnt lgkmcnt(1)
	v_max_f32_e32 v106, v106, v106
	v_max_f32_e32 v107, v107, v107
	v_min_f32_e32 v90, v110, v106
	v_min_f32_e32 v91, v111, v107
	v_max_f32_e32 v93, v93, v93
	v_pk_add_f32 v[66:67], v[66:67], v[90:91]
	v_min_f32_e32 v90, v92, v106
	v_min_f32_e32 v91, v93, v107
	v_max_f32_e32 v94, v94, v94
	v_max_f32_e32 v95, v95, v95
	v_pk_add_f32 v[64:65], v[64:65], v[90:91]
	v_min_f32_e32 v90, v94, v106
	v_min_f32_e32 v91, v95, v107
	v_max_f32_e32 v96, v96, v96
	;; [unrolled: 5-line block ×7, first 2 shown]
	v_max_f32_e32 v107, v109, v109
	v_pk_add_f32 v[52:53], v[52:53], v[90:91]
	v_min_f32_e32 v90, v110, v106
	v_min_f32_e32 v91, v111, v107
	v_pk_add_f32 v[50:51], v[50:51], v[90:91]
	v_min_f32_e32 v90, v92, v106
	v_min_f32_e32 v91, v93, v107
	;; [unrolled: 3-line block ×8, first 2 shown]
	v_pk_add_f32 v[36:37], v[36:37], v[90:91]
	s_waitcnt lgkmcnt(0)
	v_max_f32_e32 v90, v0, v0
	v_max_f32_e32 v91, v1, v1
	v_min_f32_e32 v0, v110, v90
	v_min_f32_e32 v1, v111, v91
	v_pk_add_f32 v[34:35], v[34:35], v[0:1]
	v_min_f32_e32 v0, v92, v90
	v_min_f32_e32 v1, v93, v91
	v_pk_add_f32 v[32:33], v[32:33], v[0:1]
	;; [unrolled: 3-line block ×7, first 2 shown]
	v_min_f32_e32 v0, v104, v90
	v_min_f32_e32 v1, v105, v91
	v_max_f32_e32 v2, v2, v2
	v_max_f32_e32 v3, v3, v3
	v_pk_add_f32 v[20:21], v[20:21], v[0:1]
	v_min_f32_e32 v0, v110, v2
	v_min_f32_e32 v1, v111, v3
	v_pk_add_f32 v[18:19], v[18:19], v[0:1]
	v_min_f32_e32 v0, v92, v2
	v_min_f32_e32 v1, v93, v3
	;; [unrolled: 3-line block ×8, first 2 shown]
	v_pk_add_f32 v[4:5], v[4:5], v[0:1]
	s_mov_b64 s[16:17], 0
	s_mov_b32 s31, 2
	s_cbranch_vccz .LBB38_31
; %bb.32:                               ;   in Loop: Header=BB38_24 Depth=1
	v_or_b32_e32 v0, 4, v74
	v_cmp_gt_i32_e32 vcc, s22, v0
	s_and_b64 s[16:17], vcc, s[2:3]
	ds_write_b32 v81, v87
	ds_write2st64_b32 v79, v89, v88 offset1:4
	s_and_b64 s[34:35], s[10:11], s[16:17]
	v_mov_b32_e32 v87, 0
	v_mov_b32_e32 v88, 0
	s_waitcnt lgkmcnt(0)
	s_barrier
	s_and_saveexec_b64 s[16:17], s[34:35]
	s_cbranch_execz .LBB38_34
; %bb.33:                               ;   in Loop: Header=BB38_24 Depth=1
	v_lshl_add_u64 v[2:3], v[74:75], 2, v[68:69]
	flat_load_dword v1, v[2:3] offset:16
	s_waitcnt vmcnt(0) lgkmcnt(0)
	v_mul_f32_e32 v88, s23, v1
.LBB38_34:                              ;   in Loop: Header=BB38_24 Depth=1
	s_or_b64 exec, exec, s[16:17]
	v_cmp_le_i32_e32 vcc, s22, v0
	v_min_i32_e32 v0, s29, v0
	v_ashrrev_i32_e32 v1, 31, v0
	v_lshl_add_u64 v[0:1], v[0:1], 2, s[12:13]
	s_nor_b64 s[34:35], s[6:7], vcc
	s_and_saveexec_b64 s[16:17], s[34:35]
	s_cbranch_execz .LBB38_36
; %bb.35:                               ;   in Loop: Header=BB38_24 Depth=1
	v_lshl_add_u64 v[2:3], v[70:71], 2, v[0:1]
	flat_load_dword v2, v[2:3]
	s_waitcnt vmcnt(0) lgkmcnt(0)
	v_mul_f32_e32 v87, s23, v2
.LBB38_36:                              ;   in Loop: Header=BB38_24 Depth=1
	s_or_b64 exec, exec, s[16:17]
	s_nor_b64 s[34:35], s[14:15], vcc
	v_mov_b32_e32 v74, 0
	s_and_saveexec_b64 s[16:17], s[34:35]
	s_cbranch_execz .LBB38_38
; %bb.37:                               ;   in Loop: Header=BB38_24 Depth=1
	v_lshl_add_u64 v[0:1], v[72:73], 2, v[0:1]
	flat_load_dword v0, v[0:1]
	s_waitcnt vmcnt(0) lgkmcnt(0)
	v_mul_f32_e32 v74, s23, v0
.LBB38_38:                              ;   in Loop: Header=BB38_24 Depth=1
	s_or_b64 exec, exec, s[16:17]
	s_mov_b32 s31, 0
	s_mov_b64 s[16:17], -1
.LBB38_39:                              ;   Parent Loop BB38_24 Depth=1
                                        ; =>  This Inner Loop Header: Depth=2
	v_cndmask_b32_e64 v0, 0, 1, s[16:17]
	s_lshl_b32 s16, s31, 2
	v_cmp_ne_u32_e32 vcc, 1, v0
	v_add_u32_e32 v0, s16, v80
	ds_read2_b64 v[90:93], v0 offset1:16
	ds_read2_b64 v[94:97], v0 offset0:32 offset1:48
	ds_read2_b64 v[98:101], v0 offset0:64 offset1:80
	;; [unrolled: 1-line block ×3, first 2 shown]
	v_add_u32_e32 v0, s16, v82
	ds_read2st64_b64 v[106:109], v0 offset1:1
	ds_read2st64_b64 v[0:3], v0 offset0:2 offset1:3
	s_waitcnt lgkmcnt(5)
	v_max_f32_e32 v110, v91, v91
	v_max_f32_e32 v92, v92, v92
	;; [unrolled: 1-line block ×3, first 2 shown]
	s_waitcnt lgkmcnt(1)
	v_max_f32_e32 v89, v106, v106
	v_max_f32_e32 v106, v90, v90
	;; [unrolled: 1-line block ×3, first 2 shown]
	v_min_f32_e32 v90, v106, v89
	v_min_f32_e32 v91, v110, v107
	v_pk_add_f32 v[66:67], v[66:67], v[90:91]
	v_min_f32_e32 v90, v92, v89
	v_min_f32_e32 v91, v93, v107
	v_max_f32_e32 v94, v94, v94
	v_max_f32_e32 v95, v95, v95
	v_pk_add_f32 v[64:65], v[64:65], v[90:91]
	v_min_f32_e32 v90, v94, v89
	v_min_f32_e32 v91, v95, v107
	v_max_f32_e32 v96, v96, v96
	v_max_f32_e32 v97, v97, v97
	;; [unrolled: 5-line block ×5, first 2 shown]
	v_pk_add_f32 v[56:57], v[56:57], v[90:91]
	v_min_f32_e32 v90, v102, v89
	v_min_f32_e32 v91, v103, v107
	v_max_f32_e32 v104, v104, v104
	v_pk_add_f32 v[54:55], v[54:55], v[90:91]
	v_min_f32_e32 v90, v104, v89
	v_max_f32_e32 v89, v105, v105
	v_min_f32_e32 v91, v89, v107
	v_max_f32_e32 v105, v108, v108
	v_max_f32_e32 v107, v109, v109
	v_pk_add_f32 v[52:53], v[52:53], v[90:91]
	v_min_f32_e32 v90, v106, v105
	v_min_f32_e32 v91, v110, v107
	v_pk_add_f32 v[50:51], v[50:51], v[90:91]
	v_min_f32_e32 v90, v92, v105
	v_min_f32_e32 v91, v93, v107
	;; [unrolled: 3-line block ×8, first 2 shown]
	v_pk_add_f32 v[36:37], v[36:37], v[90:91]
	s_waitcnt lgkmcnt(0)
	v_max_f32_e32 v90, v0, v0
	v_max_f32_e32 v91, v1, v1
	v_min_f32_e32 v0, v106, v90
	v_min_f32_e32 v1, v110, v91
	v_pk_add_f32 v[34:35], v[34:35], v[0:1]
	v_min_f32_e32 v0, v92, v90
	v_min_f32_e32 v1, v93, v91
	v_pk_add_f32 v[32:33], v[32:33], v[0:1]
	v_min_f32_e32 v0, v94, v90
	v_min_f32_e32 v1, v95, v91
	v_pk_add_f32 v[30:31], v[30:31], v[0:1]
	v_min_f32_e32 v0, v96, v90
	v_min_f32_e32 v1, v97, v91
	v_pk_add_f32 v[28:29], v[28:29], v[0:1]
	v_min_f32_e32 v0, v98, v90
	v_min_f32_e32 v1, v99, v91
	v_pk_add_f32 v[26:27], v[26:27], v[0:1]
	v_min_f32_e32 v0, v100, v90
	v_min_f32_e32 v1, v101, v91
	v_pk_add_f32 v[24:25], v[24:25], v[0:1]
	v_min_f32_e32 v0, v102, v90
	v_min_f32_e32 v1, v103, v91
	v_pk_add_f32 v[22:23], v[22:23], v[0:1]
	v_min_f32_e32 v0, v104, v90
	v_min_f32_e32 v1, v89, v91
	v_max_f32_e32 v2, v2, v2
	v_max_f32_e32 v3, v3, v3
	v_pk_add_f32 v[20:21], v[20:21], v[0:1]
	v_min_f32_e32 v0, v106, v2
	v_min_f32_e32 v1, v110, v3
	v_pk_add_f32 v[18:19], v[18:19], v[0:1]
	v_min_f32_e32 v0, v92, v2
	v_min_f32_e32 v1, v93, v3
	;; [unrolled: 3-line block ×8, first 2 shown]
	v_pk_add_f32 v[4:5], v[4:5], v[0:1]
	s_mov_b64 s[16:17], 0
	s_mov_b32 s31, 2
	s_cbranch_vccz .LBB38_39
; %bb.40:                               ;   in Loop: Header=BB38_24 Depth=1
	s_add_i32 s19, s19, 8
	s_add_i32 s30, s30, 8
	s_cmp_ge_i32 s30, s18
	ds_write_b32 v83, v88
	ds_write2st64_b32 v84, v87, v74 offset1:4
	s_waitcnt lgkmcnt(0)
	s_barrier
	s_cbranch_scc0 .LBB38_24
.LBB38_41:
	v_mov_b32_e32 v0, 0x1400
	v_lshl_add_u32 v68, v76, 4, v0
	v_mov_b32_e32 v0, 0x800
	v_lshl_add_u32 v69, v77, 4, v0
	s_mov_b32 s6, 0
	s_mov_b64 s[2:3], -1
.LBB38_42:                              ; =>This Inner Loop Header: Depth=1
	v_cndmask_b32_e64 v0, 0, 1, s[2:3]
	s_lshl_b32 s2, s6, 2
	v_cmp_ne_u32_e32 vcc, 1, v0
	v_add_u32_e32 v0, s2, v68
	ds_read2_b64 v[70:73], v0 offset1:16
	ds_read2_b64 v[78:81], v0 offset0:32 offset1:48
	ds_read2_b64 v[82:85], v0 offset0:64 offset1:80
	;; [unrolled: 1-line block ×3, first 2 shown]
	v_add_u32_e32 v0, s2, v69
	ds_read2st64_b64 v[90:93], v0 offset1:1
	ds_read2st64_b64 v[0:3], v0 offset0:2 offset1:3
	s_waitcnt lgkmcnt(5)
	v_max_f32_e32 v75, v70, v70
	v_max_f32_e32 v72, v72, v72
	;; [unrolled: 1-line block ×3, first 2 shown]
	s_waitcnt lgkmcnt(1)
	v_max_f32_e32 v74, v90, v90
	v_max_f32_e32 v90, v91, v91
	;; [unrolled: 1-line block ×3, first 2 shown]
	v_min_f32_e32 v70, v75, v74
	v_min_f32_e32 v71, v91, v90
	v_pk_add_f32 v[66:67], v[66:67], v[70:71]
	v_min_f32_e32 v70, v72, v74
	v_min_f32_e32 v71, v73, v90
	v_max_f32_e32 v78, v78, v78
	v_max_f32_e32 v79, v79, v79
	v_pk_add_f32 v[64:65], v[64:65], v[70:71]
	v_min_f32_e32 v70, v78, v74
	v_min_f32_e32 v71, v79, v90
	v_max_f32_e32 v80, v80, v80
	v_max_f32_e32 v81, v81, v81
	;; [unrolled: 5-line block ×5, first 2 shown]
	v_pk_add_f32 v[56:57], v[56:57], v[70:71]
	v_min_f32_e32 v70, v86, v74
	v_min_f32_e32 v71, v87, v90
	v_max_f32_e32 v88, v88, v88
	v_pk_add_f32 v[54:55], v[54:55], v[70:71]
	v_min_f32_e32 v70, v88, v74
	v_max_f32_e32 v74, v89, v89
	v_min_f32_e32 v71, v74, v90
	v_max_f32_e32 v89, v92, v92
	v_max_f32_e32 v90, v93, v93
	v_pk_add_f32 v[52:53], v[52:53], v[70:71]
	v_min_f32_e32 v70, v75, v89
	v_min_f32_e32 v71, v91, v90
	v_pk_add_f32 v[50:51], v[50:51], v[70:71]
	v_min_f32_e32 v70, v72, v89
	v_min_f32_e32 v71, v73, v90
	;; [unrolled: 3-line block ×8, first 2 shown]
	v_pk_add_f32 v[36:37], v[36:37], v[70:71]
	s_waitcnt lgkmcnt(0)
	v_max_f32_e32 v70, v0, v0
	v_max_f32_e32 v71, v1, v1
	v_min_f32_e32 v0, v75, v70
	v_min_f32_e32 v1, v91, v71
	v_pk_add_f32 v[34:35], v[34:35], v[0:1]
	v_min_f32_e32 v0, v72, v70
	v_min_f32_e32 v1, v73, v71
	v_pk_add_f32 v[32:33], v[32:33], v[0:1]
	;; [unrolled: 3-line block ×7, first 2 shown]
	v_min_f32_e32 v0, v88, v70
	v_min_f32_e32 v1, v74, v71
	v_max_f32_e32 v2, v2, v2
	v_max_f32_e32 v3, v3, v3
	v_pk_add_f32 v[20:21], v[20:21], v[0:1]
	v_min_f32_e32 v0, v75, v2
	v_min_f32_e32 v1, v91, v3
	v_pk_add_f32 v[18:19], v[18:19], v[0:1]
	v_min_f32_e32 v0, v72, v2
	v_min_f32_e32 v1, v73, v3
	;; [unrolled: 3-line block ×8, first 2 shown]
	v_pk_add_f32 v[4:5], v[4:5], v[0:1]
	s_mov_b64 s[2:3], 0
	s_mov_b32 s6, 2
	s_cbranch_vccz .LBB38_42
; %bb.43:
	s_load_dwordx2 s[2:3], s[0:1], 0x70
	s_load_dword s30, s[0:1], 0x50
	s_load_dword s29, s[0:1], 0x68
	v_add_u32_e32 v72, s27, v77
	v_add_u32_e32 v0, s26, v76
	s_waitcnt lgkmcnt(0)
	s_lshl_b64 s[0:1], s[2:3], 2
	s_add_u32 s22, s4, s0
	s_addc_u32 s23, s5, s1
	v_mad_i64_i32 v[2:3], s[0:1], v72, s30, 0
	v_lshl_add_u64 v[70:71], v[2:3], 2, s[24:25]
	v_mad_i64_i32 v[2:3], s[0:1], v72, s29, 0
	v_cmp_gt_i32_e64 s[18:19], s21, v72
	v_lshl_add_u64 v[68:69], v[2:3], 2, s[22:23]
	v_cmp_gt_i32_e64 s[2:3], s20, v0
	v_cndmask_b32_e64 v2, 0, 1, s[8:9]
	s_and_b64 s[6:7], s[2:3], s[18:19]
	v_ashrrev_i32_e32 v1, 31, v0
	v_cmp_ne_u32_e64 s[0:1], 1, v2
	s_and_saveexec_b64 s[4:5], s[6:7]
	s_cbranch_execz .LBB38_48
; %bb.44:
	s_and_b64 vcc, exec, s[0:1]
	s_cbranch_vccnz .LBB38_46
; %bb.45:
	v_lshl_add_u64 v[2:3], v[0:1], 2, v[70:71]
	flat_load_dword v2, v[2:3]
	s_waitcnt vmcnt(0) lgkmcnt(0)
	v_mul_f32_e32 v2, s28, v2
	s_branch .LBB38_47
.LBB38_46:
	v_mov_b32_e32 v2, 0
.LBB38_47:
	v_add_f32_e32 v3, v66, v67
	v_add_f32_e32 v66, v3, v2
	v_lshl_add_u64 v[2:3], v[0:1], 2, v[68:69]
	flat_store_dword v[2:3], v66
.LBB38_48:
	s_or_b64 exec, exec, s[4:5]
	v_add_u32_e32 v2, 8, v0
	v_cmp_gt_i32_e64 s[4:5], s20, v2
	s_and_b64 s[8:9], s[4:5], s[18:19]
	v_ashrrev_i32_e32 v3, 31, v2
	s_and_saveexec_b64 s[6:7], s[8:9]
	s_cbranch_execz .LBB38_53
; %bb.49:
	s_and_b64 vcc, exec, s[0:1]
	s_cbranch_vccnz .LBB38_51
; %bb.50:
	v_lshl_add_u64 v[66:67], v[2:3], 2, v[70:71]
	flat_load_dword v66, v[66:67]
	s_waitcnt vmcnt(0) lgkmcnt(0)
	v_mul_f32_e32 v66, s28, v66
	s_branch .LBB38_52
.LBB38_51:
	v_mov_b32_e32 v66, 0
.LBB38_52:
	v_add_f32_e32 v64, v64, v65
	v_add_f32_e32 v66, v64, v66
	v_lshl_add_u64 v[64:65], v[2:3], 2, v[68:69]
	flat_store_dword v[64:65], v66
.LBB38_53:
	s_or_b64 exec, exec, s[6:7]
	v_add_u32_e32 v64, 16, v0
	v_cmp_gt_i32_e64 s[6:7], s20, v64
	s_and_b64 s[10:11], s[6:7], s[18:19]
	v_ashrrev_i32_e32 v65, 31, v64
	;; [unrolled: 24-line block ×7, first 2 shown]
	s_and_saveexec_b64 s[18:19], s[26:27]
	s_cbranch_execz .LBB38_83
; %bb.79:
	s_and_b64 vcc, exec, s[0:1]
	s_cbranch_vccnz .LBB38_81
; %bb.80:
	v_lshl_add_u64 v[66:67], v[54:55], 2, v[70:71]
	flat_load_dword v66, v[66:67]
	s_waitcnt vmcnt(0) lgkmcnt(0)
	v_mul_f32_e32 v66, s28, v66
	s_branch .LBB38_82
.LBB38_81:
	v_mov_b32_e32 v66, 0
.LBB38_82:
	v_add_f32_e32 v52, v52, v53
	v_add_f32_e32 v66, v52, v66
	v_lshl_add_u64 v[52:53], v[54:55], 2, v[68:69]
	flat_store_dword v[52:53], v66
.LBB38_83:
	s_or_b64 exec, exec, s[18:19]
	v_add_u32_e32 v68, 32, v72
	v_mad_i64_i32 v[52:53], s[26:27], v68, s30, 0
	v_cmp_gt_i32_e64 s[18:19], s21, v68
	v_lshl_add_u64 v[66:67], v[52:53], 2, s[24:25]
	v_mad_i64_i32 v[52:53], s[26:27], v68, s29, 0
	v_lshl_add_u64 v[52:53], v[52:53], 2, s[22:23]
	s_and_b64 s[34:35], s[2:3], s[18:19]
	s_and_saveexec_b64 s[26:27], s[34:35]
	s_cbranch_execnz .LBB38_91
; %bb.84:
	s_or_b64 exec, exec, s[26:27]
	s_and_b64 s[34:35], s[4:5], s[18:19]
	s_and_saveexec_b64 s[26:27], s[34:35]
	s_cbranch_execnz .LBB38_95
.LBB38_85:
	s_or_b64 exec, exec, s[26:27]
	s_and_b64 s[34:35], s[6:7], s[18:19]
	s_and_saveexec_b64 s[26:27], s[34:35]
	s_cbranch_execnz .LBB38_99
.LBB38_86:
	s_or_b64 exec, exec, s[26:27]
	s_and_b64 s[34:35], s[8:9], s[18:19]
	s_and_saveexec_b64 s[26:27], s[34:35]
	s_cbranch_execnz .LBB38_103
.LBB38_87:
	s_or_b64 exec, exec, s[26:27]
	s_and_b64 s[34:35], s[10:11], s[18:19]
	s_and_saveexec_b64 s[26:27], s[34:35]
	s_cbranch_execnz .LBB38_107
.LBB38_88:
	s_or_b64 exec, exec, s[26:27]
	s_and_b64 s[34:35], s[12:13], s[18:19]
	s_and_saveexec_b64 s[26:27], s[34:35]
	s_cbranch_execnz .LBB38_111
.LBB38_89:
	s_or_b64 exec, exec, s[26:27]
	s_and_b64 s[34:35], s[14:15], s[18:19]
	s_and_saveexec_b64 s[26:27], s[34:35]
	s_cbranch_execnz .LBB38_115
.LBB38_90:
	s_or_b64 exec, exec, s[26:27]
	s_and_b64 s[26:27], s[16:17], s[18:19]
	s_and_saveexec_b64 s[18:19], s[26:27]
	s_cbranch_execnz .LBB38_119
	s_branch .LBB38_123
.LBB38_91:
	s_and_b64 vcc, exec, s[0:1]
	s_cbranch_vccnz .LBB38_93
; %bb.92:
	v_lshl_add_u64 v[68:69], v[0:1], 2, v[66:67]
	flat_load_dword v68, v[68:69]
	s_waitcnt vmcnt(0) lgkmcnt(0)
	v_mul_f32_e32 v68, s28, v68
	s_branch .LBB38_94
.LBB38_93:
	v_mov_b32_e32 v68, 0
.LBB38_94:
	v_add_f32_e32 v50, v50, v51
	v_add_f32_e32 v68, v50, v68
	v_lshl_add_u64 v[50:51], v[0:1], 2, v[52:53]
	flat_store_dword v[50:51], v68
	s_or_b64 exec, exec, s[26:27]
	s_and_b64 s[34:35], s[4:5], s[18:19]
	s_and_saveexec_b64 s[26:27], s[34:35]
	s_cbranch_execz .LBB38_85
.LBB38_95:
	s_and_b64 vcc, exec, s[0:1]
	s_cbranch_vccnz .LBB38_97
; %bb.96:
	v_lshl_add_u64 v[50:51], v[2:3], 2, v[66:67]
	flat_load_dword v50, v[50:51]
	s_waitcnt vmcnt(0) lgkmcnt(0)
	v_mul_f32_e32 v50, s28, v50
	s_branch .LBB38_98
.LBB38_97:
	v_mov_b32_e32 v50, 0
.LBB38_98:
	v_add_f32_e32 v48, v48, v49
	v_add_f32_e32 v50, v48, v50
	v_lshl_add_u64 v[48:49], v[2:3], 2, v[52:53]
	flat_store_dword v[48:49], v50
	s_or_b64 exec, exec, s[26:27]
	s_and_b64 s[34:35], s[6:7], s[18:19]
	s_and_saveexec_b64 s[26:27], s[34:35]
	s_cbranch_execz .LBB38_86
.LBB38_99:
	s_and_b64 vcc, exec, s[0:1]
	s_cbranch_vccnz .LBB38_101
; %bb.100:
	v_lshl_add_u64 v[48:49], v[64:65], 2, v[66:67]
	flat_load_dword v48, v[48:49]
	s_waitcnt vmcnt(0) lgkmcnt(0)
	v_mul_f32_e32 v48, s28, v48
	s_branch .LBB38_102
.LBB38_101:
	v_mov_b32_e32 v48, 0
.LBB38_102:
	v_add_f32_e32 v46, v46, v47
	v_add_f32_e32 v48, v46, v48
	v_lshl_add_u64 v[46:47], v[64:65], 2, v[52:53]
	flat_store_dword v[46:47], v48
	s_or_b64 exec, exec, s[26:27]
	s_and_b64 s[34:35], s[8:9], s[18:19]
	s_and_saveexec_b64 s[26:27], s[34:35]
	s_cbranch_execz .LBB38_87
.LBB38_103:
	s_and_b64 vcc, exec, s[0:1]
	s_cbranch_vccnz .LBB38_105
; %bb.104:
	v_lshl_add_u64 v[46:47], v[62:63], 2, v[66:67]
	flat_load_dword v46, v[46:47]
	s_waitcnt vmcnt(0) lgkmcnt(0)
	v_mul_f32_e32 v46, s28, v46
	s_branch .LBB38_106
.LBB38_105:
	v_mov_b32_e32 v46, 0
.LBB38_106:
	v_add_f32_e32 v44, v44, v45
	v_add_f32_e32 v46, v44, v46
	v_lshl_add_u64 v[44:45], v[62:63], 2, v[52:53]
	flat_store_dword v[44:45], v46
	s_or_b64 exec, exec, s[26:27]
	s_and_b64 s[34:35], s[10:11], s[18:19]
	s_and_saveexec_b64 s[26:27], s[34:35]
	s_cbranch_execz .LBB38_88
.LBB38_107:
	s_and_b64 vcc, exec, s[0:1]
	s_cbranch_vccnz .LBB38_109
; %bb.108:
	v_lshl_add_u64 v[44:45], v[60:61], 2, v[66:67]
	flat_load_dword v44, v[44:45]
	s_waitcnt vmcnt(0) lgkmcnt(0)
	v_mul_f32_e32 v44, s28, v44
	s_branch .LBB38_110
.LBB38_109:
	v_mov_b32_e32 v44, 0
.LBB38_110:
	v_add_f32_e32 v42, v42, v43
	v_add_f32_e32 v44, v42, v44
	v_lshl_add_u64 v[42:43], v[60:61], 2, v[52:53]
	flat_store_dword v[42:43], v44
	s_or_b64 exec, exec, s[26:27]
	s_and_b64 s[34:35], s[12:13], s[18:19]
	s_and_saveexec_b64 s[26:27], s[34:35]
	s_cbranch_execz .LBB38_89
.LBB38_111:
	s_and_b64 vcc, exec, s[0:1]
	s_cbranch_vccnz .LBB38_113
; %bb.112:
	v_lshl_add_u64 v[42:43], v[58:59], 2, v[66:67]
	flat_load_dword v42, v[42:43]
	s_waitcnt vmcnt(0) lgkmcnt(0)
	v_mul_f32_e32 v42, s28, v42
	s_branch .LBB38_114
.LBB38_113:
	v_mov_b32_e32 v42, 0
.LBB38_114:
	v_add_f32_e32 v40, v40, v41
	v_add_f32_e32 v42, v40, v42
	v_lshl_add_u64 v[40:41], v[58:59], 2, v[52:53]
	flat_store_dword v[40:41], v42
	s_or_b64 exec, exec, s[26:27]
	s_and_b64 s[34:35], s[14:15], s[18:19]
	s_and_saveexec_b64 s[26:27], s[34:35]
	s_cbranch_execz .LBB38_90
.LBB38_115:
	s_and_b64 vcc, exec, s[0:1]
	s_cbranch_vccnz .LBB38_117
; %bb.116:
	v_lshl_add_u64 v[40:41], v[56:57], 2, v[66:67]
	flat_load_dword v40, v[40:41]
	s_waitcnt vmcnt(0) lgkmcnt(0)
	v_mul_f32_e32 v40, s28, v40
	s_branch .LBB38_118
.LBB38_117:
	v_mov_b32_e32 v40, 0
.LBB38_118:
	v_add_f32_e32 v38, v38, v39
	v_add_f32_e32 v40, v38, v40
	v_lshl_add_u64 v[38:39], v[56:57], 2, v[52:53]
	flat_store_dword v[38:39], v40
	s_or_b64 exec, exec, s[26:27]
	s_and_b64 s[26:27], s[16:17], s[18:19]
	s_and_saveexec_b64 s[18:19], s[26:27]
	s_cbranch_execz .LBB38_123
.LBB38_119:
	s_and_b64 vcc, exec, s[0:1]
	s_cbranch_vccnz .LBB38_121
; %bb.120:
	v_lshl_add_u64 v[38:39], v[54:55], 2, v[66:67]
	flat_load_dword v38, v[38:39]
	s_waitcnt vmcnt(0) lgkmcnt(0)
	v_mul_f32_e32 v38, s28, v38
	s_branch .LBB38_122
.LBB38_121:
	v_mov_b32_e32 v38, 0
.LBB38_122:
	v_add_f32_e32 v36, v36, v37
	v_add_f32_e32 v38, v36, v38
	v_lshl_add_u64 v[36:37], v[54:55], 2, v[52:53]
	flat_store_dword v[36:37], v38
.LBB38_123:
	s_or_b64 exec, exec, s[18:19]
	v_add_u32_e32 v40, 64, v72
	v_mad_i64_i32 v[36:37], s[26:27], v40, s30, 0
	v_cmp_gt_i32_e64 s[18:19], s21, v40
	v_lshl_add_u64 v[38:39], v[36:37], 2, s[24:25]
	v_mad_i64_i32 v[36:37], s[26:27], v40, s29, 0
	v_lshl_add_u64 v[36:37], v[36:37], 2, s[22:23]
	s_and_b64 s[34:35], s[2:3], s[18:19]
	s_and_saveexec_b64 s[26:27], s[34:35]
	s_cbranch_execnz .LBB38_131
; %bb.124:
	s_or_b64 exec, exec, s[26:27]
	s_and_b64 s[34:35], s[4:5], s[18:19]
	s_and_saveexec_b64 s[26:27], s[34:35]
	s_cbranch_execnz .LBB38_135
.LBB38_125:
	s_or_b64 exec, exec, s[26:27]
	s_and_b64 s[34:35], s[6:7], s[18:19]
	s_and_saveexec_b64 s[26:27], s[34:35]
	s_cbranch_execnz .LBB38_139
.LBB38_126:
	s_or_b64 exec, exec, s[26:27]
	s_and_b64 s[34:35], s[8:9], s[18:19]
	s_and_saveexec_b64 s[26:27], s[34:35]
	s_cbranch_execnz .LBB38_143
.LBB38_127:
	s_or_b64 exec, exec, s[26:27]
	s_and_b64 s[34:35], s[10:11], s[18:19]
	s_and_saveexec_b64 s[26:27], s[34:35]
	s_cbranch_execnz .LBB38_147
.LBB38_128:
	s_or_b64 exec, exec, s[26:27]
	s_and_b64 s[34:35], s[12:13], s[18:19]
	s_and_saveexec_b64 s[26:27], s[34:35]
	s_cbranch_execnz .LBB38_151
.LBB38_129:
	s_or_b64 exec, exec, s[26:27]
	s_and_b64 s[34:35], s[14:15], s[18:19]
	s_and_saveexec_b64 s[26:27], s[34:35]
	s_cbranch_execnz .LBB38_155
.LBB38_130:
	s_or_b64 exec, exec, s[26:27]
	s_and_b64 s[26:27], s[16:17], s[18:19]
	s_and_saveexec_b64 s[18:19], s[26:27]
	s_cbranch_execnz .LBB38_159
	s_branch .LBB38_163
.LBB38_131:
	s_and_b64 vcc, exec, s[0:1]
	s_cbranch_vccnz .LBB38_133
; %bb.132:
	v_lshl_add_u64 v[40:41], v[0:1], 2, v[38:39]
	flat_load_dword v40, v[40:41]
	s_waitcnt vmcnt(0) lgkmcnt(0)
	v_mul_f32_e32 v40, s28, v40
	s_branch .LBB38_134
.LBB38_133:
	v_mov_b32_e32 v40, 0
.LBB38_134:
	v_add_f32_e32 v34, v34, v35
	v_add_f32_e32 v40, v34, v40
	v_lshl_add_u64 v[34:35], v[0:1], 2, v[36:37]
	flat_store_dword v[34:35], v40
	s_or_b64 exec, exec, s[26:27]
	s_and_b64 s[34:35], s[4:5], s[18:19]
	s_and_saveexec_b64 s[26:27], s[34:35]
	s_cbranch_execz .LBB38_125
.LBB38_135:
	s_and_b64 vcc, exec, s[0:1]
	s_cbranch_vccnz .LBB38_137
; %bb.136:
	v_lshl_add_u64 v[34:35], v[2:3], 2, v[38:39]
	flat_load_dword v34, v[34:35]
	s_waitcnt vmcnt(0) lgkmcnt(0)
	v_mul_f32_e32 v34, s28, v34
	s_branch .LBB38_138
.LBB38_137:
	v_mov_b32_e32 v34, 0
.LBB38_138:
	v_add_f32_e32 v32, v32, v33
	v_add_f32_e32 v34, v32, v34
	v_lshl_add_u64 v[32:33], v[2:3], 2, v[36:37]
	flat_store_dword v[32:33], v34
	s_or_b64 exec, exec, s[26:27]
	s_and_b64 s[34:35], s[6:7], s[18:19]
	s_and_saveexec_b64 s[26:27], s[34:35]
	s_cbranch_execz .LBB38_126
.LBB38_139:
	s_and_b64 vcc, exec, s[0:1]
	s_cbranch_vccnz .LBB38_141
; %bb.140:
	v_lshl_add_u64 v[32:33], v[64:65], 2, v[38:39]
	flat_load_dword v32, v[32:33]
	s_waitcnt vmcnt(0) lgkmcnt(0)
	v_mul_f32_e32 v32, s28, v32
	s_branch .LBB38_142
.LBB38_141:
	v_mov_b32_e32 v32, 0
.LBB38_142:
	v_add_f32_e32 v30, v30, v31
	v_add_f32_e32 v32, v30, v32
	v_lshl_add_u64 v[30:31], v[64:65], 2, v[36:37]
	flat_store_dword v[30:31], v32
	s_or_b64 exec, exec, s[26:27]
	s_and_b64 s[34:35], s[8:9], s[18:19]
	s_and_saveexec_b64 s[26:27], s[34:35]
	s_cbranch_execz .LBB38_127
.LBB38_143:
	s_and_b64 vcc, exec, s[0:1]
	s_cbranch_vccnz .LBB38_145
; %bb.144:
	v_lshl_add_u64 v[30:31], v[62:63], 2, v[38:39]
	flat_load_dword v30, v[30:31]
	s_waitcnt vmcnt(0) lgkmcnt(0)
	v_mul_f32_e32 v30, s28, v30
	s_branch .LBB38_146
.LBB38_145:
	v_mov_b32_e32 v30, 0
.LBB38_146:
	v_add_f32_e32 v28, v28, v29
	v_add_f32_e32 v30, v28, v30
	v_lshl_add_u64 v[28:29], v[62:63], 2, v[36:37]
	flat_store_dword v[28:29], v30
	s_or_b64 exec, exec, s[26:27]
	s_and_b64 s[34:35], s[10:11], s[18:19]
	s_and_saveexec_b64 s[26:27], s[34:35]
	s_cbranch_execz .LBB38_128
.LBB38_147:
	s_and_b64 vcc, exec, s[0:1]
	s_cbranch_vccnz .LBB38_149
; %bb.148:
	v_lshl_add_u64 v[28:29], v[60:61], 2, v[38:39]
	flat_load_dword v28, v[28:29]
	s_waitcnt vmcnt(0) lgkmcnt(0)
	v_mul_f32_e32 v28, s28, v28
	s_branch .LBB38_150
.LBB38_149:
	v_mov_b32_e32 v28, 0
.LBB38_150:
	v_add_f32_e32 v26, v26, v27
	v_add_f32_e32 v28, v26, v28
	v_lshl_add_u64 v[26:27], v[60:61], 2, v[36:37]
	flat_store_dword v[26:27], v28
	s_or_b64 exec, exec, s[26:27]
	s_and_b64 s[34:35], s[12:13], s[18:19]
	s_and_saveexec_b64 s[26:27], s[34:35]
	s_cbranch_execz .LBB38_129
.LBB38_151:
	s_and_b64 vcc, exec, s[0:1]
	s_cbranch_vccnz .LBB38_153
; %bb.152:
	v_lshl_add_u64 v[26:27], v[58:59], 2, v[38:39]
	flat_load_dword v26, v[26:27]
	s_waitcnt vmcnt(0) lgkmcnt(0)
	v_mul_f32_e32 v26, s28, v26
	s_branch .LBB38_154
.LBB38_153:
	v_mov_b32_e32 v26, 0
.LBB38_154:
	v_add_f32_e32 v24, v24, v25
	v_add_f32_e32 v26, v24, v26
	v_lshl_add_u64 v[24:25], v[58:59], 2, v[36:37]
	flat_store_dword v[24:25], v26
	s_or_b64 exec, exec, s[26:27]
	s_and_b64 s[34:35], s[14:15], s[18:19]
	s_and_saveexec_b64 s[26:27], s[34:35]
	s_cbranch_execz .LBB38_130
.LBB38_155:
	s_and_b64 vcc, exec, s[0:1]
	s_cbranch_vccnz .LBB38_157
; %bb.156:
	v_lshl_add_u64 v[24:25], v[56:57], 2, v[38:39]
	flat_load_dword v24, v[24:25]
	s_waitcnt vmcnt(0) lgkmcnt(0)
	v_mul_f32_e32 v24, s28, v24
	s_branch .LBB38_158
.LBB38_157:
	v_mov_b32_e32 v24, 0
.LBB38_158:
	v_add_f32_e32 v22, v22, v23
	v_add_f32_e32 v24, v22, v24
	v_lshl_add_u64 v[22:23], v[56:57], 2, v[36:37]
	flat_store_dword v[22:23], v24
	s_or_b64 exec, exec, s[26:27]
	s_and_b64 s[26:27], s[16:17], s[18:19]
	s_and_saveexec_b64 s[18:19], s[26:27]
	s_cbranch_execz .LBB38_163
.LBB38_159:
	s_and_b64 vcc, exec, s[0:1]
	s_cbranch_vccnz .LBB38_161
; %bb.160:
	v_lshl_add_u64 v[22:23], v[54:55], 2, v[38:39]
	flat_load_dword v22, v[22:23]
	s_waitcnt vmcnt(0) lgkmcnt(0)
	v_mul_f32_e32 v22, s28, v22
	s_branch .LBB38_162
.LBB38_161:
	v_mov_b32_e32 v22, 0
.LBB38_162:
	v_add_f32_e32 v20, v20, v21
	v_add_f32_e32 v22, v20, v22
	v_lshl_add_u64 v[20:21], v[54:55], 2, v[36:37]
	flat_store_dword v[20:21], v22
.LBB38_163:
	s_or_b64 exec, exec, s[18:19]
	v_add_u32_e32 v24, 0x60, v72
	v_cmp_gt_i32_e64 s[18:19], s21, v24
	v_mad_i64_i32 v[20:21], s[20:21], v24, s30, 0
	v_lshl_add_u64 v[22:23], v[20:21], 2, s[24:25]
	v_mad_i64_i32 v[20:21], s[20:21], v24, s29, 0
	v_lshl_add_u64 v[20:21], v[20:21], 2, s[22:23]
	s_and_b64 s[20:21], s[2:3], s[18:19]
	s_and_saveexec_b64 s[2:3], s[20:21]
	s_cbranch_execnz .LBB38_172
; %bb.164:
	s_or_b64 exec, exec, s[2:3]
	s_and_b64 s[4:5], s[4:5], s[18:19]
	s_and_saveexec_b64 s[2:3], s[4:5]
	s_cbranch_execnz .LBB38_176
.LBB38_165:
	s_or_b64 exec, exec, s[2:3]
	s_and_b64 s[4:5], s[6:7], s[18:19]
	s_and_saveexec_b64 s[2:3], s[4:5]
	s_cbranch_execnz .LBB38_180
.LBB38_166:
	s_or_b64 exec, exec, s[2:3]
	s_and_b64 s[4:5], s[8:9], s[18:19]
	s_and_saveexec_b64 s[2:3], s[4:5]
	s_cbranch_execnz .LBB38_184
.LBB38_167:
	s_or_b64 exec, exec, s[2:3]
	s_and_b64 s[4:5], s[10:11], s[18:19]
	s_and_saveexec_b64 s[2:3], s[4:5]
	s_cbranch_execnz .LBB38_188
.LBB38_168:
	s_or_b64 exec, exec, s[2:3]
	s_and_b64 s[4:5], s[12:13], s[18:19]
	s_and_saveexec_b64 s[2:3], s[4:5]
	s_cbranch_execnz .LBB38_192
.LBB38_169:
	s_or_b64 exec, exec, s[2:3]
	s_and_b64 s[4:5], s[14:15], s[18:19]
	s_and_saveexec_b64 s[2:3], s[4:5]
	s_cbranch_execnz .LBB38_196
.LBB38_170:
	s_or_b64 exec, exec, s[2:3]
	s_and_b64 s[2:3], s[16:17], s[18:19]
	s_and_saveexec_b64 s[4:5], s[2:3]
	s_cbranch_execnz .LBB38_200
.LBB38_171:
	s_endpgm
.LBB38_172:
	s_and_b64 vcc, exec, s[0:1]
	s_cbranch_vccnz .LBB38_174
; %bb.173:
	v_lshl_add_u64 v[24:25], v[0:1], 2, v[22:23]
	flat_load_dword v24, v[24:25]
	s_waitcnt vmcnt(0) lgkmcnt(0)
	v_mul_f32_e32 v24, s28, v24
	s_branch .LBB38_175
.LBB38_174:
	v_mov_b32_e32 v24, 0
.LBB38_175:
	v_add_f32_e32 v18, v18, v19
	v_add_f32_e32 v18, v18, v24
	v_lshl_add_u64 v[0:1], v[0:1], 2, v[20:21]
	flat_store_dword v[0:1], v18
	s_or_b64 exec, exec, s[2:3]
	s_and_b64 s[4:5], s[4:5], s[18:19]
	s_and_saveexec_b64 s[2:3], s[4:5]
	s_cbranch_execz .LBB38_165
.LBB38_176:
	s_and_b64 vcc, exec, s[0:1]
	s_cbranch_vccnz .LBB38_178
; %bb.177:
	v_lshl_add_u64 v[0:1], v[2:3], 2, v[22:23]
	flat_load_dword v0, v[0:1]
	s_waitcnt vmcnt(0) lgkmcnt(0)
	v_mul_f32_e32 v0, s28, v0
	s_branch .LBB38_179
.LBB38_178:
	v_mov_b32_e32 v0, 0
.LBB38_179:
	v_add_f32_e32 v1, v16, v17
	v_add_f32_e32 v16, v1, v0
	v_lshl_add_u64 v[0:1], v[2:3], 2, v[20:21]
	flat_store_dword v[0:1], v16
	s_or_b64 exec, exec, s[2:3]
	s_and_b64 s[4:5], s[6:7], s[18:19]
	s_and_saveexec_b64 s[2:3], s[4:5]
	s_cbranch_execz .LBB38_166
.LBB38_180:
	s_and_b64 vcc, exec, s[0:1]
	s_cbranch_vccnz .LBB38_182
; %bb.181:
	v_lshl_add_u64 v[0:1], v[64:65], 2, v[22:23]
	flat_load_dword v0, v[0:1]
	s_waitcnt vmcnt(0) lgkmcnt(0)
	v_mul_f32_e32 v0, s28, v0
	s_branch .LBB38_183
.LBB38_182:
	v_mov_b32_e32 v0, 0
.LBB38_183:
	v_add_f32_e32 v1, v14, v15
	v_add_f32_e32 v2, v1, v0
	v_lshl_add_u64 v[0:1], v[64:65], 2, v[20:21]
	flat_store_dword v[0:1], v2
	s_or_b64 exec, exec, s[2:3]
	s_and_b64 s[4:5], s[8:9], s[18:19]
	s_and_saveexec_b64 s[2:3], s[4:5]
	s_cbranch_execz .LBB38_167
.LBB38_184:
	s_and_b64 vcc, exec, s[0:1]
	s_cbranch_vccnz .LBB38_186
; %bb.185:
	v_lshl_add_u64 v[0:1], v[62:63], 2, v[22:23]
	flat_load_dword v0, v[0:1]
	s_waitcnt vmcnt(0) lgkmcnt(0)
	v_mul_f32_e32 v0, s28, v0
	s_branch .LBB38_187
.LBB38_186:
	v_mov_b32_e32 v0, 0
.LBB38_187:
	v_add_f32_e32 v1, v12, v13
	v_add_f32_e32 v2, v1, v0
	v_lshl_add_u64 v[0:1], v[62:63], 2, v[20:21]
	flat_store_dword v[0:1], v2
	s_or_b64 exec, exec, s[2:3]
	s_and_b64 s[4:5], s[10:11], s[18:19]
	s_and_saveexec_b64 s[2:3], s[4:5]
	s_cbranch_execz .LBB38_168
.LBB38_188:
	s_and_b64 vcc, exec, s[0:1]
	s_cbranch_vccnz .LBB38_190
; %bb.189:
	v_lshl_add_u64 v[0:1], v[60:61], 2, v[22:23]
	flat_load_dword v0, v[0:1]
	s_waitcnt vmcnt(0) lgkmcnt(0)
	v_mul_f32_e32 v0, s28, v0
	s_branch .LBB38_191
.LBB38_190:
	v_mov_b32_e32 v0, 0
.LBB38_191:
	v_add_f32_e32 v1, v10, v11
	v_add_f32_e32 v2, v1, v0
	v_lshl_add_u64 v[0:1], v[60:61], 2, v[20:21]
	flat_store_dword v[0:1], v2
	s_or_b64 exec, exec, s[2:3]
	s_and_b64 s[4:5], s[12:13], s[18:19]
	s_and_saveexec_b64 s[2:3], s[4:5]
	s_cbranch_execz .LBB38_169
.LBB38_192:
	s_and_b64 vcc, exec, s[0:1]
	s_cbranch_vccnz .LBB38_194
; %bb.193:
	v_lshl_add_u64 v[0:1], v[58:59], 2, v[22:23]
	flat_load_dword v0, v[0:1]
	s_waitcnt vmcnt(0) lgkmcnt(0)
	v_mul_f32_e32 v0, s28, v0
	s_branch .LBB38_195
.LBB38_194:
	v_mov_b32_e32 v0, 0
.LBB38_195:
	v_add_f32_e32 v1, v8, v9
	v_add_f32_e32 v2, v1, v0
	v_lshl_add_u64 v[0:1], v[58:59], 2, v[20:21]
	flat_store_dword v[0:1], v2
	s_or_b64 exec, exec, s[2:3]
	s_and_b64 s[4:5], s[14:15], s[18:19]
	s_and_saveexec_b64 s[2:3], s[4:5]
	s_cbranch_execz .LBB38_170
.LBB38_196:
	s_and_b64 vcc, exec, s[0:1]
	s_cbranch_vccnz .LBB38_198
; %bb.197:
	v_lshl_add_u64 v[0:1], v[56:57], 2, v[22:23]
	flat_load_dword v0, v[0:1]
	s_waitcnt vmcnt(0) lgkmcnt(0)
	v_mul_f32_e32 v0, s28, v0
	s_branch .LBB38_199
.LBB38_198:
	v_mov_b32_e32 v0, 0
.LBB38_199:
	v_add_f32_e32 v1, v6, v7
	v_add_f32_e32 v2, v1, v0
	v_lshl_add_u64 v[0:1], v[56:57], 2, v[20:21]
	flat_store_dword v[0:1], v2
	s_or_b64 exec, exec, s[2:3]
	s_and_b64 s[2:3], s[16:17], s[18:19]
	s_and_saveexec_b64 s[4:5], s[2:3]
	s_cbranch_execz .LBB38_171
.LBB38_200:
	s_and_b64 vcc, exec, s[0:1]
	s_cbranch_vccnz .LBB38_202
; %bb.201:
	v_lshl_add_u64 v[0:1], v[54:55], 2, v[22:23]
	flat_load_dword v0, v[0:1]
	s_waitcnt vmcnt(0) lgkmcnt(0)
	v_mul_f32_e32 v0, s28, v0
	s_branch .LBB38_203
.LBB38_202:
	v_mov_b32_e32 v0, 0
.LBB38_203:
	v_add_f32_e32 v1, v4, v5
	v_add_f32_e32 v2, v1, v0
	v_lshl_add_u64 v[0:1], v[54:55], 2, v[20:21]
	flat_store_dword v[0:1], v2
	s_endpgm
	.section	.rodata,"a",@progbits
	.p2align	6, 0x0
	.amdhsa_kernel _ZN12_GLOBAL__N_120geam_min_plus_kernelIf15HIP_vector_typeIfLj2EES2_Li8ELi32ELi64ELi128ELi4ELi4ELi64ELi4ELi64ELc84ELc78ELb0ELb1ELb0EfKPKfKPfEEviiiT16_PT17_ilSA_ilS8_SA_ilPT18_ili26rocblas_geam_ex_operation_
		.amdhsa_group_segment_fixed_size 6144
		.amdhsa_private_segment_fixed_size 0
		.amdhsa_kernarg_size 128
		.amdhsa_user_sgpr_count 2
		.amdhsa_user_sgpr_dispatch_ptr 0
		.amdhsa_user_sgpr_queue_ptr 0
		.amdhsa_user_sgpr_kernarg_segment_ptr 1
		.amdhsa_user_sgpr_dispatch_id 0
		.amdhsa_user_sgpr_kernarg_preload_length 0
		.amdhsa_user_sgpr_kernarg_preload_offset 0
		.amdhsa_user_sgpr_private_segment_size 0
		.amdhsa_uses_dynamic_stack 0
		.amdhsa_enable_private_segment 0
		.amdhsa_system_sgpr_workgroup_id_x 1
		.amdhsa_system_sgpr_workgroup_id_y 0
		.amdhsa_system_sgpr_workgroup_id_z 1
		.amdhsa_system_sgpr_workgroup_info 0
		.amdhsa_system_vgpr_workitem_id 1
		.amdhsa_next_free_vgpr 112
		.amdhsa_next_free_sgpr 36
		.amdhsa_accum_offset 112
		.amdhsa_reserve_vcc 1
		.amdhsa_float_round_mode_32 0
		.amdhsa_float_round_mode_16_64 0
		.amdhsa_float_denorm_mode_32 3
		.amdhsa_float_denorm_mode_16_64 3
		.amdhsa_dx10_clamp 1
		.amdhsa_ieee_mode 1
		.amdhsa_fp16_overflow 0
		.amdhsa_tg_split 0
		.amdhsa_exception_fp_ieee_invalid_op 0
		.amdhsa_exception_fp_denorm_src 0
		.amdhsa_exception_fp_ieee_div_zero 0
		.amdhsa_exception_fp_ieee_overflow 0
		.amdhsa_exception_fp_ieee_underflow 0
		.amdhsa_exception_fp_ieee_inexact 0
		.amdhsa_exception_int_div_zero 0
	.end_amdhsa_kernel
	.section	.text._ZN12_GLOBAL__N_120geam_min_plus_kernelIf15HIP_vector_typeIfLj2EES2_Li8ELi32ELi64ELi128ELi4ELi4ELi64ELi4ELi64ELc84ELc78ELb0ELb1ELb0EfKPKfKPfEEviiiT16_PT17_ilSA_ilS8_SA_ilPT18_ili26rocblas_geam_ex_operation_,"axG",@progbits,_ZN12_GLOBAL__N_120geam_min_plus_kernelIf15HIP_vector_typeIfLj2EES2_Li8ELi32ELi64ELi128ELi4ELi4ELi64ELi4ELi64ELc84ELc78ELb0ELb1ELb0EfKPKfKPfEEviiiT16_PT17_ilSA_ilS8_SA_ilPT18_ili26rocblas_geam_ex_operation_,comdat
.Lfunc_end38:
	.size	_ZN12_GLOBAL__N_120geam_min_plus_kernelIf15HIP_vector_typeIfLj2EES2_Li8ELi32ELi64ELi128ELi4ELi4ELi64ELi4ELi64ELc84ELc78ELb0ELb1ELb0EfKPKfKPfEEviiiT16_PT17_ilSA_ilS8_SA_ilPT18_ili26rocblas_geam_ex_operation_, .Lfunc_end38-_ZN12_GLOBAL__N_120geam_min_plus_kernelIf15HIP_vector_typeIfLj2EES2_Li8ELi32ELi64ELi128ELi4ELi4ELi64ELi4ELi64ELc84ELc78ELb0ELb1ELb0EfKPKfKPfEEviiiT16_PT17_ilSA_ilS8_SA_ilPT18_ili26rocblas_geam_ex_operation_
                                        ; -- End function
	.set _ZN12_GLOBAL__N_120geam_min_plus_kernelIf15HIP_vector_typeIfLj2EES2_Li8ELi32ELi64ELi128ELi4ELi4ELi64ELi4ELi64ELc84ELc78ELb0ELb1ELb0EfKPKfKPfEEviiiT16_PT17_ilSA_ilS8_SA_ilPT18_ili26rocblas_geam_ex_operation_.num_vgpr, 112
	.set _ZN12_GLOBAL__N_120geam_min_plus_kernelIf15HIP_vector_typeIfLj2EES2_Li8ELi32ELi64ELi128ELi4ELi4ELi64ELi4ELi64ELc84ELc78ELb0ELb1ELb0EfKPKfKPfEEviiiT16_PT17_ilSA_ilS8_SA_ilPT18_ili26rocblas_geam_ex_operation_.num_agpr, 0
	.set _ZN12_GLOBAL__N_120geam_min_plus_kernelIf15HIP_vector_typeIfLj2EES2_Li8ELi32ELi64ELi128ELi4ELi4ELi64ELi4ELi64ELc84ELc78ELb0ELb1ELb0EfKPKfKPfEEviiiT16_PT17_ilSA_ilS8_SA_ilPT18_ili26rocblas_geam_ex_operation_.numbered_sgpr, 36
	.set _ZN12_GLOBAL__N_120geam_min_plus_kernelIf15HIP_vector_typeIfLj2EES2_Li8ELi32ELi64ELi128ELi4ELi4ELi64ELi4ELi64ELc84ELc78ELb0ELb1ELb0EfKPKfKPfEEviiiT16_PT17_ilSA_ilS8_SA_ilPT18_ili26rocblas_geam_ex_operation_.num_named_barrier, 0
	.set _ZN12_GLOBAL__N_120geam_min_plus_kernelIf15HIP_vector_typeIfLj2EES2_Li8ELi32ELi64ELi128ELi4ELi4ELi64ELi4ELi64ELc84ELc78ELb0ELb1ELb0EfKPKfKPfEEviiiT16_PT17_ilSA_ilS8_SA_ilPT18_ili26rocblas_geam_ex_operation_.private_seg_size, 0
	.set _ZN12_GLOBAL__N_120geam_min_plus_kernelIf15HIP_vector_typeIfLj2EES2_Li8ELi32ELi64ELi128ELi4ELi4ELi64ELi4ELi64ELc84ELc78ELb0ELb1ELb0EfKPKfKPfEEviiiT16_PT17_ilSA_ilS8_SA_ilPT18_ili26rocblas_geam_ex_operation_.uses_vcc, 1
	.set _ZN12_GLOBAL__N_120geam_min_plus_kernelIf15HIP_vector_typeIfLj2EES2_Li8ELi32ELi64ELi128ELi4ELi4ELi64ELi4ELi64ELc84ELc78ELb0ELb1ELb0EfKPKfKPfEEviiiT16_PT17_ilSA_ilS8_SA_ilPT18_ili26rocblas_geam_ex_operation_.uses_flat_scratch, 0
	.set _ZN12_GLOBAL__N_120geam_min_plus_kernelIf15HIP_vector_typeIfLj2EES2_Li8ELi32ELi64ELi128ELi4ELi4ELi64ELi4ELi64ELc84ELc78ELb0ELb1ELb0EfKPKfKPfEEviiiT16_PT17_ilSA_ilS8_SA_ilPT18_ili26rocblas_geam_ex_operation_.has_dyn_sized_stack, 0
	.set _ZN12_GLOBAL__N_120geam_min_plus_kernelIf15HIP_vector_typeIfLj2EES2_Li8ELi32ELi64ELi128ELi4ELi4ELi64ELi4ELi64ELc84ELc78ELb0ELb1ELb0EfKPKfKPfEEviiiT16_PT17_ilSA_ilS8_SA_ilPT18_ili26rocblas_geam_ex_operation_.has_recursion, 0
	.set _ZN12_GLOBAL__N_120geam_min_plus_kernelIf15HIP_vector_typeIfLj2EES2_Li8ELi32ELi64ELi128ELi4ELi4ELi64ELi4ELi64ELc84ELc78ELb0ELb1ELb0EfKPKfKPfEEviiiT16_PT17_ilSA_ilS8_SA_ilPT18_ili26rocblas_geam_ex_operation_.has_indirect_call, 0
	.section	.AMDGPU.csdata,"",@progbits
; Kernel info:
; codeLenInByte = 7960
; TotalNumSgprs: 42
; NumVgprs: 112
; NumAgprs: 0
; TotalNumVgprs: 112
; ScratchSize: 0
; MemoryBound: 0
; FloatMode: 240
; IeeeMode: 1
; LDSByteSize: 6144 bytes/workgroup (compile time only)
; SGPRBlocks: 5
; VGPRBlocks: 13
; NumSGPRsForWavesPerEU: 42
; NumVGPRsForWavesPerEU: 112
; AccumOffset: 112
; Occupancy: 4
; WaveLimiterHint : 1
; COMPUTE_PGM_RSRC2:SCRATCH_EN: 0
; COMPUTE_PGM_RSRC2:USER_SGPR: 2
; COMPUTE_PGM_RSRC2:TRAP_HANDLER: 0
; COMPUTE_PGM_RSRC2:TGID_X_EN: 1
; COMPUTE_PGM_RSRC2:TGID_Y_EN: 0
; COMPUTE_PGM_RSRC2:TGID_Z_EN: 1
; COMPUTE_PGM_RSRC2:TIDIG_COMP_CNT: 1
; COMPUTE_PGM_RSRC3_GFX90A:ACCUM_OFFSET: 27
; COMPUTE_PGM_RSRC3_GFX90A:TG_SPLIT: 0
	.section	.text._ZN12_GLOBAL__N_120geam_min_plus_kernelIf15HIP_vector_typeIfLj2EES2_Li8ELi32ELi64ELi128ELi4ELi64ELi4ELi64ELi4ELc78ELc84ELb0ELb0ELb0EPKfKS4_KPfEEviiiT16_PT17_ilSA_ilS8_SA_ilPT18_ili26rocblas_geam_ex_operation_,"axG",@progbits,_ZN12_GLOBAL__N_120geam_min_plus_kernelIf15HIP_vector_typeIfLj2EES2_Li8ELi32ELi64ELi128ELi4ELi64ELi4ELi64ELi4ELc78ELc84ELb0ELb0ELb0EPKfKS4_KPfEEviiiT16_PT17_ilSA_ilS8_SA_ilPT18_ili26rocblas_geam_ex_operation_,comdat
	.globl	_ZN12_GLOBAL__N_120geam_min_plus_kernelIf15HIP_vector_typeIfLj2EES2_Li8ELi32ELi64ELi128ELi4ELi64ELi4ELi64ELi4ELc78ELc84ELb0ELb0ELb0EPKfKS4_KPfEEviiiT16_PT17_ilSA_ilS8_SA_ilPT18_ili26rocblas_geam_ex_operation_ ; -- Begin function _ZN12_GLOBAL__N_120geam_min_plus_kernelIf15HIP_vector_typeIfLj2EES2_Li8ELi32ELi64ELi128ELi4ELi64ELi4ELi64ELi4ELc78ELc84ELb0ELb0ELb0EPKfKS4_KPfEEviiiT16_PT17_ilSA_ilS8_SA_ilPT18_ili26rocblas_geam_ex_operation_
	.p2align	8
	.type	_ZN12_GLOBAL__N_120geam_min_plus_kernelIf15HIP_vector_typeIfLj2EES2_Li8ELi32ELi64ELi128ELi4ELi64ELi4ELi64ELi4ELc78ELc84ELb0ELb0ELb0EPKfKS4_KPfEEviiiT16_PT17_ilSA_ilS8_SA_ilPT18_ili26rocblas_geam_ex_operation_,@function
_ZN12_GLOBAL__N_120geam_min_plus_kernelIf15HIP_vector_typeIfLj2EES2_Li8ELi32ELi64ELi128ELi4ELi64ELi4ELi64ELi4ELc78ELc84ELb0ELb0ELb0EPKfKS4_KPfEEviiiT16_PT17_ilSA_ilS8_SA_ilPT18_ili26rocblas_geam_ex_operation_: ; @_ZN12_GLOBAL__N_120geam_min_plus_kernelIf15HIP_vector_typeIfLj2EES2_Li8ELi32ELi64ELi128ELi4ELi64ELi4ELi64ELi4ELc78ELc84ELb0ELb0ELb0EPKfKS4_KPfEEviiiT16_PT17_ilSA_ilS8_SA_ilPT18_ili26rocblas_geam_ex_operation_
; %bb.0:
	s_load_dwordx4 s[4:7], s[0:1], 0x10
	s_load_dwordx4 s[12:15], s[0:1], 0x28
	;; [unrolled: 1-line block ×3, first 2 shown]
	s_mov_b32 s22, s3
	s_mov_b32 s23, 0
	s_lshl_b64 s[18:19], s[22:23], 2
	s_waitcnt lgkmcnt(0)
	s_add_u32 s4, s4, s18
	s_addc_u32 s5, s5, s19
	s_load_dword s16, s[4:5], 0x0
	s_load_dwordx2 s[24:25], s[0:1], 0x50
	s_add_u32 s10, s10, s18
	s_addc_u32 s11, s11, s19
	s_mov_b64 s[18:19], 0
	s_waitcnt lgkmcnt(0)
	v_cmp_eq_f32_e64 s[4:5], s16, 0
	s_and_b64 s[4:5], exec, s[4:5]
	v_cmp_neq_f32_e64 s[26:27], s16, 0
	s_mov_b64 s[20:21], 0
	s_mov_b64 vcc, s[4:5]
	s_cbranch_vccnz .LBB39_2
; %bb.1:
	s_lshl_b64 s[20:21], s[22:23], 3
	s_add_u32 s6, s6, s20
	s_addc_u32 s7, s7, s21
	s_load_dwordx2 s[6:7], s[6:7], 0x0
	s_lshl_b64 s[12:13], s[12:13], 2
	s_waitcnt lgkmcnt(0)
	s_add_u32 s20, s6, s12
	s_addc_u32 s21, s7, s13
.LBB39_2:
	s_load_dword s28, s[10:11], 0x0
	v_cndmask_b32_e64 v1, 0, 1, s[26:27]
	v_cmp_ne_u32_e64 s[6:7], 1, v1
	s_andn2_b64 vcc, exec, s[26:27]
	s_cbranch_vccnz .LBB39_4
; %bb.3:
	s_lshl_b64 s[10:11], s[22:23], 3
	s_add_u32 s10, s14, s10
	s_addc_u32 s11, s15, s11
	s_load_dwordx2 s[10:11], s[10:11], 0x0
	s_lshl_b64 s[8:9], s[8:9], 2
	s_waitcnt lgkmcnt(0)
	s_add_u32 s18, s10, s8
	s_addc_u32 s19, s11, s9
.LBB39_4:
	s_load_dwordx4 s[12:15], s[0:1], 0x60
	s_waitcnt lgkmcnt(0)
	v_cmp_eq_f32_e64 s[8:9], s28, 0
	s_and_b64 s[8:9], exec, s[8:9]
	s_mov_b64 vcc, s[8:9]
	s_cbranch_vccnz .LBB39_6
; %bb.5:
	s_lshl_b64 s[10:11], s[22:23], 3
	s_add_u32 s10, s24, s10
	s_addc_u32 s11, s25, s11
	s_load_dwordx2 s[10:11], s[10:11], 0x0
	s_lshl_b64 s[12:13], s[12:13], 2
	s_waitcnt lgkmcnt(0)
	s_add_u32 s10, s10, s12
	s_addc_u32 s11, s11, s13
	s_branch .LBB39_7
.LBB39_6:
	s_mov_b64 s[10:11], 0
.LBB39_7:
	s_load_dword s24, s[0:1], 0x20
	s_load_dword s25, s[0:1], 0x38
	;; [unrolled: 1-line block ×3, first 2 shown]
	s_lshl_b64 s[12:13], s[22:23], 3
	v_and_b32_e32 v76, 0x3ff, v0
	s_waitcnt lgkmcnt(0)
	s_ashr_i32 s22, s24, 31
	s_ashr_i32 s23, s25, 31
	s_add_u32 s12, s14, s12
	s_addc_u32 s13, s15, s13
	s_add_i32 s3, s3, -1
	s_ashr_i32 s14, s3, 31
	s_lshr_b32 s14, s14, 26
	s_add_i32 s3, s3, s14
	s_ashr_i32 s3, s3, 6
	s_add_i32 s14, s3, 1
	v_cvt_f32_u32_e32 v1, s14
	s_not_b32 s3, s3
	v_bfe_u32 v77, v0, 10, 10
	v_lshl_add_u32 v0, v77, 3, v76
	v_rcp_iflag_f32_e32 v1, v1
	v_and_b32_e32 v74, 63, v0
	v_lshrrev_b32_e32 v78, 6, v0
	v_mov_b32_e32 v75, 0
	v_mul_f32_e32 v1, 0x4f7ffffe, v1
	v_cvt_u32_f32_e32 v1, v1
	v_mov_b32_e32 v2, 0
	v_mov_b32_e32 v0, 0
	v_readfirstlane_b32 s15, v1
	s_mul_i32 s3, s3, s15
	s_mul_hi_u32 s3, s15, s3
	s_add_i32 s15, s15, s3
	s_mul_hi_u32 s3, s2, s15
	s_mul_i32 s15, s3, s14
	s_sub_i32 s15, s2, s15
	s_add_i32 s17, s3, 1
	s_sub_i32 s26, s15, s14
	s_cmp_ge_u32 s15, s14
	s_cselect_b32 s3, s17, s3
	s_cselect_b32 s15, s26, s15
	s_add_i32 s17, s3, 1
	s_cmp_ge_u32 s15, s14
	s_cselect_b32 s3, s17, s3
	s_mul_i32 s14, s3, s14
	s_sub_i32 s2, s2, s14
	s_lshl_b32 s14, s2, 6
	s_lshl_b32 s15, s3, 7
	v_or_b32_e32 v68, s14, v74
	v_or_b32_e32 v70, s15, v74
	s_and_b64 vcc, exec, s[6:7]
	v_ashrrev_i32_e32 v69, 31, v68
	v_ashrrev_i32_e32 v71, 31, v70
	v_mov_b32_e32 v1, 0
	s_cbranch_vccnz .LBB39_9
; %bb.8:
	v_mad_i64_i32 v[0:1], s[2:3], s24, v78, 0
	v_mad_i64_i32 v[2:3], s[2:3], s25, v78, 0
	v_lshl_add_u64 v[0:1], v[0:1], 2, s[20:21]
	v_lshl_add_u64 v[2:3], v[2:3], 2, s[18:19]
	v_lshl_add_u64 v[0:1], v[68:69], 2, v[0:1]
	v_lshl_add_u64 v[2:3], v[70:71], 2, v[2:3]
	flat_load_dword v0, v[0:1]
	s_nop 0
	flat_load_dword v4, v[2:3]
	flat_load_dword v1, v[2:3] offset:256
	s_waitcnt vmcnt(0) lgkmcnt(0)
	v_mul_f32_e32 v2, s16, v4
	v_pk_mul_f32 v[0:1], s[16:17], v[0:1] op_sel_hi:[0,1]
.LBB39_9:
	s_load_dwordx2 s[2:3], s[12:13], 0x0
	s_and_b64 vcc, exec, s[6:7]
	v_add_u32_e32 v79, 4, v78
	v_mov_b32_e32 v72, 0
	v_mov_b32_e32 v73, 0
	s_cbranch_vccnz .LBB39_11
; %bb.10:
	v_mad_i64_i32 v[4:5], s[6:7], s24, v79, 0
	v_mad_i64_i32 v[6:7], s[6:7], s25, v79, 0
	v_lshl_add_u64 v[4:5], v[4:5], 2, s[20:21]
	v_lshl_add_u64 v[6:7], v[6:7], 2, s[18:19]
	;; [unrolled: 1-line block ×4, first 2 shown]
	flat_load_dword v4, v[4:5]
	s_nop 0
	flat_load_dword v3, v[6:7]
	flat_load_dword v5, v[6:7] offset:256
	s_waitcnt vmcnt(0) lgkmcnt(0)
	v_mul_f32_e32 v75, s16, v3
	v_pk_mul_f32 v[72:73], s[16:17], v[4:5] op_sel_hi:[0,1]
.LBB39_11:
	v_lshlrev_b32_e32 v3, 4, v74
	v_lshl_add_u32 v80, v78, 2, v3
	ds_write_b32 v80, v0 offset:4096
	ds_write2st64_b32 v80, v2, v1 offset1:4
	v_mov_b32_e32 v0, 0x1000
	v_mov_b32_e32 v66, 0
	v_cmp_neq_f32_e64 s[6:7], s28, 0
	v_lshl_add_u32 v81, v76, 4, v0
	s_mov_b32 s17, 0
	s_mov_b64 s[12:13], -1
	v_mov_b32_e32 v67, v66
	v_mov_b32_e32 v64, v66
	;; [unrolled: 1-line block ×63, first 2 shown]
	v_or_b32_e32 v82, 0x1000, v80
	v_lshlrev_b32_e32 v83, 4, v77
	s_waitcnt lgkmcnt(0)
	s_barrier
.LBB39_12:                              ; =>This Inner Loop Header: Depth=1
	v_cndmask_b32_e64 v0, 0, 1, s[12:13]
	s_lshl_b32 s12, s17, 2
	v_cmp_ne_u32_e32 vcc, 1, v0
	v_add_u32_e32 v0, s12, v81
	ds_read2_b64 v[84:87], v0 offset1:16
	ds_read2_b64 v[88:91], v0 offset0:32 offset1:48
	ds_read2_b64 v[92:95], v0 offset0:64 offset1:80
	;; [unrolled: 1-line block ×3, first 2 shown]
	v_add_u32_e32 v0, s12, v83
	ds_read2st64_b64 v[100:103], v0 offset1:1
	ds_read2st64_b64 v[0:3], v0 offset0:2 offset1:3
	s_waitcnt lgkmcnt(5)
	v_max_f32_e32 v104, v84, v84
	v_max_f32_e32 v105, v85, v85
	;; [unrolled: 1-line block ×3, first 2 shown]
	s_waitcnt lgkmcnt(1)
	v_max_f32_e32 v100, v100, v100
	v_max_f32_e32 v101, v101, v101
	v_min_f32_e32 v84, v104, v100
	v_min_f32_e32 v85, v105, v101
	v_max_f32_e32 v87, v87, v87
	v_pk_add_f32 v[66:67], v[84:85], v[66:67]
	v_min_f32_e32 v84, v86, v100
	v_min_f32_e32 v85, v87, v101
	v_max_f32_e32 v88, v88, v88
	v_max_f32_e32 v89, v89, v89
	v_pk_add_f32 v[64:65], v[84:85], v[64:65]
	v_min_f32_e32 v84, v88, v100
	v_min_f32_e32 v85, v89, v101
	v_max_f32_e32 v90, v90, v90
	;; [unrolled: 5-line block ×7, first 2 shown]
	v_max_f32_e32 v101, v103, v103
	v_pk_add_f32 v[52:53], v[84:85], v[52:53]
	v_min_f32_e32 v84, v104, v100
	v_min_f32_e32 v85, v105, v101
	v_pk_add_f32 v[50:51], v[84:85], v[50:51]
	v_min_f32_e32 v84, v86, v100
	v_min_f32_e32 v85, v87, v101
	;; [unrolled: 3-line block ×8, first 2 shown]
	v_pk_add_f32 v[36:37], v[84:85], v[36:37]
	s_waitcnt lgkmcnt(0)
	v_max_f32_e32 v84, v0, v0
	v_max_f32_e32 v85, v1, v1
	v_min_f32_e32 v0, v104, v84
	v_min_f32_e32 v1, v105, v85
	v_pk_add_f32 v[34:35], v[0:1], v[34:35]
	v_min_f32_e32 v0, v86, v84
	v_min_f32_e32 v1, v87, v85
	v_pk_add_f32 v[32:33], v[0:1], v[32:33]
	;; [unrolled: 3-line block ×7, first 2 shown]
	v_min_f32_e32 v0, v98, v84
	v_min_f32_e32 v1, v99, v85
	v_max_f32_e32 v2, v2, v2
	v_max_f32_e32 v3, v3, v3
	v_pk_add_f32 v[20:21], v[0:1], v[20:21]
	v_min_f32_e32 v0, v104, v2
	v_min_f32_e32 v1, v105, v3
	v_pk_add_f32 v[18:19], v[0:1], v[18:19]
	v_min_f32_e32 v0, v86, v2
	v_min_f32_e32 v1, v87, v3
	;; [unrolled: 3-line block ×8, first 2 shown]
	v_pk_add_f32 v[4:5], v[0:1], v[4:5]
	s_mov_b64 s[12:13], 0
	s_mov_b32 s17, 2
	s_cbranch_vccz .LBB39_12
; %bb.13:
	s_load_dword s26, s[0:1], 0x8
	v_lshlrev_b32_e32 v0, 2, v78
	v_lshl_add_u32 v0, v74, 4, v0
	ds_write_b32 v0, v72 offset:5120
	ds_write2st64_b32 v0, v75, v73 offset0:8 offset1:12
	s_waitcnt lgkmcnt(0)
	s_cmp_lt_i32 s26, 9
	s_barrier
	s_cbranch_scc1 .LBB39_28
; %bb.14:
	v_add_u32_e32 v84, 0x1400, v0
	v_or_b32_e32 v85, 0x800, v0
	v_mov_b32_e32 v0, 0x1400
	v_lshl_add_u32 v86, v76, 4, v0
	v_mov_b32_e32 v0, 0x800
	s_add_i32 s26, s26, -8
	v_lshl_add_u64 v[68:69], v[68:69], 2, s[20:21]
	v_lshl_add_u32 v87, v77, 4, v0
	v_lshl_add_u64 v[70:71], v[70:71], 2, s[18:19]
	s_mov_b32 s17, s16
	s_mov_b32 s18, 8
	;; [unrolled: 1-line block ×3, first 2 shown]
.LBB39_15:                              ; =>This Loop Header: Depth=1
                                        ;     Child Loop BB39_20 Depth 2
                                        ;     Child Loop BB39_26 Depth 2
	s_mov_b64 s[12:13], -1
	s_mov_b64 vcc, s[4:5]
                                        ; implicit-def: $vgpr72_vgpr73
	s_cbranch_vccz .LBB39_17
; %bb.16:                               ;   in Loop: Header=BB39_15 Depth=1
	s_mov_b64 s[12:13], 0
	v_mov_b32_e32 v72, 0
.LBB39_17:                              ;   in Loop: Header=BB39_15 Depth=1
	v_mov_b32_e32 v74, 0
	s_andn2_b64 vcc, exec, s[12:13]
	v_mov_b32_e32 v75, 0
	s_cbranch_vccnz .LBB39_19
; %bb.18:                               ;   in Loop: Header=BB39_15 Depth=1
	v_add_u32_e32 v73, s18, v78
	v_mad_u64_u32 v[0:1], s[12:13], v73, s24, 0
	v_mov_b32_e32 v2, v1
	v_mad_u64_u32 v[2:3], s[12:13], v73, s22, v[2:3]
	v_mov_b32_e32 v1, v2
	;; [unrolled: 2-line block ×4, first 2 shown]
	v_lshl_add_u64 v[0:1], v[0:1], 2, v[68:69]
	v_lshl_add_u64 v[2:3], v[2:3], 2, v[70:71]
	flat_load_dword v0, v[0:1]
	s_nop 0
	flat_load_dword v72, v[2:3]
	flat_load_dword v1, v[2:3] offset:256
	s_waitcnt vmcnt(0) lgkmcnt(0)
	v_mul_f32_e32 v72, s16, v72
	v_pk_mul_f32 v[74:75], s[16:17], v[0:1]
.LBB39_19:                              ;   in Loop: Header=BB39_15 Depth=1
	s_mov_b32 s20, 0
	s_mov_b64 s[12:13], -1
.LBB39_20:                              ;   Parent Loop BB39_15 Depth=1
                                        ; =>  This Inner Loop Header: Depth=2
	v_cndmask_b32_e64 v0, 0, 1, s[12:13]
	s_lshl_b32 s12, s20, 2
	v_cmp_ne_u32_e32 vcc, 1, v0
	v_add_u32_e32 v0, s12, v86
	ds_read2_b64 v[88:91], v0 offset1:16
	ds_read2_b64 v[92:95], v0 offset0:32 offset1:48
	ds_read2_b64 v[96:99], v0 offset0:64 offset1:80
	;; [unrolled: 1-line block ×3, first 2 shown]
	v_add_u32_e32 v0, s12, v87
	ds_read2st64_b64 v[104:107], v0 offset1:1
	ds_read2st64_b64 v[0:3], v0 offset0:2 offset1:3
	s_waitcnt lgkmcnt(5)
	v_max_f32_e32 v108, v89, v89
	v_max_f32_e32 v90, v90, v90
	;; [unrolled: 1-line block ×3, first 2 shown]
	s_waitcnt lgkmcnt(1)
	v_max_f32_e32 v73, v104, v104
	v_max_f32_e32 v104, v88, v88
	;; [unrolled: 1-line block ×3, first 2 shown]
	v_min_f32_e32 v88, v104, v73
	v_min_f32_e32 v89, v108, v105
	v_pk_add_f32 v[66:67], v[88:89], v[66:67]
	v_min_f32_e32 v88, v90, v73
	v_min_f32_e32 v89, v91, v105
	v_max_f32_e32 v92, v92, v92
	v_max_f32_e32 v93, v93, v93
	v_pk_add_f32 v[64:65], v[88:89], v[64:65]
	v_min_f32_e32 v88, v92, v73
	v_min_f32_e32 v89, v93, v105
	v_max_f32_e32 v94, v94, v94
	v_max_f32_e32 v95, v95, v95
	;; [unrolled: 5-line block ×5, first 2 shown]
	v_pk_add_f32 v[56:57], v[88:89], v[56:57]
	v_min_f32_e32 v88, v100, v73
	v_min_f32_e32 v89, v101, v105
	v_max_f32_e32 v102, v102, v102
	v_pk_add_f32 v[54:55], v[88:89], v[54:55]
	v_min_f32_e32 v88, v102, v73
	v_max_f32_e32 v73, v103, v103
	v_min_f32_e32 v89, v73, v105
	v_max_f32_e32 v103, v106, v106
	v_max_f32_e32 v105, v107, v107
	v_pk_add_f32 v[52:53], v[88:89], v[52:53]
	v_min_f32_e32 v88, v104, v103
	v_min_f32_e32 v89, v108, v105
	v_pk_add_f32 v[50:51], v[88:89], v[50:51]
	v_min_f32_e32 v88, v90, v103
	v_min_f32_e32 v89, v91, v105
	;; [unrolled: 3-line block ×8, first 2 shown]
	v_pk_add_f32 v[36:37], v[88:89], v[36:37]
	s_waitcnt lgkmcnt(0)
	v_max_f32_e32 v88, v0, v0
	v_max_f32_e32 v89, v1, v1
	v_min_f32_e32 v0, v104, v88
	v_min_f32_e32 v1, v108, v89
	v_pk_add_f32 v[34:35], v[0:1], v[34:35]
	v_min_f32_e32 v0, v90, v88
	v_min_f32_e32 v1, v91, v89
	v_pk_add_f32 v[32:33], v[0:1], v[32:33]
	;; [unrolled: 3-line block ×7, first 2 shown]
	v_min_f32_e32 v0, v102, v88
	v_min_f32_e32 v1, v73, v89
	v_max_f32_e32 v2, v2, v2
	v_max_f32_e32 v3, v3, v3
	v_pk_add_f32 v[20:21], v[0:1], v[20:21]
	v_min_f32_e32 v0, v104, v2
	v_min_f32_e32 v1, v108, v3
	v_pk_add_f32 v[18:19], v[0:1], v[18:19]
	v_min_f32_e32 v0, v90, v2
	v_min_f32_e32 v1, v91, v3
	;; [unrolled: 3-line block ×8, first 2 shown]
	v_pk_add_f32 v[4:5], v[0:1], v[4:5]
	s_mov_b64 s[12:13], 0
	s_mov_b32 s20, 2
	s_cbranch_vccz .LBB39_20
; %bb.21:                               ;   in Loop: Header=BB39_15 Depth=1
	s_mov_b64 s[12:13], -1
	s_mov_b64 vcc, s[4:5]
	ds_write_b32 v82, v74
	ds_write2st64_b32 v80, v72, v75 offset1:4
	s_waitcnt lgkmcnt(0)
	s_barrier
                                        ; implicit-def: $vgpr72_vgpr73
	s_cbranch_vccz .LBB39_23
; %bb.22:                               ;   in Loop: Header=BB39_15 Depth=1
	s_mov_b64 s[12:13], 0
	v_mov_b32_e32 v72, 0
.LBB39_23:                              ;   in Loop: Header=BB39_15 Depth=1
	v_mov_b32_e32 v74, 0
	s_andn2_b64 vcc, exec, s[12:13]
	v_mov_b32_e32 v75, 0
	s_cbranch_vccnz .LBB39_25
; %bb.24:                               ;   in Loop: Header=BB39_15 Depth=1
	v_add_u32_e32 v73, s18, v79
	v_mad_u64_u32 v[0:1], s[12:13], v73, s24, 0
	v_mov_b32_e32 v2, v1
	v_mad_u64_u32 v[2:3], s[12:13], v73, s22, v[2:3]
	v_mov_b32_e32 v1, v2
	;; [unrolled: 2-line block ×4, first 2 shown]
	v_lshl_add_u64 v[0:1], v[0:1], 2, v[68:69]
	v_lshl_add_u64 v[2:3], v[2:3], 2, v[70:71]
	flat_load_dword v0, v[0:1]
	s_nop 0
	flat_load_dword v72, v[2:3]
	flat_load_dword v1, v[2:3] offset:256
	s_waitcnt vmcnt(0) lgkmcnt(0)
	v_mul_f32_e32 v72, s16, v72
	v_pk_mul_f32 v[74:75], s[16:17], v[0:1]
.LBB39_25:                              ;   in Loop: Header=BB39_15 Depth=1
	s_mov_b32 s20, 0
	s_mov_b64 s[12:13], -1
.LBB39_26:                              ;   Parent Loop BB39_15 Depth=1
                                        ; =>  This Inner Loop Header: Depth=2
	v_cndmask_b32_e64 v0, 0, 1, s[12:13]
	s_lshl_b32 s12, s20, 2
	v_cmp_ne_u32_e32 vcc, 1, v0
	v_add_u32_e32 v0, s12, v81
	ds_read2_b64 v[88:91], v0 offset1:16
	ds_read2_b64 v[92:95], v0 offset0:32 offset1:48
	ds_read2_b64 v[96:99], v0 offset0:64 offset1:80
	;; [unrolled: 1-line block ×3, first 2 shown]
	v_add_u32_e32 v0, s12, v83
	ds_read2st64_b64 v[104:107], v0 offset1:1
	ds_read2st64_b64 v[0:3], v0 offset0:2 offset1:3
	s_waitcnt lgkmcnt(5)
	v_max_f32_e32 v108, v89, v89
	v_max_f32_e32 v90, v90, v90
	;; [unrolled: 1-line block ×3, first 2 shown]
	s_waitcnt lgkmcnt(1)
	v_max_f32_e32 v73, v104, v104
	v_max_f32_e32 v104, v88, v88
	;; [unrolled: 1-line block ×3, first 2 shown]
	v_min_f32_e32 v88, v104, v73
	v_min_f32_e32 v89, v108, v105
	v_pk_add_f32 v[66:67], v[88:89], v[66:67]
	v_min_f32_e32 v88, v90, v73
	v_min_f32_e32 v89, v91, v105
	v_max_f32_e32 v92, v92, v92
	v_max_f32_e32 v93, v93, v93
	v_pk_add_f32 v[64:65], v[88:89], v[64:65]
	v_min_f32_e32 v88, v92, v73
	v_min_f32_e32 v89, v93, v105
	v_max_f32_e32 v94, v94, v94
	v_max_f32_e32 v95, v95, v95
	;; [unrolled: 5-line block ×5, first 2 shown]
	v_pk_add_f32 v[56:57], v[88:89], v[56:57]
	v_min_f32_e32 v88, v100, v73
	v_min_f32_e32 v89, v101, v105
	v_max_f32_e32 v102, v102, v102
	v_pk_add_f32 v[54:55], v[88:89], v[54:55]
	v_min_f32_e32 v88, v102, v73
	v_max_f32_e32 v73, v103, v103
	v_min_f32_e32 v89, v73, v105
	v_max_f32_e32 v103, v106, v106
	v_max_f32_e32 v105, v107, v107
	v_pk_add_f32 v[52:53], v[88:89], v[52:53]
	v_min_f32_e32 v88, v104, v103
	v_min_f32_e32 v89, v108, v105
	v_pk_add_f32 v[50:51], v[88:89], v[50:51]
	v_min_f32_e32 v88, v90, v103
	v_min_f32_e32 v89, v91, v105
	;; [unrolled: 3-line block ×8, first 2 shown]
	v_pk_add_f32 v[36:37], v[88:89], v[36:37]
	s_waitcnt lgkmcnt(0)
	v_max_f32_e32 v88, v0, v0
	v_max_f32_e32 v89, v1, v1
	v_min_f32_e32 v0, v104, v88
	v_min_f32_e32 v1, v108, v89
	v_pk_add_f32 v[34:35], v[0:1], v[34:35]
	v_min_f32_e32 v0, v90, v88
	v_min_f32_e32 v1, v91, v89
	v_pk_add_f32 v[32:33], v[0:1], v[32:33]
	;; [unrolled: 3-line block ×7, first 2 shown]
	v_min_f32_e32 v0, v102, v88
	v_min_f32_e32 v1, v73, v89
	v_max_f32_e32 v2, v2, v2
	v_max_f32_e32 v3, v3, v3
	v_pk_add_f32 v[20:21], v[0:1], v[20:21]
	v_min_f32_e32 v0, v104, v2
	v_min_f32_e32 v1, v108, v3
	v_pk_add_f32 v[18:19], v[0:1], v[18:19]
	v_min_f32_e32 v0, v90, v2
	v_min_f32_e32 v1, v91, v3
	;; [unrolled: 3-line block ×8, first 2 shown]
	v_pk_add_f32 v[4:5], v[0:1], v[4:5]
	s_mov_b64 s[12:13], 0
	s_mov_b32 s20, 2
	s_cbranch_vccz .LBB39_26
; %bb.27:                               ;   in Loop: Header=BB39_15 Depth=1
	s_add_i32 s18, s18, 8
	s_add_i32 s19, s19, 8
	s_cmp_ge_i32 s19, s26
	ds_write_b32 v84, v74
	ds_write2st64_b32 v85, v72, v75 offset1:4
	s_waitcnt lgkmcnt(0)
	s_barrier
	s_cbranch_scc0 .LBB39_15
.LBB39_28:
	v_mov_b32_e32 v0, 0x1400
	v_lshl_add_u32 v68, v76, 4, v0
	v_mov_b32_e32 v0, 0x800
	v_lshl_add_u32 v69, v77, 4, v0
	s_mov_b32 s12, 0
	s_mov_b64 s[4:5], -1
.LBB39_29:                              ; =>This Inner Loop Header: Depth=1
	v_cndmask_b32_e64 v0, 0, 1, s[4:5]
	s_lshl_b32 s4, s12, 2
	v_cmp_ne_u32_e32 vcc, 1, v0
	v_add_u32_e32 v0, s4, v68
	ds_read2_b64 v[70:73], v0 offset1:16
	ds_read2_b64 v[78:81], v0 offset0:32 offset1:48
	ds_read2_b64 v[82:85], v0 offset0:64 offset1:80
	;; [unrolled: 1-line block ×3, first 2 shown]
	v_add_u32_e32 v0, s4, v69
	ds_read2st64_b64 v[90:93], v0 offset1:1
	ds_read2st64_b64 v[0:3], v0 offset0:2 offset1:3
	s_waitcnt lgkmcnt(5)
	v_max_f32_e32 v75, v70, v70
	v_max_f32_e32 v72, v72, v72
	;; [unrolled: 1-line block ×3, first 2 shown]
	s_waitcnt lgkmcnt(1)
	v_max_f32_e32 v74, v90, v90
	v_max_f32_e32 v90, v91, v91
	;; [unrolled: 1-line block ×3, first 2 shown]
	v_min_f32_e32 v70, v75, v74
	v_min_f32_e32 v71, v91, v90
	v_pk_add_f32 v[66:67], v[70:71], v[66:67]
	v_min_f32_e32 v70, v72, v74
	v_min_f32_e32 v71, v73, v90
	v_max_f32_e32 v78, v78, v78
	v_max_f32_e32 v79, v79, v79
	v_pk_add_f32 v[64:65], v[70:71], v[64:65]
	v_min_f32_e32 v70, v78, v74
	v_min_f32_e32 v71, v79, v90
	v_max_f32_e32 v80, v80, v80
	v_max_f32_e32 v81, v81, v81
	;; [unrolled: 5-line block ×5, first 2 shown]
	v_pk_add_f32 v[56:57], v[70:71], v[56:57]
	v_min_f32_e32 v70, v86, v74
	v_min_f32_e32 v71, v87, v90
	v_max_f32_e32 v88, v88, v88
	v_pk_add_f32 v[54:55], v[70:71], v[54:55]
	v_min_f32_e32 v70, v88, v74
	v_max_f32_e32 v74, v89, v89
	v_min_f32_e32 v71, v74, v90
	v_max_f32_e32 v89, v92, v92
	v_max_f32_e32 v90, v93, v93
	v_pk_add_f32 v[52:53], v[70:71], v[52:53]
	v_min_f32_e32 v70, v75, v89
	v_min_f32_e32 v71, v91, v90
	v_pk_add_f32 v[50:51], v[70:71], v[50:51]
	v_min_f32_e32 v70, v72, v89
	v_min_f32_e32 v71, v73, v90
	;; [unrolled: 3-line block ×8, first 2 shown]
	v_pk_add_f32 v[36:37], v[70:71], v[36:37]
	s_waitcnt lgkmcnt(0)
	v_max_f32_e32 v70, v0, v0
	v_max_f32_e32 v71, v1, v1
	v_min_f32_e32 v0, v75, v70
	v_min_f32_e32 v1, v91, v71
	v_pk_add_f32 v[34:35], v[0:1], v[34:35]
	v_min_f32_e32 v0, v72, v70
	v_min_f32_e32 v1, v73, v71
	v_pk_add_f32 v[32:33], v[0:1], v[32:33]
	;; [unrolled: 3-line block ×7, first 2 shown]
	v_min_f32_e32 v0, v88, v70
	v_min_f32_e32 v1, v74, v71
	v_max_f32_e32 v2, v2, v2
	v_max_f32_e32 v3, v3, v3
	v_pk_add_f32 v[20:21], v[0:1], v[20:21]
	v_min_f32_e32 v0, v75, v2
	v_min_f32_e32 v1, v91, v3
	v_pk_add_f32 v[18:19], v[0:1], v[18:19]
	v_min_f32_e32 v0, v72, v2
	v_min_f32_e32 v1, v73, v3
	;; [unrolled: 3-line block ×8, first 2 shown]
	v_pk_add_f32 v[4:5], v[0:1], v[4:5]
	s_mov_b64 s[4:5], 0
	s_mov_b32 s12, 2
	s_cbranch_vccz .LBB39_29
; %bb.30:
	s_load_dword s12, s[0:1], 0x58
	v_add_u32_e32 v72, s15, v77
	v_add_u32_e32 v0, s14, v76
	v_ashrrev_i32_e32 v1, 31, v0
	v_mov_b32_e32 v73, 0
	s_waitcnt lgkmcnt(0)
	v_mad_i64_i32 v[2:3], s[4:5], v72, s12, 0
	v_lshl_add_u64 v[68:69], v[2:3], 2, s[10:11]
	v_cndmask_b32_e64 v2, 0, 1, s[6:7]
	v_cmp_ne_u32_e64 s[4:5], 1, v2
	s_andn2_b64 vcc, exec, s[6:7]
	v_mov_b32_e32 v74, 0
	s_cbranch_vccnz .LBB39_32
; %bb.31:
	v_lshl_add_u64 v[2:3], v[0:1], 2, v[68:69]
	flat_load_dword v2, v[2:3]
	s_waitcnt vmcnt(0) lgkmcnt(0)
	v_mul_f32_e32 v74, s28, v2
.LBB39_32:
	s_load_dwordx2 s[14:15], s[0:1], 0x78
	s_load_dword s6, s[0:1], 0x70
	v_add_u32_e32 v2, 8, v0
	v_add_f32_e32 v66, v66, v67
	v_ashrrev_i32_e32 v3, 31, v2
	s_waitcnt lgkmcnt(0)
	s_lshl_b64 s[0:1], s[14:15], 2
	s_add_u32 s0, s2, s0
	s_addc_u32 s1, s3, s1
	v_mad_i64_i32 v[70:71], s[2:3], v72, s6, 0
	v_lshl_add_u64 v[70:71], v[70:71], 2, s[0:1]
	v_add_f32_e32 v74, v66, v74
	v_lshl_add_u64 v[66:67], v[0:1], 2, v[70:71]
	s_and_b64 vcc, exec, s[4:5]
	flat_store_dword v[66:67], v74
	s_cbranch_vccnz .LBB39_34
; %bb.33:
	v_lshl_add_u64 v[66:67], v[2:3], 2, v[68:69]
	flat_load_dword v66, v[66:67]
	s_waitcnt vmcnt(0) lgkmcnt(0)
	v_mul_f32_e32 v73, s28, v66
.LBB39_34:
	v_add_f32_e32 v66, v64, v65
	v_add_u32_e32 v64, 16, v0
	v_add_f32_e32 v73, v66, v73
	v_lshl_add_u64 v[66:67], v[2:3], 2, v[70:71]
	v_ashrrev_i32_e32 v65, 31, v64
	flat_store_dword v[66:67], v73
	v_mov_b32_e32 v66, 0
	s_and_b64 vcc, exec, s[4:5]
	v_mov_b32_e32 v67, 0
	s_cbranch_vccnz .LBB39_36
; %bb.35:
	v_lshl_add_u64 v[74:75], v[64:65], 2, v[68:69]
	flat_load_dword v67, v[74:75]
	s_waitcnt vmcnt(0) lgkmcnt(0)
	v_mul_f32_e32 v67, s28, v67
.LBB39_36:
	v_add_f32_e32 v73, v62, v63
	v_add_u32_e32 v62, 24, v0
	v_ashrrev_i32_e32 v63, 31, v62
	v_add_f32_e32 v67, v73, v67
	v_lshl_add_u64 v[74:75], v[64:65], 2, v[70:71]
	s_and_b64 vcc, exec, s[4:5]
	flat_store_dword v[74:75], v67
	s_cbranch_vccnz .LBB39_38
; %bb.37:
	v_lshl_add_u64 v[66:67], v[62:63], 2, v[68:69]
	flat_load_dword v66, v[66:67]
	s_waitcnt vmcnt(0) lgkmcnt(0)
	v_mul_f32_e32 v66, s28, v66
.LBB39_38:
	v_add_f32_e32 v67, v60, v61
	v_add_u32_e32 v60, 32, v0
	v_add_f32_e32 v73, v67, v66
	v_lshl_add_u64 v[66:67], v[62:63], 2, v[70:71]
	v_ashrrev_i32_e32 v61, 31, v60
	flat_store_dword v[66:67], v73
	v_mov_b32_e32 v66, 0
	s_and_b64 vcc, exec, s[4:5]
	v_mov_b32_e32 v67, 0
	s_cbranch_vccnz .LBB39_40
; %bb.39:
	v_lshl_add_u64 v[74:75], v[60:61], 2, v[68:69]
	flat_load_dword v67, v[74:75]
	s_waitcnt vmcnt(0) lgkmcnt(0)
	v_mul_f32_e32 v67, s28, v67
.LBB39_40:
	v_add_f32_e32 v73, v58, v59
	v_add_u32_e32 v58, 40, v0
	v_ashrrev_i32_e32 v59, 31, v58
	;; [unrolled: 30-line block ×3, first 2 shown]
	v_add_f32_e32 v67, v73, v67
	v_lshl_add_u64 v[74:75], v[56:57], 2, v[70:71]
	s_and_b64 vcc, exec, s[4:5]
	flat_store_dword v[74:75], v67
	s_cbranch_vccnz .LBB39_46
; %bb.45:
	v_lshl_add_u64 v[66:67], v[54:55], 2, v[68:69]
	flat_load_dword v66, v[66:67]
	s_waitcnt vmcnt(0) lgkmcnt(0)
	v_mul_f32_e32 v66, s28, v66
.LBB39_46:
	v_add_f32_e32 v52, v52, v53
	v_add_f32_e32 v66, v52, v66
	v_lshl_add_u64 v[52:53], v[54:55], 2, v[70:71]
	flat_store_dword v[52:53], v66
	v_add_u32_e32 v66, 32, v72
	v_mad_i64_i32 v[52:53], s[2:3], v66, s12, 0
	v_lshl_add_u64 v[52:53], v[52:53], 2, s[10:11]
	v_mov_b32_e32 v68, 0
	s_and_b64 vcc, exec, s[4:5]
	v_mov_b32_e32 v69, 0
	s_cbranch_vccnz .LBB39_48
; %bb.47:
	v_lshl_add_u64 v[70:71], v[0:1], 2, v[52:53]
	flat_load_dword v67, v[70:71]
	s_waitcnt vmcnt(0) lgkmcnt(0)
	v_mul_f32_e32 v69, s28, v67
.LBB39_48:
	v_mad_i64_i32 v[66:67], s[2:3], v66, s6, 0
	v_lshl_add_u64 v[66:67], v[66:67], 2, s[0:1]
	v_add_f32_e32 v50, v50, v51
	v_add_f32_e32 v69, v50, v69
	v_lshl_add_u64 v[50:51], v[0:1], 2, v[66:67]
	s_and_b64 vcc, exec, s[4:5]
	flat_store_dword v[50:51], v69
	s_cbranch_vccnz .LBB39_50
; %bb.49:
	v_lshl_add_u64 v[50:51], v[2:3], 2, v[52:53]
	flat_load_dword v50, v[50:51]
	s_waitcnt vmcnt(0) lgkmcnt(0)
	v_mul_f32_e32 v68, s28, v50
.LBB39_50:
	v_add_f32_e32 v48, v48, v49
	v_add_f32_e32 v50, v48, v68
	v_lshl_add_u64 v[48:49], v[2:3], 2, v[66:67]
	flat_store_dword v[48:49], v50
	v_mov_b32_e32 v48, 0
	s_and_b64 vcc, exec, s[4:5]
	v_mov_b32_e32 v49, 0
	s_cbranch_vccnz .LBB39_52
; %bb.51:
	v_lshl_add_u64 v[50:51], v[64:65], 2, v[52:53]
	flat_load_dword v49, v[50:51]
	s_waitcnt vmcnt(0) lgkmcnt(0)
	v_mul_f32_e32 v49, s28, v49
.LBB39_52:
	v_add_f32_e32 v46, v46, v47
	v_add_f32_e32 v49, v46, v49
	v_lshl_add_u64 v[46:47], v[64:65], 2, v[66:67]
	s_and_b64 vcc, exec, s[4:5]
	flat_store_dword v[46:47], v49
	s_cbranch_vccnz .LBB39_54
; %bb.53:
	v_lshl_add_u64 v[46:47], v[62:63], 2, v[52:53]
	flat_load_dword v46, v[46:47]
	s_waitcnt vmcnt(0) lgkmcnt(0)
	v_mul_f32_e32 v48, s28, v46
.LBB39_54:
	v_add_f32_e32 v44, v44, v45
	v_add_f32_e32 v46, v44, v48
	v_lshl_add_u64 v[44:45], v[62:63], 2, v[66:67]
	flat_store_dword v[44:45], v46
	v_mov_b32_e32 v44, 0
	s_and_b64 vcc, exec, s[4:5]
	v_mov_b32_e32 v45, 0
	s_cbranch_vccnz .LBB39_56
; %bb.55:
	v_lshl_add_u64 v[46:47], v[60:61], 2, v[52:53]
	flat_load_dword v45, v[46:47]
	s_waitcnt vmcnt(0) lgkmcnt(0)
	v_mul_f32_e32 v45, s28, v45
.LBB39_56:
	;; [unrolled: 26-line block ×3, first 2 shown]
	v_add_f32_e32 v38, v38, v39
	v_add_f32_e32 v41, v38, v41
	v_lshl_add_u64 v[38:39], v[56:57], 2, v[66:67]
	s_and_b64 vcc, exec, s[4:5]
	flat_store_dword v[38:39], v41
	s_cbranch_vccnz .LBB39_62
; %bb.61:
	v_lshl_add_u64 v[38:39], v[54:55], 2, v[52:53]
	flat_load_dword v38, v[38:39]
	s_waitcnt vmcnt(0) lgkmcnt(0)
	v_mul_f32_e32 v40, s28, v38
.LBB39_62:
	v_add_f32_e32 v36, v36, v37
	v_add_f32_e32 v38, v36, v40
	v_lshl_add_u64 v[36:37], v[54:55], 2, v[66:67]
	flat_store_dword v[36:37], v38
	v_add_u32_e32 v38, 64, v72
	v_mad_i64_i32 v[36:37], s[2:3], v38, s12, 0
	v_lshl_add_u64 v[36:37], v[36:37], 2, s[10:11]
	v_mov_b32_e32 v40, 0
	s_and_b64 vcc, exec, s[4:5]
	v_mov_b32_e32 v41, 0
	s_cbranch_vccnz .LBB39_64
; %bb.63:
	v_lshl_add_u64 v[42:43], v[0:1], 2, v[36:37]
	flat_load_dword v39, v[42:43]
	s_waitcnt vmcnt(0) lgkmcnt(0)
	v_mul_f32_e32 v41, s28, v39
.LBB39_64:
	v_mad_i64_i32 v[38:39], s[2:3], v38, s6, 0
	v_lshl_add_u64 v[38:39], v[38:39], 2, s[0:1]
	v_add_f32_e32 v34, v34, v35
	v_add_f32_e32 v41, v34, v41
	v_lshl_add_u64 v[34:35], v[0:1], 2, v[38:39]
	s_and_b64 vcc, exec, s[4:5]
	flat_store_dword v[34:35], v41
	s_cbranch_vccnz .LBB39_66
; %bb.65:
	v_lshl_add_u64 v[34:35], v[2:3], 2, v[36:37]
	flat_load_dword v34, v[34:35]
	s_waitcnt vmcnt(0) lgkmcnt(0)
	v_mul_f32_e32 v40, s28, v34
.LBB39_66:
	v_add_f32_e32 v32, v32, v33
	v_add_f32_e32 v34, v32, v40
	v_lshl_add_u64 v[32:33], v[2:3], 2, v[38:39]
	flat_store_dword v[32:33], v34
	v_mov_b32_e32 v32, 0
	s_and_b64 vcc, exec, s[4:5]
	v_mov_b32_e32 v33, 0
	s_cbranch_vccnz .LBB39_68
; %bb.67:
	v_lshl_add_u64 v[34:35], v[64:65], 2, v[36:37]
	flat_load_dword v33, v[34:35]
	s_waitcnt vmcnt(0) lgkmcnt(0)
	v_mul_f32_e32 v33, s28, v33
.LBB39_68:
	v_add_f32_e32 v30, v30, v31
	v_add_f32_e32 v33, v30, v33
	v_lshl_add_u64 v[30:31], v[64:65], 2, v[38:39]
	s_and_b64 vcc, exec, s[4:5]
	flat_store_dword v[30:31], v33
	s_cbranch_vccnz .LBB39_70
; %bb.69:
	v_lshl_add_u64 v[30:31], v[62:63], 2, v[36:37]
	flat_load_dword v30, v[30:31]
	s_waitcnt vmcnt(0) lgkmcnt(0)
	v_mul_f32_e32 v32, s28, v30
.LBB39_70:
	v_add_f32_e32 v28, v28, v29
	v_add_f32_e32 v30, v28, v32
	v_lshl_add_u64 v[28:29], v[62:63], 2, v[38:39]
	flat_store_dword v[28:29], v30
	v_mov_b32_e32 v28, 0
	s_and_b64 vcc, exec, s[4:5]
	v_mov_b32_e32 v29, 0
	s_cbranch_vccnz .LBB39_72
; %bb.71:
	v_lshl_add_u64 v[30:31], v[60:61], 2, v[36:37]
	flat_load_dword v29, v[30:31]
	s_waitcnt vmcnt(0) lgkmcnt(0)
	v_mul_f32_e32 v29, s28, v29
.LBB39_72:
	v_add_f32_e32 v26, v26, v27
	v_add_f32_e32 v29, v26, v29
	v_lshl_add_u64 v[26:27], v[60:61], 2, v[38:39]
	s_and_b64 vcc, exec, s[4:5]
	flat_store_dword v[26:27], v29
	s_cbranch_vccnz .LBB39_74
; %bb.73:
	v_lshl_add_u64 v[26:27], v[58:59], 2, v[36:37]
	flat_load_dword v26, v[26:27]
	s_waitcnt vmcnt(0) lgkmcnt(0)
	v_mul_f32_e32 v28, s28, v26
.LBB39_74:
	v_add_f32_e32 v24, v24, v25
	v_add_f32_e32 v26, v24, v28
	v_lshl_add_u64 v[24:25], v[58:59], 2, v[38:39]
	flat_store_dword v[24:25], v26
	v_mov_b32_e32 v24, 0
	s_and_b64 vcc, exec, s[4:5]
	v_mov_b32_e32 v25, 0
	s_cbranch_vccnz .LBB39_76
; %bb.75:
	v_lshl_add_u64 v[26:27], v[56:57], 2, v[36:37]
	flat_load_dword v25, v[26:27]
	s_waitcnt vmcnt(0) lgkmcnt(0)
	v_mul_f32_e32 v25, s28, v25
.LBB39_76:
	v_add_f32_e32 v22, v22, v23
	v_add_f32_e32 v25, v22, v25
	v_lshl_add_u64 v[22:23], v[56:57], 2, v[38:39]
	s_and_b64 vcc, exec, s[4:5]
	flat_store_dword v[22:23], v25
	s_cbranch_vccnz .LBB39_78
; %bb.77:
	v_lshl_add_u64 v[22:23], v[54:55], 2, v[36:37]
	flat_load_dword v22, v[22:23]
	s_waitcnt vmcnt(0) lgkmcnt(0)
	v_mul_f32_e32 v24, s28, v22
.LBB39_78:
	v_add_f32_e32 v20, v20, v21
	v_add_f32_e32 v22, v20, v24
	v_lshl_add_u64 v[20:21], v[54:55], 2, v[38:39]
	flat_store_dword v[20:21], v22
	v_add_u32_e32 v22, 0x60, v72
	v_mad_i64_i32 v[20:21], s[2:3], v22, s12, 0
	v_lshl_add_u64 v[20:21], v[20:21], 2, s[10:11]
	v_mov_b32_e32 v24, 0
	s_and_b64 vcc, exec, s[4:5]
	v_mov_b32_e32 v25, 0
	s_cbranch_vccnz .LBB39_80
; %bb.79:
	v_lshl_add_u64 v[26:27], v[0:1], 2, v[20:21]
	flat_load_dword v23, v[26:27]
	s_waitcnt vmcnt(0) lgkmcnt(0)
	v_mul_f32_e32 v25, s28, v23
.LBB39_80:
	v_mad_i64_i32 v[22:23], s[2:3], v22, s6, 0
	v_lshl_add_u64 v[22:23], v[22:23], 2, s[0:1]
	v_add_f32_e32 v18, v18, v19
	v_add_f32_e32 v18, v18, v25
	v_lshl_add_u64 v[0:1], v[0:1], 2, v[22:23]
	s_and_b64 vcc, exec, s[4:5]
	flat_store_dword v[0:1], v18
	s_cbranch_vccnz .LBB39_82
; %bb.81:
	v_lshl_add_u64 v[0:1], v[2:3], 2, v[20:21]
	flat_load_dword v0, v[0:1]
	s_waitcnt vmcnt(0) lgkmcnt(0)
	v_mul_f32_e32 v24, s28, v0
.LBB39_82:
	v_add_f32_e32 v0, v16, v17
	v_add_f32_e32 v16, v0, v24
	v_lshl_add_u64 v[0:1], v[2:3], 2, v[22:23]
	flat_store_dword v[0:1], v16
	v_mov_b32_e32 v0, 0
	s_and_b64 vcc, exec, s[4:5]
	v_mov_b32_e32 v1, 0
	s_cbranch_vccnz .LBB39_84
; %bb.83:
	v_lshl_add_u64 v[2:3], v[64:65], 2, v[20:21]
	flat_load_dword v1, v[2:3]
	s_waitcnt vmcnt(0) lgkmcnt(0)
	v_mul_f32_e32 v1, s28, v1
.LBB39_84:
	v_add_f32_e32 v2, v14, v15
	v_add_f32_e32 v1, v2, v1
	v_lshl_add_u64 v[2:3], v[64:65], 2, v[22:23]
	s_and_b64 vcc, exec, s[4:5]
	flat_store_dword v[2:3], v1
	s_cbranch_vccnz .LBB39_86
; %bb.85:
	v_lshl_add_u64 v[0:1], v[62:63], 2, v[20:21]
	flat_load_dword v0, v[0:1]
	s_waitcnt vmcnt(0) lgkmcnt(0)
	v_mul_f32_e32 v0, s28, v0
.LBB39_86:
	v_add_f32_e32 v1, v12, v13
	v_add_f32_e32 v2, v1, v0
	v_lshl_add_u64 v[0:1], v[62:63], 2, v[22:23]
	flat_store_dword v[0:1], v2
	v_mov_b32_e32 v0, 0
	s_and_b64 vcc, exec, s[4:5]
	v_mov_b32_e32 v1, 0
	s_cbranch_vccnz .LBB39_88
; %bb.87:
	v_lshl_add_u64 v[2:3], v[60:61], 2, v[20:21]
	flat_load_dword v1, v[2:3]
	s_waitcnt vmcnt(0) lgkmcnt(0)
	v_mul_f32_e32 v1, s28, v1
.LBB39_88:
	v_add_f32_e32 v2, v10, v11
	v_add_f32_e32 v1, v2, v1
	v_lshl_add_u64 v[2:3], v[60:61], 2, v[22:23]
	s_and_b64 vcc, exec, s[4:5]
	flat_store_dword v[2:3], v1
	s_cbranch_vccnz .LBB39_90
; %bb.89:
	v_lshl_add_u64 v[0:1], v[58:59], 2, v[20:21]
	flat_load_dword v0, v[0:1]
	s_waitcnt vmcnt(0) lgkmcnt(0)
	v_mul_f32_e32 v0, s28, v0
.LBB39_90:
	v_add_f32_e32 v1, v8, v9
	v_add_f32_e32 v2, v1, v0
	v_lshl_add_u64 v[0:1], v[58:59], 2, v[22:23]
	flat_store_dword v[0:1], v2
	v_add_f32_e32 v0, v6, v7
	s_mov_b64 s[0:1], -1
	s_mov_b64 vcc, s[8:9]
	s_cbranch_vccz .LBB39_92
; %bb.91:
	v_add_f32_e32 v1, 0, v0
	v_lshl_add_u64 v[2:3], v[56:57], 2, v[22:23]
	flat_store_dword v[2:3], v1
	s_mov_b64 s[0:1], 0
.LBB39_92:
	s_andn2_b64 vcc, exec, s[0:1]
	v_mov_b32_e32 v1, 0
	s_cbranch_vccnz .LBB39_94
; %bb.93:
	v_lshlrev_b64 v[2:3], 2, v[56:57]
	v_lshl_add_u64 v[6:7], v[20:21], 0, v[2:3]
	flat_load_dword v1, v[6:7]
	v_lshl_add_u64 v[2:3], v[22:23], 0, v[2:3]
	s_waitcnt vmcnt(0) lgkmcnt(0)
	v_fmac_f32_e32 v0, s28, v1
	flat_store_dword v[2:3], v0
	v_lshl_add_u64 v[0:1], v[54:55], 2, v[20:21]
	flat_load_dword v0, v[0:1]
	s_waitcnt vmcnt(0) lgkmcnt(0)
	v_mul_f32_e32 v1, s28, v0
.LBB39_94:
	v_add_f32_e32 v0, v4, v5
	v_add_f32_e32 v2, v0, v1
	v_lshl_add_u64 v[0:1], v[54:55], 2, v[22:23]
	flat_store_dword v[0:1], v2
	s_endpgm
	.section	.rodata,"a",@progbits
	.p2align	6, 0x0
	.amdhsa_kernel _ZN12_GLOBAL__N_120geam_min_plus_kernelIf15HIP_vector_typeIfLj2EES2_Li8ELi32ELi64ELi128ELi4ELi64ELi4ELi64ELi4ELc78ELc84ELb0ELb0ELb0EPKfKS4_KPfEEviiiT16_PT17_ilSA_ilS8_SA_ilPT18_ili26rocblas_geam_ex_operation_
		.amdhsa_group_segment_fixed_size 6144
		.amdhsa_private_segment_fixed_size 0
		.amdhsa_kernarg_size 136
		.amdhsa_user_sgpr_count 2
		.amdhsa_user_sgpr_dispatch_ptr 0
		.amdhsa_user_sgpr_queue_ptr 0
		.amdhsa_user_sgpr_kernarg_segment_ptr 1
		.amdhsa_user_sgpr_dispatch_id 0
		.amdhsa_user_sgpr_kernarg_preload_length 0
		.amdhsa_user_sgpr_kernarg_preload_offset 0
		.amdhsa_user_sgpr_private_segment_size 0
		.amdhsa_uses_dynamic_stack 0
		.amdhsa_enable_private_segment 0
		.amdhsa_system_sgpr_workgroup_id_x 1
		.amdhsa_system_sgpr_workgroup_id_y 0
		.amdhsa_system_sgpr_workgroup_id_z 1
		.amdhsa_system_sgpr_workgroup_info 0
		.amdhsa_system_vgpr_workitem_id 1
		.amdhsa_next_free_vgpr 109
		.amdhsa_next_free_sgpr 29
		.amdhsa_accum_offset 112
		.amdhsa_reserve_vcc 1
		.amdhsa_float_round_mode_32 0
		.amdhsa_float_round_mode_16_64 0
		.amdhsa_float_denorm_mode_32 3
		.amdhsa_float_denorm_mode_16_64 3
		.amdhsa_dx10_clamp 1
		.amdhsa_ieee_mode 1
		.amdhsa_fp16_overflow 0
		.amdhsa_tg_split 0
		.amdhsa_exception_fp_ieee_invalid_op 0
		.amdhsa_exception_fp_denorm_src 0
		.amdhsa_exception_fp_ieee_div_zero 0
		.amdhsa_exception_fp_ieee_overflow 0
		.amdhsa_exception_fp_ieee_underflow 0
		.amdhsa_exception_fp_ieee_inexact 0
		.amdhsa_exception_int_div_zero 0
	.end_amdhsa_kernel
	.section	.text._ZN12_GLOBAL__N_120geam_min_plus_kernelIf15HIP_vector_typeIfLj2EES2_Li8ELi32ELi64ELi128ELi4ELi64ELi4ELi64ELi4ELc78ELc84ELb0ELb0ELb0EPKfKS4_KPfEEviiiT16_PT17_ilSA_ilS8_SA_ilPT18_ili26rocblas_geam_ex_operation_,"axG",@progbits,_ZN12_GLOBAL__N_120geam_min_plus_kernelIf15HIP_vector_typeIfLj2EES2_Li8ELi32ELi64ELi128ELi4ELi64ELi4ELi64ELi4ELc78ELc84ELb0ELb0ELb0EPKfKS4_KPfEEviiiT16_PT17_ilSA_ilS8_SA_ilPT18_ili26rocblas_geam_ex_operation_,comdat
.Lfunc_end39:
	.size	_ZN12_GLOBAL__N_120geam_min_plus_kernelIf15HIP_vector_typeIfLj2EES2_Li8ELi32ELi64ELi128ELi4ELi64ELi4ELi64ELi4ELc78ELc84ELb0ELb0ELb0EPKfKS4_KPfEEviiiT16_PT17_ilSA_ilS8_SA_ilPT18_ili26rocblas_geam_ex_operation_, .Lfunc_end39-_ZN12_GLOBAL__N_120geam_min_plus_kernelIf15HIP_vector_typeIfLj2EES2_Li8ELi32ELi64ELi128ELi4ELi64ELi4ELi64ELi4ELc78ELc84ELb0ELb0ELb0EPKfKS4_KPfEEviiiT16_PT17_ilSA_ilS8_SA_ilPT18_ili26rocblas_geam_ex_operation_
                                        ; -- End function
	.set _ZN12_GLOBAL__N_120geam_min_plus_kernelIf15HIP_vector_typeIfLj2EES2_Li8ELi32ELi64ELi128ELi4ELi64ELi4ELi64ELi4ELc78ELc84ELb0ELb0ELb0EPKfKS4_KPfEEviiiT16_PT17_ilSA_ilS8_SA_ilPT18_ili26rocblas_geam_ex_operation_.num_vgpr, 109
	.set _ZN12_GLOBAL__N_120geam_min_plus_kernelIf15HIP_vector_typeIfLj2EES2_Li8ELi32ELi64ELi128ELi4ELi64ELi4ELi64ELi4ELc78ELc84ELb0ELb0ELb0EPKfKS4_KPfEEviiiT16_PT17_ilSA_ilS8_SA_ilPT18_ili26rocblas_geam_ex_operation_.num_agpr, 0
	.set _ZN12_GLOBAL__N_120geam_min_plus_kernelIf15HIP_vector_typeIfLj2EES2_Li8ELi32ELi64ELi128ELi4ELi64ELi4ELi64ELi4ELc78ELc84ELb0ELb0ELb0EPKfKS4_KPfEEviiiT16_PT17_ilSA_ilS8_SA_ilPT18_ili26rocblas_geam_ex_operation_.numbered_sgpr, 29
	.set _ZN12_GLOBAL__N_120geam_min_plus_kernelIf15HIP_vector_typeIfLj2EES2_Li8ELi32ELi64ELi128ELi4ELi64ELi4ELi64ELi4ELc78ELc84ELb0ELb0ELb0EPKfKS4_KPfEEviiiT16_PT17_ilSA_ilS8_SA_ilPT18_ili26rocblas_geam_ex_operation_.num_named_barrier, 0
	.set _ZN12_GLOBAL__N_120geam_min_plus_kernelIf15HIP_vector_typeIfLj2EES2_Li8ELi32ELi64ELi128ELi4ELi64ELi4ELi64ELi4ELc78ELc84ELb0ELb0ELb0EPKfKS4_KPfEEviiiT16_PT17_ilSA_ilS8_SA_ilPT18_ili26rocblas_geam_ex_operation_.private_seg_size, 0
	.set _ZN12_GLOBAL__N_120geam_min_plus_kernelIf15HIP_vector_typeIfLj2EES2_Li8ELi32ELi64ELi128ELi4ELi64ELi4ELi64ELi4ELc78ELc84ELb0ELb0ELb0EPKfKS4_KPfEEviiiT16_PT17_ilSA_ilS8_SA_ilPT18_ili26rocblas_geam_ex_operation_.uses_vcc, 1
	.set _ZN12_GLOBAL__N_120geam_min_plus_kernelIf15HIP_vector_typeIfLj2EES2_Li8ELi32ELi64ELi128ELi4ELi64ELi4ELi64ELi4ELc78ELc84ELb0ELb0ELb0EPKfKS4_KPfEEviiiT16_PT17_ilSA_ilS8_SA_ilPT18_ili26rocblas_geam_ex_operation_.uses_flat_scratch, 0
	.set _ZN12_GLOBAL__N_120geam_min_plus_kernelIf15HIP_vector_typeIfLj2EES2_Li8ELi32ELi64ELi128ELi4ELi64ELi4ELi64ELi4ELc78ELc84ELb0ELb0ELb0EPKfKS4_KPfEEviiiT16_PT17_ilSA_ilS8_SA_ilPT18_ili26rocblas_geam_ex_operation_.has_dyn_sized_stack, 0
	.set _ZN12_GLOBAL__N_120geam_min_plus_kernelIf15HIP_vector_typeIfLj2EES2_Li8ELi32ELi64ELi128ELi4ELi64ELi4ELi64ELi4ELc78ELc84ELb0ELb0ELb0EPKfKS4_KPfEEviiiT16_PT17_ilSA_ilS8_SA_ilPT18_ili26rocblas_geam_ex_operation_.has_recursion, 0
	.set _ZN12_GLOBAL__N_120geam_min_plus_kernelIf15HIP_vector_typeIfLj2EES2_Li8ELi32ELi64ELi128ELi4ELi64ELi4ELi64ELi4ELc78ELc84ELb0ELb0ELb0EPKfKS4_KPfEEviiiT16_PT17_ilSA_ilS8_SA_ilPT18_ili26rocblas_geam_ex_operation_.has_indirect_call, 0
	.section	.AMDGPU.csdata,"",@progbits
; Kernel info:
; codeLenInByte = 6672
; TotalNumSgprs: 35
; NumVgprs: 109
; NumAgprs: 0
; TotalNumVgprs: 109
; ScratchSize: 0
; MemoryBound: 0
; FloatMode: 240
; IeeeMode: 1
; LDSByteSize: 6144 bytes/workgroup (compile time only)
; SGPRBlocks: 4
; VGPRBlocks: 13
; NumSGPRsForWavesPerEU: 35
; NumVGPRsForWavesPerEU: 109
; AccumOffset: 112
; Occupancy: 4
; WaveLimiterHint : 1
; COMPUTE_PGM_RSRC2:SCRATCH_EN: 0
; COMPUTE_PGM_RSRC2:USER_SGPR: 2
; COMPUTE_PGM_RSRC2:TRAP_HANDLER: 0
; COMPUTE_PGM_RSRC2:TGID_X_EN: 1
; COMPUTE_PGM_RSRC2:TGID_Y_EN: 0
; COMPUTE_PGM_RSRC2:TGID_Z_EN: 1
; COMPUTE_PGM_RSRC2:TIDIG_COMP_CNT: 1
; COMPUTE_PGM_RSRC3_GFX90A:ACCUM_OFFSET: 27
; COMPUTE_PGM_RSRC3_GFX90A:TG_SPLIT: 0
	.section	.text._ZN12_GLOBAL__N_120geam_min_plus_kernelIf15HIP_vector_typeIfLj2EES2_Li8ELi32ELi64ELi128ELi4ELi64ELi4ELi64ELi4ELc78ELc84ELb1ELb0ELb0EfKPKfKPfEEviiiT16_PT17_ilSA_ilS8_SA_ilPT18_ili26rocblas_geam_ex_operation_,"axG",@progbits,_ZN12_GLOBAL__N_120geam_min_plus_kernelIf15HIP_vector_typeIfLj2EES2_Li8ELi32ELi64ELi128ELi4ELi64ELi4ELi64ELi4ELc78ELc84ELb1ELb0ELb0EfKPKfKPfEEviiiT16_PT17_ilSA_ilS8_SA_ilPT18_ili26rocblas_geam_ex_operation_,comdat
	.globl	_ZN12_GLOBAL__N_120geam_min_plus_kernelIf15HIP_vector_typeIfLj2EES2_Li8ELi32ELi64ELi128ELi4ELi64ELi4ELi64ELi4ELc78ELc84ELb1ELb0ELb0EfKPKfKPfEEviiiT16_PT17_ilSA_ilS8_SA_ilPT18_ili26rocblas_geam_ex_operation_ ; -- Begin function _ZN12_GLOBAL__N_120geam_min_plus_kernelIf15HIP_vector_typeIfLj2EES2_Li8ELi32ELi64ELi128ELi4ELi64ELi4ELi64ELi4ELc78ELc84ELb1ELb0ELb0EfKPKfKPfEEviiiT16_PT17_ilSA_ilS8_SA_ilPT18_ili26rocblas_geam_ex_operation_
	.p2align	8
	.type	_ZN12_GLOBAL__N_120geam_min_plus_kernelIf15HIP_vector_typeIfLj2EES2_Li8ELi32ELi64ELi128ELi4ELi64ELi4ELi64ELi4ELc78ELc84ELb1ELb0ELb0EfKPKfKPfEEviiiT16_PT17_ilSA_ilS8_SA_ilPT18_ili26rocblas_geam_ex_operation_,@function
_ZN12_GLOBAL__N_120geam_min_plus_kernelIf15HIP_vector_typeIfLj2EES2_Li8ELi32ELi64ELi128ELi4ELi64ELi4ELi64ELi4ELc78ELc84ELb1ELb0ELb0EfKPKfKPfEEviiiT16_PT17_ilSA_ilS8_SA_ilPT18_ili26rocblas_geam_ex_operation_: ; @_ZN12_GLOBAL__N_120geam_min_plus_kernelIf15HIP_vector_typeIfLj2EES2_Li8ELi32ELi64ELi128ELi4ELi64ELi4ELi64ELi4ELc78ELc84ELb1ELb0ELb0EfKPKfKPfEEviiiT16_PT17_ilSA_ilS8_SA_ilPT18_ili26rocblas_geam_ex_operation_
; %bb.0:
	s_load_dwordx2 s[14:15], s[0:1], 0x8
	s_load_dwordx4 s[4:7], s[0:1], 0x20
	s_mov_b32 s8, s3
	s_mov_b32 s9, 0
	s_waitcnt lgkmcnt(0)
	v_cmp_eq_f32_e64 s[10:11], s15, 0
	s_and_b64 vcc, exec, s[10:11]
	s_cbranch_vccnz .LBB40_3
; %bb.1:
	s_load_dwordx2 s[12:13], s[0:1], 0x10
	s_lshl_b64 s[16:17], s[8:9], 3
	s_waitcnt lgkmcnt(0)
	s_add_u32 s12, s12, s16
	s_addc_u32 s13, s13, s17
	s_load_dwordx2 s[12:13], s[12:13], 0x0
	s_lshl_b64 s[4:5], s[4:5], 2
	s_waitcnt lgkmcnt(0)
	s_add_u32 s4, s12, s4
	s_addc_u32 s5, s13, s5
	s_andn2_b64 vcc, exec, s[10:11]
	s_cbranch_vccnz .LBB40_4
.LBB40_2:
	s_mov_b32 s19, 0
	s_mov_b32 s18, s8
	s_mov_b64 s[12:13], 0
	s_mov_b64 s[16:17], 0
	s_cbranch_execz .LBB40_5
	s_branch .LBB40_6
.LBB40_3:
	s_mov_b64 s[4:5], 0
	s_andn2_b64 vcc, exec, s[10:11]
	s_cbranch_vccz .LBB40_2
.LBB40_4:
	s_mov_b64 s[18:19], s[8:9]
	s_mov_b64 s[12:13], 0
	;; [unrolled: 1-line block ×3, first 2 shown]
.LBB40_5:
	s_lshl_b64 s[8:9], s[8:9], 3
	s_add_u32 s6, s6, s8
	s_load_dwordx2 s[10:11], s[0:1], 0x38
	s_addc_u32 s7, s7, s9
	s_load_dwordx2 s[6:7], s[6:7], 0x0
	s_waitcnt lgkmcnt(0)
	s_lshl_b64 s[8:9], s[10:11], 2
	s_add_u32 s16, s6, s8
	s_addc_u32 s17, s7, s9
.LBB40_6:
	s_load_dword s15, s[0:1], 0x40
	s_load_dwordx4 s[8:11], s[0:1], 0x58
	s_mov_b32 s24, 0
	s_waitcnt lgkmcnt(0)
	v_cmp_eq_f32_e64 s[6:7], s15, 0
	s_and_b64 s[6:7], exec, s[6:7]
	s_mov_b64 vcc, s[6:7]
	s_cbranch_vccnz .LBB40_8
; %bb.7:
	s_load_dwordx2 s[12:13], s[0:1], 0x48
	s_lshl_b64 s[20:21], s[18:19], 3
	s_waitcnt lgkmcnt(0)
	s_add_u32 s12, s12, s20
	s_addc_u32 s13, s13, s21
	s_load_dwordx2 s[12:13], s[12:13], 0x0
	s_lshl_b64 s[8:9], s[8:9], 2
	s_waitcnt lgkmcnt(0)
	s_add_u32 s12, s12, s8
	s_addc_u32 s13, s13, s9
.LBB40_8:
	s_load_dword s20, s[0:1], 0x18
	s_load_dword s21, s[0:1], 0x30
	;; [unrolled: 1-line block ×3, first 2 shown]
	s_lshl_b64 s[8:9], s[18:19], 3
	v_and_b32_e32 v72, 0x3ff, v0
	s_waitcnt lgkmcnt(0)
	s_ashr_i32 s22, s20, 31
	s_ashr_i32 s23, s21, 31
	s_add_u32 s8, s10, s8
	s_addc_u32 s9, s11, s9
	s_add_i32 s3, s3, -1
	s_ashr_i32 s10, s3, 31
	s_lshr_b32 s10, s10, 26
	s_add_i32 s3, s3, s10
	s_ashr_i32 s3, s3, 6
	s_add_i32 s10, s3, 1
	v_cvt_f32_u32_e32 v1, s10
	s_not_b32 s3, s3
	v_bfe_u32 v73, v0, 10, 10
	v_lshl_add_u32 v0, v73, 3, v72
	v_rcp_iflag_f32_e32 v1, v1
	v_and_b32_e32 v80, 63, v0
	v_lshrrev_b32_e32 v74, 6, v0
	v_add_u32_e32 v75, 4, v74
	v_mul_f32_e32 v1, 0x4f7ffffe, v1
	v_cvt_u32_f32_e32 v1, v1
	v_mov_b32_e32 v66, 0
	v_mov_b32_e32 v67, v66
	v_mov_b32_e32 v64, v66
	v_readfirstlane_b32 s11, v1
	s_mul_i32 s3, s3, s11
	s_mul_hi_u32 s3, s11, s3
	s_add_i32 s11, s11, s3
	s_mul_hi_u32 s3, s2, s11
	s_mul_i32 s11, s3, s10
	s_sub_i32 s11, s2, s11
	s_add_i32 s18, s3, 1
	s_sub_i32 s19, s11, s10
	s_cmp_ge_u32 s11, s10
	s_cselect_b32 s3, s18, s3
	s_cselect_b32 s11, s19, s11
	s_add_i32 s18, s3, 1
	s_cmp_ge_u32 s11, s10
	s_cselect_b32 s3, s18, s3
	s_mul_i32 s10, s3, s10
	s_lshl_b32 s19, s3, 7
	s_sub_i32 s2, s2, s10
	v_or_b32_e32 v70, s19, v80
	s_lshl_b32 s18, s2, 6
	v_mad_i64_i32 v[2:3], s[2:3], s21, v74, 0
	v_ashrrev_i32_e32 v71, 31, v70
	v_or_b32_e32 v68, s18, v80
	v_lshl_add_u64 v[2:3], v[2:3], 2, s[16:17]
	v_lshlrev_b64 v[4:5], 2, v[70:71]
	v_mad_i64_i32 v[0:1], s[2:3], s20, v74, 0
	v_ashrrev_i32_e32 v69, 31, v68
	v_lshl_add_u64 v[2:3], v[2:3], 0, v[4:5]
	v_lshl_add_u64 v[0:1], v[0:1], 2, s[4:5]
	flat_load_dword v8, v[2:3]
	flat_load_dword v9, v[2:3] offset:256
	v_lshlrev_b64 v[2:3], 2, v[68:69]
	v_lshl_add_u64 v[0:1], v[0:1], 0, v[2:3]
	flat_load_dword v10, v[0:1]
	v_mad_i64_i32 v[0:1], s[2:3], s20, v75, 0
	v_mad_i64_i32 v[6:7], s[2:3], s21, v75, 0
	v_lshl_add_u64 v[0:1], v[0:1], 2, s[4:5]
	v_lshl_add_u64 v[6:7], v[6:7], 2, s[16:17]
	;; [unrolled: 1-line block ×4, first 2 shown]
	flat_load_dword v81, v[4:5]
	flat_load_dword v82, v[4:5] offset:256
	flat_load_dword v83, v[0:1]
	s_load_dwordx2 s[8:9], s[8:9], 0x0
	v_mov_b32_e32 v0, 0x1000
	v_lshl_add_u32 v76, v72, 4, v0
	v_lshlrev_b32_e32 v0, 4, v80
	v_lshl_add_u32 v77, v74, 2, v0
	v_cmp_neq_f32_e64 s[2:3], s15, 0
	s_mov_b64 s[10:11], -1
	v_mov_b32_e32 v65, v66
	v_mov_b32_e32 v62, v66
	;; [unrolled: 1-line block ×46, first 2 shown]
	s_waitcnt vmcnt(0) lgkmcnt(0)
	ds_write2st64_b32 v77, v8, v9 offset1:4
	ds_write_b32 v77, v10 offset:4096
	v_mov_b32_e32 v19, v66
	v_mov_b32_e32 v16, v66
	;; [unrolled: 1-line block ×15, first 2 shown]
	v_or_b32_e32 v78, 0x1000, v77
	v_lshlrev_b32_e32 v79, 4, v73
	s_waitcnt lgkmcnt(0)
	s_barrier
.LBB40_9:                               ; =>This Inner Loop Header: Depth=1
	v_cndmask_b32_e64 v0, 0, 1, s[10:11]
	s_lshl_b32 s10, s24, 2
	v_cmp_ne_u32_e32 vcc, 1, v0
	v_add_u32_e32 v0, s10, v76
	ds_read2_b64 v[84:87], v0 offset1:16
	ds_read2_b64 v[88:91], v0 offset0:32 offset1:48
	ds_read2_b64 v[92:95], v0 offset0:64 offset1:80
	;; [unrolled: 1-line block ×3, first 2 shown]
	v_add_u32_e32 v0, s10, v79
	ds_read2st64_b64 v[100:103], v0 offset1:1
	ds_read2st64_b64 v[0:3], v0 offset0:2 offset1:3
	s_waitcnt lgkmcnt(5)
	v_max_f32_e32 v104, v84, v84
	v_max_f32_e32 v105, v85, v85
	v_max_f32_e32 v86, v86, v86
	s_waitcnt lgkmcnt(1)
	v_max_f32_e32 v100, v100, v100
	v_max_f32_e32 v101, v101, v101
	v_min_f32_e32 v84, v104, v100
	v_min_f32_e32 v85, v105, v101
	v_max_f32_e32 v87, v87, v87
	v_pk_add_f32 v[66:67], v[84:85], v[66:67]
	v_min_f32_e32 v84, v86, v100
	v_min_f32_e32 v85, v87, v101
	v_max_f32_e32 v88, v88, v88
	v_max_f32_e32 v89, v89, v89
	v_pk_add_f32 v[64:65], v[84:85], v[64:65]
	v_min_f32_e32 v84, v88, v100
	v_min_f32_e32 v85, v89, v101
	v_max_f32_e32 v90, v90, v90
	;; [unrolled: 5-line block ×7, first 2 shown]
	v_max_f32_e32 v101, v103, v103
	v_pk_add_f32 v[52:53], v[84:85], v[52:53]
	v_min_f32_e32 v84, v104, v100
	v_min_f32_e32 v85, v105, v101
	v_pk_add_f32 v[50:51], v[84:85], v[50:51]
	v_min_f32_e32 v84, v86, v100
	v_min_f32_e32 v85, v87, v101
	;; [unrolled: 3-line block ×8, first 2 shown]
	v_pk_add_f32 v[36:37], v[84:85], v[36:37]
	s_waitcnt lgkmcnt(0)
	v_max_f32_e32 v84, v0, v0
	v_max_f32_e32 v85, v1, v1
	v_min_f32_e32 v0, v104, v84
	v_min_f32_e32 v1, v105, v85
	v_pk_add_f32 v[34:35], v[0:1], v[34:35]
	v_min_f32_e32 v0, v86, v84
	v_min_f32_e32 v1, v87, v85
	v_pk_add_f32 v[32:33], v[0:1], v[32:33]
	;; [unrolled: 3-line block ×7, first 2 shown]
	v_min_f32_e32 v0, v98, v84
	v_min_f32_e32 v1, v99, v85
	v_max_f32_e32 v2, v2, v2
	v_max_f32_e32 v3, v3, v3
	v_pk_add_f32 v[20:21], v[0:1], v[20:21]
	v_min_f32_e32 v0, v104, v2
	v_min_f32_e32 v1, v105, v3
	v_pk_add_f32 v[18:19], v[0:1], v[18:19]
	v_min_f32_e32 v0, v86, v2
	v_min_f32_e32 v1, v87, v3
	;; [unrolled: 3-line block ×8, first 2 shown]
	v_pk_add_f32 v[4:5], v[0:1], v[4:5]
	s_mov_b64 s[10:11], 0
	s_mov_b32 s24, 2
	s_cbranch_vccz .LBB40_9
; %bb.10:
	v_lshlrev_b32_e32 v0, 2, v74
	v_lshl_add_u32 v0, v80, 4, v0
	s_cmp_lt_i32 s14, 9
	ds_write_b32 v0, v83 offset:5120
	ds_write2st64_b32 v0, v81, v82 offset0:8 offset1:12
	s_waitcnt lgkmcnt(0)
	s_barrier
	s_cbranch_scc1 .LBB40_17
; %bb.11:
	v_add_u32_e32 v80, 0x1400, v0
	v_or_b32_e32 v81, 0x800, v0
	v_mov_b32_e32 v0, 0x1400
	v_lshl_add_u32 v82, v72, 4, v0
	v_mov_b32_e32 v0, 0x800
	s_add_i32 s10, s14, -8
	v_lshl_add_u64 v[68:69], v[68:69], 2, s[4:5]
	v_lshl_add_u32 v83, v73, 4, v0
	v_lshl_add_u64 v[70:71], v[70:71], 2, s[16:17]
	s_mov_b32 s11, 8
	s_mov_b32 s14, 0
.LBB40_12:                              ; =>This Loop Header: Depth=1
                                        ;     Child Loop BB40_13 Depth 2
                                        ;     Child Loop BB40_15 Depth 2
	v_add_u32_e32 v85, s11, v74
	v_mad_u64_u32 v[0:1], s[4:5], v85, s20, 0
	v_mov_b32_e32 v2, v1
	v_mad_u64_u32 v[2:3], s[4:5], v85, s22, v[2:3]
	v_mov_b32_e32 v1, v2
	v_lshl_add_u64 v[0:1], v[0:1], 2, v[68:69]
	flat_load_dword v84, v[0:1]
	v_mad_u64_u32 v[0:1], s[4:5], v85, s21, 0
	v_mov_b32_e32 v2, v1
	v_mad_u64_u32 v[2:3], s[4:5], v85, s23, v[2:3]
	v_mov_b32_e32 v1, v2
	v_lshl_add_u64 v[0:1], v[0:1], 2, v[70:71]
	flat_load_dword v85, v[0:1]
	flat_load_dword v86, v[0:1] offset:256
	s_mov_b64 s[4:5], -1
	s_mov_b32 s16, 0
.LBB40_13:                              ;   Parent Loop BB40_12 Depth=1
                                        ; =>  This Inner Loop Header: Depth=2
	v_cndmask_b32_e64 v0, 0, 1, s[4:5]
	s_lshl_b32 s4, s16, 2
	v_cmp_ne_u32_e32 vcc, 1, v0
	v_add_u32_e32 v0, s4, v82
	ds_read2_b64 v[88:91], v0 offset1:16
	ds_read2_b64 v[92:95], v0 offset0:32 offset1:48
	ds_read2_b64 v[96:99], v0 offset0:64 offset1:80
	;; [unrolled: 1-line block ×3, first 2 shown]
	v_add_u32_e32 v0, s4, v83
	ds_read2st64_b64 v[104:107], v0 offset1:1
	ds_read2st64_b64 v[0:3], v0 offset0:2 offset1:3
	s_waitcnt lgkmcnt(0)
	v_max_f32_e32 v108, v89, v89
	v_max_f32_e32 v90, v90, v90
	;; [unrolled: 1-line block ×6, first 2 shown]
	v_min_f32_e32 v88, v104, v87
	v_min_f32_e32 v89, v108, v105
	v_pk_add_f32 v[66:67], v[88:89], v[66:67]
	v_min_f32_e32 v88, v90, v87
	v_min_f32_e32 v89, v91, v105
	v_max_f32_e32 v92, v92, v92
	v_max_f32_e32 v93, v93, v93
	v_pk_add_f32 v[64:65], v[88:89], v[64:65]
	v_min_f32_e32 v88, v92, v87
	v_min_f32_e32 v89, v93, v105
	v_max_f32_e32 v94, v94, v94
	v_max_f32_e32 v95, v95, v95
	;; [unrolled: 5-line block ×5, first 2 shown]
	v_pk_add_f32 v[56:57], v[88:89], v[56:57]
	v_min_f32_e32 v88, v100, v87
	v_min_f32_e32 v89, v101, v105
	v_max_f32_e32 v102, v102, v102
	v_pk_add_f32 v[54:55], v[88:89], v[54:55]
	v_min_f32_e32 v88, v102, v87
	v_max_f32_e32 v87, v103, v103
	v_min_f32_e32 v89, v87, v105
	v_max_f32_e32 v103, v106, v106
	v_max_f32_e32 v105, v107, v107
	v_pk_add_f32 v[52:53], v[88:89], v[52:53]
	v_min_f32_e32 v88, v104, v103
	v_min_f32_e32 v89, v108, v105
	v_pk_add_f32 v[50:51], v[88:89], v[50:51]
	v_min_f32_e32 v88, v90, v103
	v_min_f32_e32 v89, v91, v105
	;; [unrolled: 3-line block ×8, first 2 shown]
	v_pk_add_f32 v[36:37], v[88:89], v[36:37]
	v_max_f32_e32 v88, v0, v0
	v_max_f32_e32 v89, v1, v1
	v_min_f32_e32 v0, v104, v88
	v_min_f32_e32 v1, v108, v89
	v_pk_add_f32 v[34:35], v[0:1], v[34:35]
	v_min_f32_e32 v0, v90, v88
	v_min_f32_e32 v1, v91, v89
	v_pk_add_f32 v[32:33], v[0:1], v[32:33]
	;; [unrolled: 3-line block ×7, first 2 shown]
	v_min_f32_e32 v0, v102, v88
	v_min_f32_e32 v1, v87, v89
	v_max_f32_e32 v2, v2, v2
	v_max_f32_e32 v3, v3, v3
	v_pk_add_f32 v[20:21], v[0:1], v[20:21]
	v_min_f32_e32 v0, v104, v2
	v_min_f32_e32 v1, v108, v3
	v_pk_add_f32 v[18:19], v[0:1], v[18:19]
	v_min_f32_e32 v0, v90, v2
	v_min_f32_e32 v1, v91, v3
	v_pk_add_f32 v[16:17], v[0:1], v[16:17]
	v_min_f32_e32 v0, v92, v2
	v_min_f32_e32 v1, v93, v3
	v_pk_add_f32 v[14:15], v[0:1], v[14:15]
	v_min_f32_e32 v0, v94, v2
	v_min_f32_e32 v1, v95, v3
	v_pk_add_f32 v[12:13], v[0:1], v[12:13]
	v_min_f32_e32 v0, v96, v2
	v_min_f32_e32 v1, v97, v3
	v_pk_add_f32 v[10:11], v[0:1], v[10:11]
	v_min_f32_e32 v0, v98, v2
	v_min_f32_e32 v1, v99, v3
	v_pk_add_f32 v[8:9], v[0:1], v[8:9]
	v_min_f32_e32 v0, v100, v2
	v_min_f32_e32 v1, v101, v3
	v_pk_add_f32 v[6:7], v[0:1], v[6:7]
	v_min_f32_e32 v0, v102, v2
	v_min_f32_e32 v1, v87, v3
	v_pk_add_f32 v[4:5], v[0:1], v[4:5]
	s_mov_b64 s[4:5], 0
	s_mov_b32 s16, 2
	s_cbranch_vccz .LBB40_13
; %bb.14:                               ;   in Loop: Header=BB40_12 Depth=1
	s_waitcnt vmcnt(0)
	ds_write_b32 v78, v84
	ds_write2st64_b32 v77, v85, v86 offset1:4
	v_add_u32_e32 v85, s11, v75
	v_mad_u64_u32 v[0:1], s[4:5], v85, s20, 0
	v_mov_b32_e32 v2, v1
	v_mad_u64_u32 v[2:3], s[4:5], v85, s22, v[2:3]
	v_mov_b32_e32 v1, v2
	v_lshl_add_u64 v[0:1], v[0:1], 2, v[68:69]
	s_waitcnt lgkmcnt(0)
	s_barrier
	flat_load_dword v84, v[0:1]
	v_mad_u64_u32 v[0:1], s[4:5], v85, s21, 0
	v_mov_b32_e32 v2, v1
	v_mad_u64_u32 v[2:3], s[4:5], v85, s23, v[2:3]
	v_mov_b32_e32 v1, v2
	v_lshl_add_u64 v[0:1], v[0:1], 2, v[70:71]
	flat_load_dword v85, v[0:1]
	flat_load_dword v86, v[0:1] offset:256
	s_mov_b32 s16, 0
	s_mov_b64 s[4:5], -1
.LBB40_15:                              ;   Parent Loop BB40_12 Depth=1
                                        ; =>  This Inner Loop Header: Depth=2
	v_cndmask_b32_e64 v0, 0, 1, s[4:5]
	s_lshl_b32 s4, s16, 2
	v_cmp_ne_u32_e32 vcc, 1, v0
	v_add_u32_e32 v0, s4, v76
	ds_read2_b64 v[88:91], v0 offset1:16
	ds_read2_b64 v[92:95], v0 offset0:32 offset1:48
	ds_read2_b64 v[96:99], v0 offset0:64 offset1:80
	;; [unrolled: 1-line block ×3, first 2 shown]
	v_add_u32_e32 v0, s4, v79
	ds_read2st64_b64 v[104:107], v0 offset1:1
	ds_read2st64_b64 v[0:3], v0 offset0:2 offset1:3
	s_waitcnt lgkmcnt(0)
	v_max_f32_e32 v108, v89, v89
	v_max_f32_e32 v90, v90, v90
	;; [unrolled: 1-line block ×6, first 2 shown]
	v_min_f32_e32 v88, v104, v87
	v_min_f32_e32 v89, v108, v105
	v_pk_add_f32 v[66:67], v[88:89], v[66:67]
	v_min_f32_e32 v88, v90, v87
	v_min_f32_e32 v89, v91, v105
	v_max_f32_e32 v92, v92, v92
	v_max_f32_e32 v93, v93, v93
	v_pk_add_f32 v[64:65], v[88:89], v[64:65]
	v_min_f32_e32 v88, v92, v87
	v_min_f32_e32 v89, v93, v105
	v_max_f32_e32 v94, v94, v94
	v_max_f32_e32 v95, v95, v95
	v_pk_add_f32 v[62:63], v[88:89], v[62:63]
	v_min_f32_e32 v88, v94, v87
	v_min_f32_e32 v89, v95, v105
	v_max_f32_e32 v96, v96, v96
	v_max_f32_e32 v97, v97, v97
	v_pk_add_f32 v[60:61], v[88:89], v[60:61]
	v_min_f32_e32 v88, v96, v87
	v_min_f32_e32 v89, v97, v105
	v_max_f32_e32 v98, v98, v98
	v_max_f32_e32 v99, v99, v99
	v_pk_add_f32 v[58:59], v[88:89], v[58:59]
	v_min_f32_e32 v88, v98, v87
	v_min_f32_e32 v89, v99, v105
	v_max_f32_e32 v100, v100, v100
	v_max_f32_e32 v101, v101, v101
	v_pk_add_f32 v[56:57], v[88:89], v[56:57]
	v_min_f32_e32 v88, v100, v87
	v_min_f32_e32 v89, v101, v105
	v_max_f32_e32 v102, v102, v102
	v_pk_add_f32 v[54:55], v[88:89], v[54:55]
	v_min_f32_e32 v88, v102, v87
	v_max_f32_e32 v87, v103, v103
	v_min_f32_e32 v89, v87, v105
	v_max_f32_e32 v103, v106, v106
	v_max_f32_e32 v105, v107, v107
	v_pk_add_f32 v[52:53], v[88:89], v[52:53]
	v_min_f32_e32 v88, v104, v103
	v_min_f32_e32 v89, v108, v105
	v_pk_add_f32 v[50:51], v[88:89], v[50:51]
	v_min_f32_e32 v88, v90, v103
	v_min_f32_e32 v89, v91, v105
	;; [unrolled: 3-line block ×8, first 2 shown]
	v_pk_add_f32 v[36:37], v[88:89], v[36:37]
	v_max_f32_e32 v88, v0, v0
	v_max_f32_e32 v89, v1, v1
	v_min_f32_e32 v0, v104, v88
	v_min_f32_e32 v1, v108, v89
	v_pk_add_f32 v[34:35], v[0:1], v[34:35]
	v_min_f32_e32 v0, v90, v88
	v_min_f32_e32 v1, v91, v89
	v_pk_add_f32 v[32:33], v[0:1], v[32:33]
	v_min_f32_e32 v0, v92, v88
	v_min_f32_e32 v1, v93, v89
	v_pk_add_f32 v[30:31], v[0:1], v[30:31]
	v_min_f32_e32 v0, v94, v88
	v_min_f32_e32 v1, v95, v89
	v_pk_add_f32 v[28:29], v[0:1], v[28:29]
	v_min_f32_e32 v0, v96, v88
	v_min_f32_e32 v1, v97, v89
	v_pk_add_f32 v[26:27], v[0:1], v[26:27]
	v_min_f32_e32 v0, v98, v88
	v_min_f32_e32 v1, v99, v89
	v_pk_add_f32 v[24:25], v[0:1], v[24:25]
	v_min_f32_e32 v0, v100, v88
	v_min_f32_e32 v1, v101, v89
	v_pk_add_f32 v[22:23], v[0:1], v[22:23]
	v_min_f32_e32 v0, v102, v88
	v_min_f32_e32 v1, v87, v89
	v_max_f32_e32 v2, v2, v2
	v_max_f32_e32 v3, v3, v3
	v_pk_add_f32 v[20:21], v[0:1], v[20:21]
	v_min_f32_e32 v0, v104, v2
	v_min_f32_e32 v1, v108, v3
	v_pk_add_f32 v[18:19], v[0:1], v[18:19]
	v_min_f32_e32 v0, v90, v2
	v_min_f32_e32 v1, v91, v3
	;; [unrolled: 3-line block ×8, first 2 shown]
	v_pk_add_f32 v[4:5], v[0:1], v[4:5]
	s_mov_b64 s[4:5], 0
	s_mov_b32 s16, 2
	s_cbranch_vccz .LBB40_15
; %bb.16:                               ;   in Loop: Header=BB40_12 Depth=1
	s_add_i32 s11, s11, 8
	s_add_i32 s14, s14, 8
	s_cmp_ge_i32 s14, s10
	s_waitcnt vmcnt(0)
	ds_write_b32 v80, v84
	ds_write2st64_b32 v81, v85, v86 offset1:4
	s_waitcnt lgkmcnt(0)
	s_barrier
	s_cbranch_scc0 .LBB40_12
.LBB40_17:
	v_mov_b32_e32 v0, 0x1400
	v_lshl_add_u32 v68, v72, 4, v0
	v_mov_b32_e32 v0, 0x800
	v_lshl_add_u32 v69, v73, 4, v0
	s_mov_b32 s10, 0
	s_mov_b64 s[4:5], -1
.LBB40_18:                              ; =>This Inner Loop Header: Depth=1
	v_cndmask_b32_e64 v0, 0, 1, s[4:5]
	s_lshl_b32 s4, s10, 2
	v_cmp_ne_u32_e32 vcc, 1, v0
	v_add_u32_e32 v0, s4, v68
	ds_read2_b64 v[74:77], v0 offset1:16
	ds_read2_b64 v[78:81], v0 offset0:32 offset1:48
	ds_read2_b64 v[82:85], v0 offset0:64 offset1:80
	;; [unrolled: 1-line block ×3, first 2 shown]
	v_add_u32_e32 v0, s4, v69
	ds_read2st64_b64 v[90:93], v0 offset1:1
	ds_read2st64_b64 v[0:3], v0 offset0:2 offset1:3
	s_waitcnt lgkmcnt(5)
	v_max_f32_e32 v74, v74, v74
	v_max_f32_e32 v75, v75, v75
	;; [unrolled: 1-line block ×3, first 2 shown]
	s_waitcnt lgkmcnt(1)
	v_max_f32_e32 v90, v90, v90
	v_max_f32_e32 v91, v91, v91
	v_min_f32_e32 v70, v74, v90
	v_min_f32_e32 v71, v75, v91
	v_max_f32_e32 v77, v77, v77
	v_pk_add_f32 v[66:67], v[70:71], v[66:67]
	v_min_f32_e32 v70, v76, v90
	v_min_f32_e32 v71, v77, v91
	v_max_f32_e32 v78, v78, v78
	v_max_f32_e32 v79, v79, v79
	v_pk_add_f32 v[64:65], v[70:71], v[64:65]
	v_min_f32_e32 v70, v78, v90
	v_min_f32_e32 v71, v79, v91
	v_max_f32_e32 v80, v80, v80
	;; [unrolled: 5-line block ×7, first 2 shown]
	v_max_f32_e32 v91, v93, v93
	v_pk_add_f32 v[52:53], v[70:71], v[52:53]
	v_min_f32_e32 v70, v74, v90
	v_min_f32_e32 v71, v75, v91
	v_pk_add_f32 v[50:51], v[70:71], v[50:51]
	v_min_f32_e32 v70, v76, v90
	v_min_f32_e32 v71, v77, v91
	;; [unrolled: 3-line block ×8, first 2 shown]
	v_pk_add_f32 v[36:37], v[70:71], v[36:37]
	s_waitcnt lgkmcnt(0)
	v_max_f32_e32 v70, v0, v0
	v_max_f32_e32 v71, v1, v1
	v_min_f32_e32 v0, v74, v70
	v_min_f32_e32 v1, v75, v71
	v_pk_add_f32 v[34:35], v[0:1], v[34:35]
	v_min_f32_e32 v0, v76, v70
	v_min_f32_e32 v1, v77, v71
	v_pk_add_f32 v[32:33], v[0:1], v[32:33]
	;; [unrolled: 3-line block ×7, first 2 shown]
	v_min_f32_e32 v0, v88, v70
	v_min_f32_e32 v1, v89, v71
	v_max_f32_e32 v2, v2, v2
	v_max_f32_e32 v3, v3, v3
	v_pk_add_f32 v[20:21], v[0:1], v[20:21]
	v_min_f32_e32 v0, v74, v2
	v_min_f32_e32 v1, v75, v3
	v_pk_add_f32 v[18:19], v[0:1], v[18:19]
	v_min_f32_e32 v0, v76, v2
	v_min_f32_e32 v1, v77, v3
	;; [unrolled: 3-line block ×8, first 2 shown]
	v_pk_add_f32 v[4:5], v[0:1], v[4:5]
	s_mov_b64 s[4:5], 0
	s_mov_b32 s10, 2
	s_cbranch_vccz .LBB40_18
; %bb.19:
	s_load_dword s10, s[0:1], 0x50
	v_add_u32_e32 v0, s18, v72
	v_add_u32_e32 v72, s19, v73
	v_ashrrev_i32_e32 v1, 31, v0
	v_mov_b32_e32 v73, 0
	s_waitcnt lgkmcnt(0)
	v_mad_i64_i32 v[2:3], s[4:5], v72, s10, 0
	v_lshl_add_u64 v[68:69], v[2:3], 2, s[12:13]
	v_cndmask_b32_e64 v2, 0, 1, s[2:3]
	v_cmp_ne_u32_e64 s[4:5], 1, v2
	s_andn2_b64 vcc, exec, s[2:3]
	v_mov_b32_e32 v74, 0
	s_cbranch_vccnz .LBB40_21
; %bb.20:
	v_lshl_add_u64 v[2:3], v[0:1], 2, v[68:69]
	flat_load_dword v2, v[2:3]
	s_waitcnt vmcnt(0) lgkmcnt(0)
	v_mul_f32_e32 v74, s15, v2
.LBB40_21:
	s_load_dwordx2 s[16:17], s[0:1], 0x70
	s_load_dword s2, s[0:1], 0x68
	v_add_u32_e32 v2, 8, v0
	v_add_f32_e32 v66, v66, v67
	v_ashrrev_i32_e32 v3, 31, v2
	s_waitcnt lgkmcnt(0)
	s_lshl_b64 s[0:1], s[16:17], 2
	s_add_u32 s0, s8, s0
	s_addc_u32 s1, s9, s1
	v_mad_i64_i32 v[70:71], s[8:9], v72, s2, 0
	v_lshl_add_u64 v[70:71], v[70:71], 2, s[0:1]
	v_add_f32_e32 v74, v66, v74
	v_lshl_add_u64 v[66:67], v[0:1], 2, v[70:71]
	s_and_b64 vcc, exec, s[4:5]
	flat_store_dword v[66:67], v74
	s_cbranch_vccnz .LBB40_23
; %bb.22:
	v_lshl_add_u64 v[66:67], v[2:3], 2, v[68:69]
	flat_load_dword v66, v[66:67]
	s_waitcnt vmcnt(0) lgkmcnt(0)
	v_mul_f32_e32 v73, s15, v66
.LBB40_23:
	v_add_f32_e32 v66, v64, v65
	v_add_u32_e32 v64, 16, v0
	v_add_f32_e32 v73, v66, v73
	v_lshl_add_u64 v[66:67], v[2:3], 2, v[70:71]
	v_ashrrev_i32_e32 v65, 31, v64
	flat_store_dword v[66:67], v73
	v_mov_b32_e32 v66, 0
	s_and_b64 vcc, exec, s[4:5]
	v_mov_b32_e32 v67, 0
	s_cbranch_vccnz .LBB40_25
; %bb.24:
	v_lshl_add_u64 v[74:75], v[64:65], 2, v[68:69]
	flat_load_dword v67, v[74:75]
	s_waitcnt vmcnt(0) lgkmcnt(0)
	v_mul_f32_e32 v67, s15, v67
.LBB40_25:
	v_add_f32_e32 v73, v62, v63
	v_add_u32_e32 v62, 24, v0
	v_ashrrev_i32_e32 v63, 31, v62
	v_add_f32_e32 v67, v73, v67
	v_lshl_add_u64 v[74:75], v[64:65], 2, v[70:71]
	s_and_b64 vcc, exec, s[4:5]
	flat_store_dword v[74:75], v67
	s_cbranch_vccnz .LBB40_27
; %bb.26:
	v_lshl_add_u64 v[66:67], v[62:63], 2, v[68:69]
	flat_load_dword v66, v[66:67]
	s_waitcnt vmcnt(0) lgkmcnt(0)
	v_mul_f32_e32 v66, s15, v66
.LBB40_27:
	v_add_f32_e32 v67, v60, v61
	v_add_u32_e32 v60, 32, v0
	v_add_f32_e32 v73, v67, v66
	v_lshl_add_u64 v[66:67], v[62:63], 2, v[70:71]
	v_ashrrev_i32_e32 v61, 31, v60
	flat_store_dword v[66:67], v73
	v_mov_b32_e32 v66, 0
	s_and_b64 vcc, exec, s[4:5]
	v_mov_b32_e32 v67, 0
	s_cbranch_vccnz .LBB40_29
; %bb.28:
	v_lshl_add_u64 v[74:75], v[60:61], 2, v[68:69]
	flat_load_dword v67, v[74:75]
	s_waitcnt vmcnt(0) lgkmcnt(0)
	v_mul_f32_e32 v67, s15, v67
.LBB40_29:
	v_add_f32_e32 v73, v58, v59
	v_add_u32_e32 v58, 40, v0
	v_ashrrev_i32_e32 v59, 31, v58
	;; [unrolled: 30-line block ×3, first 2 shown]
	v_add_f32_e32 v67, v73, v67
	v_lshl_add_u64 v[74:75], v[56:57], 2, v[70:71]
	s_and_b64 vcc, exec, s[4:5]
	flat_store_dword v[74:75], v67
	s_cbranch_vccnz .LBB40_35
; %bb.34:
	v_lshl_add_u64 v[66:67], v[54:55], 2, v[68:69]
	flat_load_dword v66, v[66:67]
	s_waitcnt vmcnt(0) lgkmcnt(0)
	v_mul_f32_e32 v66, s15, v66
.LBB40_35:
	v_add_f32_e32 v52, v52, v53
	v_add_f32_e32 v66, v52, v66
	v_lshl_add_u64 v[52:53], v[54:55], 2, v[70:71]
	flat_store_dword v[52:53], v66
	v_add_u32_e32 v66, 32, v72
	v_mad_i64_i32 v[52:53], s[8:9], v66, s10, 0
	v_lshl_add_u64 v[52:53], v[52:53], 2, s[12:13]
	v_mov_b32_e32 v68, 0
	s_and_b64 vcc, exec, s[4:5]
	v_mov_b32_e32 v69, 0
	s_cbranch_vccnz .LBB40_37
; %bb.36:
	v_lshl_add_u64 v[70:71], v[0:1], 2, v[52:53]
	flat_load_dword v67, v[70:71]
	s_waitcnt vmcnt(0) lgkmcnt(0)
	v_mul_f32_e32 v69, s15, v67
.LBB40_37:
	v_mad_i64_i32 v[66:67], s[8:9], v66, s2, 0
	v_lshl_add_u64 v[66:67], v[66:67], 2, s[0:1]
	v_add_f32_e32 v50, v50, v51
	v_add_f32_e32 v69, v50, v69
	v_lshl_add_u64 v[50:51], v[0:1], 2, v[66:67]
	s_and_b64 vcc, exec, s[4:5]
	flat_store_dword v[50:51], v69
	s_cbranch_vccnz .LBB40_39
; %bb.38:
	v_lshl_add_u64 v[50:51], v[2:3], 2, v[52:53]
	flat_load_dword v50, v[50:51]
	s_waitcnt vmcnt(0) lgkmcnt(0)
	v_mul_f32_e32 v68, s15, v50
.LBB40_39:
	v_add_f32_e32 v48, v48, v49
	v_add_f32_e32 v50, v48, v68
	v_lshl_add_u64 v[48:49], v[2:3], 2, v[66:67]
	flat_store_dword v[48:49], v50
	v_mov_b32_e32 v48, 0
	s_and_b64 vcc, exec, s[4:5]
	v_mov_b32_e32 v49, 0
	s_cbranch_vccnz .LBB40_41
; %bb.40:
	v_lshl_add_u64 v[50:51], v[64:65], 2, v[52:53]
	flat_load_dword v49, v[50:51]
	s_waitcnt vmcnt(0) lgkmcnt(0)
	v_mul_f32_e32 v49, s15, v49
.LBB40_41:
	v_add_f32_e32 v46, v46, v47
	v_add_f32_e32 v49, v46, v49
	v_lshl_add_u64 v[46:47], v[64:65], 2, v[66:67]
	s_and_b64 vcc, exec, s[4:5]
	flat_store_dword v[46:47], v49
	s_cbranch_vccnz .LBB40_43
; %bb.42:
	v_lshl_add_u64 v[46:47], v[62:63], 2, v[52:53]
	flat_load_dword v46, v[46:47]
	s_waitcnt vmcnt(0) lgkmcnt(0)
	v_mul_f32_e32 v48, s15, v46
.LBB40_43:
	v_add_f32_e32 v44, v44, v45
	v_add_f32_e32 v46, v44, v48
	v_lshl_add_u64 v[44:45], v[62:63], 2, v[66:67]
	flat_store_dword v[44:45], v46
	v_mov_b32_e32 v44, 0
	s_and_b64 vcc, exec, s[4:5]
	v_mov_b32_e32 v45, 0
	s_cbranch_vccnz .LBB40_45
; %bb.44:
	v_lshl_add_u64 v[46:47], v[60:61], 2, v[52:53]
	flat_load_dword v45, v[46:47]
	s_waitcnt vmcnt(0) lgkmcnt(0)
	v_mul_f32_e32 v45, s15, v45
.LBB40_45:
	;; [unrolled: 26-line block ×3, first 2 shown]
	v_add_f32_e32 v38, v38, v39
	v_add_f32_e32 v41, v38, v41
	v_lshl_add_u64 v[38:39], v[56:57], 2, v[66:67]
	s_and_b64 vcc, exec, s[4:5]
	flat_store_dword v[38:39], v41
	s_cbranch_vccnz .LBB40_51
; %bb.50:
	v_lshl_add_u64 v[38:39], v[54:55], 2, v[52:53]
	flat_load_dword v38, v[38:39]
	s_waitcnt vmcnt(0) lgkmcnt(0)
	v_mul_f32_e32 v40, s15, v38
.LBB40_51:
	v_add_f32_e32 v36, v36, v37
	v_add_f32_e32 v38, v36, v40
	v_lshl_add_u64 v[36:37], v[54:55], 2, v[66:67]
	flat_store_dword v[36:37], v38
	v_add_u32_e32 v38, 64, v72
	v_mad_i64_i32 v[36:37], s[8:9], v38, s10, 0
	v_lshl_add_u64 v[36:37], v[36:37], 2, s[12:13]
	v_mov_b32_e32 v40, 0
	s_and_b64 vcc, exec, s[4:5]
	v_mov_b32_e32 v41, 0
	s_cbranch_vccnz .LBB40_53
; %bb.52:
	v_lshl_add_u64 v[42:43], v[0:1], 2, v[36:37]
	flat_load_dword v39, v[42:43]
	s_waitcnt vmcnt(0) lgkmcnt(0)
	v_mul_f32_e32 v41, s15, v39
.LBB40_53:
	v_mad_i64_i32 v[38:39], s[8:9], v38, s2, 0
	v_lshl_add_u64 v[38:39], v[38:39], 2, s[0:1]
	v_add_f32_e32 v34, v34, v35
	v_add_f32_e32 v41, v34, v41
	v_lshl_add_u64 v[34:35], v[0:1], 2, v[38:39]
	s_and_b64 vcc, exec, s[4:5]
	flat_store_dword v[34:35], v41
	s_cbranch_vccnz .LBB40_55
; %bb.54:
	v_lshl_add_u64 v[34:35], v[2:3], 2, v[36:37]
	flat_load_dword v34, v[34:35]
	s_waitcnt vmcnt(0) lgkmcnt(0)
	v_mul_f32_e32 v40, s15, v34
.LBB40_55:
	v_add_f32_e32 v32, v32, v33
	v_add_f32_e32 v34, v32, v40
	v_lshl_add_u64 v[32:33], v[2:3], 2, v[38:39]
	flat_store_dword v[32:33], v34
	v_mov_b32_e32 v32, 0
	s_and_b64 vcc, exec, s[4:5]
	v_mov_b32_e32 v33, 0
	s_cbranch_vccnz .LBB40_57
; %bb.56:
	v_lshl_add_u64 v[34:35], v[64:65], 2, v[36:37]
	flat_load_dword v33, v[34:35]
	s_waitcnt vmcnt(0) lgkmcnt(0)
	v_mul_f32_e32 v33, s15, v33
.LBB40_57:
	v_add_f32_e32 v30, v30, v31
	v_add_f32_e32 v33, v30, v33
	v_lshl_add_u64 v[30:31], v[64:65], 2, v[38:39]
	s_and_b64 vcc, exec, s[4:5]
	flat_store_dword v[30:31], v33
	s_cbranch_vccnz .LBB40_59
; %bb.58:
	v_lshl_add_u64 v[30:31], v[62:63], 2, v[36:37]
	flat_load_dword v30, v[30:31]
	s_waitcnt vmcnt(0) lgkmcnt(0)
	v_mul_f32_e32 v32, s15, v30
.LBB40_59:
	v_add_f32_e32 v28, v28, v29
	v_add_f32_e32 v30, v28, v32
	v_lshl_add_u64 v[28:29], v[62:63], 2, v[38:39]
	flat_store_dword v[28:29], v30
	v_mov_b32_e32 v28, 0
	s_and_b64 vcc, exec, s[4:5]
	v_mov_b32_e32 v29, 0
	s_cbranch_vccnz .LBB40_61
; %bb.60:
	v_lshl_add_u64 v[30:31], v[60:61], 2, v[36:37]
	flat_load_dword v29, v[30:31]
	s_waitcnt vmcnt(0) lgkmcnt(0)
	v_mul_f32_e32 v29, s15, v29
.LBB40_61:
	;; [unrolled: 26-line block ×3, first 2 shown]
	v_add_f32_e32 v22, v22, v23
	v_add_f32_e32 v25, v22, v25
	v_lshl_add_u64 v[22:23], v[56:57], 2, v[38:39]
	s_and_b64 vcc, exec, s[4:5]
	flat_store_dword v[22:23], v25
	s_cbranch_vccnz .LBB40_67
; %bb.66:
	v_lshl_add_u64 v[22:23], v[54:55], 2, v[36:37]
	flat_load_dword v22, v[22:23]
	s_waitcnt vmcnt(0) lgkmcnt(0)
	v_mul_f32_e32 v24, s15, v22
.LBB40_67:
	v_add_f32_e32 v20, v20, v21
	v_add_f32_e32 v22, v20, v24
	v_lshl_add_u64 v[20:21], v[54:55], 2, v[38:39]
	flat_store_dword v[20:21], v22
	v_add_u32_e32 v22, 0x60, v72
	v_mad_i64_i32 v[20:21], s[8:9], v22, s10, 0
	v_lshl_add_u64 v[20:21], v[20:21], 2, s[12:13]
	v_mov_b32_e32 v24, 0
	s_and_b64 vcc, exec, s[4:5]
	v_mov_b32_e32 v25, 0
	s_cbranch_vccnz .LBB40_69
; %bb.68:
	v_lshl_add_u64 v[26:27], v[0:1], 2, v[20:21]
	flat_load_dword v23, v[26:27]
	s_waitcnt vmcnt(0) lgkmcnt(0)
	v_mul_f32_e32 v25, s15, v23
.LBB40_69:
	v_mad_i64_i32 v[22:23], s[2:3], v22, s2, 0
	v_lshl_add_u64 v[22:23], v[22:23], 2, s[0:1]
	v_add_f32_e32 v18, v18, v19
	v_add_f32_e32 v18, v18, v25
	v_lshl_add_u64 v[0:1], v[0:1], 2, v[22:23]
	s_and_b64 vcc, exec, s[4:5]
	flat_store_dword v[0:1], v18
	s_cbranch_vccnz .LBB40_71
; %bb.70:
	v_lshl_add_u64 v[0:1], v[2:3], 2, v[20:21]
	flat_load_dword v0, v[0:1]
	s_waitcnt vmcnt(0) lgkmcnt(0)
	v_mul_f32_e32 v24, s15, v0
.LBB40_71:
	v_add_f32_e32 v0, v16, v17
	v_add_f32_e32 v16, v0, v24
	v_lshl_add_u64 v[0:1], v[2:3], 2, v[22:23]
	flat_store_dword v[0:1], v16
	v_mov_b32_e32 v0, 0
	s_and_b64 vcc, exec, s[4:5]
	v_mov_b32_e32 v1, 0
	s_cbranch_vccnz .LBB40_73
; %bb.72:
	v_lshl_add_u64 v[2:3], v[64:65], 2, v[20:21]
	flat_load_dword v1, v[2:3]
	s_waitcnt vmcnt(0) lgkmcnt(0)
	v_mul_f32_e32 v1, s15, v1
.LBB40_73:
	v_add_f32_e32 v2, v14, v15
	v_add_f32_e32 v1, v2, v1
	v_lshl_add_u64 v[2:3], v[64:65], 2, v[22:23]
	s_and_b64 vcc, exec, s[4:5]
	flat_store_dword v[2:3], v1
	s_cbranch_vccnz .LBB40_75
; %bb.74:
	v_lshl_add_u64 v[0:1], v[62:63], 2, v[20:21]
	flat_load_dword v0, v[0:1]
	s_waitcnt vmcnt(0) lgkmcnt(0)
	v_mul_f32_e32 v0, s15, v0
.LBB40_75:
	v_add_f32_e32 v1, v12, v13
	v_add_f32_e32 v2, v1, v0
	v_lshl_add_u64 v[0:1], v[62:63], 2, v[22:23]
	flat_store_dword v[0:1], v2
	v_mov_b32_e32 v0, 0
	s_and_b64 vcc, exec, s[4:5]
	v_mov_b32_e32 v1, 0
	s_cbranch_vccnz .LBB40_77
; %bb.76:
	v_lshl_add_u64 v[2:3], v[60:61], 2, v[20:21]
	flat_load_dword v1, v[2:3]
	s_waitcnt vmcnt(0) lgkmcnt(0)
	v_mul_f32_e32 v1, s15, v1
.LBB40_77:
	v_add_f32_e32 v2, v10, v11
	v_add_f32_e32 v1, v2, v1
	v_lshl_add_u64 v[2:3], v[60:61], 2, v[22:23]
	s_and_b64 vcc, exec, s[4:5]
	flat_store_dword v[2:3], v1
	s_cbranch_vccnz .LBB40_79
; %bb.78:
	v_lshl_add_u64 v[0:1], v[58:59], 2, v[20:21]
	flat_load_dword v0, v[0:1]
	s_waitcnt vmcnt(0) lgkmcnt(0)
	v_mul_f32_e32 v0, s15, v0
.LBB40_79:
	v_add_f32_e32 v1, v8, v9
	v_add_f32_e32 v2, v1, v0
	v_lshl_add_u64 v[0:1], v[58:59], 2, v[22:23]
	flat_store_dword v[0:1], v2
	v_add_f32_e32 v0, v6, v7
	s_mov_b64 s[0:1], -1
	s_mov_b64 vcc, s[6:7]
	s_cbranch_vccz .LBB40_81
; %bb.80:
	v_add_f32_e32 v1, 0, v0
	v_lshl_add_u64 v[2:3], v[56:57], 2, v[22:23]
	flat_store_dword v[2:3], v1
	s_mov_b64 s[0:1], 0
.LBB40_81:
	s_andn2_b64 vcc, exec, s[0:1]
	v_mov_b32_e32 v1, 0
	s_cbranch_vccnz .LBB40_83
; %bb.82:
	v_lshlrev_b64 v[2:3], 2, v[56:57]
	v_lshl_add_u64 v[6:7], v[20:21], 0, v[2:3]
	flat_load_dword v1, v[6:7]
	v_lshl_add_u64 v[2:3], v[22:23], 0, v[2:3]
	s_waitcnt vmcnt(0) lgkmcnt(0)
	v_fmac_f32_e32 v0, s15, v1
	flat_store_dword v[2:3], v0
	v_lshl_add_u64 v[0:1], v[54:55], 2, v[20:21]
	flat_load_dword v0, v[0:1]
	s_waitcnt vmcnt(0) lgkmcnt(0)
	v_mul_f32_e32 v1, s15, v0
.LBB40_83:
	v_add_f32_e32 v0, v4, v5
	v_add_f32_e32 v2, v0, v1
	v_lshl_add_u64 v[0:1], v[54:55], 2, v[22:23]
	flat_store_dword v[0:1], v2
	s_endpgm
	.section	.rodata,"a",@progbits
	.p2align	6, 0x0
	.amdhsa_kernel _ZN12_GLOBAL__N_120geam_min_plus_kernelIf15HIP_vector_typeIfLj2EES2_Li8ELi32ELi64ELi128ELi4ELi64ELi4ELi64ELi4ELc78ELc84ELb1ELb0ELb0EfKPKfKPfEEviiiT16_PT17_ilSA_ilS8_SA_ilPT18_ili26rocblas_geam_ex_operation_
		.amdhsa_group_segment_fixed_size 6144
		.amdhsa_private_segment_fixed_size 0
		.amdhsa_kernarg_size 128
		.amdhsa_user_sgpr_count 2
		.amdhsa_user_sgpr_dispatch_ptr 0
		.amdhsa_user_sgpr_queue_ptr 0
		.amdhsa_user_sgpr_kernarg_segment_ptr 1
		.amdhsa_user_sgpr_dispatch_id 0
		.amdhsa_user_sgpr_kernarg_preload_length 0
		.amdhsa_user_sgpr_kernarg_preload_offset 0
		.amdhsa_user_sgpr_private_segment_size 0
		.amdhsa_uses_dynamic_stack 0
		.amdhsa_enable_private_segment 0
		.amdhsa_system_sgpr_workgroup_id_x 1
		.amdhsa_system_sgpr_workgroup_id_y 0
		.amdhsa_system_sgpr_workgroup_id_z 1
		.amdhsa_system_sgpr_workgroup_info 0
		.amdhsa_system_vgpr_workitem_id 1
		.amdhsa_next_free_vgpr 109
		.amdhsa_next_free_sgpr 25
		.amdhsa_accum_offset 112
		.amdhsa_reserve_vcc 1
		.amdhsa_float_round_mode_32 0
		.amdhsa_float_round_mode_16_64 0
		.amdhsa_float_denorm_mode_32 3
		.amdhsa_float_denorm_mode_16_64 3
		.amdhsa_dx10_clamp 1
		.amdhsa_ieee_mode 1
		.amdhsa_fp16_overflow 0
		.amdhsa_tg_split 0
		.amdhsa_exception_fp_ieee_invalid_op 0
		.amdhsa_exception_fp_denorm_src 0
		.amdhsa_exception_fp_ieee_div_zero 0
		.amdhsa_exception_fp_ieee_overflow 0
		.amdhsa_exception_fp_ieee_underflow 0
		.amdhsa_exception_fp_ieee_inexact 0
		.amdhsa_exception_int_div_zero 0
	.end_amdhsa_kernel
	.section	.text._ZN12_GLOBAL__N_120geam_min_plus_kernelIf15HIP_vector_typeIfLj2EES2_Li8ELi32ELi64ELi128ELi4ELi64ELi4ELi64ELi4ELc78ELc84ELb1ELb0ELb0EfKPKfKPfEEviiiT16_PT17_ilSA_ilS8_SA_ilPT18_ili26rocblas_geam_ex_operation_,"axG",@progbits,_ZN12_GLOBAL__N_120geam_min_plus_kernelIf15HIP_vector_typeIfLj2EES2_Li8ELi32ELi64ELi128ELi4ELi64ELi4ELi64ELi4ELc78ELc84ELb1ELb0ELb0EfKPKfKPfEEviiiT16_PT17_ilSA_ilS8_SA_ilPT18_ili26rocblas_geam_ex_operation_,comdat
.Lfunc_end40:
	.size	_ZN12_GLOBAL__N_120geam_min_plus_kernelIf15HIP_vector_typeIfLj2EES2_Li8ELi32ELi64ELi128ELi4ELi64ELi4ELi64ELi4ELc78ELc84ELb1ELb0ELb0EfKPKfKPfEEviiiT16_PT17_ilSA_ilS8_SA_ilPT18_ili26rocblas_geam_ex_operation_, .Lfunc_end40-_ZN12_GLOBAL__N_120geam_min_plus_kernelIf15HIP_vector_typeIfLj2EES2_Li8ELi32ELi64ELi128ELi4ELi64ELi4ELi64ELi4ELc78ELc84ELb1ELb0ELb0EfKPKfKPfEEviiiT16_PT17_ilSA_ilS8_SA_ilPT18_ili26rocblas_geam_ex_operation_
                                        ; -- End function
	.set _ZN12_GLOBAL__N_120geam_min_plus_kernelIf15HIP_vector_typeIfLj2EES2_Li8ELi32ELi64ELi128ELi4ELi64ELi4ELi64ELi4ELc78ELc84ELb1ELb0ELb0EfKPKfKPfEEviiiT16_PT17_ilSA_ilS8_SA_ilPT18_ili26rocblas_geam_ex_operation_.num_vgpr, 109
	.set _ZN12_GLOBAL__N_120geam_min_plus_kernelIf15HIP_vector_typeIfLj2EES2_Li8ELi32ELi64ELi128ELi4ELi64ELi4ELi64ELi4ELc78ELc84ELb1ELb0ELb0EfKPKfKPfEEviiiT16_PT17_ilSA_ilS8_SA_ilPT18_ili26rocblas_geam_ex_operation_.num_agpr, 0
	.set _ZN12_GLOBAL__N_120geam_min_plus_kernelIf15HIP_vector_typeIfLj2EES2_Li8ELi32ELi64ELi128ELi4ELi64ELi4ELi64ELi4ELc78ELc84ELb1ELb0ELb0EfKPKfKPfEEviiiT16_PT17_ilSA_ilS8_SA_ilPT18_ili26rocblas_geam_ex_operation_.numbered_sgpr, 25
	.set _ZN12_GLOBAL__N_120geam_min_plus_kernelIf15HIP_vector_typeIfLj2EES2_Li8ELi32ELi64ELi128ELi4ELi64ELi4ELi64ELi4ELc78ELc84ELb1ELb0ELb0EfKPKfKPfEEviiiT16_PT17_ilSA_ilS8_SA_ilPT18_ili26rocblas_geam_ex_operation_.num_named_barrier, 0
	.set _ZN12_GLOBAL__N_120geam_min_plus_kernelIf15HIP_vector_typeIfLj2EES2_Li8ELi32ELi64ELi128ELi4ELi64ELi4ELi64ELi4ELc78ELc84ELb1ELb0ELb0EfKPKfKPfEEviiiT16_PT17_ilSA_ilS8_SA_ilPT18_ili26rocblas_geam_ex_operation_.private_seg_size, 0
	.set _ZN12_GLOBAL__N_120geam_min_plus_kernelIf15HIP_vector_typeIfLj2EES2_Li8ELi32ELi64ELi128ELi4ELi64ELi4ELi64ELi4ELc78ELc84ELb1ELb0ELb0EfKPKfKPfEEviiiT16_PT17_ilSA_ilS8_SA_ilPT18_ili26rocblas_geam_ex_operation_.uses_vcc, 1
	.set _ZN12_GLOBAL__N_120geam_min_plus_kernelIf15HIP_vector_typeIfLj2EES2_Li8ELi32ELi64ELi128ELi4ELi64ELi4ELi64ELi4ELc78ELc84ELb1ELb0ELb0EfKPKfKPfEEviiiT16_PT17_ilSA_ilS8_SA_ilPT18_ili26rocblas_geam_ex_operation_.uses_flat_scratch, 0
	.set _ZN12_GLOBAL__N_120geam_min_plus_kernelIf15HIP_vector_typeIfLj2EES2_Li8ELi32ELi64ELi128ELi4ELi64ELi4ELi64ELi4ELc78ELc84ELb1ELb0ELb0EfKPKfKPfEEviiiT16_PT17_ilSA_ilS8_SA_ilPT18_ili26rocblas_geam_ex_operation_.has_dyn_sized_stack, 0
	.set _ZN12_GLOBAL__N_120geam_min_plus_kernelIf15HIP_vector_typeIfLj2EES2_Li8ELi32ELi64ELi128ELi4ELi64ELi4ELi64ELi4ELc78ELc84ELb1ELb0ELb0EfKPKfKPfEEviiiT16_PT17_ilSA_ilS8_SA_ilPT18_ili26rocblas_geam_ex_operation_.has_recursion, 0
	.set _ZN12_GLOBAL__N_120geam_min_plus_kernelIf15HIP_vector_typeIfLj2EES2_Li8ELi32ELi64ELi128ELi4ELi64ELi4ELi64ELi4ELc78ELc84ELb1ELb0ELb0EfKPKfKPfEEviiiT16_PT17_ilSA_ilS8_SA_ilPT18_ili26rocblas_geam_ex_operation_.has_indirect_call, 0
	.section	.AMDGPU.csdata,"",@progbits
; Kernel info:
; codeLenInByte = 6468
; TotalNumSgprs: 31
; NumVgprs: 109
; NumAgprs: 0
; TotalNumVgprs: 109
; ScratchSize: 0
; MemoryBound: 0
; FloatMode: 240
; IeeeMode: 1
; LDSByteSize: 6144 bytes/workgroup (compile time only)
; SGPRBlocks: 3
; VGPRBlocks: 13
; NumSGPRsForWavesPerEU: 31
; NumVGPRsForWavesPerEU: 109
; AccumOffset: 112
; Occupancy: 4
; WaveLimiterHint : 1
; COMPUTE_PGM_RSRC2:SCRATCH_EN: 0
; COMPUTE_PGM_RSRC2:USER_SGPR: 2
; COMPUTE_PGM_RSRC2:TRAP_HANDLER: 0
; COMPUTE_PGM_RSRC2:TGID_X_EN: 1
; COMPUTE_PGM_RSRC2:TGID_Y_EN: 0
; COMPUTE_PGM_RSRC2:TGID_Z_EN: 1
; COMPUTE_PGM_RSRC2:TIDIG_COMP_CNT: 1
; COMPUTE_PGM_RSRC3_GFX90A:ACCUM_OFFSET: 27
; COMPUTE_PGM_RSRC3_GFX90A:TG_SPLIT: 0
	.section	.text._ZN12_GLOBAL__N_120geam_min_plus_kernelIf15HIP_vector_typeIfLj2EES2_Li8ELi32ELi64ELi128ELi4ELi64ELi4ELi64ELi4ELc78ELc84ELb0ELb0ELb0EfKPKfKPfEEviiiT16_PT17_ilSA_ilS8_SA_ilPT18_ili26rocblas_geam_ex_operation_,"axG",@progbits,_ZN12_GLOBAL__N_120geam_min_plus_kernelIf15HIP_vector_typeIfLj2EES2_Li8ELi32ELi64ELi128ELi4ELi64ELi4ELi64ELi4ELc78ELc84ELb0ELb0ELb0EfKPKfKPfEEviiiT16_PT17_ilSA_ilS8_SA_ilPT18_ili26rocblas_geam_ex_operation_,comdat
	.globl	_ZN12_GLOBAL__N_120geam_min_plus_kernelIf15HIP_vector_typeIfLj2EES2_Li8ELi32ELi64ELi128ELi4ELi64ELi4ELi64ELi4ELc78ELc84ELb0ELb0ELb0EfKPKfKPfEEviiiT16_PT17_ilSA_ilS8_SA_ilPT18_ili26rocblas_geam_ex_operation_ ; -- Begin function _ZN12_GLOBAL__N_120geam_min_plus_kernelIf15HIP_vector_typeIfLj2EES2_Li8ELi32ELi64ELi128ELi4ELi64ELi4ELi64ELi4ELc78ELc84ELb0ELb0ELb0EfKPKfKPfEEviiiT16_PT17_ilSA_ilS8_SA_ilPT18_ili26rocblas_geam_ex_operation_
	.p2align	8
	.type	_ZN12_GLOBAL__N_120geam_min_plus_kernelIf15HIP_vector_typeIfLj2EES2_Li8ELi32ELi64ELi128ELi4ELi64ELi4ELi64ELi4ELc78ELc84ELb0ELb0ELb0EfKPKfKPfEEviiiT16_PT17_ilSA_ilS8_SA_ilPT18_ili26rocblas_geam_ex_operation_,@function
_ZN12_GLOBAL__N_120geam_min_plus_kernelIf15HIP_vector_typeIfLj2EES2_Li8ELi32ELi64ELi128ELi4ELi64ELi4ELi64ELi4ELc78ELc84ELb0ELb0ELb0EfKPKfKPfEEviiiT16_PT17_ilSA_ilS8_SA_ilPT18_ili26rocblas_geam_ex_operation_: ; @_ZN12_GLOBAL__N_120geam_min_plus_kernelIf15HIP_vector_typeIfLj2EES2_Li8ELi32ELi64ELi128ELi4ELi64ELi4ELi64ELi4ELc78ELc84ELb0ELb0ELb0EfKPKfKPfEEviiiT16_PT17_ilSA_ilS8_SA_ilPT18_ili26rocblas_geam_ex_operation_
; %bb.0:
	s_load_dwordx2 s[18:19], s[0:1], 0x8
	s_load_dwordx4 s[8:11], s[0:1], 0x20
	s_mov_b32 s12, s3
	s_mov_b32 s13, 0
	s_waitcnt lgkmcnt(0)
	v_cmp_eq_f32_e64 s[6:7], s19, 0
	s_and_b64 s[4:5], exec, s[6:7]
	s_mov_b64 vcc, s[4:5]
	s_cbranch_vccnz .LBB41_3
; %bb.1:
	s_load_dwordx2 s[14:15], s[0:1], 0x10
	s_lshl_b64 s[16:17], s[12:13], 3
	s_waitcnt lgkmcnt(0)
	s_add_u32 s14, s14, s16
	s_addc_u32 s15, s15, s17
	s_load_dwordx2 s[14:15], s[14:15], 0x0
	s_lshl_b64 s[8:9], s[8:9], 2
	s_waitcnt lgkmcnt(0)
	s_add_u32 s20, s14, s8
	s_addc_u32 s21, s15, s9
	s_andn2_b64 vcc, exec, s[6:7]
	s_cbranch_vccnz .LBB41_4
.LBB41_2:
	s_mov_b32 s7, 0
	s_mov_b32 s6, s12
	s_mov_b64 s[16:17], 0
	s_mov_b64 s[22:23], 0
	s_cbranch_execz .LBB41_5
	s_branch .LBB41_6
.LBB41_3:
	s_mov_b64 s[20:21], 0
	s_andn2_b64 vcc, exec, s[6:7]
	s_cbranch_vccz .LBB41_2
.LBB41_4:
	s_mov_b64 s[6:7], s[12:13]
	s_mov_b64 s[16:17], 0
	;; [unrolled: 1-line block ×3, first 2 shown]
.LBB41_5:
	s_lshl_b64 s[12:13], s[12:13], 3
	s_add_u32 s10, s10, s12
	s_load_dwordx2 s[8:9], s[0:1], 0x38
	s_addc_u32 s11, s11, s13
	s_load_dwordx2 s[10:11], s[10:11], 0x0
	s_waitcnt lgkmcnt(0)
	s_lshl_b64 s[8:9], s[8:9], 2
	s_add_u32 s22, s10, s8
	s_addc_u32 s23, s11, s9
.LBB41_6:
	s_load_dword s26, s[0:1], 0x40
	s_load_dwordx4 s[12:15], s[0:1], 0x58
	v_cmp_neq_f32_e64 s[24:25], s19, 0
	s_waitcnt lgkmcnt(0)
	v_cmp_eq_f32_e64 s[8:9], s26, 0
	s_and_b64 s[8:9], exec, s[8:9]
	s_mov_b64 vcc, s[8:9]
	s_cbranch_vccnz .LBB41_8
; %bb.7:
	s_load_dwordx2 s[10:11], s[0:1], 0x48
	s_lshl_b64 s[16:17], s[6:7], 3
	s_waitcnt lgkmcnt(0)
	s_add_u32 s10, s10, s16
	s_addc_u32 s11, s11, s17
	s_load_dwordx2 s[10:11], s[10:11], 0x0
	s_lshl_b64 s[12:13], s[12:13], 2
	s_waitcnt lgkmcnt(0)
	s_add_u32 s16, s10, s12
	s_addc_u32 s17, s11, s13
.LBB41_8:
	s_load_dword s27, s[0:1], 0x18
	s_load_dword s28, s[0:1], 0x30
	;; [unrolled: 1-line block ×3, first 2 shown]
	s_lshl_b64 s[6:7], s[6:7], 3
	v_and_b32_e32 v76, 0x3ff, v0
	s_waitcnt lgkmcnt(0)
	s_ashr_i32 s29, s27, 31
	s_ashr_i32 s30, s28, 31
	s_add_u32 s10, s14, s6
	s_addc_u32 s11, s15, s7
	s_add_i32 s3, s3, -1
	s_ashr_i32 s6, s3, 31
	s_lshr_b32 s6, s6, 26
	s_add_i32 s3, s3, s6
	s_ashr_i32 s3, s3, 6
	s_add_i32 s6, s3, 1
	v_cvt_f32_u32_e32 v1, s6
	s_not_b32 s3, s3
	v_bfe_u32 v77, v0, 10, 10
	v_lshl_add_u32 v0, v77, 3, v76
	v_rcp_iflag_f32_e32 v1, v1
	v_and_b32_e32 v74, 63, v0
	v_lshrrev_b32_e32 v78, 6, v0
	v_cndmask_b32_e64 v0, 0, 1, s[24:25]
	v_mul_f32_e32 v1, 0x4f7ffffe, v1
	v_cvt_u32_f32_e32 v1, v1
	v_mov_b32_e32 v75, 0
	v_mov_b32_e32 v2, 0
	v_readfirstlane_b32 s7, v1
	s_mul_i32 s3, s3, s7
	s_mul_hi_u32 s3, s7, s3
	s_add_i32 s7, s7, s3
	s_mul_hi_u32 s3, s2, s7
	s_mul_i32 s7, s3, s6
	s_sub_i32 s7, s2, s7
	s_add_i32 s12, s3, 1
	s_sub_i32 s13, s7, s6
	s_cmp_ge_u32 s7, s6
	s_cselect_b32 s3, s12, s3
	s_cselect_b32 s7, s13, s7
	s_add_i32 s12, s3, 1
	s_cmp_ge_u32 s7, s6
	s_cselect_b32 s3, s12, s3
	s_mul_i32 s6, s3, s6
	s_sub_i32 s2, s2, s6
	s_lshl_b32 s12, s2, 6
	s_lshl_b32 s13, s3, 7
	v_or_b32_e32 v68, s12, v74
	v_or_b32_e32 v70, s13, v74
	v_cmp_ne_u32_e64 s[6:7], 1, v0
	s_andn2_b64 vcc, exec, s[24:25]
	v_ashrrev_i32_e32 v69, 31, v68
	v_ashrrev_i32_e32 v71, 31, v70
	v_mov_b32_e32 v0, 0
	v_mov_b32_e32 v1, 0
	s_cbranch_vccnz .LBB41_10
; %bb.9:
	v_mad_i64_i32 v[0:1], s[2:3], s27, v78, 0
	v_mad_i64_i32 v[2:3], s[2:3], s28, v78, 0
	v_lshl_add_u64 v[0:1], v[0:1], 2, s[20:21]
	v_lshl_add_u64 v[2:3], v[2:3], 2, s[22:23]
	;; [unrolled: 1-line block ×4, first 2 shown]
	flat_load_dword v0, v[0:1]
	s_nop 0
	flat_load_dword v4, v[2:3]
	flat_load_dword v1, v[2:3] offset:256
	s_mov_b32 s2, s19
	s_waitcnt vmcnt(0) lgkmcnt(0)
	v_mul_f32_e32 v2, s19, v4
	v_pk_mul_f32 v[0:1], s[2:3], v[0:1] op_sel_hi:[0,1]
.LBB41_10:
	s_load_dwordx2 s[2:3], s[10:11], 0x0
	s_and_b64 vcc, exec, s[6:7]
	v_add_u32_e32 v79, 4, v78
	v_mov_b32_e32 v72, 0
	v_mov_b32_e32 v73, 0
	s_cbranch_vccnz .LBB41_12
; %bb.11:
	v_mad_i64_i32 v[4:5], s[6:7], s27, v79, 0
	v_mad_i64_i32 v[6:7], s[6:7], s28, v79, 0
	v_lshl_add_u64 v[4:5], v[4:5], 2, s[20:21]
	v_lshl_add_u64 v[6:7], v[6:7], 2, s[22:23]
	;; [unrolled: 1-line block ×4, first 2 shown]
	flat_load_dword v4, v[4:5]
	s_nop 0
	flat_load_dword v3, v[6:7]
	flat_load_dword v5, v[6:7] offset:256
	s_mov_b32 s6, s19
	s_waitcnt vmcnt(0) lgkmcnt(0)
	v_mul_f32_e32 v75, s19, v3
	v_pk_mul_f32 v[72:73], s[6:7], v[4:5] op_sel_hi:[0,1]
.LBB41_12:
	v_lshlrev_b32_e32 v3, 4, v74
	v_lshl_add_u32 v80, v78, 2, v3
	ds_write_b32 v80, v0 offset:4096
	ds_write2st64_b32 v80, v2, v1 offset1:4
	v_mov_b32_e32 v0, 0x1000
	v_mov_b32_e32 v66, 0
	v_cmp_neq_f32_e64 s[6:7], s26, 0
	v_lshl_add_u32 v81, v76, 4, v0
	s_mov_b32 s14, 0
	s_mov_b64 s[10:11], -1
	v_mov_b32_e32 v67, v66
	v_mov_b32_e32 v64, v66
	;; [unrolled: 1-line block ×63, first 2 shown]
	v_or_b32_e32 v82, 0x1000, v80
	v_lshlrev_b32_e32 v83, 4, v77
	s_waitcnt lgkmcnt(0)
	s_barrier
.LBB41_13:                              ; =>This Inner Loop Header: Depth=1
	v_cndmask_b32_e64 v0, 0, 1, s[10:11]
	s_lshl_b32 s10, s14, 2
	v_cmp_ne_u32_e32 vcc, 1, v0
	v_add_u32_e32 v0, s10, v81
	ds_read2_b64 v[84:87], v0 offset1:16
	ds_read2_b64 v[88:91], v0 offset0:32 offset1:48
	ds_read2_b64 v[92:95], v0 offset0:64 offset1:80
	;; [unrolled: 1-line block ×3, first 2 shown]
	v_add_u32_e32 v0, s10, v83
	ds_read2st64_b64 v[100:103], v0 offset1:1
	ds_read2st64_b64 v[0:3], v0 offset0:2 offset1:3
	s_waitcnt lgkmcnt(5)
	v_max_f32_e32 v104, v84, v84
	v_max_f32_e32 v105, v85, v85
	v_max_f32_e32 v86, v86, v86
	s_waitcnt lgkmcnt(1)
	v_max_f32_e32 v100, v100, v100
	v_max_f32_e32 v101, v101, v101
	v_min_f32_e32 v84, v104, v100
	v_min_f32_e32 v85, v105, v101
	v_max_f32_e32 v87, v87, v87
	v_pk_add_f32 v[66:67], v[84:85], v[66:67]
	v_min_f32_e32 v84, v86, v100
	v_min_f32_e32 v85, v87, v101
	v_max_f32_e32 v88, v88, v88
	v_max_f32_e32 v89, v89, v89
	v_pk_add_f32 v[64:65], v[84:85], v[64:65]
	v_min_f32_e32 v84, v88, v100
	v_min_f32_e32 v85, v89, v101
	v_max_f32_e32 v90, v90, v90
	;; [unrolled: 5-line block ×7, first 2 shown]
	v_max_f32_e32 v101, v103, v103
	v_pk_add_f32 v[52:53], v[84:85], v[52:53]
	v_min_f32_e32 v84, v104, v100
	v_min_f32_e32 v85, v105, v101
	v_pk_add_f32 v[50:51], v[84:85], v[50:51]
	v_min_f32_e32 v84, v86, v100
	v_min_f32_e32 v85, v87, v101
	;; [unrolled: 3-line block ×8, first 2 shown]
	v_pk_add_f32 v[36:37], v[84:85], v[36:37]
	s_waitcnt lgkmcnt(0)
	v_max_f32_e32 v84, v0, v0
	v_max_f32_e32 v85, v1, v1
	v_min_f32_e32 v0, v104, v84
	v_min_f32_e32 v1, v105, v85
	v_pk_add_f32 v[34:35], v[0:1], v[34:35]
	v_min_f32_e32 v0, v86, v84
	v_min_f32_e32 v1, v87, v85
	v_pk_add_f32 v[32:33], v[0:1], v[32:33]
	;; [unrolled: 3-line block ×7, first 2 shown]
	v_min_f32_e32 v0, v98, v84
	v_min_f32_e32 v1, v99, v85
	v_max_f32_e32 v2, v2, v2
	v_max_f32_e32 v3, v3, v3
	v_pk_add_f32 v[20:21], v[0:1], v[20:21]
	v_min_f32_e32 v0, v104, v2
	v_min_f32_e32 v1, v105, v3
	v_pk_add_f32 v[18:19], v[0:1], v[18:19]
	v_min_f32_e32 v0, v86, v2
	v_min_f32_e32 v1, v87, v3
	;; [unrolled: 3-line block ×8, first 2 shown]
	v_pk_add_f32 v[4:5], v[0:1], v[4:5]
	s_mov_b64 s[10:11], 0
	s_mov_b32 s14, 2
	s_cbranch_vccz .LBB41_13
; %bb.14:
	v_lshlrev_b32_e32 v0, 2, v78
	v_lshl_add_u32 v0, v74, 4, v0
	s_cmp_lt_i32 s18, 9
	ds_write_b32 v0, v72 offset:5120
	ds_write2st64_b32 v0, v75, v73 offset0:8 offset1:12
	s_waitcnt lgkmcnt(0)
	s_barrier
	s_cbranch_scc1 .LBB41_29
; %bb.15:
	v_add_u32_e32 v84, 0x1400, v0
	v_or_b32_e32 v85, 0x800, v0
	v_mov_b32_e32 v0, 0x1400
	v_lshl_add_u32 v86, v76, 4, v0
	v_mov_b32_e32 v0, 0x800
	s_add_i32 s14, s18, -8
	v_lshl_add_u64 v[68:69], v[68:69], 2, s[20:21]
	v_lshl_add_u32 v87, v77, 4, v0
	v_lshl_add_u64 v[70:71], v[70:71], 2, s[22:23]
	s_mov_b32 s18, s19
	s_mov_b32 s15, 8
	;; [unrolled: 1-line block ×3, first 2 shown]
.LBB41_16:                              ; =>This Loop Header: Depth=1
                                        ;     Child Loop BB41_21 Depth 2
                                        ;     Child Loop BB41_27 Depth 2
	s_mov_b64 s[10:11], -1
	s_mov_b64 vcc, s[4:5]
                                        ; implicit-def: $vgpr72_vgpr73
	s_cbranch_vccz .LBB41_18
; %bb.17:                               ;   in Loop: Header=BB41_16 Depth=1
	s_mov_b64 s[10:11], 0
	v_mov_b32_e32 v72, 0
.LBB41_18:                              ;   in Loop: Header=BB41_16 Depth=1
	v_mov_b32_e32 v74, 0
	s_andn2_b64 vcc, exec, s[10:11]
	v_mov_b32_e32 v75, 0
	s_cbranch_vccnz .LBB41_20
; %bb.19:                               ;   in Loop: Header=BB41_16 Depth=1
	v_add_u32_e32 v73, s15, v78
	v_mad_u64_u32 v[0:1], s[10:11], v73, s27, 0
	v_mov_b32_e32 v2, v1
	v_mad_u64_u32 v[2:3], s[10:11], v73, s29, v[2:3]
	v_mov_b32_e32 v1, v2
	;; [unrolled: 2-line block ×4, first 2 shown]
	v_lshl_add_u64 v[0:1], v[0:1], 2, v[68:69]
	v_lshl_add_u64 v[2:3], v[2:3], 2, v[70:71]
	flat_load_dword v0, v[0:1]
	s_nop 0
	flat_load_dword v72, v[2:3]
	flat_load_dword v1, v[2:3] offset:256
	s_waitcnt vmcnt(0) lgkmcnt(0)
	v_mul_f32_e32 v72, s19, v72
	v_pk_mul_f32 v[74:75], s[18:19], v[0:1]
.LBB41_20:                              ;   in Loop: Header=BB41_16 Depth=1
	s_mov_b32 s21, 0
	s_mov_b64 s[10:11], -1
.LBB41_21:                              ;   Parent Loop BB41_16 Depth=1
                                        ; =>  This Inner Loop Header: Depth=2
	v_cndmask_b32_e64 v0, 0, 1, s[10:11]
	s_lshl_b32 s10, s21, 2
	v_cmp_ne_u32_e32 vcc, 1, v0
	v_add_u32_e32 v0, s10, v86
	ds_read2_b64 v[88:91], v0 offset1:16
	ds_read2_b64 v[92:95], v0 offset0:32 offset1:48
	ds_read2_b64 v[96:99], v0 offset0:64 offset1:80
	ds_read2_b64 v[100:103], v0 offset0:96 offset1:112
	v_add_u32_e32 v0, s10, v87
	ds_read2st64_b64 v[104:107], v0 offset1:1
	ds_read2st64_b64 v[0:3], v0 offset0:2 offset1:3
	s_waitcnt lgkmcnt(5)
	v_max_f32_e32 v108, v89, v89
	v_max_f32_e32 v90, v90, v90
	;; [unrolled: 1-line block ×3, first 2 shown]
	s_waitcnt lgkmcnt(1)
	v_max_f32_e32 v73, v104, v104
	v_max_f32_e32 v104, v88, v88
	;; [unrolled: 1-line block ×3, first 2 shown]
	v_min_f32_e32 v88, v104, v73
	v_min_f32_e32 v89, v108, v105
	v_pk_add_f32 v[66:67], v[88:89], v[66:67]
	v_min_f32_e32 v88, v90, v73
	v_min_f32_e32 v89, v91, v105
	v_max_f32_e32 v92, v92, v92
	v_max_f32_e32 v93, v93, v93
	v_pk_add_f32 v[64:65], v[88:89], v[64:65]
	v_min_f32_e32 v88, v92, v73
	v_min_f32_e32 v89, v93, v105
	v_max_f32_e32 v94, v94, v94
	v_max_f32_e32 v95, v95, v95
	;; [unrolled: 5-line block ×5, first 2 shown]
	v_pk_add_f32 v[56:57], v[88:89], v[56:57]
	v_min_f32_e32 v88, v100, v73
	v_min_f32_e32 v89, v101, v105
	v_max_f32_e32 v102, v102, v102
	v_pk_add_f32 v[54:55], v[88:89], v[54:55]
	v_min_f32_e32 v88, v102, v73
	v_max_f32_e32 v73, v103, v103
	v_min_f32_e32 v89, v73, v105
	v_max_f32_e32 v103, v106, v106
	v_max_f32_e32 v105, v107, v107
	v_pk_add_f32 v[52:53], v[88:89], v[52:53]
	v_min_f32_e32 v88, v104, v103
	v_min_f32_e32 v89, v108, v105
	v_pk_add_f32 v[50:51], v[88:89], v[50:51]
	v_min_f32_e32 v88, v90, v103
	v_min_f32_e32 v89, v91, v105
	;; [unrolled: 3-line block ×8, first 2 shown]
	v_pk_add_f32 v[36:37], v[88:89], v[36:37]
	s_waitcnt lgkmcnt(0)
	v_max_f32_e32 v88, v0, v0
	v_max_f32_e32 v89, v1, v1
	v_min_f32_e32 v0, v104, v88
	v_min_f32_e32 v1, v108, v89
	v_pk_add_f32 v[34:35], v[0:1], v[34:35]
	v_min_f32_e32 v0, v90, v88
	v_min_f32_e32 v1, v91, v89
	v_pk_add_f32 v[32:33], v[0:1], v[32:33]
	;; [unrolled: 3-line block ×7, first 2 shown]
	v_min_f32_e32 v0, v102, v88
	v_min_f32_e32 v1, v73, v89
	v_max_f32_e32 v2, v2, v2
	v_max_f32_e32 v3, v3, v3
	v_pk_add_f32 v[20:21], v[0:1], v[20:21]
	v_min_f32_e32 v0, v104, v2
	v_min_f32_e32 v1, v108, v3
	v_pk_add_f32 v[18:19], v[0:1], v[18:19]
	v_min_f32_e32 v0, v90, v2
	v_min_f32_e32 v1, v91, v3
	;; [unrolled: 3-line block ×8, first 2 shown]
	v_pk_add_f32 v[4:5], v[0:1], v[4:5]
	s_mov_b64 s[10:11], 0
	s_mov_b32 s21, 2
	s_cbranch_vccz .LBB41_21
; %bb.22:                               ;   in Loop: Header=BB41_16 Depth=1
	s_mov_b64 s[10:11], -1
	s_mov_b64 vcc, s[4:5]
	ds_write_b32 v82, v74
	ds_write2st64_b32 v80, v72, v75 offset1:4
	s_waitcnt lgkmcnt(0)
	s_barrier
                                        ; implicit-def: $vgpr72_vgpr73
	s_cbranch_vccz .LBB41_24
; %bb.23:                               ;   in Loop: Header=BB41_16 Depth=1
	s_mov_b64 s[10:11], 0
	v_mov_b32_e32 v72, 0
.LBB41_24:                              ;   in Loop: Header=BB41_16 Depth=1
	v_mov_b32_e32 v74, 0
	s_andn2_b64 vcc, exec, s[10:11]
	v_mov_b32_e32 v75, 0
	s_cbranch_vccnz .LBB41_26
; %bb.25:                               ;   in Loop: Header=BB41_16 Depth=1
	v_add_u32_e32 v73, s15, v79
	v_mad_u64_u32 v[0:1], s[10:11], v73, s27, 0
	v_mov_b32_e32 v2, v1
	v_mad_u64_u32 v[2:3], s[10:11], v73, s29, v[2:3]
	v_mov_b32_e32 v1, v2
	;; [unrolled: 2-line block ×4, first 2 shown]
	v_lshl_add_u64 v[0:1], v[0:1], 2, v[68:69]
	v_lshl_add_u64 v[2:3], v[2:3], 2, v[70:71]
	flat_load_dword v0, v[0:1]
	s_nop 0
	flat_load_dword v72, v[2:3]
	flat_load_dword v1, v[2:3] offset:256
	s_waitcnt vmcnt(0) lgkmcnt(0)
	v_mul_f32_e32 v72, s19, v72
	v_pk_mul_f32 v[74:75], s[18:19], v[0:1]
.LBB41_26:                              ;   in Loop: Header=BB41_16 Depth=1
	s_mov_b32 s21, 0
	s_mov_b64 s[10:11], -1
.LBB41_27:                              ;   Parent Loop BB41_16 Depth=1
                                        ; =>  This Inner Loop Header: Depth=2
	v_cndmask_b32_e64 v0, 0, 1, s[10:11]
	s_lshl_b32 s10, s21, 2
	v_cmp_ne_u32_e32 vcc, 1, v0
	v_add_u32_e32 v0, s10, v81
	ds_read2_b64 v[88:91], v0 offset1:16
	ds_read2_b64 v[92:95], v0 offset0:32 offset1:48
	ds_read2_b64 v[96:99], v0 offset0:64 offset1:80
	;; [unrolled: 1-line block ×3, first 2 shown]
	v_add_u32_e32 v0, s10, v83
	ds_read2st64_b64 v[104:107], v0 offset1:1
	ds_read2st64_b64 v[0:3], v0 offset0:2 offset1:3
	s_waitcnt lgkmcnt(5)
	v_max_f32_e32 v108, v89, v89
	v_max_f32_e32 v90, v90, v90
	;; [unrolled: 1-line block ×3, first 2 shown]
	s_waitcnt lgkmcnt(1)
	v_max_f32_e32 v73, v104, v104
	v_max_f32_e32 v104, v88, v88
	;; [unrolled: 1-line block ×3, first 2 shown]
	v_min_f32_e32 v88, v104, v73
	v_min_f32_e32 v89, v108, v105
	v_pk_add_f32 v[66:67], v[88:89], v[66:67]
	v_min_f32_e32 v88, v90, v73
	v_min_f32_e32 v89, v91, v105
	v_max_f32_e32 v92, v92, v92
	v_max_f32_e32 v93, v93, v93
	v_pk_add_f32 v[64:65], v[88:89], v[64:65]
	v_min_f32_e32 v88, v92, v73
	v_min_f32_e32 v89, v93, v105
	v_max_f32_e32 v94, v94, v94
	v_max_f32_e32 v95, v95, v95
	v_pk_add_f32 v[62:63], v[88:89], v[62:63]
	v_min_f32_e32 v88, v94, v73
	v_min_f32_e32 v89, v95, v105
	v_max_f32_e32 v96, v96, v96
	v_max_f32_e32 v97, v97, v97
	v_pk_add_f32 v[60:61], v[88:89], v[60:61]
	v_min_f32_e32 v88, v96, v73
	v_min_f32_e32 v89, v97, v105
	v_max_f32_e32 v98, v98, v98
	v_max_f32_e32 v99, v99, v99
	v_pk_add_f32 v[58:59], v[88:89], v[58:59]
	v_min_f32_e32 v88, v98, v73
	v_min_f32_e32 v89, v99, v105
	v_max_f32_e32 v100, v100, v100
	v_max_f32_e32 v101, v101, v101
	v_pk_add_f32 v[56:57], v[88:89], v[56:57]
	v_min_f32_e32 v88, v100, v73
	v_min_f32_e32 v89, v101, v105
	v_max_f32_e32 v102, v102, v102
	v_pk_add_f32 v[54:55], v[88:89], v[54:55]
	v_min_f32_e32 v88, v102, v73
	v_max_f32_e32 v73, v103, v103
	v_min_f32_e32 v89, v73, v105
	v_max_f32_e32 v103, v106, v106
	v_max_f32_e32 v105, v107, v107
	v_pk_add_f32 v[52:53], v[88:89], v[52:53]
	v_min_f32_e32 v88, v104, v103
	v_min_f32_e32 v89, v108, v105
	v_pk_add_f32 v[50:51], v[88:89], v[50:51]
	v_min_f32_e32 v88, v90, v103
	v_min_f32_e32 v89, v91, v105
	v_pk_add_f32 v[48:49], v[88:89], v[48:49]
	v_min_f32_e32 v88, v92, v103
	v_min_f32_e32 v89, v93, v105
	v_pk_add_f32 v[46:47], v[88:89], v[46:47]
	v_min_f32_e32 v88, v94, v103
	v_min_f32_e32 v89, v95, v105
	v_pk_add_f32 v[44:45], v[88:89], v[44:45]
	v_min_f32_e32 v88, v96, v103
	v_min_f32_e32 v89, v97, v105
	v_pk_add_f32 v[42:43], v[88:89], v[42:43]
	v_min_f32_e32 v88, v98, v103
	v_min_f32_e32 v89, v99, v105
	v_pk_add_f32 v[40:41], v[88:89], v[40:41]
	v_min_f32_e32 v88, v100, v103
	v_min_f32_e32 v89, v101, v105
	v_pk_add_f32 v[38:39], v[88:89], v[38:39]
	v_min_f32_e32 v88, v102, v103
	v_min_f32_e32 v89, v73, v105
	v_pk_add_f32 v[36:37], v[88:89], v[36:37]
	s_waitcnt lgkmcnt(0)
	v_max_f32_e32 v88, v0, v0
	v_max_f32_e32 v89, v1, v1
	v_min_f32_e32 v0, v104, v88
	v_min_f32_e32 v1, v108, v89
	v_pk_add_f32 v[34:35], v[0:1], v[34:35]
	v_min_f32_e32 v0, v90, v88
	v_min_f32_e32 v1, v91, v89
	v_pk_add_f32 v[32:33], v[0:1], v[32:33]
	;; [unrolled: 3-line block ×7, first 2 shown]
	v_min_f32_e32 v0, v102, v88
	v_min_f32_e32 v1, v73, v89
	v_max_f32_e32 v2, v2, v2
	v_max_f32_e32 v3, v3, v3
	v_pk_add_f32 v[20:21], v[0:1], v[20:21]
	v_min_f32_e32 v0, v104, v2
	v_min_f32_e32 v1, v108, v3
	v_pk_add_f32 v[18:19], v[0:1], v[18:19]
	v_min_f32_e32 v0, v90, v2
	v_min_f32_e32 v1, v91, v3
	v_pk_add_f32 v[16:17], v[0:1], v[16:17]
	v_min_f32_e32 v0, v92, v2
	v_min_f32_e32 v1, v93, v3
	v_pk_add_f32 v[14:15], v[0:1], v[14:15]
	v_min_f32_e32 v0, v94, v2
	v_min_f32_e32 v1, v95, v3
	v_pk_add_f32 v[12:13], v[0:1], v[12:13]
	v_min_f32_e32 v0, v96, v2
	v_min_f32_e32 v1, v97, v3
	v_pk_add_f32 v[10:11], v[0:1], v[10:11]
	v_min_f32_e32 v0, v98, v2
	v_min_f32_e32 v1, v99, v3
	v_pk_add_f32 v[8:9], v[0:1], v[8:9]
	v_min_f32_e32 v0, v100, v2
	v_min_f32_e32 v1, v101, v3
	v_pk_add_f32 v[6:7], v[0:1], v[6:7]
	v_min_f32_e32 v0, v102, v2
	v_min_f32_e32 v1, v73, v3
	v_pk_add_f32 v[4:5], v[0:1], v[4:5]
	s_mov_b64 s[10:11], 0
	s_mov_b32 s21, 2
	s_cbranch_vccz .LBB41_27
; %bb.28:                               ;   in Loop: Header=BB41_16 Depth=1
	s_add_i32 s15, s15, 8
	s_add_i32 s20, s20, 8
	s_cmp_ge_i32 s20, s14
	ds_write_b32 v84, v74
	ds_write2st64_b32 v85, v72, v75 offset1:4
	s_waitcnt lgkmcnt(0)
	s_barrier
	s_cbranch_scc0 .LBB41_16
.LBB41_29:
	v_mov_b32_e32 v0, 0x1400
	v_lshl_add_u32 v68, v76, 4, v0
	v_mov_b32_e32 v0, 0x800
	v_lshl_add_u32 v69, v77, 4, v0
	s_mov_b32 s10, 0
	s_mov_b64 s[4:5], -1
.LBB41_30:                              ; =>This Inner Loop Header: Depth=1
	v_cndmask_b32_e64 v0, 0, 1, s[4:5]
	s_lshl_b32 s4, s10, 2
	v_cmp_ne_u32_e32 vcc, 1, v0
	v_add_u32_e32 v0, s4, v68
	ds_read2_b64 v[70:73], v0 offset1:16
	ds_read2_b64 v[78:81], v0 offset0:32 offset1:48
	ds_read2_b64 v[82:85], v0 offset0:64 offset1:80
	;; [unrolled: 1-line block ×3, first 2 shown]
	v_add_u32_e32 v0, s4, v69
	ds_read2st64_b64 v[90:93], v0 offset1:1
	ds_read2st64_b64 v[0:3], v0 offset0:2 offset1:3
	s_waitcnt lgkmcnt(5)
	v_max_f32_e32 v75, v70, v70
	v_max_f32_e32 v72, v72, v72
	;; [unrolled: 1-line block ×3, first 2 shown]
	s_waitcnt lgkmcnt(1)
	v_max_f32_e32 v74, v90, v90
	v_max_f32_e32 v90, v91, v91
	;; [unrolled: 1-line block ×3, first 2 shown]
	v_min_f32_e32 v70, v75, v74
	v_min_f32_e32 v71, v91, v90
	v_pk_add_f32 v[66:67], v[70:71], v[66:67]
	v_min_f32_e32 v70, v72, v74
	v_min_f32_e32 v71, v73, v90
	v_max_f32_e32 v78, v78, v78
	v_max_f32_e32 v79, v79, v79
	v_pk_add_f32 v[64:65], v[70:71], v[64:65]
	v_min_f32_e32 v70, v78, v74
	v_min_f32_e32 v71, v79, v90
	v_max_f32_e32 v80, v80, v80
	v_max_f32_e32 v81, v81, v81
	;; [unrolled: 5-line block ×5, first 2 shown]
	v_pk_add_f32 v[56:57], v[70:71], v[56:57]
	v_min_f32_e32 v70, v86, v74
	v_min_f32_e32 v71, v87, v90
	v_max_f32_e32 v88, v88, v88
	v_pk_add_f32 v[54:55], v[70:71], v[54:55]
	v_min_f32_e32 v70, v88, v74
	v_max_f32_e32 v74, v89, v89
	v_min_f32_e32 v71, v74, v90
	v_max_f32_e32 v89, v92, v92
	v_max_f32_e32 v90, v93, v93
	v_pk_add_f32 v[52:53], v[70:71], v[52:53]
	v_min_f32_e32 v70, v75, v89
	v_min_f32_e32 v71, v91, v90
	v_pk_add_f32 v[50:51], v[70:71], v[50:51]
	v_min_f32_e32 v70, v72, v89
	v_min_f32_e32 v71, v73, v90
	;; [unrolled: 3-line block ×8, first 2 shown]
	v_pk_add_f32 v[36:37], v[70:71], v[36:37]
	s_waitcnt lgkmcnt(0)
	v_max_f32_e32 v70, v0, v0
	v_max_f32_e32 v71, v1, v1
	v_min_f32_e32 v0, v75, v70
	v_min_f32_e32 v1, v91, v71
	v_pk_add_f32 v[34:35], v[0:1], v[34:35]
	v_min_f32_e32 v0, v72, v70
	v_min_f32_e32 v1, v73, v71
	v_pk_add_f32 v[32:33], v[0:1], v[32:33]
	;; [unrolled: 3-line block ×7, first 2 shown]
	v_min_f32_e32 v0, v88, v70
	v_min_f32_e32 v1, v74, v71
	v_max_f32_e32 v2, v2, v2
	v_max_f32_e32 v3, v3, v3
	v_pk_add_f32 v[20:21], v[0:1], v[20:21]
	v_min_f32_e32 v0, v75, v2
	v_min_f32_e32 v1, v91, v3
	v_pk_add_f32 v[18:19], v[0:1], v[18:19]
	v_min_f32_e32 v0, v72, v2
	v_min_f32_e32 v1, v73, v3
	;; [unrolled: 3-line block ×8, first 2 shown]
	v_pk_add_f32 v[4:5], v[0:1], v[4:5]
	s_mov_b64 s[4:5], 0
	s_mov_b32 s10, 2
	s_cbranch_vccz .LBB41_30
; %bb.31:
	s_load_dword s10, s[0:1], 0x50
	v_add_u32_e32 v72, s13, v77
	v_add_u32_e32 v0, s12, v76
	v_ashrrev_i32_e32 v1, 31, v0
	v_mov_b32_e32 v73, 0
	s_waitcnt lgkmcnt(0)
	v_mad_i64_i32 v[2:3], s[4:5], v72, s10, 0
	v_lshl_add_u64 v[68:69], v[2:3], 2, s[16:17]
	v_cndmask_b32_e64 v2, 0, 1, s[6:7]
	v_cmp_ne_u32_e64 s[4:5], 1, v2
	s_andn2_b64 vcc, exec, s[6:7]
	v_mov_b32_e32 v74, 0
	s_cbranch_vccnz .LBB41_33
; %bb.32:
	v_lshl_add_u64 v[2:3], v[0:1], 2, v[68:69]
	flat_load_dword v2, v[2:3]
	s_waitcnt vmcnt(0) lgkmcnt(0)
	v_mul_f32_e32 v74, s26, v2
.LBB41_33:
	s_load_dwordx2 s[12:13], s[0:1], 0x70
	s_load_dword s6, s[0:1], 0x68
	v_add_u32_e32 v2, 8, v0
	v_add_f32_e32 v66, v66, v67
	v_ashrrev_i32_e32 v3, 31, v2
	s_waitcnt lgkmcnt(0)
	s_lshl_b64 s[0:1], s[12:13], 2
	s_add_u32 s0, s2, s0
	s_addc_u32 s1, s3, s1
	v_mad_i64_i32 v[70:71], s[2:3], v72, s6, 0
	v_lshl_add_u64 v[70:71], v[70:71], 2, s[0:1]
	v_add_f32_e32 v74, v66, v74
	v_lshl_add_u64 v[66:67], v[0:1], 2, v[70:71]
	s_and_b64 vcc, exec, s[4:5]
	flat_store_dword v[66:67], v74
	s_cbranch_vccnz .LBB41_35
; %bb.34:
	v_lshl_add_u64 v[66:67], v[2:3], 2, v[68:69]
	flat_load_dword v66, v[66:67]
	s_waitcnt vmcnt(0) lgkmcnt(0)
	v_mul_f32_e32 v73, s26, v66
.LBB41_35:
	v_add_f32_e32 v66, v64, v65
	v_add_u32_e32 v64, 16, v0
	v_add_f32_e32 v73, v66, v73
	v_lshl_add_u64 v[66:67], v[2:3], 2, v[70:71]
	v_ashrrev_i32_e32 v65, 31, v64
	flat_store_dword v[66:67], v73
	v_mov_b32_e32 v66, 0
	s_and_b64 vcc, exec, s[4:5]
	v_mov_b32_e32 v67, 0
	s_cbranch_vccnz .LBB41_37
; %bb.36:
	v_lshl_add_u64 v[74:75], v[64:65], 2, v[68:69]
	flat_load_dword v67, v[74:75]
	s_waitcnt vmcnt(0) lgkmcnt(0)
	v_mul_f32_e32 v67, s26, v67
.LBB41_37:
	v_add_f32_e32 v73, v62, v63
	v_add_u32_e32 v62, 24, v0
	v_ashrrev_i32_e32 v63, 31, v62
	v_add_f32_e32 v67, v73, v67
	v_lshl_add_u64 v[74:75], v[64:65], 2, v[70:71]
	s_and_b64 vcc, exec, s[4:5]
	flat_store_dword v[74:75], v67
	s_cbranch_vccnz .LBB41_39
; %bb.38:
	v_lshl_add_u64 v[66:67], v[62:63], 2, v[68:69]
	flat_load_dword v66, v[66:67]
	s_waitcnt vmcnt(0) lgkmcnt(0)
	v_mul_f32_e32 v66, s26, v66
.LBB41_39:
	v_add_f32_e32 v67, v60, v61
	v_add_u32_e32 v60, 32, v0
	v_add_f32_e32 v73, v67, v66
	v_lshl_add_u64 v[66:67], v[62:63], 2, v[70:71]
	v_ashrrev_i32_e32 v61, 31, v60
	flat_store_dword v[66:67], v73
	v_mov_b32_e32 v66, 0
	s_and_b64 vcc, exec, s[4:5]
	v_mov_b32_e32 v67, 0
	s_cbranch_vccnz .LBB41_41
; %bb.40:
	v_lshl_add_u64 v[74:75], v[60:61], 2, v[68:69]
	flat_load_dword v67, v[74:75]
	s_waitcnt vmcnt(0) lgkmcnt(0)
	v_mul_f32_e32 v67, s26, v67
.LBB41_41:
	v_add_f32_e32 v73, v58, v59
	v_add_u32_e32 v58, 40, v0
	v_ashrrev_i32_e32 v59, 31, v58
	;; [unrolled: 30-line block ×3, first 2 shown]
	v_add_f32_e32 v67, v73, v67
	v_lshl_add_u64 v[74:75], v[56:57], 2, v[70:71]
	s_and_b64 vcc, exec, s[4:5]
	flat_store_dword v[74:75], v67
	s_cbranch_vccnz .LBB41_47
; %bb.46:
	v_lshl_add_u64 v[66:67], v[54:55], 2, v[68:69]
	flat_load_dword v66, v[66:67]
	s_waitcnt vmcnt(0) lgkmcnt(0)
	v_mul_f32_e32 v66, s26, v66
.LBB41_47:
	v_add_f32_e32 v52, v52, v53
	v_add_f32_e32 v66, v52, v66
	v_lshl_add_u64 v[52:53], v[54:55], 2, v[70:71]
	flat_store_dword v[52:53], v66
	v_add_u32_e32 v66, 32, v72
	v_mad_i64_i32 v[52:53], s[2:3], v66, s10, 0
	v_lshl_add_u64 v[52:53], v[52:53], 2, s[16:17]
	v_mov_b32_e32 v68, 0
	s_and_b64 vcc, exec, s[4:5]
	v_mov_b32_e32 v69, 0
	s_cbranch_vccnz .LBB41_49
; %bb.48:
	v_lshl_add_u64 v[70:71], v[0:1], 2, v[52:53]
	flat_load_dword v67, v[70:71]
	s_waitcnt vmcnt(0) lgkmcnt(0)
	v_mul_f32_e32 v69, s26, v67
.LBB41_49:
	v_mad_i64_i32 v[66:67], s[2:3], v66, s6, 0
	v_lshl_add_u64 v[66:67], v[66:67], 2, s[0:1]
	v_add_f32_e32 v50, v50, v51
	v_add_f32_e32 v69, v50, v69
	v_lshl_add_u64 v[50:51], v[0:1], 2, v[66:67]
	s_and_b64 vcc, exec, s[4:5]
	flat_store_dword v[50:51], v69
	s_cbranch_vccnz .LBB41_51
; %bb.50:
	v_lshl_add_u64 v[50:51], v[2:3], 2, v[52:53]
	flat_load_dword v50, v[50:51]
	s_waitcnt vmcnt(0) lgkmcnt(0)
	v_mul_f32_e32 v68, s26, v50
.LBB41_51:
	v_add_f32_e32 v48, v48, v49
	v_add_f32_e32 v50, v48, v68
	v_lshl_add_u64 v[48:49], v[2:3], 2, v[66:67]
	flat_store_dword v[48:49], v50
	v_mov_b32_e32 v48, 0
	s_and_b64 vcc, exec, s[4:5]
	v_mov_b32_e32 v49, 0
	s_cbranch_vccnz .LBB41_53
; %bb.52:
	v_lshl_add_u64 v[50:51], v[64:65], 2, v[52:53]
	flat_load_dword v49, v[50:51]
	s_waitcnt vmcnt(0) lgkmcnt(0)
	v_mul_f32_e32 v49, s26, v49
.LBB41_53:
	v_add_f32_e32 v46, v46, v47
	v_add_f32_e32 v49, v46, v49
	v_lshl_add_u64 v[46:47], v[64:65], 2, v[66:67]
	s_and_b64 vcc, exec, s[4:5]
	flat_store_dword v[46:47], v49
	s_cbranch_vccnz .LBB41_55
; %bb.54:
	v_lshl_add_u64 v[46:47], v[62:63], 2, v[52:53]
	flat_load_dword v46, v[46:47]
	s_waitcnt vmcnt(0) lgkmcnt(0)
	v_mul_f32_e32 v48, s26, v46
.LBB41_55:
	v_add_f32_e32 v44, v44, v45
	v_add_f32_e32 v46, v44, v48
	v_lshl_add_u64 v[44:45], v[62:63], 2, v[66:67]
	flat_store_dword v[44:45], v46
	v_mov_b32_e32 v44, 0
	s_and_b64 vcc, exec, s[4:5]
	v_mov_b32_e32 v45, 0
	s_cbranch_vccnz .LBB41_57
; %bb.56:
	v_lshl_add_u64 v[46:47], v[60:61], 2, v[52:53]
	flat_load_dword v45, v[46:47]
	s_waitcnt vmcnt(0) lgkmcnt(0)
	v_mul_f32_e32 v45, s26, v45
.LBB41_57:
	;; [unrolled: 26-line block ×3, first 2 shown]
	v_add_f32_e32 v38, v38, v39
	v_add_f32_e32 v41, v38, v41
	v_lshl_add_u64 v[38:39], v[56:57], 2, v[66:67]
	s_and_b64 vcc, exec, s[4:5]
	flat_store_dword v[38:39], v41
	s_cbranch_vccnz .LBB41_63
; %bb.62:
	v_lshl_add_u64 v[38:39], v[54:55], 2, v[52:53]
	flat_load_dword v38, v[38:39]
	s_waitcnt vmcnt(0) lgkmcnt(0)
	v_mul_f32_e32 v40, s26, v38
.LBB41_63:
	v_add_f32_e32 v36, v36, v37
	v_add_f32_e32 v38, v36, v40
	v_lshl_add_u64 v[36:37], v[54:55], 2, v[66:67]
	flat_store_dword v[36:37], v38
	v_add_u32_e32 v38, 64, v72
	v_mad_i64_i32 v[36:37], s[2:3], v38, s10, 0
	v_lshl_add_u64 v[36:37], v[36:37], 2, s[16:17]
	v_mov_b32_e32 v40, 0
	s_and_b64 vcc, exec, s[4:5]
	v_mov_b32_e32 v41, 0
	s_cbranch_vccnz .LBB41_65
; %bb.64:
	v_lshl_add_u64 v[42:43], v[0:1], 2, v[36:37]
	flat_load_dword v39, v[42:43]
	s_waitcnt vmcnt(0) lgkmcnt(0)
	v_mul_f32_e32 v41, s26, v39
.LBB41_65:
	v_mad_i64_i32 v[38:39], s[2:3], v38, s6, 0
	v_lshl_add_u64 v[38:39], v[38:39], 2, s[0:1]
	v_add_f32_e32 v34, v34, v35
	v_add_f32_e32 v41, v34, v41
	v_lshl_add_u64 v[34:35], v[0:1], 2, v[38:39]
	s_and_b64 vcc, exec, s[4:5]
	flat_store_dword v[34:35], v41
	s_cbranch_vccnz .LBB41_67
; %bb.66:
	v_lshl_add_u64 v[34:35], v[2:3], 2, v[36:37]
	flat_load_dword v34, v[34:35]
	s_waitcnt vmcnt(0) lgkmcnt(0)
	v_mul_f32_e32 v40, s26, v34
.LBB41_67:
	v_add_f32_e32 v32, v32, v33
	v_add_f32_e32 v34, v32, v40
	v_lshl_add_u64 v[32:33], v[2:3], 2, v[38:39]
	flat_store_dword v[32:33], v34
	v_mov_b32_e32 v32, 0
	s_and_b64 vcc, exec, s[4:5]
	v_mov_b32_e32 v33, 0
	s_cbranch_vccnz .LBB41_69
; %bb.68:
	v_lshl_add_u64 v[34:35], v[64:65], 2, v[36:37]
	flat_load_dword v33, v[34:35]
	s_waitcnt vmcnt(0) lgkmcnt(0)
	v_mul_f32_e32 v33, s26, v33
.LBB41_69:
	v_add_f32_e32 v30, v30, v31
	v_add_f32_e32 v33, v30, v33
	v_lshl_add_u64 v[30:31], v[64:65], 2, v[38:39]
	s_and_b64 vcc, exec, s[4:5]
	flat_store_dword v[30:31], v33
	s_cbranch_vccnz .LBB41_71
; %bb.70:
	v_lshl_add_u64 v[30:31], v[62:63], 2, v[36:37]
	flat_load_dword v30, v[30:31]
	s_waitcnt vmcnt(0) lgkmcnt(0)
	v_mul_f32_e32 v32, s26, v30
.LBB41_71:
	v_add_f32_e32 v28, v28, v29
	v_add_f32_e32 v30, v28, v32
	v_lshl_add_u64 v[28:29], v[62:63], 2, v[38:39]
	flat_store_dword v[28:29], v30
	v_mov_b32_e32 v28, 0
	s_and_b64 vcc, exec, s[4:5]
	v_mov_b32_e32 v29, 0
	s_cbranch_vccnz .LBB41_73
; %bb.72:
	v_lshl_add_u64 v[30:31], v[60:61], 2, v[36:37]
	flat_load_dword v29, v[30:31]
	s_waitcnt vmcnt(0) lgkmcnt(0)
	v_mul_f32_e32 v29, s26, v29
.LBB41_73:
	;; [unrolled: 26-line block ×3, first 2 shown]
	v_add_f32_e32 v22, v22, v23
	v_add_f32_e32 v25, v22, v25
	v_lshl_add_u64 v[22:23], v[56:57], 2, v[38:39]
	s_and_b64 vcc, exec, s[4:5]
	flat_store_dword v[22:23], v25
	s_cbranch_vccnz .LBB41_79
; %bb.78:
	v_lshl_add_u64 v[22:23], v[54:55], 2, v[36:37]
	flat_load_dword v22, v[22:23]
	s_waitcnt vmcnt(0) lgkmcnt(0)
	v_mul_f32_e32 v24, s26, v22
.LBB41_79:
	v_add_f32_e32 v20, v20, v21
	v_add_f32_e32 v22, v20, v24
	v_lshl_add_u64 v[20:21], v[54:55], 2, v[38:39]
	flat_store_dword v[20:21], v22
	v_add_u32_e32 v22, 0x60, v72
	v_mad_i64_i32 v[20:21], s[2:3], v22, s10, 0
	v_lshl_add_u64 v[20:21], v[20:21], 2, s[16:17]
	v_mov_b32_e32 v24, 0
	s_and_b64 vcc, exec, s[4:5]
	v_mov_b32_e32 v25, 0
	s_cbranch_vccnz .LBB41_81
; %bb.80:
	v_lshl_add_u64 v[26:27], v[0:1], 2, v[20:21]
	flat_load_dword v23, v[26:27]
	s_waitcnt vmcnt(0) lgkmcnt(0)
	v_mul_f32_e32 v25, s26, v23
.LBB41_81:
	v_mad_i64_i32 v[22:23], s[2:3], v22, s6, 0
	v_lshl_add_u64 v[22:23], v[22:23], 2, s[0:1]
	v_add_f32_e32 v18, v18, v19
	v_add_f32_e32 v18, v18, v25
	v_lshl_add_u64 v[0:1], v[0:1], 2, v[22:23]
	s_and_b64 vcc, exec, s[4:5]
	flat_store_dword v[0:1], v18
	s_cbranch_vccnz .LBB41_83
; %bb.82:
	v_lshl_add_u64 v[0:1], v[2:3], 2, v[20:21]
	flat_load_dword v0, v[0:1]
	s_waitcnt vmcnt(0) lgkmcnt(0)
	v_mul_f32_e32 v24, s26, v0
.LBB41_83:
	v_add_f32_e32 v0, v16, v17
	v_add_f32_e32 v16, v0, v24
	v_lshl_add_u64 v[0:1], v[2:3], 2, v[22:23]
	flat_store_dword v[0:1], v16
	v_mov_b32_e32 v0, 0
	s_and_b64 vcc, exec, s[4:5]
	v_mov_b32_e32 v1, 0
	s_cbranch_vccnz .LBB41_85
; %bb.84:
	v_lshl_add_u64 v[2:3], v[64:65], 2, v[20:21]
	flat_load_dword v1, v[2:3]
	s_waitcnt vmcnt(0) lgkmcnt(0)
	v_mul_f32_e32 v1, s26, v1
.LBB41_85:
	v_add_f32_e32 v2, v14, v15
	v_add_f32_e32 v1, v2, v1
	v_lshl_add_u64 v[2:3], v[64:65], 2, v[22:23]
	s_and_b64 vcc, exec, s[4:5]
	flat_store_dword v[2:3], v1
	s_cbranch_vccnz .LBB41_87
; %bb.86:
	v_lshl_add_u64 v[0:1], v[62:63], 2, v[20:21]
	flat_load_dword v0, v[0:1]
	s_waitcnt vmcnt(0) lgkmcnt(0)
	v_mul_f32_e32 v0, s26, v0
.LBB41_87:
	v_add_f32_e32 v1, v12, v13
	v_add_f32_e32 v2, v1, v0
	v_lshl_add_u64 v[0:1], v[62:63], 2, v[22:23]
	flat_store_dword v[0:1], v2
	v_mov_b32_e32 v0, 0
	s_and_b64 vcc, exec, s[4:5]
	v_mov_b32_e32 v1, 0
	s_cbranch_vccnz .LBB41_89
; %bb.88:
	v_lshl_add_u64 v[2:3], v[60:61], 2, v[20:21]
	flat_load_dword v1, v[2:3]
	s_waitcnt vmcnt(0) lgkmcnt(0)
	v_mul_f32_e32 v1, s26, v1
.LBB41_89:
	v_add_f32_e32 v2, v10, v11
	v_add_f32_e32 v1, v2, v1
	v_lshl_add_u64 v[2:3], v[60:61], 2, v[22:23]
	s_and_b64 vcc, exec, s[4:5]
	flat_store_dword v[2:3], v1
	s_cbranch_vccnz .LBB41_91
; %bb.90:
	v_lshl_add_u64 v[0:1], v[58:59], 2, v[20:21]
	flat_load_dword v0, v[0:1]
	s_waitcnt vmcnt(0) lgkmcnt(0)
	v_mul_f32_e32 v0, s26, v0
.LBB41_91:
	v_add_f32_e32 v1, v8, v9
	v_add_f32_e32 v2, v1, v0
	v_lshl_add_u64 v[0:1], v[58:59], 2, v[22:23]
	flat_store_dword v[0:1], v2
	v_add_f32_e32 v0, v6, v7
	s_mov_b64 s[0:1], -1
	s_mov_b64 vcc, s[8:9]
	s_cbranch_vccz .LBB41_93
; %bb.92:
	v_add_f32_e32 v1, 0, v0
	v_lshl_add_u64 v[2:3], v[56:57], 2, v[22:23]
	flat_store_dword v[2:3], v1
	s_mov_b64 s[0:1], 0
.LBB41_93:
	s_andn2_b64 vcc, exec, s[0:1]
	v_mov_b32_e32 v1, 0
	s_cbranch_vccnz .LBB41_95
; %bb.94:
	v_lshlrev_b64 v[2:3], 2, v[56:57]
	v_lshl_add_u64 v[6:7], v[20:21], 0, v[2:3]
	flat_load_dword v1, v[6:7]
	v_lshl_add_u64 v[2:3], v[22:23], 0, v[2:3]
	s_waitcnt vmcnt(0) lgkmcnt(0)
	v_fmac_f32_e32 v0, s26, v1
	flat_store_dword v[2:3], v0
	v_lshl_add_u64 v[0:1], v[54:55], 2, v[20:21]
	flat_load_dword v0, v[0:1]
	s_waitcnt vmcnt(0) lgkmcnt(0)
	v_mul_f32_e32 v1, s26, v0
.LBB41_95:
	v_add_f32_e32 v0, v4, v5
	v_add_f32_e32 v2, v0, v1
	v_lshl_add_u64 v[0:1], v[54:55], 2, v[22:23]
	flat_store_dword v[0:1], v2
	s_endpgm
	.section	.rodata,"a",@progbits
	.p2align	6, 0x0
	.amdhsa_kernel _ZN12_GLOBAL__N_120geam_min_plus_kernelIf15HIP_vector_typeIfLj2EES2_Li8ELi32ELi64ELi128ELi4ELi64ELi4ELi64ELi4ELc78ELc84ELb0ELb0ELb0EfKPKfKPfEEviiiT16_PT17_ilSA_ilS8_SA_ilPT18_ili26rocblas_geam_ex_operation_
		.amdhsa_group_segment_fixed_size 6144
		.amdhsa_private_segment_fixed_size 0
		.amdhsa_kernarg_size 128
		.amdhsa_user_sgpr_count 2
		.amdhsa_user_sgpr_dispatch_ptr 0
		.amdhsa_user_sgpr_queue_ptr 0
		.amdhsa_user_sgpr_kernarg_segment_ptr 1
		.amdhsa_user_sgpr_dispatch_id 0
		.amdhsa_user_sgpr_kernarg_preload_length 0
		.amdhsa_user_sgpr_kernarg_preload_offset 0
		.amdhsa_user_sgpr_private_segment_size 0
		.amdhsa_uses_dynamic_stack 0
		.amdhsa_enable_private_segment 0
		.amdhsa_system_sgpr_workgroup_id_x 1
		.amdhsa_system_sgpr_workgroup_id_y 0
		.amdhsa_system_sgpr_workgroup_id_z 1
		.amdhsa_system_sgpr_workgroup_info 0
		.amdhsa_system_vgpr_workitem_id 1
		.amdhsa_next_free_vgpr 109
		.amdhsa_next_free_sgpr 31
		.amdhsa_accum_offset 112
		.amdhsa_reserve_vcc 1
		.amdhsa_float_round_mode_32 0
		.amdhsa_float_round_mode_16_64 0
		.amdhsa_float_denorm_mode_32 3
		.amdhsa_float_denorm_mode_16_64 3
		.amdhsa_dx10_clamp 1
		.amdhsa_ieee_mode 1
		.amdhsa_fp16_overflow 0
		.amdhsa_tg_split 0
		.amdhsa_exception_fp_ieee_invalid_op 0
		.amdhsa_exception_fp_denorm_src 0
		.amdhsa_exception_fp_ieee_div_zero 0
		.amdhsa_exception_fp_ieee_overflow 0
		.amdhsa_exception_fp_ieee_underflow 0
		.amdhsa_exception_fp_ieee_inexact 0
		.amdhsa_exception_int_div_zero 0
	.end_amdhsa_kernel
	.section	.text._ZN12_GLOBAL__N_120geam_min_plus_kernelIf15HIP_vector_typeIfLj2EES2_Li8ELi32ELi64ELi128ELi4ELi64ELi4ELi64ELi4ELc78ELc84ELb0ELb0ELb0EfKPKfKPfEEviiiT16_PT17_ilSA_ilS8_SA_ilPT18_ili26rocblas_geam_ex_operation_,"axG",@progbits,_ZN12_GLOBAL__N_120geam_min_plus_kernelIf15HIP_vector_typeIfLj2EES2_Li8ELi32ELi64ELi128ELi4ELi64ELi4ELi64ELi4ELc78ELc84ELb0ELb0ELb0EfKPKfKPfEEviiiT16_PT17_ilSA_ilS8_SA_ilPT18_ili26rocblas_geam_ex_operation_,comdat
.Lfunc_end41:
	.size	_ZN12_GLOBAL__N_120geam_min_plus_kernelIf15HIP_vector_typeIfLj2EES2_Li8ELi32ELi64ELi128ELi4ELi64ELi4ELi64ELi4ELc78ELc84ELb0ELb0ELb0EfKPKfKPfEEviiiT16_PT17_ilSA_ilS8_SA_ilPT18_ili26rocblas_geam_ex_operation_, .Lfunc_end41-_ZN12_GLOBAL__N_120geam_min_plus_kernelIf15HIP_vector_typeIfLj2EES2_Li8ELi32ELi64ELi128ELi4ELi64ELi4ELi64ELi4ELc78ELc84ELb0ELb0ELb0EfKPKfKPfEEviiiT16_PT17_ilSA_ilS8_SA_ilPT18_ili26rocblas_geam_ex_operation_
                                        ; -- End function
	.set _ZN12_GLOBAL__N_120geam_min_plus_kernelIf15HIP_vector_typeIfLj2EES2_Li8ELi32ELi64ELi128ELi4ELi64ELi4ELi64ELi4ELc78ELc84ELb0ELb0ELb0EfKPKfKPfEEviiiT16_PT17_ilSA_ilS8_SA_ilPT18_ili26rocblas_geam_ex_operation_.num_vgpr, 109
	.set _ZN12_GLOBAL__N_120geam_min_plus_kernelIf15HIP_vector_typeIfLj2EES2_Li8ELi32ELi64ELi128ELi4ELi64ELi4ELi64ELi4ELc78ELc84ELb0ELb0ELb0EfKPKfKPfEEviiiT16_PT17_ilSA_ilS8_SA_ilPT18_ili26rocblas_geam_ex_operation_.num_agpr, 0
	.set _ZN12_GLOBAL__N_120geam_min_plus_kernelIf15HIP_vector_typeIfLj2EES2_Li8ELi32ELi64ELi128ELi4ELi64ELi4ELi64ELi4ELc78ELc84ELb0ELb0ELb0EfKPKfKPfEEviiiT16_PT17_ilSA_ilS8_SA_ilPT18_ili26rocblas_geam_ex_operation_.numbered_sgpr, 31
	.set _ZN12_GLOBAL__N_120geam_min_plus_kernelIf15HIP_vector_typeIfLj2EES2_Li8ELi32ELi64ELi128ELi4ELi64ELi4ELi64ELi4ELc78ELc84ELb0ELb0ELb0EfKPKfKPfEEviiiT16_PT17_ilSA_ilS8_SA_ilPT18_ili26rocblas_geam_ex_operation_.num_named_barrier, 0
	.set _ZN12_GLOBAL__N_120geam_min_plus_kernelIf15HIP_vector_typeIfLj2EES2_Li8ELi32ELi64ELi128ELi4ELi64ELi4ELi64ELi4ELc78ELc84ELb0ELb0ELb0EfKPKfKPfEEviiiT16_PT17_ilSA_ilS8_SA_ilPT18_ili26rocblas_geam_ex_operation_.private_seg_size, 0
	.set _ZN12_GLOBAL__N_120geam_min_plus_kernelIf15HIP_vector_typeIfLj2EES2_Li8ELi32ELi64ELi128ELi4ELi64ELi4ELi64ELi4ELc78ELc84ELb0ELb0ELb0EfKPKfKPfEEviiiT16_PT17_ilSA_ilS8_SA_ilPT18_ili26rocblas_geam_ex_operation_.uses_vcc, 1
	.set _ZN12_GLOBAL__N_120geam_min_plus_kernelIf15HIP_vector_typeIfLj2EES2_Li8ELi32ELi64ELi128ELi4ELi64ELi4ELi64ELi4ELc78ELc84ELb0ELb0ELb0EfKPKfKPfEEviiiT16_PT17_ilSA_ilS8_SA_ilPT18_ili26rocblas_geam_ex_operation_.uses_flat_scratch, 0
	.set _ZN12_GLOBAL__N_120geam_min_plus_kernelIf15HIP_vector_typeIfLj2EES2_Li8ELi32ELi64ELi128ELi4ELi64ELi4ELi64ELi4ELc78ELc84ELb0ELb0ELb0EfKPKfKPfEEviiiT16_PT17_ilSA_ilS8_SA_ilPT18_ili26rocblas_geam_ex_operation_.has_dyn_sized_stack, 0
	.set _ZN12_GLOBAL__N_120geam_min_plus_kernelIf15HIP_vector_typeIfLj2EES2_Li8ELi32ELi64ELi128ELi4ELi64ELi4ELi64ELi4ELc78ELc84ELb0ELb0ELb0EfKPKfKPfEEviiiT16_PT17_ilSA_ilS8_SA_ilPT18_ili26rocblas_geam_ex_operation_.has_recursion, 0
	.set _ZN12_GLOBAL__N_120geam_min_plus_kernelIf15HIP_vector_typeIfLj2EES2_Li8ELi32ELi64ELi128ELi4ELi64ELi4ELi64ELi4ELc78ELc84ELb0ELb0ELb0EfKPKfKPfEEviiiT16_PT17_ilSA_ilS8_SA_ilPT18_ili26rocblas_geam_ex_operation_.has_indirect_call, 0
	.section	.AMDGPU.csdata,"",@progbits
; Kernel info:
; codeLenInByte = 6688
; TotalNumSgprs: 37
; NumVgprs: 109
; NumAgprs: 0
; TotalNumVgprs: 109
; ScratchSize: 0
; MemoryBound: 0
; FloatMode: 240
; IeeeMode: 1
; LDSByteSize: 6144 bytes/workgroup (compile time only)
; SGPRBlocks: 4
; VGPRBlocks: 13
; NumSGPRsForWavesPerEU: 37
; NumVGPRsForWavesPerEU: 109
; AccumOffset: 112
; Occupancy: 4
; WaveLimiterHint : 1
; COMPUTE_PGM_RSRC2:SCRATCH_EN: 0
; COMPUTE_PGM_RSRC2:USER_SGPR: 2
; COMPUTE_PGM_RSRC2:TRAP_HANDLER: 0
; COMPUTE_PGM_RSRC2:TGID_X_EN: 1
; COMPUTE_PGM_RSRC2:TGID_Y_EN: 0
; COMPUTE_PGM_RSRC2:TGID_Z_EN: 1
; COMPUTE_PGM_RSRC2:TIDIG_COMP_CNT: 1
; COMPUTE_PGM_RSRC3_GFX90A:ACCUM_OFFSET: 27
; COMPUTE_PGM_RSRC3_GFX90A:TG_SPLIT: 0
	.section	.text._ZN12_GLOBAL__N_120geam_min_plus_kernelIf15HIP_vector_typeIfLj2EES2_Li8ELi32ELi64ELi128ELi4ELi64ELi4ELi64ELi4ELc78ELc84ELb0ELb1ELb0EPKfKS4_KPfEEviiiT16_PT17_ilSA_ilS8_SA_ilPT18_ili26rocblas_geam_ex_operation_,"axG",@progbits,_ZN12_GLOBAL__N_120geam_min_plus_kernelIf15HIP_vector_typeIfLj2EES2_Li8ELi32ELi64ELi128ELi4ELi64ELi4ELi64ELi4ELc78ELc84ELb0ELb1ELb0EPKfKS4_KPfEEviiiT16_PT17_ilSA_ilS8_SA_ilPT18_ili26rocblas_geam_ex_operation_,comdat
	.globl	_ZN12_GLOBAL__N_120geam_min_plus_kernelIf15HIP_vector_typeIfLj2EES2_Li8ELi32ELi64ELi128ELi4ELi64ELi4ELi64ELi4ELc78ELc84ELb0ELb1ELb0EPKfKS4_KPfEEviiiT16_PT17_ilSA_ilS8_SA_ilPT18_ili26rocblas_geam_ex_operation_ ; -- Begin function _ZN12_GLOBAL__N_120geam_min_plus_kernelIf15HIP_vector_typeIfLj2EES2_Li8ELi32ELi64ELi128ELi4ELi64ELi4ELi64ELi4ELc78ELc84ELb0ELb1ELb0EPKfKS4_KPfEEviiiT16_PT17_ilSA_ilS8_SA_ilPT18_ili26rocblas_geam_ex_operation_
	.p2align	8
	.type	_ZN12_GLOBAL__N_120geam_min_plus_kernelIf15HIP_vector_typeIfLj2EES2_Li8ELi32ELi64ELi128ELi4ELi64ELi4ELi64ELi4ELc78ELc84ELb0ELb1ELb0EPKfKS4_KPfEEviiiT16_PT17_ilSA_ilS8_SA_ilPT18_ili26rocblas_geam_ex_operation_,@function
_ZN12_GLOBAL__N_120geam_min_plus_kernelIf15HIP_vector_typeIfLj2EES2_Li8ELi32ELi64ELi128ELi4ELi64ELi4ELi64ELi4ELc78ELc84ELb0ELb1ELb0EPKfKS4_KPfEEviiiT16_PT17_ilSA_ilS8_SA_ilPT18_ili26rocblas_geam_ex_operation_: ; @_ZN12_GLOBAL__N_120geam_min_plus_kernelIf15HIP_vector_typeIfLj2EES2_Li8ELi32ELi64ELi128ELi4ELi64ELi4ELi64ELi4ELc78ELc84ELb0ELb1ELb0EPKfKS4_KPfEEviiiT16_PT17_ilSA_ilS8_SA_ilPT18_ili26rocblas_geam_ex_operation_
; %bb.0:
	s_load_dwordx4 s[12:15], s[0:1], 0x10
	s_load_dwordx4 s[8:11], s[0:1], 0x28
	;; [unrolled: 1-line block ×3, first 2 shown]
	s_mov_b32 s26, s3
	s_mov_b32 s27, 0
	s_lshl_b64 s[16:17], s[26:27], 2
	s_waitcnt lgkmcnt(0)
	s_add_u32 s12, s12, s16
	s_addc_u32 s13, s13, s17
	s_load_dword s30, s[12:13], 0x0
	s_load_dwordx2 s[20:21], s[0:1], 0x50
	s_add_u32 s6, s6, s16
	s_addc_u32 s7, s7, s17
	s_mov_b64 s[16:17], 0
	s_waitcnt lgkmcnt(0)
	v_cmp_eq_f32_e64 s[18:19], s30, 0
	v_cmp_neq_f32_e64 s[12:13], s30, 0
	s_and_b64 vcc, exec, s[18:19]
	s_mov_b64 s[18:19], 0
	s_cbranch_vccnz .LBB42_2
; %bb.1:
	s_lshl_b64 s[18:19], s[26:27], 3
	s_add_u32 s14, s14, s18
	s_addc_u32 s15, s15, s19
	s_load_dwordx2 s[14:15], s[14:15], 0x0
	s_lshl_b64 s[8:9], s[8:9], 2
	s_waitcnt lgkmcnt(0)
	s_add_u32 s18, s14, s8
	s_addc_u32 s19, s15, s9
.LBB42_2:
	s_load_dword s28, s[6:7], 0x0
	s_andn2_b64 vcc, exec, s[12:13]
	s_cbranch_vccnz .LBB42_4
; %bb.3:
	s_lshl_b64 s[6:7], s[26:27], 3
	s_add_u32 s6, s10, s6
	s_addc_u32 s7, s11, s7
	s_load_dwordx2 s[6:7], s[6:7], 0x0
	s_lshl_b64 s[4:5], s[4:5], 2
	s_waitcnt lgkmcnt(0)
	s_add_u32 s16, s6, s4
	s_addc_u32 s17, s7, s5
.LBB42_4:
	s_load_dwordx4 s[4:7], s[0:1], 0x60
	s_waitcnt lgkmcnt(0)
	v_cmp_eq_f32_e64 s[10:11], s28, 0
	v_cmp_neq_f32_e64 s[8:9], s28, 0
	s_and_b64 vcc, exec, s[10:11]
	s_cbranch_vccnz .LBB42_6
; %bb.5:
	s_lshl_b64 s[10:11], s[26:27], 3
	s_add_u32 s10, s20, s10
	s_addc_u32 s11, s21, s11
	s_load_dwordx2 s[10:11], s[10:11], 0x0
	s_lshl_b64 s[4:5], s[4:5], 2
	s_waitcnt lgkmcnt(0)
	s_add_u32 s24, s10, s4
	s_addc_u32 s25, s11, s5
	s_branch .LBB42_7
.LBB42_6:
	s_mov_b64 s[24:25], 0
.LBB42_7:
	s_load_dword s31, s[0:1], 0x20
	s_load_dwordx4 s[20:23], s[0:1], 0x0
	s_lshl_b64 s[4:5], s[26:27], 3
	v_and_b32_e32 v72, 0x3ff, v0
	v_bfe_u32 v73, v0, 10, 10
	s_waitcnt lgkmcnt(0)
	s_ashr_i32 s33, s31, 31
	s_add_u32 s10, s6, s4
	s_addc_u32 s11, s7, s5
	s_add_i32 s3, s20, -1
	s_ashr_i32 s4, s3, 31
	s_lshr_b32 s4, s4, 26
	s_add_i32 s3, s3, s4
	s_ashr_i32 s3, s3, 6
	s_add_i32 s4, s3, 1
	v_cvt_f32_u32_e32 v1, s4
	s_not_b32 s3, s3
	v_mov_b32_e32 v2, 0
	v_mov_b32_e32 v3, 0
	v_rcp_iflag_f32_e32 v0, v1
	v_lshl_add_u32 v1, v73, 3, v72
	v_and_b32_e32 v79, 63, v1
	v_lshrrev_b32_e32 v74, 6, v1
	v_mul_f32_e32 v0, 0x4f7ffffe, v0
	v_cvt_u32_f32_e32 v0, v0
	v_cmp_gt_i32_e32 vcc, s22, v74
	v_readfirstlane_b32 s5, v0
	s_mul_i32 s3, s3, s5
	s_mul_hi_u32 s3, s5, s3
	s_add_i32 s5, s5, s3
	s_mul_hi_u32 s3, s2, s5
	s_mul_i32 s5, s3, s4
	s_sub_i32 s5, s2, s5
	s_add_i32 s6, s3, 1
	s_sub_i32 s7, s5, s4
	s_cmp_ge_u32 s5, s4
	s_cselect_b32 s3, s6, s3
	s_cselect_b32 s5, s7, s5
	s_add_i32 s6, s3, 1
	s_cmp_ge_u32 s5, s4
	s_cselect_b32 s6, s6, s3
	s_mul_i32 s3, s6, s4
	s_sub_i32 s2, s2, s3
	s_lshl_b32 s23, s2, 6
	v_or_b32_e32 v70, s23, v79
	v_cmp_gt_i32_e64 s[2:3], s20, v70
	s_and_b64 s[4:5], vcc, s[2:3]
	s_and_b64 s[14:15], s[12:13], s[4:5]
	v_ashrrev_i32_e32 v71, 31, v70
	s_and_saveexec_b64 s[4:5], s[14:15]
	s_cbranch_execz .LBB42_9
; %bb.8:
	v_mad_i64_i32 v[0:1], s[14:15], s31, v74, 0
	v_lshl_add_u64 v[0:1], v[0:1], 2, s[18:19]
	v_lshl_add_u64 v[0:1], v[70:71], 2, v[0:1]
	flat_load_dword v0, v[0:1]
	s_waitcnt vmcnt(0) lgkmcnt(0)
	v_mul_f32_e32 v3, s30, v0
.LBB42_9:
	s_or_b64 exec, exec, s[4:5]
	s_load_dword s34, s[0:1], 0x38
	s_add_i32 s35, s22, -1
	s_lshl_b32 s29, s6, 7
	v_min_i32_e32 v0, s35, v74
	v_or_b32_e32 v68, s29, v79
	s_waitcnt lgkmcnt(0)
	v_mad_i64_i32 v[0:1], s[4:5], s34, v0, 0
	v_cmp_le_i32_e32 vcc, s22, v74
	v_cmp_le_i32_e64 s[4:5], s21, v68
	s_or_b64 s[6:7], vcc, s[4:5]
	s_xor_b64 s[14:15], s[12:13], -1
	v_lshl_add_u64 v[0:1], v[0:1], 2, s[16:17]
	s_nor_b64 s[26:27], s[6:7], s[14:15]
	v_ashrrev_i32_e32 v69, 31, v68
	s_and_saveexec_b64 s[6:7], s[26:27]
	s_cbranch_execz .LBB42_11
; %bb.10:
	v_lshl_add_u64 v[4:5], v[68:69], 2, v[0:1]
	flat_load_dword v2, v[4:5]
	s_waitcnt vmcnt(0) lgkmcnt(0)
	v_mul_f32_e32 v2, s30, v2
.LBB42_11:
	s_or_b64 exec, exec, s[6:7]
	v_or_b32_e32 v4, 64, v68
	v_cmp_le_i32_e64 s[6:7], s21, v4
	s_or_b64 s[26:27], vcc, s[6:7]
	s_nor_b64 s[36:37], s[26:27], s[14:15]
	v_mov_b32_e32 v80, 0
	v_mov_b32_e32 v4, 0
	s_and_saveexec_b64 s[26:27], s[36:37]
	s_cbranch_execz .LBB42_13
; %bb.12:
	v_lshl_add_u64 v[0:1], v[68:69], 2, v[0:1]
	flat_load_dword v0, v[0:1] offset:256
	s_waitcnt vmcnt(0) lgkmcnt(0)
	v_mul_f32_e32 v4, s30, v0
.LBB42_13:
	s_or_b64 exec, exec, s[26:27]
	v_add_u32_e32 v0, 4, v74
	v_cmp_gt_i32_e32 vcc, s22, v0
	s_and_b64 s[26:27], s[2:3], vcc
	s_and_b64 s[36:37], s[12:13], s[26:27]
	s_and_saveexec_b64 s[26:27], s[36:37]
	s_cbranch_execz .LBB42_15
; %bb.14:
	v_mad_u64_u32 v[6:7], s[36:37], s31, v0, 0
	v_mov_b32_e32 v8, v7
	v_mad_u64_u32 v[8:9], s[36:37], s33, v0, v[8:9]
	v_mov_b32_e32 v7, v8
	v_lshl_add_u64 v[6:7], v[6:7], 2, s[18:19]
	v_lshl_add_u64 v[6:7], v[70:71], 2, v[6:7]
	flat_load_dword v1, v[6:7]
	s_waitcnt vmcnt(0) lgkmcnt(0)
	v_mul_f32_e32 v80, s30, v1
.LBB42_15:
	s_or_b64 exec, exec, s[26:27]
	v_cmp_le_i32_e32 vcc, s22, v0
	v_min_i32_e32 v0, s35, v0
	v_mad_i64_i32 v[0:1], s[26:27], s34, v0, 0
	s_or_b64 s[26:27], s[4:5], vcc
	v_lshl_add_u64 v[0:1], v[0:1], 2, s[16:17]
	s_nor_b64 s[36:37], s[26:27], s[14:15]
	v_mov_b32_e32 v81, 0
	v_mov_b32_e32 v82, 0
	s_and_saveexec_b64 s[26:27], s[36:37]
	s_cbranch_execz .LBB42_17
; %bb.16:
	v_lshl_add_u64 v[6:7], v[68:69], 2, v[0:1]
	flat_load_dword v5, v[6:7]
	s_waitcnt vmcnt(0) lgkmcnt(0)
	v_mul_f32_e32 v82, s30, v5
.LBB42_17:
	s_or_b64 exec, exec, s[26:27]
	s_load_dwordx2 s[10:11], s[10:11], 0x0
	s_or_b64 s[26:27], s[6:7], vcc
	s_nor_b64 s[36:37], s[26:27], s[14:15]
	s_and_saveexec_b64 s[26:27], s[36:37]
	s_cbranch_execz .LBB42_19
; %bb.18:
	v_lshl_add_u64 v[0:1], v[68:69], 2, v[0:1]
	flat_load_dword v0, v[0:1] offset:256
	s_waitcnt vmcnt(0) lgkmcnt(0)
	v_mul_f32_e32 v81, s30, v0
.LBB42_19:
	s_or_b64 exec, exec, s[26:27]
	v_lshlrev_b32_e32 v0, 4, v79
	v_lshl_add_u32 v75, v74, 2, v0
	v_mov_b32_e32 v0, 0x1000
	v_mov_b32_e32 v66, 0
	ds_write_b32 v75, v3 offset:4096
	ds_write2st64_b32 v75, v2, v4 offset1:4
	v_lshl_add_u32 v76, v72, 4, v0
	s_mov_b32 s36, 0
	s_mov_b64 s[26:27], -1
	v_mov_b32_e32 v67, v66
	v_mov_b32_e32 v64, v66
	;; [unrolled: 1-line block ×63, first 2 shown]
	v_or_b32_e32 v77, 0x1000, v75
	v_lshlrev_b32_e32 v78, 4, v73
	s_waitcnt lgkmcnt(0)
	s_barrier
.LBB42_20:                              ; =>This Inner Loop Header: Depth=1
	v_cndmask_b32_e64 v0, 0, 1, s[26:27]
	s_lshl_b32 s26, s36, 2
	v_cmp_ne_u32_e32 vcc, 1, v0
	v_add_u32_e32 v0, s26, v76
	ds_read2_b64 v[84:87], v0 offset1:16
	ds_read2_b64 v[88:91], v0 offset0:32 offset1:48
	ds_read2_b64 v[92:95], v0 offset0:64 offset1:80
	;; [unrolled: 1-line block ×3, first 2 shown]
	v_add_u32_e32 v0, s26, v78
	ds_read2st64_b64 v[100:103], v0 offset1:1
	ds_read2st64_b64 v[0:3], v0 offset0:2 offset1:3
	s_waitcnt lgkmcnt(5)
	v_max_f32_e32 v104, v85, v85
	v_max_f32_e32 v86, v86, v86
	;; [unrolled: 1-line block ×3, first 2 shown]
	s_waitcnt lgkmcnt(1)
	v_max_f32_e32 v83, v100, v100
	v_max_f32_e32 v100, v84, v84
	;; [unrolled: 1-line block ×3, first 2 shown]
	v_min_f32_e32 v84, v100, v83
	v_min_f32_e32 v85, v104, v101
	v_pk_add_f32 v[66:67], v[66:67], v[84:85]
	v_min_f32_e32 v84, v86, v83
	v_min_f32_e32 v85, v87, v101
	v_max_f32_e32 v88, v88, v88
	v_max_f32_e32 v89, v89, v89
	v_pk_add_f32 v[64:65], v[64:65], v[84:85]
	v_min_f32_e32 v84, v88, v83
	v_min_f32_e32 v85, v89, v101
	v_max_f32_e32 v90, v90, v90
	v_max_f32_e32 v91, v91, v91
	;; [unrolled: 5-line block ×5, first 2 shown]
	v_pk_add_f32 v[56:57], v[56:57], v[84:85]
	v_min_f32_e32 v84, v96, v83
	v_min_f32_e32 v85, v97, v101
	v_max_f32_e32 v98, v98, v98
	v_pk_add_f32 v[54:55], v[54:55], v[84:85]
	v_min_f32_e32 v84, v98, v83
	v_max_f32_e32 v83, v99, v99
	v_min_f32_e32 v85, v83, v101
	v_max_f32_e32 v99, v102, v102
	v_max_f32_e32 v101, v103, v103
	v_pk_add_f32 v[52:53], v[52:53], v[84:85]
	v_min_f32_e32 v84, v100, v99
	v_min_f32_e32 v85, v104, v101
	v_pk_add_f32 v[50:51], v[50:51], v[84:85]
	v_min_f32_e32 v84, v86, v99
	v_min_f32_e32 v85, v87, v101
	;; [unrolled: 3-line block ×8, first 2 shown]
	v_pk_add_f32 v[36:37], v[36:37], v[84:85]
	s_waitcnt lgkmcnt(0)
	v_max_f32_e32 v84, v0, v0
	v_max_f32_e32 v85, v1, v1
	v_min_f32_e32 v0, v100, v84
	v_min_f32_e32 v1, v104, v85
	v_pk_add_f32 v[34:35], v[34:35], v[0:1]
	v_min_f32_e32 v0, v86, v84
	v_min_f32_e32 v1, v87, v85
	v_pk_add_f32 v[32:33], v[32:33], v[0:1]
	;; [unrolled: 3-line block ×7, first 2 shown]
	v_min_f32_e32 v0, v98, v84
	v_min_f32_e32 v1, v83, v85
	v_max_f32_e32 v2, v2, v2
	v_max_f32_e32 v3, v3, v3
	v_pk_add_f32 v[20:21], v[20:21], v[0:1]
	v_min_f32_e32 v0, v100, v2
	v_min_f32_e32 v1, v104, v3
	v_pk_add_f32 v[18:19], v[18:19], v[0:1]
	v_min_f32_e32 v0, v86, v2
	v_min_f32_e32 v1, v87, v3
	;; [unrolled: 3-line block ×8, first 2 shown]
	v_pk_add_f32 v[4:5], v[4:5], v[0:1]
	s_mov_b64 s[26:27], 0
	s_mov_b32 s36, 2
	s_cbranch_vccz .LBB42_20
; %bb.21:
	v_lshlrev_b32_e32 v0, 2, v74
	v_lshl_add_u32 v0, v79, 4, v0
	s_cmp_lt_i32 s22, 9
	ds_write_b32 v0, v80 offset:5120
	ds_write2st64_b32 v0, v82, v81 offset0:8 offset1:12
	s_waitcnt lgkmcnt(0)
	s_barrier
	s_cbranch_scc1 .LBB42_40
; %bb.22:
	v_add_u32_e32 v79, 0x1400, v0
	v_or_b32_e32 v80, 0x800, v0
	v_mov_b32_e32 v0, 0x1400
	v_lshl_add_u32 v81, v72, 4, v0
	v_mov_b32_e32 v0, 0x800
	s_add_i32 s26, s22, -8
	v_lshl_add_u64 v[70:71], v[70:71], 2, s[18:19]
	v_lshl_add_u32 v82, v73, 4, v0
	s_mov_b32 s27, 8
	s_mov_b32 s36, 0
.LBB42_23:                              ; =>This Loop Header: Depth=1
                                        ;     Child Loop BB42_30 Depth 2
                                        ;     Child Loop BB42_38 Depth 2
	v_add_u32_e32 v0, s27, v74
	v_cmp_gt_i32_e32 vcc, s22, v0
	s_and_b64 s[18:19], s[2:3], vcc
	s_and_b64 s[38:39], s[12:13], s[18:19]
	v_mov_b32_e32 v83, 0
	v_mov_b32_e32 v84, 0
	s_and_saveexec_b64 s[18:19], s[38:39]
	s_cbranch_execz .LBB42_25
; %bb.24:                               ;   in Loop: Header=BB42_23 Depth=1
	v_mad_u64_u32 v[2:3], s[38:39], v0, s31, 0
	v_mov_b32_e32 v84, v3
	v_mad_u64_u32 v[84:85], s[38:39], v0, s33, v[84:85]
	v_mov_b32_e32 v3, v84
	v_lshl_add_u64 v[2:3], v[2:3], 2, v[70:71]
	flat_load_dword v1, v[2:3]
	s_waitcnt vmcnt(0) lgkmcnt(0)
	v_mul_f32_e32 v84, s30, v1
.LBB42_25:                              ;   in Loop: Header=BB42_23 Depth=1
	s_or_b64 exec, exec, s[18:19]
	v_cmp_le_i32_e32 vcc, s22, v0
	v_min_i32_e32 v0, s35, v0
	v_mad_i64_i32 v[0:1], s[18:19], v0, s34, 0
	v_lshl_add_u64 v[0:1], v[0:1], 2, s[16:17]
	s_or_b64 s[18:19], s[4:5], vcc
	s_nor_b64 s[38:39], s[18:19], s[14:15]
	v_lshl_add_u64 v[0:1], v[68:69], 2, v[0:1]
	s_and_saveexec_b64 s[18:19], s[38:39]
	s_cbranch_execz .LBB42_27
; %bb.26:                               ;   in Loop: Header=BB42_23 Depth=1
	flat_load_dword v2, v[0:1]
	s_waitcnt vmcnt(0) lgkmcnt(0)
	v_mul_f32_e32 v83, s30, v2
.LBB42_27:                              ;   in Loop: Header=BB42_23 Depth=1
	s_or_b64 exec, exec, s[18:19]
	s_or_b64 s[18:19], s[6:7], vcc
	s_nor_b64 s[38:39], s[18:19], s[14:15]
	v_mov_b32_e32 v85, 0
	s_and_saveexec_b64 s[18:19], s[38:39]
	s_cbranch_execz .LBB42_29
; %bb.28:                               ;   in Loop: Header=BB42_23 Depth=1
	flat_load_dword v0, v[0:1] offset:256
	s_waitcnt vmcnt(0) lgkmcnt(0)
	v_mul_f32_e32 v85, s30, v0
.LBB42_29:                              ;   in Loop: Header=BB42_23 Depth=1
	s_or_b64 exec, exec, s[18:19]
	s_mov_b32 s37, 0
	s_mov_b64 s[18:19], -1
.LBB42_30:                              ;   Parent Loop BB42_23 Depth=1
                                        ; =>  This Inner Loop Header: Depth=2
	v_cndmask_b32_e64 v0, 0, 1, s[18:19]
	s_lshl_b32 s18, s37, 2
	v_cmp_ne_u32_e32 vcc, 1, v0
	v_add_u32_e32 v0, s18, v81
	ds_read2_b64 v[86:89], v0 offset1:16
	ds_read2_b64 v[90:93], v0 offset0:32 offset1:48
	ds_read2_b64 v[94:97], v0 offset0:64 offset1:80
	;; [unrolled: 1-line block ×3, first 2 shown]
	v_add_u32_e32 v0, s18, v82
	ds_read2st64_b64 v[102:105], v0 offset1:1
	ds_read2st64_b64 v[0:3], v0 offset0:2 offset1:3
	s_waitcnt lgkmcnt(5)
	v_max_f32_e32 v106, v86, v86
	v_max_f32_e32 v107, v87, v87
	;; [unrolled: 1-line block ×3, first 2 shown]
	s_waitcnt lgkmcnt(1)
	v_max_f32_e32 v102, v102, v102
	v_max_f32_e32 v103, v103, v103
	v_min_f32_e32 v86, v106, v102
	v_min_f32_e32 v87, v107, v103
	v_max_f32_e32 v89, v89, v89
	v_pk_add_f32 v[66:67], v[66:67], v[86:87]
	v_min_f32_e32 v86, v88, v102
	v_min_f32_e32 v87, v89, v103
	v_max_f32_e32 v90, v90, v90
	v_max_f32_e32 v91, v91, v91
	v_pk_add_f32 v[64:65], v[64:65], v[86:87]
	v_min_f32_e32 v86, v90, v102
	v_min_f32_e32 v87, v91, v103
	v_max_f32_e32 v92, v92, v92
	;; [unrolled: 5-line block ×7, first 2 shown]
	v_max_f32_e32 v103, v105, v105
	v_pk_add_f32 v[52:53], v[52:53], v[86:87]
	v_min_f32_e32 v86, v106, v102
	v_min_f32_e32 v87, v107, v103
	v_pk_add_f32 v[50:51], v[50:51], v[86:87]
	v_min_f32_e32 v86, v88, v102
	v_min_f32_e32 v87, v89, v103
	;; [unrolled: 3-line block ×8, first 2 shown]
	v_pk_add_f32 v[36:37], v[36:37], v[86:87]
	s_waitcnt lgkmcnt(0)
	v_max_f32_e32 v86, v0, v0
	v_max_f32_e32 v87, v1, v1
	v_min_f32_e32 v0, v106, v86
	v_min_f32_e32 v1, v107, v87
	v_pk_add_f32 v[34:35], v[34:35], v[0:1]
	v_min_f32_e32 v0, v88, v86
	v_min_f32_e32 v1, v89, v87
	v_pk_add_f32 v[32:33], v[32:33], v[0:1]
	;; [unrolled: 3-line block ×7, first 2 shown]
	v_min_f32_e32 v0, v100, v86
	v_min_f32_e32 v1, v101, v87
	v_max_f32_e32 v2, v2, v2
	v_max_f32_e32 v3, v3, v3
	v_pk_add_f32 v[20:21], v[20:21], v[0:1]
	v_min_f32_e32 v0, v106, v2
	v_min_f32_e32 v1, v107, v3
	v_pk_add_f32 v[18:19], v[18:19], v[0:1]
	v_min_f32_e32 v0, v88, v2
	v_min_f32_e32 v1, v89, v3
	;; [unrolled: 3-line block ×8, first 2 shown]
	v_pk_add_f32 v[4:5], v[4:5], v[0:1]
	s_mov_b64 s[18:19], 0
	s_mov_b32 s37, 2
	s_cbranch_vccz .LBB42_30
; %bb.31:                               ;   in Loop: Header=BB42_23 Depth=1
	v_add3_u32 v0, v74, s27, 4
	v_cmp_gt_i32_e32 vcc, s22, v0
	s_and_b64 s[18:19], s[2:3], vcc
	ds_write_b32 v77, v84
	ds_write2st64_b32 v75, v83, v85 offset1:4
	s_and_b64 s[38:39], s[12:13], s[18:19]
	v_mov_b32_e32 v83, 0
	v_mov_b32_e32 v84, 0
	s_waitcnt lgkmcnt(0)
	s_barrier
	s_and_saveexec_b64 s[18:19], s[38:39]
	s_cbranch_execz .LBB42_33
; %bb.32:                               ;   in Loop: Header=BB42_23 Depth=1
	v_mad_u64_u32 v[2:3], s[38:39], v0, s31, 0
	v_mov_b32_e32 v84, v3
	v_mad_u64_u32 v[84:85], s[38:39], v0, s33, v[84:85]
	v_mov_b32_e32 v3, v84
	v_lshl_add_u64 v[2:3], v[2:3], 2, v[70:71]
	flat_load_dword v1, v[2:3]
	s_waitcnt vmcnt(0) lgkmcnt(0)
	v_mul_f32_e32 v84, s30, v1
.LBB42_33:                              ;   in Loop: Header=BB42_23 Depth=1
	s_or_b64 exec, exec, s[18:19]
	v_cmp_le_i32_e32 vcc, s22, v0
	v_min_i32_e32 v0, s35, v0
	v_mad_i64_i32 v[0:1], s[18:19], v0, s34, 0
	v_lshl_add_u64 v[0:1], v[0:1], 2, s[16:17]
	s_or_b64 s[18:19], s[4:5], vcc
	s_nor_b64 s[38:39], s[18:19], s[14:15]
	v_lshl_add_u64 v[0:1], v[68:69], 2, v[0:1]
	s_and_saveexec_b64 s[18:19], s[38:39]
	s_cbranch_execz .LBB42_35
; %bb.34:                               ;   in Loop: Header=BB42_23 Depth=1
	flat_load_dword v2, v[0:1]
	s_waitcnt vmcnt(0) lgkmcnt(0)
	v_mul_f32_e32 v83, s30, v2
.LBB42_35:                              ;   in Loop: Header=BB42_23 Depth=1
	s_or_b64 exec, exec, s[18:19]
	s_or_b64 s[18:19], s[6:7], vcc
	s_nor_b64 s[38:39], s[18:19], s[14:15]
	v_mov_b32_e32 v85, 0
	s_and_saveexec_b64 s[18:19], s[38:39]
	s_cbranch_execz .LBB42_37
; %bb.36:                               ;   in Loop: Header=BB42_23 Depth=1
	flat_load_dword v0, v[0:1] offset:256
	s_waitcnt vmcnt(0) lgkmcnt(0)
	v_mul_f32_e32 v85, s30, v0
.LBB42_37:                              ;   in Loop: Header=BB42_23 Depth=1
	s_or_b64 exec, exec, s[18:19]
	s_mov_b32 s37, 0
	s_mov_b64 s[18:19], -1
.LBB42_38:                              ;   Parent Loop BB42_23 Depth=1
                                        ; =>  This Inner Loop Header: Depth=2
	v_cndmask_b32_e64 v0, 0, 1, s[18:19]
	s_lshl_b32 s18, s37, 2
	v_cmp_ne_u32_e32 vcc, 1, v0
	v_add_u32_e32 v0, s18, v76
	ds_read2_b64 v[86:89], v0 offset1:16
	ds_read2_b64 v[90:93], v0 offset0:32 offset1:48
	ds_read2_b64 v[94:97], v0 offset0:64 offset1:80
	;; [unrolled: 1-line block ×3, first 2 shown]
	v_add_u32_e32 v0, s18, v78
	ds_read2st64_b64 v[102:105], v0 offset1:1
	ds_read2st64_b64 v[0:3], v0 offset0:2 offset1:3
	s_waitcnt lgkmcnt(5)
	v_max_f32_e32 v106, v86, v86
	v_max_f32_e32 v107, v87, v87
	;; [unrolled: 1-line block ×3, first 2 shown]
	s_waitcnt lgkmcnt(1)
	v_max_f32_e32 v102, v102, v102
	v_max_f32_e32 v103, v103, v103
	v_min_f32_e32 v86, v106, v102
	v_min_f32_e32 v87, v107, v103
	v_max_f32_e32 v89, v89, v89
	v_pk_add_f32 v[66:67], v[66:67], v[86:87]
	v_min_f32_e32 v86, v88, v102
	v_min_f32_e32 v87, v89, v103
	v_max_f32_e32 v90, v90, v90
	v_max_f32_e32 v91, v91, v91
	v_pk_add_f32 v[64:65], v[64:65], v[86:87]
	v_min_f32_e32 v86, v90, v102
	v_min_f32_e32 v87, v91, v103
	v_max_f32_e32 v92, v92, v92
	;; [unrolled: 5-line block ×7, first 2 shown]
	v_max_f32_e32 v103, v105, v105
	v_pk_add_f32 v[52:53], v[52:53], v[86:87]
	v_min_f32_e32 v86, v106, v102
	v_min_f32_e32 v87, v107, v103
	v_pk_add_f32 v[50:51], v[50:51], v[86:87]
	v_min_f32_e32 v86, v88, v102
	v_min_f32_e32 v87, v89, v103
	;; [unrolled: 3-line block ×8, first 2 shown]
	v_pk_add_f32 v[36:37], v[36:37], v[86:87]
	s_waitcnt lgkmcnt(0)
	v_max_f32_e32 v86, v0, v0
	v_max_f32_e32 v87, v1, v1
	v_min_f32_e32 v0, v106, v86
	v_min_f32_e32 v1, v107, v87
	v_pk_add_f32 v[34:35], v[34:35], v[0:1]
	v_min_f32_e32 v0, v88, v86
	v_min_f32_e32 v1, v89, v87
	v_pk_add_f32 v[32:33], v[32:33], v[0:1]
	;; [unrolled: 3-line block ×7, first 2 shown]
	v_min_f32_e32 v0, v100, v86
	v_min_f32_e32 v1, v101, v87
	v_max_f32_e32 v2, v2, v2
	v_max_f32_e32 v3, v3, v3
	v_pk_add_f32 v[20:21], v[20:21], v[0:1]
	v_min_f32_e32 v0, v106, v2
	v_min_f32_e32 v1, v107, v3
	v_pk_add_f32 v[18:19], v[18:19], v[0:1]
	v_min_f32_e32 v0, v88, v2
	v_min_f32_e32 v1, v89, v3
	;; [unrolled: 3-line block ×8, first 2 shown]
	v_pk_add_f32 v[4:5], v[4:5], v[0:1]
	s_mov_b64 s[18:19], 0
	s_mov_b32 s37, 2
	s_cbranch_vccz .LBB42_38
; %bb.39:                               ;   in Loop: Header=BB42_23 Depth=1
	s_add_i32 s27, s27, 8
	s_add_i32 s36, s36, 8
	s_cmp_ge_i32 s36, s26
	ds_write_b32 v79, v84
	ds_write2st64_b32 v80, v83, v85 offset1:4
	s_waitcnt lgkmcnt(0)
	s_barrier
	s_cbranch_scc0 .LBB42_23
.LBB42_40:
	v_mov_b32_e32 v0, 0x1400
	v_lshl_add_u32 v68, v72, 4, v0
	v_mov_b32_e32 v0, 0x800
	v_lshl_add_u32 v69, v73, 4, v0
	s_mov_b32 s4, 0
	s_mov_b64 s[2:3], -1
.LBB42_41:                              ; =>This Inner Loop Header: Depth=1
	v_cndmask_b32_e64 v0, 0, 1, s[2:3]
	s_lshl_b32 s2, s4, 2
	v_cmp_ne_u32_e32 vcc, 1, v0
	v_add_u32_e32 v0, s2, v68
	ds_read2_b64 v[74:77], v0 offset1:16
	ds_read2_b64 v[78:81], v0 offset0:32 offset1:48
	ds_read2_b64 v[82:85], v0 offset0:64 offset1:80
	;; [unrolled: 1-line block ×3, first 2 shown]
	v_add_u32_e32 v0, s2, v69
	ds_read2st64_b64 v[90:93], v0 offset1:1
	ds_read2st64_b64 v[0:3], v0 offset0:2 offset1:3
	s_waitcnt lgkmcnt(5)
	v_max_f32_e32 v74, v74, v74
	v_max_f32_e32 v75, v75, v75
	;; [unrolled: 1-line block ×3, first 2 shown]
	s_waitcnt lgkmcnt(1)
	v_max_f32_e32 v90, v90, v90
	v_max_f32_e32 v91, v91, v91
	v_min_f32_e32 v70, v74, v90
	v_min_f32_e32 v71, v75, v91
	v_max_f32_e32 v77, v77, v77
	v_pk_add_f32 v[66:67], v[66:67], v[70:71]
	v_min_f32_e32 v70, v76, v90
	v_min_f32_e32 v71, v77, v91
	v_max_f32_e32 v78, v78, v78
	v_max_f32_e32 v79, v79, v79
	v_pk_add_f32 v[64:65], v[64:65], v[70:71]
	v_min_f32_e32 v70, v78, v90
	v_min_f32_e32 v71, v79, v91
	v_max_f32_e32 v80, v80, v80
	;; [unrolled: 5-line block ×7, first 2 shown]
	v_max_f32_e32 v91, v93, v93
	v_pk_add_f32 v[52:53], v[52:53], v[70:71]
	v_min_f32_e32 v70, v74, v90
	v_min_f32_e32 v71, v75, v91
	v_pk_add_f32 v[50:51], v[50:51], v[70:71]
	v_min_f32_e32 v70, v76, v90
	v_min_f32_e32 v71, v77, v91
	;; [unrolled: 3-line block ×8, first 2 shown]
	v_pk_add_f32 v[36:37], v[36:37], v[70:71]
	s_waitcnt lgkmcnt(0)
	v_max_f32_e32 v70, v0, v0
	v_max_f32_e32 v71, v1, v1
	v_min_f32_e32 v0, v74, v70
	v_min_f32_e32 v1, v75, v71
	v_pk_add_f32 v[34:35], v[34:35], v[0:1]
	v_min_f32_e32 v0, v76, v70
	v_min_f32_e32 v1, v77, v71
	v_pk_add_f32 v[32:33], v[32:33], v[0:1]
	;; [unrolled: 3-line block ×7, first 2 shown]
	v_min_f32_e32 v0, v88, v70
	v_min_f32_e32 v1, v89, v71
	v_max_f32_e32 v2, v2, v2
	v_max_f32_e32 v3, v3, v3
	v_pk_add_f32 v[20:21], v[20:21], v[0:1]
	v_min_f32_e32 v0, v74, v2
	v_min_f32_e32 v1, v75, v3
	v_pk_add_f32 v[18:19], v[18:19], v[0:1]
	v_min_f32_e32 v0, v76, v2
	v_min_f32_e32 v1, v77, v3
	;; [unrolled: 3-line block ×8, first 2 shown]
	v_pk_add_f32 v[4:5], v[4:5], v[0:1]
	s_mov_b64 s[2:3], 0
	s_mov_b32 s4, 2
	s_cbranch_vccz .LBB42_41
; %bb.42:
	s_load_dwordx2 s[2:3], s[0:1], 0x78
	s_load_dword s31, s[0:1], 0x58
	s_load_dword s30, s[0:1], 0x70
	v_add_u32_e32 v0, s23, v72
	v_add_u32_e32 v72, s29, v73
	s_waitcnt lgkmcnt(0)
	s_lshl_b64 s[0:1], s[2:3], 2
	s_add_u32 s22, s10, s0
	s_addc_u32 s23, s11, s1
	v_mad_i64_i32 v[2:3], s[0:1], v72, s31, 0
	v_lshl_add_u64 v[70:71], v[2:3], 2, s[24:25]
	v_mad_i64_i32 v[2:3], s[0:1], v72, s30, 0
	v_cmp_gt_i32_e64 s[18:19], s21, v72
	v_lshl_add_u64 v[68:69], v[2:3], 2, s[22:23]
	v_cmp_gt_i32_e64 s[2:3], s20, v0
	v_cndmask_b32_e64 v2, 0, 1, s[8:9]
	s_and_b64 s[6:7], s[2:3], s[18:19]
	v_ashrrev_i32_e32 v1, 31, v0
	v_cmp_ne_u32_e64 s[0:1], 1, v2
	s_and_saveexec_b64 s[4:5], s[6:7]
	s_cbranch_execz .LBB42_47
; %bb.43:
	s_and_b64 vcc, exec, s[0:1]
	s_cbranch_vccnz .LBB42_45
; %bb.44:
	v_lshl_add_u64 v[2:3], v[0:1], 2, v[70:71]
	flat_load_dword v2, v[2:3]
	s_waitcnt vmcnt(0) lgkmcnt(0)
	v_mul_f32_e32 v2, s28, v2
	s_branch .LBB42_46
.LBB42_45:
	v_mov_b32_e32 v2, 0
.LBB42_46:
	v_add_f32_e32 v3, v66, v67
	v_add_f32_e32 v66, v3, v2
	v_lshl_add_u64 v[2:3], v[0:1], 2, v[68:69]
	flat_store_dword v[2:3], v66
.LBB42_47:
	s_or_b64 exec, exec, s[4:5]
	v_add_u32_e32 v2, 8, v0
	v_cmp_gt_i32_e64 s[4:5], s20, v2
	s_and_b64 s[8:9], s[4:5], s[18:19]
	v_ashrrev_i32_e32 v3, 31, v2
	s_and_saveexec_b64 s[6:7], s[8:9]
	s_cbranch_execz .LBB42_52
; %bb.48:
	s_and_b64 vcc, exec, s[0:1]
	s_cbranch_vccnz .LBB42_50
; %bb.49:
	v_lshl_add_u64 v[66:67], v[2:3], 2, v[70:71]
	flat_load_dword v66, v[66:67]
	s_waitcnt vmcnt(0) lgkmcnt(0)
	v_mul_f32_e32 v66, s28, v66
	s_branch .LBB42_51
.LBB42_50:
	v_mov_b32_e32 v66, 0
.LBB42_51:
	v_add_f32_e32 v64, v64, v65
	v_add_f32_e32 v66, v64, v66
	v_lshl_add_u64 v[64:65], v[2:3], 2, v[68:69]
	flat_store_dword v[64:65], v66
.LBB42_52:
	s_or_b64 exec, exec, s[6:7]
	v_add_u32_e32 v64, 16, v0
	v_cmp_gt_i32_e64 s[6:7], s20, v64
	s_and_b64 s[10:11], s[6:7], s[18:19]
	v_ashrrev_i32_e32 v65, 31, v64
	;; [unrolled: 24-line block ×7, first 2 shown]
	s_and_saveexec_b64 s[18:19], s[26:27]
	s_cbranch_execz .LBB42_82
; %bb.78:
	s_and_b64 vcc, exec, s[0:1]
	s_cbranch_vccnz .LBB42_80
; %bb.79:
	v_lshl_add_u64 v[66:67], v[54:55], 2, v[70:71]
	flat_load_dword v66, v[66:67]
	s_waitcnt vmcnt(0) lgkmcnt(0)
	v_mul_f32_e32 v66, s28, v66
	s_branch .LBB42_81
.LBB42_80:
	v_mov_b32_e32 v66, 0
.LBB42_81:
	v_add_f32_e32 v52, v52, v53
	v_add_f32_e32 v66, v52, v66
	v_lshl_add_u64 v[52:53], v[54:55], 2, v[68:69]
	flat_store_dword v[52:53], v66
.LBB42_82:
	s_or_b64 exec, exec, s[18:19]
	v_add_u32_e32 v68, 32, v72
	v_mad_i64_i32 v[52:53], s[26:27], v68, s31, 0
	v_cmp_gt_i32_e64 s[18:19], s21, v68
	v_lshl_add_u64 v[66:67], v[52:53], 2, s[24:25]
	v_mad_i64_i32 v[52:53], s[26:27], v68, s30, 0
	v_lshl_add_u64 v[52:53], v[52:53], 2, s[22:23]
	s_and_b64 s[34:35], s[2:3], s[18:19]
	s_and_saveexec_b64 s[26:27], s[34:35]
	s_cbranch_execnz .LBB42_90
; %bb.83:
	s_or_b64 exec, exec, s[26:27]
	s_and_b64 s[34:35], s[4:5], s[18:19]
	s_and_saveexec_b64 s[26:27], s[34:35]
	s_cbranch_execnz .LBB42_94
.LBB42_84:
	s_or_b64 exec, exec, s[26:27]
	s_and_b64 s[34:35], s[6:7], s[18:19]
	s_and_saveexec_b64 s[26:27], s[34:35]
	s_cbranch_execnz .LBB42_98
.LBB42_85:
	s_or_b64 exec, exec, s[26:27]
	s_and_b64 s[34:35], s[8:9], s[18:19]
	s_and_saveexec_b64 s[26:27], s[34:35]
	s_cbranch_execnz .LBB42_102
.LBB42_86:
	s_or_b64 exec, exec, s[26:27]
	s_and_b64 s[34:35], s[10:11], s[18:19]
	s_and_saveexec_b64 s[26:27], s[34:35]
	s_cbranch_execnz .LBB42_106
.LBB42_87:
	s_or_b64 exec, exec, s[26:27]
	s_and_b64 s[34:35], s[12:13], s[18:19]
	s_and_saveexec_b64 s[26:27], s[34:35]
	s_cbranch_execnz .LBB42_110
.LBB42_88:
	s_or_b64 exec, exec, s[26:27]
	s_and_b64 s[34:35], s[14:15], s[18:19]
	s_and_saveexec_b64 s[26:27], s[34:35]
	s_cbranch_execnz .LBB42_114
.LBB42_89:
	s_or_b64 exec, exec, s[26:27]
	s_and_b64 s[26:27], s[16:17], s[18:19]
	s_and_saveexec_b64 s[18:19], s[26:27]
	s_cbranch_execnz .LBB42_118
	s_branch .LBB42_122
.LBB42_90:
	s_and_b64 vcc, exec, s[0:1]
	s_cbranch_vccnz .LBB42_92
; %bb.91:
	v_lshl_add_u64 v[68:69], v[0:1], 2, v[66:67]
	flat_load_dword v68, v[68:69]
	s_waitcnt vmcnt(0) lgkmcnt(0)
	v_mul_f32_e32 v68, s28, v68
	s_branch .LBB42_93
.LBB42_92:
	v_mov_b32_e32 v68, 0
.LBB42_93:
	v_add_f32_e32 v50, v50, v51
	v_add_f32_e32 v68, v50, v68
	v_lshl_add_u64 v[50:51], v[0:1], 2, v[52:53]
	flat_store_dword v[50:51], v68
	s_or_b64 exec, exec, s[26:27]
	s_and_b64 s[34:35], s[4:5], s[18:19]
	s_and_saveexec_b64 s[26:27], s[34:35]
	s_cbranch_execz .LBB42_84
.LBB42_94:
	s_and_b64 vcc, exec, s[0:1]
	s_cbranch_vccnz .LBB42_96
; %bb.95:
	v_lshl_add_u64 v[50:51], v[2:3], 2, v[66:67]
	flat_load_dword v50, v[50:51]
	s_waitcnt vmcnt(0) lgkmcnt(0)
	v_mul_f32_e32 v50, s28, v50
	s_branch .LBB42_97
.LBB42_96:
	v_mov_b32_e32 v50, 0
.LBB42_97:
	v_add_f32_e32 v48, v48, v49
	v_add_f32_e32 v50, v48, v50
	v_lshl_add_u64 v[48:49], v[2:3], 2, v[52:53]
	flat_store_dword v[48:49], v50
	s_or_b64 exec, exec, s[26:27]
	s_and_b64 s[34:35], s[6:7], s[18:19]
	s_and_saveexec_b64 s[26:27], s[34:35]
	s_cbranch_execz .LBB42_85
.LBB42_98:
	s_and_b64 vcc, exec, s[0:1]
	s_cbranch_vccnz .LBB42_100
; %bb.99:
	v_lshl_add_u64 v[48:49], v[64:65], 2, v[66:67]
	flat_load_dword v48, v[48:49]
	s_waitcnt vmcnt(0) lgkmcnt(0)
	v_mul_f32_e32 v48, s28, v48
	s_branch .LBB42_101
.LBB42_100:
	v_mov_b32_e32 v48, 0
.LBB42_101:
	v_add_f32_e32 v46, v46, v47
	v_add_f32_e32 v48, v46, v48
	v_lshl_add_u64 v[46:47], v[64:65], 2, v[52:53]
	flat_store_dword v[46:47], v48
	s_or_b64 exec, exec, s[26:27]
	s_and_b64 s[34:35], s[8:9], s[18:19]
	s_and_saveexec_b64 s[26:27], s[34:35]
	s_cbranch_execz .LBB42_86
.LBB42_102:
	s_and_b64 vcc, exec, s[0:1]
	s_cbranch_vccnz .LBB42_104
; %bb.103:
	v_lshl_add_u64 v[46:47], v[62:63], 2, v[66:67]
	flat_load_dword v46, v[46:47]
	s_waitcnt vmcnt(0) lgkmcnt(0)
	v_mul_f32_e32 v46, s28, v46
	s_branch .LBB42_105
.LBB42_104:
	v_mov_b32_e32 v46, 0
.LBB42_105:
	v_add_f32_e32 v44, v44, v45
	v_add_f32_e32 v46, v44, v46
	v_lshl_add_u64 v[44:45], v[62:63], 2, v[52:53]
	flat_store_dword v[44:45], v46
	s_or_b64 exec, exec, s[26:27]
	s_and_b64 s[34:35], s[10:11], s[18:19]
	s_and_saveexec_b64 s[26:27], s[34:35]
	s_cbranch_execz .LBB42_87
.LBB42_106:
	s_and_b64 vcc, exec, s[0:1]
	s_cbranch_vccnz .LBB42_108
; %bb.107:
	v_lshl_add_u64 v[44:45], v[60:61], 2, v[66:67]
	flat_load_dword v44, v[44:45]
	s_waitcnt vmcnt(0) lgkmcnt(0)
	v_mul_f32_e32 v44, s28, v44
	s_branch .LBB42_109
.LBB42_108:
	v_mov_b32_e32 v44, 0
.LBB42_109:
	v_add_f32_e32 v42, v42, v43
	v_add_f32_e32 v44, v42, v44
	v_lshl_add_u64 v[42:43], v[60:61], 2, v[52:53]
	flat_store_dword v[42:43], v44
	s_or_b64 exec, exec, s[26:27]
	s_and_b64 s[34:35], s[12:13], s[18:19]
	s_and_saveexec_b64 s[26:27], s[34:35]
	s_cbranch_execz .LBB42_88
.LBB42_110:
	s_and_b64 vcc, exec, s[0:1]
	s_cbranch_vccnz .LBB42_112
; %bb.111:
	v_lshl_add_u64 v[42:43], v[58:59], 2, v[66:67]
	flat_load_dword v42, v[42:43]
	s_waitcnt vmcnt(0) lgkmcnt(0)
	v_mul_f32_e32 v42, s28, v42
	s_branch .LBB42_113
.LBB42_112:
	v_mov_b32_e32 v42, 0
.LBB42_113:
	v_add_f32_e32 v40, v40, v41
	v_add_f32_e32 v42, v40, v42
	v_lshl_add_u64 v[40:41], v[58:59], 2, v[52:53]
	flat_store_dword v[40:41], v42
	s_or_b64 exec, exec, s[26:27]
	s_and_b64 s[34:35], s[14:15], s[18:19]
	s_and_saveexec_b64 s[26:27], s[34:35]
	s_cbranch_execz .LBB42_89
.LBB42_114:
	s_and_b64 vcc, exec, s[0:1]
	s_cbranch_vccnz .LBB42_116
; %bb.115:
	v_lshl_add_u64 v[40:41], v[56:57], 2, v[66:67]
	flat_load_dword v40, v[40:41]
	s_waitcnt vmcnt(0) lgkmcnt(0)
	v_mul_f32_e32 v40, s28, v40
	s_branch .LBB42_117
.LBB42_116:
	v_mov_b32_e32 v40, 0
.LBB42_117:
	v_add_f32_e32 v38, v38, v39
	v_add_f32_e32 v40, v38, v40
	v_lshl_add_u64 v[38:39], v[56:57], 2, v[52:53]
	flat_store_dword v[38:39], v40
	s_or_b64 exec, exec, s[26:27]
	s_and_b64 s[26:27], s[16:17], s[18:19]
	s_and_saveexec_b64 s[18:19], s[26:27]
	s_cbranch_execz .LBB42_122
.LBB42_118:
	s_and_b64 vcc, exec, s[0:1]
	s_cbranch_vccnz .LBB42_120
; %bb.119:
	v_lshl_add_u64 v[38:39], v[54:55], 2, v[66:67]
	flat_load_dword v38, v[38:39]
	s_waitcnt vmcnt(0) lgkmcnt(0)
	v_mul_f32_e32 v38, s28, v38
	s_branch .LBB42_121
.LBB42_120:
	v_mov_b32_e32 v38, 0
.LBB42_121:
	v_add_f32_e32 v36, v36, v37
	v_add_f32_e32 v38, v36, v38
	v_lshl_add_u64 v[36:37], v[54:55], 2, v[52:53]
	flat_store_dword v[36:37], v38
.LBB42_122:
	s_or_b64 exec, exec, s[18:19]
	v_add_u32_e32 v40, 64, v72
	v_mad_i64_i32 v[36:37], s[26:27], v40, s31, 0
	v_cmp_gt_i32_e64 s[18:19], s21, v40
	v_lshl_add_u64 v[38:39], v[36:37], 2, s[24:25]
	v_mad_i64_i32 v[36:37], s[26:27], v40, s30, 0
	v_lshl_add_u64 v[36:37], v[36:37], 2, s[22:23]
	s_and_b64 s[34:35], s[2:3], s[18:19]
	s_and_saveexec_b64 s[26:27], s[34:35]
	s_cbranch_execnz .LBB42_130
; %bb.123:
	s_or_b64 exec, exec, s[26:27]
	s_and_b64 s[34:35], s[4:5], s[18:19]
	s_and_saveexec_b64 s[26:27], s[34:35]
	s_cbranch_execnz .LBB42_134
.LBB42_124:
	s_or_b64 exec, exec, s[26:27]
	s_and_b64 s[34:35], s[6:7], s[18:19]
	s_and_saveexec_b64 s[26:27], s[34:35]
	s_cbranch_execnz .LBB42_138
.LBB42_125:
	s_or_b64 exec, exec, s[26:27]
	s_and_b64 s[34:35], s[8:9], s[18:19]
	s_and_saveexec_b64 s[26:27], s[34:35]
	s_cbranch_execnz .LBB42_142
.LBB42_126:
	s_or_b64 exec, exec, s[26:27]
	s_and_b64 s[34:35], s[10:11], s[18:19]
	s_and_saveexec_b64 s[26:27], s[34:35]
	s_cbranch_execnz .LBB42_146
.LBB42_127:
	s_or_b64 exec, exec, s[26:27]
	s_and_b64 s[34:35], s[12:13], s[18:19]
	s_and_saveexec_b64 s[26:27], s[34:35]
	s_cbranch_execnz .LBB42_150
.LBB42_128:
	s_or_b64 exec, exec, s[26:27]
	s_and_b64 s[34:35], s[14:15], s[18:19]
	s_and_saveexec_b64 s[26:27], s[34:35]
	s_cbranch_execnz .LBB42_154
.LBB42_129:
	s_or_b64 exec, exec, s[26:27]
	s_and_b64 s[26:27], s[16:17], s[18:19]
	s_and_saveexec_b64 s[18:19], s[26:27]
	s_cbranch_execnz .LBB42_158
	s_branch .LBB42_162
.LBB42_130:
	s_and_b64 vcc, exec, s[0:1]
	s_cbranch_vccnz .LBB42_132
; %bb.131:
	v_lshl_add_u64 v[40:41], v[0:1], 2, v[38:39]
	flat_load_dword v40, v[40:41]
	s_waitcnt vmcnt(0) lgkmcnt(0)
	v_mul_f32_e32 v40, s28, v40
	s_branch .LBB42_133
.LBB42_132:
	v_mov_b32_e32 v40, 0
.LBB42_133:
	v_add_f32_e32 v34, v34, v35
	v_add_f32_e32 v40, v34, v40
	v_lshl_add_u64 v[34:35], v[0:1], 2, v[36:37]
	flat_store_dword v[34:35], v40
	s_or_b64 exec, exec, s[26:27]
	s_and_b64 s[34:35], s[4:5], s[18:19]
	s_and_saveexec_b64 s[26:27], s[34:35]
	s_cbranch_execz .LBB42_124
.LBB42_134:
	s_and_b64 vcc, exec, s[0:1]
	s_cbranch_vccnz .LBB42_136
; %bb.135:
	v_lshl_add_u64 v[34:35], v[2:3], 2, v[38:39]
	flat_load_dword v34, v[34:35]
	s_waitcnt vmcnt(0) lgkmcnt(0)
	v_mul_f32_e32 v34, s28, v34
	s_branch .LBB42_137
.LBB42_136:
	v_mov_b32_e32 v34, 0
.LBB42_137:
	v_add_f32_e32 v32, v32, v33
	v_add_f32_e32 v34, v32, v34
	v_lshl_add_u64 v[32:33], v[2:3], 2, v[36:37]
	flat_store_dword v[32:33], v34
	s_or_b64 exec, exec, s[26:27]
	s_and_b64 s[34:35], s[6:7], s[18:19]
	s_and_saveexec_b64 s[26:27], s[34:35]
	s_cbranch_execz .LBB42_125
.LBB42_138:
	s_and_b64 vcc, exec, s[0:1]
	s_cbranch_vccnz .LBB42_140
; %bb.139:
	v_lshl_add_u64 v[32:33], v[64:65], 2, v[38:39]
	flat_load_dword v32, v[32:33]
	s_waitcnt vmcnt(0) lgkmcnt(0)
	v_mul_f32_e32 v32, s28, v32
	s_branch .LBB42_141
.LBB42_140:
	v_mov_b32_e32 v32, 0
.LBB42_141:
	v_add_f32_e32 v30, v30, v31
	v_add_f32_e32 v32, v30, v32
	v_lshl_add_u64 v[30:31], v[64:65], 2, v[36:37]
	flat_store_dword v[30:31], v32
	s_or_b64 exec, exec, s[26:27]
	s_and_b64 s[34:35], s[8:9], s[18:19]
	s_and_saveexec_b64 s[26:27], s[34:35]
	s_cbranch_execz .LBB42_126
.LBB42_142:
	s_and_b64 vcc, exec, s[0:1]
	s_cbranch_vccnz .LBB42_144
; %bb.143:
	v_lshl_add_u64 v[30:31], v[62:63], 2, v[38:39]
	flat_load_dword v30, v[30:31]
	s_waitcnt vmcnt(0) lgkmcnt(0)
	v_mul_f32_e32 v30, s28, v30
	s_branch .LBB42_145
.LBB42_144:
	v_mov_b32_e32 v30, 0
.LBB42_145:
	v_add_f32_e32 v28, v28, v29
	v_add_f32_e32 v30, v28, v30
	v_lshl_add_u64 v[28:29], v[62:63], 2, v[36:37]
	flat_store_dword v[28:29], v30
	s_or_b64 exec, exec, s[26:27]
	s_and_b64 s[34:35], s[10:11], s[18:19]
	s_and_saveexec_b64 s[26:27], s[34:35]
	s_cbranch_execz .LBB42_127
.LBB42_146:
	s_and_b64 vcc, exec, s[0:1]
	s_cbranch_vccnz .LBB42_148
; %bb.147:
	v_lshl_add_u64 v[28:29], v[60:61], 2, v[38:39]
	flat_load_dword v28, v[28:29]
	s_waitcnt vmcnt(0) lgkmcnt(0)
	v_mul_f32_e32 v28, s28, v28
	s_branch .LBB42_149
.LBB42_148:
	v_mov_b32_e32 v28, 0
.LBB42_149:
	v_add_f32_e32 v26, v26, v27
	v_add_f32_e32 v28, v26, v28
	v_lshl_add_u64 v[26:27], v[60:61], 2, v[36:37]
	flat_store_dword v[26:27], v28
	s_or_b64 exec, exec, s[26:27]
	s_and_b64 s[34:35], s[12:13], s[18:19]
	s_and_saveexec_b64 s[26:27], s[34:35]
	s_cbranch_execz .LBB42_128
.LBB42_150:
	s_and_b64 vcc, exec, s[0:1]
	s_cbranch_vccnz .LBB42_152
; %bb.151:
	v_lshl_add_u64 v[26:27], v[58:59], 2, v[38:39]
	flat_load_dword v26, v[26:27]
	s_waitcnt vmcnt(0) lgkmcnt(0)
	v_mul_f32_e32 v26, s28, v26
	s_branch .LBB42_153
.LBB42_152:
	v_mov_b32_e32 v26, 0
.LBB42_153:
	v_add_f32_e32 v24, v24, v25
	v_add_f32_e32 v26, v24, v26
	v_lshl_add_u64 v[24:25], v[58:59], 2, v[36:37]
	flat_store_dword v[24:25], v26
	s_or_b64 exec, exec, s[26:27]
	s_and_b64 s[34:35], s[14:15], s[18:19]
	s_and_saveexec_b64 s[26:27], s[34:35]
	s_cbranch_execz .LBB42_129
.LBB42_154:
	s_and_b64 vcc, exec, s[0:1]
	s_cbranch_vccnz .LBB42_156
; %bb.155:
	v_lshl_add_u64 v[24:25], v[56:57], 2, v[38:39]
	flat_load_dword v24, v[24:25]
	s_waitcnt vmcnt(0) lgkmcnt(0)
	v_mul_f32_e32 v24, s28, v24
	s_branch .LBB42_157
.LBB42_156:
	v_mov_b32_e32 v24, 0
.LBB42_157:
	v_add_f32_e32 v22, v22, v23
	v_add_f32_e32 v24, v22, v24
	v_lshl_add_u64 v[22:23], v[56:57], 2, v[36:37]
	flat_store_dword v[22:23], v24
	s_or_b64 exec, exec, s[26:27]
	s_and_b64 s[26:27], s[16:17], s[18:19]
	s_and_saveexec_b64 s[18:19], s[26:27]
	s_cbranch_execz .LBB42_162
.LBB42_158:
	s_and_b64 vcc, exec, s[0:1]
	s_cbranch_vccnz .LBB42_160
; %bb.159:
	v_lshl_add_u64 v[22:23], v[54:55], 2, v[38:39]
	flat_load_dword v22, v[22:23]
	s_waitcnt vmcnt(0) lgkmcnt(0)
	v_mul_f32_e32 v22, s28, v22
	s_branch .LBB42_161
.LBB42_160:
	v_mov_b32_e32 v22, 0
.LBB42_161:
	v_add_f32_e32 v20, v20, v21
	v_add_f32_e32 v22, v20, v22
	v_lshl_add_u64 v[20:21], v[54:55], 2, v[36:37]
	flat_store_dword v[20:21], v22
.LBB42_162:
	s_or_b64 exec, exec, s[18:19]
	v_add_u32_e32 v24, 0x60, v72
	v_cmp_gt_i32_e64 s[18:19], s21, v24
	v_mad_i64_i32 v[20:21], s[20:21], v24, s31, 0
	v_lshl_add_u64 v[22:23], v[20:21], 2, s[24:25]
	v_mad_i64_i32 v[20:21], s[20:21], v24, s30, 0
	v_lshl_add_u64 v[20:21], v[20:21], 2, s[22:23]
	s_and_b64 s[20:21], s[2:3], s[18:19]
	s_and_saveexec_b64 s[2:3], s[20:21]
	s_cbranch_execnz .LBB42_171
; %bb.163:
	s_or_b64 exec, exec, s[2:3]
	s_and_b64 s[4:5], s[4:5], s[18:19]
	s_and_saveexec_b64 s[2:3], s[4:5]
	s_cbranch_execnz .LBB42_175
.LBB42_164:
	s_or_b64 exec, exec, s[2:3]
	s_and_b64 s[4:5], s[6:7], s[18:19]
	s_and_saveexec_b64 s[2:3], s[4:5]
	s_cbranch_execnz .LBB42_179
.LBB42_165:
	s_or_b64 exec, exec, s[2:3]
	s_and_b64 s[4:5], s[8:9], s[18:19]
	s_and_saveexec_b64 s[2:3], s[4:5]
	s_cbranch_execnz .LBB42_183
.LBB42_166:
	s_or_b64 exec, exec, s[2:3]
	s_and_b64 s[4:5], s[10:11], s[18:19]
	s_and_saveexec_b64 s[2:3], s[4:5]
	s_cbranch_execnz .LBB42_187
.LBB42_167:
	s_or_b64 exec, exec, s[2:3]
	s_and_b64 s[4:5], s[12:13], s[18:19]
	s_and_saveexec_b64 s[2:3], s[4:5]
	s_cbranch_execnz .LBB42_191
.LBB42_168:
	s_or_b64 exec, exec, s[2:3]
	s_and_b64 s[4:5], s[14:15], s[18:19]
	s_and_saveexec_b64 s[2:3], s[4:5]
	s_cbranch_execnz .LBB42_195
.LBB42_169:
	s_or_b64 exec, exec, s[2:3]
	s_and_b64 s[2:3], s[16:17], s[18:19]
	s_and_saveexec_b64 s[4:5], s[2:3]
	s_cbranch_execnz .LBB42_199
.LBB42_170:
	s_endpgm
.LBB42_171:
	s_and_b64 vcc, exec, s[0:1]
	s_cbranch_vccnz .LBB42_173
; %bb.172:
	v_lshl_add_u64 v[24:25], v[0:1], 2, v[22:23]
	flat_load_dword v24, v[24:25]
	s_waitcnt vmcnt(0) lgkmcnt(0)
	v_mul_f32_e32 v24, s28, v24
	s_branch .LBB42_174
.LBB42_173:
	v_mov_b32_e32 v24, 0
.LBB42_174:
	v_add_f32_e32 v18, v18, v19
	v_add_f32_e32 v18, v18, v24
	v_lshl_add_u64 v[0:1], v[0:1], 2, v[20:21]
	flat_store_dword v[0:1], v18
	s_or_b64 exec, exec, s[2:3]
	s_and_b64 s[4:5], s[4:5], s[18:19]
	s_and_saveexec_b64 s[2:3], s[4:5]
	s_cbranch_execz .LBB42_164
.LBB42_175:
	s_and_b64 vcc, exec, s[0:1]
	s_cbranch_vccnz .LBB42_177
; %bb.176:
	v_lshl_add_u64 v[0:1], v[2:3], 2, v[22:23]
	flat_load_dword v0, v[0:1]
	s_waitcnt vmcnt(0) lgkmcnt(0)
	v_mul_f32_e32 v0, s28, v0
	s_branch .LBB42_178
.LBB42_177:
	v_mov_b32_e32 v0, 0
.LBB42_178:
	v_add_f32_e32 v1, v16, v17
	v_add_f32_e32 v16, v1, v0
	v_lshl_add_u64 v[0:1], v[2:3], 2, v[20:21]
	flat_store_dword v[0:1], v16
	s_or_b64 exec, exec, s[2:3]
	s_and_b64 s[4:5], s[6:7], s[18:19]
	s_and_saveexec_b64 s[2:3], s[4:5]
	s_cbranch_execz .LBB42_165
.LBB42_179:
	s_and_b64 vcc, exec, s[0:1]
	s_cbranch_vccnz .LBB42_181
; %bb.180:
	v_lshl_add_u64 v[0:1], v[64:65], 2, v[22:23]
	flat_load_dword v0, v[0:1]
	s_waitcnt vmcnt(0) lgkmcnt(0)
	v_mul_f32_e32 v0, s28, v0
	s_branch .LBB42_182
.LBB42_181:
	v_mov_b32_e32 v0, 0
.LBB42_182:
	v_add_f32_e32 v1, v14, v15
	v_add_f32_e32 v2, v1, v0
	v_lshl_add_u64 v[0:1], v[64:65], 2, v[20:21]
	flat_store_dword v[0:1], v2
	s_or_b64 exec, exec, s[2:3]
	s_and_b64 s[4:5], s[8:9], s[18:19]
	s_and_saveexec_b64 s[2:3], s[4:5]
	s_cbranch_execz .LBB42_166
.LBB42_183:
	s_and_b64 vcc, exec, s[0:1]
	s_cbranch_vccnz .LBB42_185
; %bb.184:
	v_lshl_add_u64 v[0:1], v[62:63], 2, v[22:23]
	flat_load_dword v0, v[0:1]
	s_waitcnt vmcnt(0) lgkmcnt(0)
	v_mul_f32_e32 v0, s28, v0
	s_branch .LBB42_186
.LBB42_185:
	v_mov_b32_e32 v0, 0
.LBB42_186:
	v_add_f32_e32 v1, v12, v13
	v_add_f32_e32 v2, v1, v0
	v_lshl_add_u64 v[0:1], v[62:63], 2, v[20:21]
	flat_store_dword v[0:1], v2
	s_or_b64 exec, exec, s[2:3]
	s_and_b64 s[4:5], s[10:11], s[18:19]
	s_and_saveexec_b64 s[2:3], s[4:5]
	s_cbranch_execz .LBB42_167
.LBB42_187:
	s_and_b64 vcc, exec, s[0:1]
	s_cbranch_vccnz .LBB42_189
; %bb.188:
	v_lshl_add_u64 v[0:1], v[60:61], 2, v[22:23]
	flat_load_dword v0, v[0:1]
	s_waitcnt vmcnt(0) lgkmcnt(0)
	v_mul_f32_e32 v0, s28, v0
	s_branch .LBB42_190
.LBB42_189:
	v_mov_b32_e32 v0, 0
.LBB42_190:
	v_add_f32_e32 v1, v10, v11
	v_add_f32_e32 v2, v1, v0
	v_lshl_add_u64 v[0:1], v[60:61], 2, v[20:21]
	flat_store_dword v[0:1], v2
	s_or_b64 exec, exec, s[2:3]
	s_and_b64 s[4:5], s[12:13], s[18:19]
	s_and_saveexec_b64 s[2:3], s[4:5]
	s_cbranch_execz .LBB42_168
.LBB42_191:
	s_and_b64 vcc, exec, s[0:1]
	s_cbranch_vccnz .LBB42_193
; %bb.192:
	v_lshl_add_u64 v[0:1], v[58:59], 2, v[22:23]
	flat_load_dword v0, v[0:1]
	s_waitcnt vmcnt(0) lgkmcnt(0)
	v_mul_f32_e32 v0, s28, v0
	s_branch .LBB42_194
.LBB42_193:
	v_mov_b32_e32 v0, 0
.LBB42_194:
	v_add_f32_e32 v1, v8, v9
	v_add_f32_e32 v2, v1, v0
	v_lshl_add_u64 v[0:1], v[58:59], 2, v[20:21]
	flat_store_dword v[0:1], v2
	s_or_b64 exec, exec, s[2:3]
	s_and_b64 s[4:5], s[14:15], s[18:19]
	s_and_saveexec_b64 s[2:3], s[4:5]
	s_cbranch_execz .LBB42_169
.LBB42_195:
	s_and_b64 vcc, exec, s[0:1]
	s_cbranch_vccnz .LBB42_197
; %bb.196:
	v_lshl_add_u64 v[0:1], v[56:57], 2, v[22:23]
	flat_load_dword v0, v[0:1]
	s_waitcnt vmcnt(0) lgkmcnt(0)
	v_mul_f32_e32 v0, s28, v0
	s_branch .LBB42_198
.LBB42_197:
	v_mov_b32_e32 v0, 0
.LBB42_198:
	v_add_f32_e32 v1, v6, v7
	v_add_f32_e32 v2, v1, v0
	v_lshl_add_u64 v[0:1], v[56:57], 2, v[20:21]
	flat_store_dword v[0:1], v2
	s_or_b64 exec, exec, s[2:3]
	s_and_b64 s[2:3], s[16:17], s[18:19]
	s_and_saveexec_b64 s[4:5], s[2:3]
	s_cbranch_execz .LBB42_170
.LBB42_199:
	s_and_b64 vcc, exec, s[0:1]
	s_cbranch_vccnz .LBB42_201
; %bb.200:
	v_lshl_add_u64 v[0:1], v[54:55], 2, v[22:23]
	flat_load_dword v0, v[0:1]
	s_waitcnt vmcnt(0) lgkmcnt(0)
	v_mul_f32_e32 v0, s28, v0
	s_branch .LBB42_202
.LBB42_201:
	v_mov_b32_e32 v0, 0
.LBB42_202:
	v_add_f32_e32 v1, v4, v5
	v_add_f32_e32 v2, v1, v0
	v_lshl_add_u64 v[0:1], v[54:55], 2, v[20:21]
	flat_store_dword v[0:1], v2
	s_endpgm
	.section	.rodata,"a",@progbits
	.p2align	6, 0x0
	.amdhsa_kernel _ZN12_GLOBAL__N_120geam_min_plus_kernelIf15HIP_vector_typeIfLj2EES2_Li8ELi32ELi64ELi128ELi4ELi64ELi4ELi64ELi4ELc78ELc84ELb0ELb1ELb0EPKfKS4_KPfEEviiiT16_PT17_ilSA_ilS8_SA_ilPT18_ili26rocblas_geam_ex_operation_
		.amdhsa_group_segment_fixed_size 6144
		.amdhsa_private_segment_fixed_size 0
		.amdhsa_kernarg_size 136
		.amdhsa_user_sgpr_count 2
		.amdhsa_user_sgpr_dispatch_ptr 0
		.amdhsa_user_sgpr_queue_ptr 0
		.amdhsa_user_sgpr_kernarg_segment_ptr 1
		.amdhsa_user_sgpr_dispatch_id 0
		.amdhsa_user_sgpr_kernarg_preload_length 0
		.amdhsa_user_sgpr_kernarg_preload_offset 0
		.amdhsa_user_sgpr_private_segment_size 0
		.amdhsa_uses_dynamic_stack 0
		.amdhsa_enable_private_segment 0
		.amdhsa_system_sgpr_workgroup_id_x 1
		.amdhsa_system_sgpr_workgroup_id_y 0
		.amdhsa_system_sgpr_workgroup_id_z 1
		.amdhsa_system_sgpr_workgroup_info 0
		.amdhsa_system_vgpr_workitem_id 1
		.amdhsa_next_free_vgpr 108
		.amdhsa_next_free_sgpr 40
		.amdhsa_accum_offset 108
		.amdhsa_reserve_vcc 1
		.amdhsa_float_round_mode_32 0
		.amdhsa_float_round_mode_16_64 0
		.amdhsa_float_denorm_mode_32 3
		.amdhsa_float_denorm_mode_16_64 3
		.amdhsa_dx10_clamp 1
		.amdhsa_ieee_mode 1
		.amdhsa_fp16_overflow 0
		.amdhsa_tg_split 0
		.amdhsa_exception_fp_ieee_invalid_op 0
		.amdhsa_exception_fp_denorm_src 0
		.amdhsa_exception_fp_ieee_div_zero 0
		.amdhsa_exception_fp_ieee_overflow 0
		.amdhsa_exception_fp_ieee_underflow 0
		.amdhsa_exception_fp_ieee_inexact 0
		.amdhsa_exception_int_div_zero 0
	.end_amdhsa_kernel
	.section	.text._ZN12_GLOBAL__N_120geam_min_plus_kernelIf15HIP_vector_typeIfLj2EES2_Li8ELi32ELi64ELi128ELi4ELi64ELi4ELi64ELi4ELc78ELc84ELb0ELb1ELb0EPKfKS4_KPfEEviiiT16_PT17_ilSA_ilS8_SA_ilPT18_ili26rocblas_geam_ex_operation_,"axG",@progbits,_ZN12_GLOBAL__N_120geam_min_plus_kernelIf15HIP_vector_typeIfLj2EES2_Li8ELi32ELi64ELi128ELi4ELi64ELi4ELi64ELi4ELc78ELc84ELb0ELb1ELb0EPKfKS4_KPfEEviiiT16_PT17_ilSA_ilS8_SA_ilPT18_ili26rocblas_geam_ex_operation_,comdat
.Lfunc_end42:
	.size	_ZN12_GLOBAL__N_120geam_min_plus_kernelIf15HIP_vector_typeIfLj2EES2_Li8ELi32ELi64ELi128ELi4ELi64ELi4ELi64ELi4ELc78ELc84ELb0ELb1ELb0EPKfKS4_KPfEEviiiT16_PT17_ilSA_ilS8_SA_ilPT18_ili26rocblas_geam_ex_operation_, .Lfunc_end42-_ZN12_GLOBAL__N_120geam_min_plus_kernelIf15HIP_vector_typeIfLj2EES2_Li8ELi32ELi64ELi128ELi4ELi64ELi4ELi64ELi4ELc78ELc84ELb0ELb1ELb0EPKfKS4_KPfEEviiiT16_PT17_ilSA_ilS8_SA_ilPT18_ili26rocblas_geam_ex_operation_
                                        ; -- End function
	.set _ZN12_GLOBAL__N_120geam_min_plus_kernelIf15HIP_vector_typeIfLj2EES2_Li8ELi32ELi64ELi128ELi4ELi64ELi4ELi64ELi4ELc78ELc84ELb0ELb1ELb0EPKfKS4_KPfEEviiiT16_PT17_ilSA_ilS8_SA_ilPT18_ili26rocblas_geam_ex_operation_.num_vgpr, 108
	.set _ZN12_GLOBAL__N_120geam_min_plus_kernelIf15HIP_vector_typeIfLj2EES2_Li8ELi32ELi64ELi128ELi4ELi64ELi4ELi64ELi4ELc78ELc84ELb0ELb1ELb0EPKfKS4_KPfEEviiiT16_PT17_ilSA_ilS8_SA_ilPT18_ili26rocblas_geam_ex_operation_.num_agpr, 0
	.set _ZN12_GLOBAL__N_120geam_min_plus_kernelIf15HIP_vector_typeIfLj2EES2_Li8ELi32ELi64ELi128ELi4ELi64ELi4ELi64ELi4ELc78ELc84ELb0ELb1ELb0EPKfKS4_KPfEEviiiT16_PT17_ilSA_ilS8_SA_ilPT18_ili26rocblas_geam_ex_operation_.numbered_sgpr, 40
	.set _ZN12_GLOBAL__N_120geam_min_plus_kernelIf15HIP_vector_typeIfLj2EES2_Li8ELi32ELi64ELi128ELi4ELi64ELi4ELi64ELi4ELc78ELc84ELb0ELb1ELb0EPKfKS4_KPfEEviiiT16_PT17_ilSA_ilS8_SA_ilPT18_ili26rocblas_geam_ex_operation_.num_named_barrier, 0
	.set _ZN12_GLOBAL__N_120geam_min_plus_kernelIf15HIP_vector_typeIfLj2EES2_Li8ELi32ELi64ELi128ELi4ELi64ELi4ELi64ELi4ELc78ELc84ELb0ELb1ELb0EPKfKS4_KPfEEviiiT16_PT17_ilSA_ilS8_SA_ilPT18_ili26rocblas_geam_ex_operation_.private_seg_size, 0
	.set _ZN12_GLOBAL__N_120geam_min_plus_kernelIf15HIP_vector_typeIfLj2EES2_Li8ELi32ELi64ELi128ELi4ELi64ELi4ELi64ELi4ELc78ELc84ELb0ELb1ELb0EPKfKS4_KPfEEviiiT16_PT17_ilSA_ilS8_SA_ilPT18_ili26rocblas_geam_ex_operation_.uses_vcc, 1
	.set _ZN12_GLOBAL__N_120geam_min_plus_kernelIf15HIP_vector_typeIfLj2EES2_Li8ELi32ELi64ELi128ELi4ELi64ELi4ELi64ELi4ELc78ELc84ELb0ELb1ELb0EPKfKS4_KPfEEviiiT16_PT17_ilSA_ilS8_SA_ilPT18_ili26rocblas_geam_ex_operation_.uses_flat_scratch, 0
	.set _ZN12_GLOBAL__N_120geam_min_plus_kernelIf15HIP_vector_typeIfLj2EES2_Li8ELi32ELi64ELi128ELi4ELi64ELi4ELi64ELi4ELc78ELc84ELb0ELb1ELb0EPKfKS4_KPfEEviiiT16_PT17_ilSA_ilS8_SA_ilPT18_ili26rocblas_geam_ex_operation_.has_dyn_sized_stack, 0
	.set _ZN12_GLOBAL__N_120geam_min_plus_kernelIf15HIP_vector_typeIfLj2EES2_Li8ELi32ELi64ELi128ELi4ELi64ELi4ELi64ELi4ELc78ELc84ELb0ELb1ELb0EPKfKS4_KPfEEviiiT16_PT17_ilSA_ilS8_SA_ilPT18_ili26rocblas_geam_ex_operation_.has_recursion, 0
	.set _ZN12_GLOBAL__N_120geam_min_plus_kernelIf15HIP_vector_typeIfLj2EES2_Li8ELi32ELi64ELi128ELi4ELi64ELi4ELi64ELi4ELc78ELc84ELb0ELb1ELb0EPKfKS4_KPfEEviiiT16_PT17_ilSA_ilS8_SA_ilPT18_ili26rocblas_geam_ex_operation_.has_indirect_call, 0
	.section	.AMDGPU.csdata,"",@progbits
; Kernel info:
; codeLenInByte = 7972
; TotalNumSgprs: 46
; NumVgprs: 108
; NumAgprs: 0
; TotalNumVgprs: 108
; ScratchSize: 0
; MemoryBound: 0
; FloatMode: 240
; IeeeMode: 1
; LDSByteSize: 6144 bytes/workgroup (compile time only)
; SGPRBlocks: 5
; VGPRBlocks: 13
; NumSGPRsForWavesPerEU: 46
; NumVGPRsForWavesPerEU: 108
; AccumOffset: 108
; Occupancy: 4
; WaveLimiterHint : 1
; COMPUTE_PGM_RSRC2:SCRATCH_EN: 0
; COMPUTE_PGM_RSRC2:USER_SGPR: 2
; COMPUTE_PGM_RSRC2:TRAP_HANDLER: 0
; COMPUTE_PGM_RSRC2:TGID_X_EN: 1
; COMPUTE_PGM_RSRC2:TGID_Y_EN: 0
; COMPUTE_PGM_RSRC2:TGID_Z_EN: 1
; COMPUTE_PGM_RSRC2:TIDIG_COMP_CNT: 1
; COMPUTE_PGM_RSRC3_GFX90A:ACCUM_OFFSET: 26
; COMPUTE_PGM_RSRC3_GFX90A:TG_SPLIT: 0
	.section	.text._ZN12_GLOBAL__N_120geam_min_plus_kernelIf15HIP_vector_typeIfLj2EES2_Li8ELi32ELi64ELi128ELi4ELi64ELi4ELi64ELi4ELc78ELc84ELb1ELb1ELb0EfKPKfKPfEEviiiT16_PT17_ilSA_ilS8_SA_ilPT18_ili26rocblas_geam_ex_operation_,"axG",@progbits,_ZN12_GLOBAL__N_120geam_min_plus_kernelIf15HIP_vector_typeIfLj2EES2_Li8ELi32ELi64ELi128ELi4ELi64ELi4ELi64ELi4ELc78ELc84ELb1ELb1ELb0EfKPKfKPfEEviiiT16_PT17_ilSA_ilS8_SA_ilPT18_ili26rocblas_geam_ex_operation_,comdat
	.globl	_ZN12_GLOBAL__N_120geam_min_plus_kernelIf15HIP_vector_typeIfLj2EES2_Li8ELi32ELi64ELi128ELi4ELi64ELi4ELi64ELi4ELc78ELc84ELb1ELb1ELb0EfKPKfKPfEEviiiT16_PT17_ilSA_ilS8_SA_ilPT18_ili26rocblas_geam_ex_operation_ ; -- Begin function _ZN12_GLOBAL__N_120geam_min_plus_kernelIf15HIP_vector_typeIfLj2EES2_Li8ELi32ELi64ELi128ELi4ELi64ELi4ELi64ELi4ELc78ELc84ELb1ELb1ELb0EfKPKfKPfEEviiiT16_PT17_ilSA_ilS8_SA_ilPT18_ili26rocblas_geam_ex_operation_
	.p2align	8
	.type	_ZN12_GLOBAL__N_120geam_min_plus_kernelIf15HIP_vector_typeIfLj2EES2_Li8ELi32ELi64ELi128ELi4ELi64ELi4ELi64ELi4ELc78ELc84ELb1ELb1ELb0EfKPKfKPfEEviiiT16_PT17_ilSA_ilS8_SA_ilPT18_ili26rocblas_geam_ex_operation_,@function
_ZN12_GLOBAL__N_120geam_min_plus_kernelIf15HIP_vector_typeIfLj2EES2_Li8ELi32ELi64ELi128ELi4ELi64ELi4ELi64ELi4ELc78ELc84ELb1ELb1ELb0EfKPKfKPfEEviiiT16_PT17_ilSA_ilS8_SA_ilPT18_ili26rocblas_geam_ex_operation_: ; @_ZN12_GLOBAL__N_120geam_min_plus_kernelIf15HIP_vector_typeIfLj2EES2_Li8ELi32ELi64ELi128ELi4ELi64ELi4ELi64ELi4ELc78ELc84ELb1ELb1ELb0EfKPKfKPfEEviiiT16_PT17_ilSA_ilS8_SA_ilPT18_ili26rocblas_geam_ex_operation_
; %bb.0:
	s_load_dwordx4 s[20:23], s[0:1], 0x0
	s_load_dwordx4 s[4:7], s[0:1], 0x20
	s_mov_b32 s8, s3
	s_mov_b32 s9, 0
	s_waitcnt lgkmcnt(0)
	v_cmp_eq_f32_e64 s[10:11], s23, 0
	s_and_b64 vcc, exec, s[10:11]
	s_cbranch_vccnz .LBB43_3
; %bb.1:
	s_load_dwordx2 s[12:13], s[0:1], 0x10
	s_lshl_b64 s[14:15], s[8:9], 3
	s_waitcnt lgkmcnt(0)
	s_add_u32 s12, s12, s14
	s_addc_u32 s13, s13, s15
	s_load_dwordx2 s[12:13], s[12:13], 0x0
	s_lshl_b64 s[4:5], s[4:5], 2
	s_waitcnt lgkmcnt(0)
	s_add_u32 s14, s12, s4
	s_addc_u32 s15, s13, s5
	s_andn2_b64 vcc, exec, s[10:11]
	s_cbranch_vccnz .LBB43_4
.LBB43_2:
	s_mov_b32 s11, 0
	s_mov_b32 s10, s8
	s_mov_b64 s[24:25], 0
	s_mov_b64 s[12:13], 0
	s_cbranch_execz .LBB43_5
	s_branch .LBB43_6
.LBB43_3:
	s_mov_b64 s[14:15], 0
	s_andn2_b64 vcc, exec, s[10:11]
	s_cbranch_vccz .LBB43_2
.LBB43_4:
	s_mov_b64 s[10:11], s[8:9]
	s_mov_b64 s[24:25], 0
	;; [unrolled: 1-line block ×3, first 2 shown]
.LBB43_5:
	s_lshl_b64 s[8:9], s[8:9], 3
	s_add_u32 s6, s6, s8
	s_load_dwordx2 s[4:5], s[0:1], 0x38
	s_addc_u32 s7, s7, s9
	s_load_dwordx2 s[6:7], s[6:7], 0x0
	s_waitcnt lgkmcnt(0)
	s_lshl_b64 s[4:5], s[4:5], 2
	s_add_u32 s12, s6, s4
	s_addc_u32 s13, s7, s5
.LBB43_6:
	s_load_dword s28, s[0:1], 0x40
	s_load_dwordx4 s[4:7], s[0:1], 0x58
	s_waitcnt lgkmcnt(0)
	v_cmp_eq_f32_e64 s[16:17], s28, 0
	v_cmp_neq_f32_e64 s[8:9], s28, 0
	s_and_b64 vcc, exec, s[16:17]
	s_cbranch_vccnz .LBB43_8
; %bb.7:
	s_load_dwordx2 s[16:17], s[0:1], 0x48
	s_lshl_b64 s[18:19], s[10:11], 3
	s_waitcnt lgkmcnt(0)
	s_add_u32 s16, s16, s18
	s_addc_u32 s17, s17, s19
	s_load_dwordx2 s[16:17], s[16:17], 0x0
	s_lshl_b64 s[4:5], s[4:5], 2
	s_waitcnt lgkmcnt(0)
	s_add_u32 s24, s16, s4
	s_addc_u32 s25, s17, s5
.LBB43_8:
	s_load_dword s23, s[0:1], 0x18
	s_lshl_b64 s[4:5], s[10:11], 3
	v_and_b32_e32 v69, 0x3ff, v0
	v_bfe_u32 v74, v0, 10, 10
	v_mov_b32_e32 v2, 0
	s_waitcnt lgkmcnt(0)
	s_ashr_i32 s26, s23, 31
	s_add_u32 s10, s6, s4
	s_addc_u32 s11, s7, s5
	s_add_i32 s3, s20, -1
	s_ashr_i32 s4, s3, 31
	s_lshr_b32 s4, s4, 26
	s_add_i32 s3, s3, s4
	s_ashr_i32 s3, s3, 6
	s_add_i32 s4, s3, 1
	v_cvt_f32_u32_e32 v1, s4
	s_not_b32 s3, s3
	v_mov_b32_e32 v4, 0
	v_rcp_iflag_f32_e32 v0, v1
	v_lshl_add_u32 v1, v74, 3, v69
	v_and_b32_e32 v79, 63, v1
	v_lshrrev_b32_e32 v68, 6, v1
	v_mul_f32_e32 v0, 0x4f7ffffe, v0
	v_cvt_u32_f32_e32 v0, v0
	v_cmp_le_i32_e32 vcc, s22, v68
	v_readfirstlane_b32 s5, v0
	s_mul_i32 s3, s3, s5
	s_mul_hi_u32 s3, s5, s3
	s_add_i32 s5, s5, s3
	s_mul_hi_u32 s3, s2, s5
	s_mul_i32 s5, s3, s4
	s_sub_i32 s5, s2, s5
	s_add_i32 s6, s3, 1
	s_sub_i32 s7, s5, s4
	s_cmp_ge_u32 s5, s4
	s_cselect_b32 s3, s6, s3
	s_cselect_b32 s5, s7, s5
	s_add_i32 s6, s3, 1
	s_cmp_ge_u32 s5, s4
	s_cselect_b32 s6, s6, s3
	s_mul_i32 s3, s6, s4
	s_sub_i32 s2, s2, s3
	s_lshl_b32 s18, s2, 6
	v_or_b32_e32 v72, s18, v79
	v_cmp_le_i32_e64 s[2:3], s20, v72
	v_ashrrev_i32_e32 v73, 31, v72
	s_nor_b64 s[16:17], vcc, s[2:3]
	s_and_saveexec_b64 s[4:5], s[16:17]
	s_cbranch_execz .LBB43_10
; %bb.9:
	v_mad_i64_i32 v[0:1], s[16:17], s23, v68, 0
	v_lshl_add_u64 v[0:1], v[0:1], 2, s[14:15]
	v_lshl_add_u64 v[0:1], v[72:73], 2, v[0:1]
	flat_load_dword v4, v[0:1]
.LBB43_10:
	s_or_b64 exec, exec, s[4:5]
	s_load_dword s27, s[0:1], 0x30
	s_lshl_b32 s19, s6, 7
	v_or_b32_e32 v70, s19, v79
	v_ashrrev_i32_e32 v71, 31, v70
	s_waitcnt lgkmcnt(0)
	v_mad_i64_i32 v[0:1], s[4:5], v68, s27, 0
	v_cmp_le_i32_e64 s[4:5], s21, v70
	s_ashr_i32 s29, s27, 31
	v_lshl_add_u64 v[0:1], v[0:1], 2, s[12:13]
	s_nor_b64 s[16:17], vcc, s[4:5]
	s_and_saveexec_b64 s[6:7], s[16:17]
	s_cbranch_execz .LBB43_12
; %bb.11:
	v_lshl_add_u64 v[2:3], v[70:71], 2, v[0:1]
	flat_load_dword v2, v[2:3]
.LBB43_12:
	s_or_b64 exec, exec, s[6:7]
	v_or_b32_e32 v3, 64, v70
	v_cmp_le_i32_e64 s[6:7], s21, v3
	s_nor_b64 s[30:31], vcc, s[6:7]
	v_mov_b32_e32 v82, 0
	v_mov_b32_e32 v3, 0
	s_and_saveexec_b64 s[16:17], s[30:31]
	s_cbranch_execz .LBB43_14
; %bb.13:
	v_lshl_add_u64 v[0:1], v[70:71], 2, v[0:1]
	flat_load_dword v3, v[0:1] offset:256
.LBB43_14:
	s_or_b64 exec, exec, s[16:17]
	v_add_u32_e32 v0, 4, v68
	v_cmp_le_i32_e32 vcc, s22, v0
	s_nor_b64 s[30:31], s[2:3], vcc
	s_and_saveexec_b64 s[16:17], s[30:31]
	s_cbranch_execz .LBB43_16
; %bb.15:
	v_mad_u64_u32 v[6:7], s[30:31], s23, v0, 0
	v_mov_b32_e32 v8, v7
	v_mad_u64_u32 v[8:9], s[30:31], s26, v0, v[8:9]
	v_mov_b32_e32 v7, v8
	v_lshl_add_u64 v[6:7], v[6:7], 2, s[14:15]
	v_lshl_add_u64 v[6:7], v[72:73], 2, v[6:7]
	flat_load_dword v82, v[6:7]
.LBB43_16:
	s_or_b64 exec, exec, s[16:17]
	v_mad_u64_u32 v[6:7], s[16:17], v0, s27, 0
	v_mov_b32_e32 v8, v7
	v_mad_u64_u32 v[0:1], s[16:17], v0, s29, v[8:9]
	v_mov_b32_e32 v7, v0
	v_lshl_add_u64 v[0:1], v[6:7], 2, s[12:13]
	s_nor_b64 s[30:31], s[4:5], vcc
	v_mov_b32_e32 v80, 0
	v_mov_b32_e32 v81, 0
	s_and_saveexec_b64 s[16:17], s[30:31]
	s_cbranch_execz .LBB43_18
; %bb.17:
	v_lshl_add_u64 v[6:7], v[70:71], 2, v[0:1]
	flat_load_dword v81, v[6:7]
.LBB43_18:
	s_or_b64 exec, exec, s[16:17]
	s_load_dwordx2 s[10:11], s[10:11], 0x0
	s_nor_b64 s[30:31], s[6:7], vcc
	s_and_saveexec_b64 s[16:17], s[30:31]
	s_cbranch_execz .LBB43_20
; %bb.19:
	v_lshl_add_u64 v[0:1], v[70:71], 2, v[0:1]
	flat_load_dword v80, v[0:1] offset:256
.LBB43_20:
	s_or_b64 exec, exec, s[16:17]
	v_lshlrev_b32_e32 v0, 4, v79
	v_lshl_add_u32 v75, v68, 2, v0
	v_mov_b32_e32 v0, 0x1000
	v_mov_b32_e32 v66, 0
	s_waitcnt vmcnt(0)
	ds_write_b32 v75, v4 offset:4096
	s_waitcnt lgkmcnt(0)
	ds_write2st64_b32 v75, v2, v3 offset1:4
	v_lshl_add_u32 v76, v69, 4, v0
	s_mov_b32 s30, 0
	s_mov_b64 s[16:17], -1
	v_mov_b32_e32 v67, v66
	v_mov_b32_e32 v64, v66
	;; [unrolled: 1-line block ×63, first 2 shown]
	v_or_b32_e32 v77, 0x1000, v75
	v_lshlrev_b32_e32 v78, 4, v74
	s_waitcnt lgkmcnt(0)
	s_barrier
.LBB43_21:                              ; =>This Inner Loop Header: Depth=1
	v_cndmask_b32_e64 v0, 0, 1, s[16:17]
	s_lshl_b32 s16, s30, 2
	v_cmp_ne_u32_e32 vcc, 1, v0
	v_add_u32_e32 v0, s16, v76
	ds_read2_b64 v[84:87], v0 offset1:16
	ds_read2_b64 v[88:91], v0 offset0:32 offset1:48
	ds_read2_b64 v[92:95], v0 offset0:64 offset1:80
	;; [unrolled: 1-line block ×3, first 2 shown]
	v_add_u32_e32 v0, s16, v78
	ds_read2st64_b64 v[100:103], v0 offset1:1
	ds_read2st64_b64 v[0:3], v0 offset0:2 offset1:3
	s_waitcnt lgkmcnt(5)
	v_max_f32_e32 v104, v85, v85
	v_max_f32_e32 v86, v86, v86
	;; [unrolled: 1-line block ×3, first 2 shown]
	s_waitcnt lgkmcnt(1)
	v_max_f32_e32 v83, v100, v100
	v_max_f32_e32 v100, v84, v84
	v_max_f32_e32 v101, v101, v101
	v_min_f32_e32 v84, v100, v83
	v_min_f32_e32 v85, v104, v101
	v_pk_add_f32 v[66:67], v[66:67], v[84:85]
	v_min_f32_e32 v84, v86, v83
	v_min_f32_e32 v85, v87, v101
	v_max_f32_e32 v88, v88, v88
	v_max_f32_e32 v89, v89, v89
	v_pk_add_f32 v[64:65], v[64:65], v[84:85]
	v_min_f32_e32 v84, v88, v83
	v_min_f32_e32 v85, v89, v101
	v_max_f32_e32 v90, v90, v90
	v_max_f32_e32 v91, v91, v91
	;; [unrolled: 5-line block ×5, first 2 shown]
	v_pk_add_f32 v[56:57], v[56:57], v[84:85]
	v_min_f32_e32 v84, v96, v83
	v_min_f32_e32 v85, v97, v101
	v_max_f32_e32 v98, v98, v98
	v_pk_add_f32 v[54:55], v[54:55], v[84:85]
	v_min_f32_e32 v84, v98, v83
	v_max_f32_e32 v83, v99, v99
	v_min_f32_e32 v85, v83, v101
	v_max_f32_e32 v99, v102, v102
	v_max_f32_e32 v101, v103, v103
	v_pk_add_f32 v[52:53], v[52:53], v[84:85]
	v_min_f32_e32 v84, v100, v99
	v_min_f32_e32 v85, v104, v101
	v_pk_add_f32 v[50:51], v[50:51], v[84:85]
	v_min_f32_e32 v84, v86, v99
	v_min_f32_e32 v85, v87, v101
	;; [unrolled: 3-line block ×8, first 2 shown]
	v_pk_add_f32 v[36:37], v[36:37], v[84:85]
	s_waitcnt lgkmcnt(0)
	v_max_f32_e32 v84, v0, v0
	v_max_f32_e32 v85, v1, v1
	v_min_f32_e32 v0, v100, v84
	v_min_f32_e32 v1, v104, v85
	v_pk_add_f32 v[34:35], v[34:35], v[0:1]
	v_min_f32_e32 v0, v86, v84
	v_min_f32_e32 v1, v87, v85
	v_pk_add_f32 v[32:33], v[32:33], v[0:1]
	;; [unrolled: 3-line block ×7, first 2 shown]
	v_min_f32_e32 v0, v98, v84
	v_min_f32_e32 v1, v83, v85
	v_max_f32_e32 v2, v2, v2
	v_max_f32_e32 v3, v3, v3
	v_pk_add_f32 v[20:21], v[20:21], v[0:1]
	v_min_f32_e32 v0, v100, v2
	v_min_f32_e32 v1, v104, v3
	v_pk_add_f32 v[18:19], v[18:19], v[0:1]
	v_min_f32_e32 v0, v86, v2
	v_min_f32_e32 v1, v87, v3
	;; [unrolled: 3-line block ×8, first 2 shown]
	v_pk_add_f32 v[4:5], v[4:5], v[0:1]
	s_mov_b64 s[16:17], 0
	s_mov_b32 s30, 2
	s_cbranch_vccz .LBB43_21
; %bb.22:
	v_lshlrev_b32_e32 v0, 2, v68
	v_lshl_add_u32 v0, v79, 4, v0
	s_cmp_lt_i32 s22, 9
	ds_write_b32 v0, v82 offset:5120
	ds_write2st64_b32 v0, v81, v80 offset0:8 offset1:12
	s_waitcnt lgkmcnt(0)
	s_barrier
	s_cbranch_scc1 .LBB43_41
; %bb.23:
	v_add_u32_e32 v79, 0x1400, v0
	v_or_b32_e32 v80, 0x800, v0
	v_mov_b32_e32 v0, 0x1400
	v_lshl_add_u32 v81, v69, 4, v0
	v_mov_b32_e32 v0, 0x800
	s_add_i32 s16, s22, -8
	v_lshl_add_u64 v[72:73], v[72:73], 2, s[14:15]
	v_lshl_add_u32 v82, v74, 4, v0
	s_mov_b32 s17, 8
	s_mov_b32 s30, 0
.LBB43_24:                              ; =>This Loop Header: Depth=1
                                        ;     Child Loop BB43_31 Depth 2
                                        ;     Child Loop BB43_39 Depth 2
	v_add_u32_e32 v0, s17, v68
	v_cmp_le_i32_e32 vcc, s22, v0
	s_nor_b64 s[34:35], s[2:3], vcc
	v_mov_b32_e32 v85, 0
	s_and_saveexec_b64 s[14:15], s[34:35]
	s_cbranch_execz .LBB43_26
; %bb.25:                               ;   in Loop: Header=BB43_24 Depth=1
	v_mad_u64_u32 v[2:3], s[34:35], v0, s23, 0
	v_mov_b32_e32 v84, v3
	v_mad_u64_u32 v[84:85], s[34:35], v0, s26, v[84:85]
	v_mov_b32_e32 v3, v84
	v_lshl_add_u64 v[2:3], v[2:3], 2, v[72:73]
	flat_load_dword v85, v[2:3]
.LBB43_26:                              ;   in Loop: Header=BB43_24 Depth=1
	s_or_b64 exec, exec, s[14:15]
	v_mad_u64_u32 v[2:3], s[14:15], v0, s27, 0
	v_mov_b32_e32 v84, v3
	s_waitcnt vmcnt(0) lgkmcnt(0)
	v_mad_u64_u32 v[0:1], s[14:15], v0, s29, v[84:85]
	v_mov_b32_e32 v3, v0
	v_lshl_add_u64 v[0:1], v[2:3], 2, s[12:13]
	s_nor_b64 s[34:35], s[4:5], vcc
	v_mov_b32_e32 v83, 0
	v_lshl_add_u64 v[0:1], v[70:71], 2, v[0:1]
	v_mov_b32_e32 v84, 0
	s_and_saveexec_b64 s[14:15], s[34:35]
	s_cbranch_execz .LBB43_28
; %bb.27:                               ;   in Loop: Header=BB43_24 Depth=1
	flat_load_dword v84, v[0:1]
.LBB43_28:                              ;   in Loop: Header=BB43_24 Depth=1
	s_or_b64 exec, exec, s[14:15]
	s_nor_b64 s[34:35], s[6:7], vcc
	s_and_saveexec_b64 s[14:15], s[34:35]
	s_cbranch_execz .LBB43_30
; %bb.29:                               ;   in Loop: Header=BB43_24 Depth=1
	flat_load_dword v83, v[0:1] offset:256
.LBB43_30:                              ;   in Loop: Header=BB43_24 Depth=1
	s_or_b64 exec, exec, s[14:15]
	s_mov_b32 s31, 0
	s_mov_b64 s[14:15], -1
.LBB43_31:                              ;   Parent Loop BB43_24 Depth=1
                                        ; =>  This Inner Loop Header: Depth=2
	v_cndmask_b32_e64 v0, 0, 1, s[14:15]
	s_lshl_b32 s14, s31, 2
	v_cmp_ne_u32_e32 vcc, 1, v0
	v_add_u32_e32 v0, s14, v81
	ds_read2_b64 v[86:89], v0 offset1:16
	ds_read2_b64 v[90:93], v0 offset0:32 offset1:48
	ds_read2_b64 v[94:97], v0 offset0:64 offset1:80
	;; [unrolled: 1-line block ×3, first 2 shown]
	v_add_u32_e32 v0, s14, v82
	ds_read2st64_b64 v[102:105], v0 offset1:1
	ds_read2st64_b64 v[0:3], v0 offset0:2 offset1:3
	s_waitcnt lgkmcnt(0)
	v_max_f32_e32 v106, v86, v86
	v_max_f32_e32 v107, v87, v87
	;; [unrolled: 1-line block ×5, first 2 shown]
	v_min_f32_e32 v86, v106, v102
	v_min_f32_e32 v87, v107, v103
	v_max_f32_e32 v89, v89, v89
	v_pk_add_f32 v[66:67], v[66:67], v[86:87]
	v_min_f32_e32 v86, v88, v102
	v_min_f32_e32 v87, v89, v103
	v_max_f32_e32 v90, v90, v90
	v_max_f32_e32 v91, v91, v91
	v_pk_add_f32 v[64:65], v[64:65], v[86:87]
	v_min_f32_e32 v86, v90, v102
	v_min_f32_e32 v87, v91, v103
	v_max_f32_e32 v92, v92, v92
	;; [unrolled: 5-line block ×7, first 2 shown]
	v_max_f32_e32 v103, v105, v105
	v_pk_add_f32 v[52:53], v[52:53], v[86:87]
	v_min_f32_e32 v86, v106, v102
	v_min_f32_e32 v87, v107, v103
	v_pk_add_f32 v[50:51], v[50:51], v[86:87]
	v_min_f32_e32 v86, v88, v102
	v_min_f32_e32 v87, v89, v103
	;; [unrolled: 3-line block ×8, first 2 shown]
	v_pk_add_f32 v[36:37], v[36:37], v[86:87]
	v_max_f32_e32 v86, v0, v0
	v_max_f32_e32 v87, v1, v1
	v_min_f32_e32 v0, v106, v86
	v_min_f32_e32 v1, v107, v87
	v_pk_add_f32 v[34:35], v[34:35], v[0:1]
	v_min_f32_e32 v0, v88, v86
	v_min_f32_e32 v1, v89, v87
	v_pk_add_f32 v[32:33], v[32:33], v[0:1]
	;; [unrolled: 3-line block ×7, first 2 shown]
	v_min_f32_e32 v0, v100, v86
	v_min_f32_e32 v1, v101, v87
	v_max_f32_e32 v2, v2, v2
	v_max_f32_e32 v3, v3, v3
	v_pk_add_f32 v[20:21], v[20:21], v[0:1]
	v_min_f32_e32 v0, v106, v2
	v_min_f32_e32 v1, v107, v3
	v_pk_add_f32 v[18:19], v[18:19], v[0:1]
	v_min_f32_e32 v0, v88, v2
	v_min_f32_e32 v1, v89, v3
	;; [unrolled: 3-line block ×8, first 2 shown]
	v_pk_add_f32 v[4:5], v[4:5], v[0:1]
	s_mov_b64 s[14:15], 0
	s_mov_b32 s31, 2
	s_cbranch_vccz .LBB43_31
; %bb.32:                               ;   in Loop: Header=BB43_24 Depth=1
	v_add3_u32 v0, v68, s17, 4
	v_cmp_le_i32_e32 vcc, s22, v0
	ds_write_b32 v77, v85
	s_waitcnt vmcnt(0)
	ds_write2st64_b32 v75, v84, v83 offset1:4
	s_nor_b64 s[34:35], s[2:3], vcc
	v_mov_b32_e32 v83, 0
	v_mov_b32_e32 v85, 0
	s_waitcnt lgkmcnt(0)
	s_barrier
	s_and_saveexec_b64 s[14:15], s[34:35]
	s_cbranch_execz .LBB43_34
; %bb.33:                               ;   in Loop: Header=BB43_24 Depth=1
	v_mad_u64_u32 v[2:3], s[34:35], v0, s23, 0
	v_mov_b32_e32 v84, v3
	v_mad_u64_u32 v[84:85], s[34:35], v0, s26, v[84:85]
	v_mov_b32_e32 v3, v84
	v_lshl_add_u64 v[2:3], v[2:3], 2, v[72:73]
	flat_load_dword v85, v[2:3]
.LBB43_34:                              ;   in Loop: Header=BB43_24 Depth=1
	s_or_b64 exec, exec, s[14:15]
	v_mad_u64_u32 v[2:3], s[14:15], v0, s27, 0
	v_mov_b32_e32 v84, v3
	s_waitcnt vmcnt(0) lgkmcnt(0)
	v_mad_u64_u32 v[0:1], s[14:15], v0, s29, v[84:85]
	v_mov_b32_e32 v3, v0
	v_lshl_add_u64 v[0:1], v[2:3], 2, s[12:13]
	s_nor_b64 s[34:35], s[4:5], vcc
	v_lshl_add_u64 v[0:1], v[70:71], 2, v[0:1]
	s_and_saveexec_b64 s[14:15], s[34:35]
	s_cbranch_execz .LBB43_36
; %bb.35:                               ;   in Loop: Header=BB43_24 Depth=1
	flat_load_dword v83, v[0:1]
.LBB43_36:                              ;   in Loop: Header=BB43_24 Depth=1
	s_or_b64 exec, exec, s[14:15]
	s_nor_b64 s[34:35], s[6:7], vcc
	v_mov_b32_e32 v84, 0
	s_and_saveexec_b64 s[14:15], s[34:35]
	s_cbranch_execz .LBB43_38
; %bb.37:                               ;   in Loop: Header=BB43_24 Depth=1
	flat_load_dword v84, v[0:1] offset:256
.LBB43_38:                              ;   in Loop: Header=BB43_24 Depth=1
	s_or_b64 exec, exec, s[14:15]
	s_mov_b32 s31, 0
	s_mov_b64 s[14:15], -1
.LBB43_39:                              ;   Parent Loop BB43_24 Depth=1
                                        ; =>  This Inner Loop Header: Depth=2
	v_cndmask_b32_e64 v0, 0, 1, s[14:15]
	s_lshl_b32 s14, s31, 2
	v_cmp_ne_u32_e32 vcc, 1, v0
	v_add_u32_e32 v0, s14, v76
	ds_read2_b64 v[86:89], v0 offset1:16
	ds_read2_b64 v[90:93], v0 offset0:32 offset1:48
	ds_read2_b64 v[94:97], v0 offset0:64 offset1:80
	;; [unrolled: 1-line block ×3, first 2 shown]
	v_add_u32_e32 v0, s14, v78
	ds_read2st64_b64 v[102:105], v0 offset1:1
	ds_read2st64_b64 v[0:3], v0 offset0:2 offset1:3
	s_waitcnt lgkmcnt(0)
	v_max_f32_e32 v106, v86, v86
	v_max_f32_e32 v107, v87, v87
	;; [unrolled: 1-line block ×5, first 2 shown]
	v_min_f32_e32 v86, v106, v102
	v_min_f32_e32 v87, v107, v103
	v_max_f32_e32 v89, v89, v89
	v_pk_add_f32 v[66:67], v[66:67], v[86:87]
	v_min_f32_e32 v86, v88, v102
	v_min_f32_e32 v87, v89, v103
	v_max_f32_e32 v90, v90, v90
	v_max_f32_e32 v91, v91, v91
	v_pk_add_f32 v[64:65], v[64:65], v[86:87]
	v_min_f32_e32 v86, v90, v102
	v_min_f32_e32 v87, v91, v103
	v_max_f32_e32 v92, v92, v92
	;; [unrolled: 5-line block ×7, first 2 shown]
	v_max_f32_e32 v103, v105, v105
	v_pk_add_f32 v[52:53], v[52:53], v[86:87]
	v_min_f32_e32 v86, v106, v102
	v_min_f32_e32 v87, v107, v103
	v_pk_add_f32 v[50:51], v[50:51], v[86:87]
	v_min_f32_e32 v86, v88, v102
	v_min_f32_e32 v87, v89, v103
	;; [unrolled: 3-line block ×8, first 2 shown]
	v_pk_add_f32 v[36:37], v[36:37], v[86:87]
	v_max_f32_e32 v86, v0, v0
	v_max_f32_e32 v87, v1, v1
	v_min_f32_e32 v0, v106, v86
	v_min_f32_e32 v1, v107, v87
	v_pk_add_f32 v[34:35], v[34:35], v[0:1]
	v_min_f32_e32 v0, v88, v86
	v_min_f32_e32 v1, v89, v87
	v_pk_add_f32 v[32:33], v[32:33], v[0:1]
	;; [unrolled: 3-line block ×7, first 2 shown]
	v_min_f32_e32 v0, v100, v86
	v_min_f32_e32 v1, v101, v87
	v_max_f32_e32 v2, v2, v2
	v_max_f32_e32 v3, v3, v3
	v_pk_add_f32 v[20:21], v[20:21], v[0:1]
	v_min_f32_e32 v0, v106, v2
	v_min_f32_e32 v1, v107, v3
	v_pk_add_f32 v[18:19], v[18:19], v[0:1]
	v_min_f32_e32 v0, v88, v2
	v_min_f32_e32 v1, v89, v3
	;; [unrolled: 3-line block ×8, first 2 shown]
	v_pk_add_f32 v[4:5], v[4:5], v[0:1]
	s_mov_b64 s[14:15], 0
	s_mov_b32 s31, 2
	s_cbranch_vccz .LBB43_39
; %bb.40:                               ;   in Loop: Header=BB43_24 Depth=1
	s_add_i32 s17, s17, 8
	s_add_i32 s30, s30, 8
	s_cmp_ge_i32 s30, s16
	ds_write_b32 v79, v85
	s_waitcnt vmcnt(0)
	ds_write2st64_b32 v80, v83, v84 offset1:4
	s_waitcnt lgkmcnt(0)
	s_barrier
	s_cbranch_scc0 .LBB43_24
.LBB43_41:
	v_mov_b32_e32 v0, 0x1400
	v_lshl_add_u32 v68, v69, 4, v0
	v_mov_b32_e32 v0, 0x800
	v_lshl_add_u32 v70, v74, 4, v0
	s_mov_b32 s4, 0
	s_mov_b64 s[2:3], -1
.LBB43_42:                              ; =>This Inner Loop Header: Depth=1
	v_cndmask_b32_e64 v0, 0, 1, s[2:3]
	s_lshl_b32 s2, s4, 2
	v_cmp_ne_u32_e32 vcc, 1, v0
	v_add_u32_e32 v0, s2, v68
	ds_read2_b64 v[76:79], v0 offset1:16
	ds_read2_b64 v[80:83], v0 offset0:32 offset1:48
	ds_read2_b64 v[84:87], v0 offset0:64 offset1:80
	ds_read2_b64 v[88:91], v0 offset0:96 offset1:112
	v_add_u32_e32 v0, s2, v70
	ds_read2st64_b64 v[92:95], v0 offset1:1
	ds_read2st64_b64 v[0:3], v0 offset0:2 offset1:3
	s_waitcnt lgkmcnt(5)
	v_max_f32_e32 v75, v76, v76
	v_max_f32_e32 v77, v77, v77
	;; [unrolled: 1-line block ×3, first 2 shown]
	s_waitcnt lgkmcnt(1)
	v_max_f32_e32 v71, v92, v92
	v_max_f32_e32 v76, v93, v93
	v_min_f32_e32 v72, v75, v71
	v_min_f32_e32 v73, v77, v76
	v_max_f32_e32 v79, v79, v79
	v_pk_add_f32 v[66:67], v[66:67], v[72:73]
	v_min_f32_e32 v72, v78, v71
	v_min_f32_e32 v73, v79, v76
	v_max_f32_e32 v80, v80, v80
	v_max_f32_e32 v81, v81, v81
	v_pk_add_f32 v[64:65], v[64:65], v[72:73]
	v_min_f32_e32 v72, v80, v71
	v_min_f32_e32 v73, v81, v76
	v_max_f32_e32 v82, v82, v82
	v_max_f32_e32 v83, v83, v83
	v_pk_add_f32 v[62:63], v[62:63], v[72:73]
	v_min_f32_e32 v72, v82, v71
	v_min_f32_e32 v73, v83, v76
	v_max_f32_e32 v84, v84, v84
	v_max_f32_e32 v85, v85, v85
	v_pk_add_f32 v[60:61], v[60:61], v[72:73]
	v_min_f32_e32 v72, v84, v71
	v_min_f32_e32 v73, v85, v76
	v_max_f32_e32 v86, v86, v86
	v_max_f32_e32 v87, v87, v87
	v_pk_add_f32 v[58:59], v[58:59], v[72:73]
	v_min_f32_e32 v72, v86, v71
	v_min_f32_e32 v73, v87, v76
	v_max_f32_e32 v88, v88, v88
	v_max_f32_e32 v89, v89, v89
	v_pk_add_f32 v[56:57], v[56:57], v[72:73]
	v_min_f32_e32 v72, v88, v71
	v_min_f32_e32 v73, v89, v76
	v_max_f32_e32 v90, v90, v90
	v_pk_add_f32 v[54:55], v[54:55], v[72:73]
	v_min_f32_e32 v72, v90, v71
	v_max_f32_e32 v71, v91, v91
	v_min_f32_e32 v73, v71, v76
	v_max_f32_e32 v76, v94, v94
	v_max_f32_e32 v91, v95, v95
	v_pk_add_f32 v[52:53], v[52:53], v[72:73]
	v_min_f32_e32 v72, v75, v76
	v_min_f32_e32 v73, v77, v91
	v_pk_add_f32 v[50:51], v[50:51], v[72:73]
	v_min_f32_e32 v72, v78, v76
	v_min_f32_e32 v73, v79, v91
	;; [unrolled: 3-line block ×8, first 2 shown]
	v_pk_add_f32 v[36:37], v[36:37], v[72:73]
	s_waitcnt lgkmcnt(0)
	v_max_f32_e32 v72, v0, v0
	v_max_f32_e32 v73, v1, v1
	v_min_f32_e32 v0, v75, v72
	v_min_f32_e32 v1, v77, v73
	v_pk_add_f32 v[34:35], v[34:35], v[0:1]
	v_min_f32_e32 v0, v78, v72
	v_min_f32_e32 v1, v79, v73
	v_pk_add_f32 v[32:33], v[32:33], v[0:1]
	;; [unrolled: 3-line block ×7, first 2 shown]
	v_min_f32_e32 v0, v90, v72
	v_min_f32_e32 v1, v71, v73
	v_max_f32_e32 v2, v2, v2
	v_max_f32_e32 v3, v3, v3
	v_pk_add_f32 v[20:21], v[20:21], v[0:1]
	v_min_f32_e32 v0, v75, v2
	v_min_f32_e32 v1, v77, v3
	v_pk_add_f32 v[18:19], v[18:19], v[0:1]
	v_min_f32_e32 v0, v78, v2
	v_min_f32_e32 v1, v79, v3
	;; [unrolled: 3-line block ×8, first 2 shown]
	v_pk_add_f32 v[4:5], v[4:5], v[0:1]
	s_mov_b64 s[2:3], 0
	s_mov_b32 s4, 2
	s_cbranch_vccz .LBB43_42
; %bb.43:
	s_load_dwordx2 s[2:3], s[0:1], 0x70
	s_load_dword s30, s[0:1], 0x50
	s_load_dword s29, s[0:1], 0x68
	v_add_u32_e32 v72, s19, v74
	v_add_u32_e32 v0, s18, v69
	s_waitcnt lgkmcnt(0)
	s_lshl_b64 s[0:1], s[2:3], 2
	s_add_u32 s22, s10, s0
	s_addc_u32 s23, s11, s1
	v_mad_i64_i32 v[2:3], s[0:1], v72, s30, 0
	v_lshl_add_u64 v[70:71], v[2:3], 2, s[24:25]
	v_mad_i64_i32 v[2:3], s[0:1], v72, s29, 0
	v_cmp_gt_i32_e64 s[18:19], s21, v72
	v_lshl_add_u64 v[68:69], v[2:3], 2, s[22:23]
	v_cmp_gt_i32_e64 s[2:3], s20, v0
	v_cndmask_b32_e64 v2, 0, 1, s[8:9]
	s_and_b64 s[6:7], s[2:3], s[18:19]
	v_ashrrev_i32_e32 v1, 31, v0
	v_cmp_ne_u32_e64 s[0:1], 1, v2
	s_and_saveexec_b64 s[4:5], s[6:7]
	s_cbranch_execz .LBB43_48
; %bb.44:
	s_and_b64 vcc, exec, s[0:1]
	s_cbranch_vccnz .LBB43_46
; %bb.45:
	v_lshl_add_u64 v[2:3], v[0:1], 2, v[70:71]
	flat_load_dword v2, v[2:3]
	s_waitcnt vmcnt(0) lgkmcnt(0)
	v_mul_f32_e32 v2, s28, v2
	s_branch .LBB43_47
.LBB43_46:
	v_mov_b32_e32 v2, 0
.LBB43_47:
	v_add_f32_e32 v3, v66, v67
	v_add_f32_e32 v66, v3, v2
	v_lshl_add_u64 v[2:3], v[0:1], 2, v[68:69]
	flat_store_dword v[2:3], v66
.LBB43_48:
	s_or_b64 exec, exec, s[4:5]
	v_add_u32_e32 v2, 8, v0
	v_cmp_gt_i32_e64 s[4:5], s20, v2
	s_and_b64 s[8:9], s[4:5], s[18:19]
	v_ashrrev_i32_e32 v3, 31, v2
	s_and_saveexec_b64 s[6:7], s[8:9]
	s_cbranch_execz .LBB43_53
; %bb.49:
	s_and_b64 vcc, exec, s[0:1]
	s_cbranch_vccnz .LBB43_51
; %bb.50:
	v_lshl_add_u64 v[66:67], v[2:3], 2, v[70:71]
	flat_load_dword v66, v[66:67]
	s_waitcnt vmcnt(0) lgkmcnt(0)
	v_mul_f32_e32 v66, s28, v66
	s_branch .LBB43_52
.LBB43_51:
	v_mov_b32_e32 v66, 0
.LBB43_52:
	v_add_f32_e32 v64, v64, v65
	v_add_f32_e32 v66, v64, v66
	v_lshl_add_u64 v[64:65], v[2:3], 2, v[68:69]
	flat_store_dword v[64:65], v66
.LBB43_53:
	s_or_b64 exec, exec, s[6:7]
	v_add_u32_e32 v64, 16, v0
	v_cmp_gt_i32_e64 s[6:7], s20, v64
	s_and_b64 s[10:11], s[6:7], s[18:19]
	v_ashrrev_i32_e32 v65, 31, v64
	;; [unrolled: 24-line block ×7, first 2 shown]
	s_and_saveexec_b64 s[18:19], s[26:27]
	s_cbranch_execz .LBB43_83
; %bb.79:
	s_and_b64 vcc, exec, s[0:1]
	s_cbranch_vccnz .LBB43_81
; %bb.80:
	v_lshl_add_u64 v[66:67], v[54:55], 2, v[70:71]
	flat_load_dword v66, v[66:67]
	s_waitcnt vmcnt(0) lgkmcnt(0)
	v_mul_f32_e32 v66, s28, v66
	s_branch .LBB43_82
.LBB43_81:
	v_mov_b32_e32 v66, 0
.LBB43_82:
	v_add_f32_e32 v52, v52, v53
	v_add_f32_e32 v66, v52, v66
	v_lshl_add_u64 v[52:53], v[54:55], 2, v[68:69]
	flat_store_dword v[52:53], v66
.LBB43_83:
	s_or_b64 exec, exec, s[18:19]
	v_add_u32_e32 v68, 32, v72
	v_mad_i64_i32 v[52:53], s[26:27], v68, s30, 0
	v_cmp_gt_i32_e64 s[18:19], s21, v68
	v_lshl_add_u64 v[66:67], v[52:53], 2, s[24:25]
	v_mad_i64_i32 v[52:53], s[26:27], v68, s29, 0
	v_lshl_add_u64 v[52:53], v[52:53], 2, s[22:23]
	s_and_b64 s[34:35], s[2:3], s[18:19]
	s_and_saveexec_b64 s[26:27], s[34:35]
	s_cbranch_execnz .LBB43_91
; %bb.84:
	s_or_b64 exec, exec, s[26:27]
	s_and_b64 s[34:35], s[4:5], s[18:19]
	s_and_saveexec_b64 s[26:27], s[34:35]
	s_cbranch_execnz .LBB43_95
.LBB43_85:
	s_or_b64 exec, exec, s[26:27]
	s_and_b64 s[34:35], s[6:7], s[18:19]
	s_and_saveexec_b64 s[26:27], s[34:35]
	s_cbranch_execnz .LBB43_99
.LBB43_86:
	s_or_b64 exec, exec, s[26:27]
	s_and_b64 s[34:35], s[8:9], s[18:19]
	s_and_saveexec_b64 s[26:27], s[34:35]
	s_cbranch_execnz .LBB43_103
.LBB43_87:
	s_or_b64 exec, exec, s[26:27]
	s_and_b64 s[34:35], s[10:11], s[18:19]
	s_and_saveexec_b64 s[26:27], s[34:35]
	s_cbranch_execnz .LBB43_107
.LBB43_88:
	s_or_b64 exec, exec, s[26:27]
	s_and_b64 s[34:35], s[12:13], s[18:19]
	s_and_saveexec_b64 s[26:27], s[34:35]
	s_cbranch_execnz .LBB43_111
.LBB43_89:
	s_or_b64 exec, exec, s[26:27]
	s_and_b64 s[34:35], s[14:15], s[18:19]
	s_and_saveexec_b64 s[26:27], s[34:35]
	s_cbranch_execnz .LBB43_115
.LBB43_90:
	s_or_b64 exec, exec, s[26:27]
	s_and_b64 s[26:27], s[16:17], s[18:19]
	s_and_saveexec_b64 s[18:19], s[26:27]
	s_cbranch_execnz .LBB43_119
	s_branch .LBB43_123
.LBB43_91:
	s_and_b64 vcc, exec, s[0:1]
	s_cbranch_vccnz .LBB43_93
; %bb.92:
	v_lshl_add_u64 v[68:69], v[0:1], 2, v[66:67]
	flat_load_dword v68, v[68:69]
	s_waitcnt vmcnt(0) lgkmcnt(0)
	v_mul_f32_e32 v68, s28, v68
	s_branch .LBB43_94
.LBB43_93:
	v_mov_b32_e32 v68, 0
.LBB43_94:
	v_add_f32_e32 v50, v50, v51
	v_add_f32_e32 v68, v50, v68
	v_lshl_add_u64 v[50:51], v[0:1], 2, v[52:53]
	flat_store_dword v[50:51], v68
	s_or_b64 exec, exec, s[26:27]
	s_and_b64 s[34:35], s[4:5], s[18:19]
	s_and_saveexec_b64 s[26:27], s[34:35]
	s_cbranch_execz .LBB43_85
.LBB43_95:
	s_and_b64 vcc, exec, s[0:1]
	s_cbranch_vccnz .LBB43_97
; %bb.96:
	v_lshl_add_u64 v[50:51], v[2:3], 2, v[66:67]
	flat_load_dword v50, v[50:51]
	s_waitcnt vmcnt(0) lgkmcnt(0)
	v_mul_f32_e32 v50, s28, v50
	s_branch .LBB43_98
.LBB43_97:
	v_mov_b32_e32 v50, 0
.LBB43_98:
	v_add_f32_e32 v48, v48, v49
	v_add_f32_e32 v50, v48, v50
	v_lshl_add_u64 v[48:49], v[2:3], 2, v[52:53]
	flat_store_dword v[48:49], v50
	s_or_b64 exec, exec, s[26:27]
	s_and_b64 s[34:35], s[6:7], s[18:19]
	s_and_saveexec_b64 s[26:27], s[34:35]
	s_cbranch_execz .LBB43_86
.LBB43_99:
	s_and_b64 vcc, exec, s[0:1]
	s_cbranch_vccnz .LBB43_101
; %bb.100:
	v_lshl_add_u64 v[48:49], v[64:65], 2, v[66:67]
	flat_load_dword v48, v[48:49]
	s_waitcnt vmcnt(0) lgkmcnt(0)
	v_mul_f32_e32 v48, s28, v48
	s_branch .LBB43_102
.LBB43_101:
	v_mov_b32_e32 v48, 0
.LBB43_102:
	v_add_f32_e32 v46, v46, v47
	v_add_f32_e32 v48, v46, v48
	v_lshl_add_u64 v[46:47], v[64:65], 2, v[52:53]
	flat_store_dword v[46:47], v48
	s_or_b64 exec, exec, s[26:27]
	s_and_b64 s[34:35], s[8:9], s[18:19]
	s_and_saveexec_b64 s[26:27], s[34:35]
	s_cbranch_execz .LBB43_87
.LBB43_103:
	s_and_b64 vcc, exec, s[0:1]
	s_cbranch_vccnz .LBB43_105
; %bb.104:
	v_lshl_add_u64 v[46:47], v[62:63], 2, v[66:67]
	flat_load_dword v46, v[46:47]
	s_waitcnt vmcnt(0) lgkmcnt(0)
	v_mul_f32_e32 v46, s28, v46
	s_branch .LBB43_106
.LBB43_105:
	v_mov_b32_e32 v46, 0
.LBB43_106:
	v_add_f32_e32 v44, v44, v45
	v_add_f32_e32 v46, v44, v46
	v_lshl_add_u64 v[44:45], v[62:63], 2, v[52:53]
	flat_store_dword v[44:45], v46
	s_or_b64 exec, exec, s[26:27]
	s_and_b64 s[34:35], s[10:11], s[18:19]
	s_and_saveexec_b64 s[26:27], s[34:35]
	s_cbranch_execz .LBB43_88
.LBB43_107:
	s_and_b64 vcc, exec, s[0:1]
	s_cbranch_vccnz .LBB43_109
; %bb.108:
	v_lshl_add_u64 v[44:45], v[60:61], 2, v[66:67]
	flat_load_dword v44, v[44:45]
	s_waitcnt vmcnt(0) lgkmcnt(0)
	v_mul_f32_e32 v44, s28, v44
	s_branch .LBB43_110
.LBB43_109:
	v_mov_b32_e32 v44, 0
.LBB43_110:
	v_add_f32_e32 v42, v42, v43
	v_add_f32_e32 v44, v42, v44
	v_lshl_add_u64 v[42:43], v[60:61], 2, v[52:53]
	flat_store_dword v[42:43], v44
	s_or_b64 exec, exec, s[26:27]
	s_and_b64 s[34:35], s[12:13], s[18:19]
	s_and_saveexec_b64 s[26:27], s[34:35]
	s_cbranch_execz .LBB43_89
.LBB43_111:
	s_and_b64 vcc, exec, s[0:1]
	s_cbranch_vccnz .LBB43_113
; %bb.112:
	v_lshl_add_u64 v[42:43], v[58:59], 2, v[66:67]
	flat_load_dword v42, v[42:43]
	s_waitcnt vmcnt(0) lgkmcnt(0)
	v_mul_f32_e32 v42, s28, v42
	s_branch .LBB43_114
.LBB43_113:
	v_mov_b32_e32 v42, 0
.LBB43_114:
	v_add_f32_e32 v40, v40, v41
	v_add_f32_e32 v42, v40, v42
	v_lshl_add_u64 v[40:41], v[58:59], 2, v[52:53]
	flat_store_dword v[40:41], v42
	s_or_b64 exec, exec, s[26:27]
	s_and_b64 s[34:35], s[14:15], s[18:19]
	s_and_saveexec_b64 s[26:27], s[34:35]
	s_cbranch_execz .LBB43_90
.LBB43_115:
	s_and_b64 vcc, exec, s[0:1]
	s_cbranch_vccnz .LBB43_117
; %bb.116:
	v_lshl_add_u64 v[40:41], v[56:57], 2, v[66:67]
	flat_load_dword v40, v[40:41]
	s_waitcnt vmcnt(0) lgkmcnt(0)
	v_mul_f32_e32 v40, s28, v40
	s_branch .LBB43_118
.LBB43_117:
	v_mov_b32_e32 v40, 0
.LBB43_118:
	v_add_f32_e32 v38, v38, v39
	v_add_f32_e32 v40, v38, v40
	v_lshl_add_u64 v[38:39], v[56:57], 2, v[52:53]
	flat_store_dword v[38:39], v40
	s_or_b64 exec, exec, s[26:27]
	s_and_b64 s[26:27], s[16:17], s[18:19]
	s_and_saveexec_b64 s[18:19], s[26:27]
	s_cbranch_execz .LBB43_123
.LBB43_119:
	s_and_b64 vcc, exec, s[0:1]
	s_cbranch_vccnz .LBB43_121
; %bb.120:
	v_lshl_add_u64 v[38:39], v[54:55], 2, v[66:67]
	flat_load_dword v38, v[38:39]
	s_waitcnt vmcnt(0) lgkmcnt(0)
	v_mul_f32_e32 v38, s28, v38
	s_branch .LBB43_122
.LBB43_121:
	v_mov_b32_e32 v38, 0
.LBB43_122:
	v_add_f32_e32 v36, v36, v37
	v_add_f32_e32 v38, v36, v38
	v_lshl_add_u64 v[36:37], v[54:55], 2, v[52:53]
	flat_store_dword v[36:37], v38
.LBB43_123:
	s_or_b64 exec, exec, s[18:19]
	v_add_u32_e32 v40, 64, v72
	v_mad_i64_i32 v[36:37], s[26:27], v40, s30, 0
	v_cmp_gt_i32_e64 s[18:19], s21, v40
	v_lshl_add_u64 v[38:39], v[36:37], 2, s[24:25]
	v_mad_i64_i32 v[36:37], s[26:27], v40, s29, 0
	v_lshl_add_u64 v[36:37], v[36:37], 2, s[22:23]
	s_and_b64 s[34:35], s[2:3], s[18:19]
	s_and_saveexec_b64 s[26:27], s[34:35]
	s_cbranch_execnz .LBB43_131
; %bb.124:
	s_or_b64 exec, exec, s[26:27]
	s_and_b64 s[34:35], s[4:5], s[18:19]
	s_and_saveexec_b64 s[26:27], s[34:35]
	s_cbranch_execnz .LBB43_135
.LBB43_125:
	s_or_b64 exec, exec, s[26:27]
	s_and_b64 s[34:35], s[6:7], s[18:19]
	s_and_saveexec_b64 s[26:27], s[34:35]
	s_cbranch_execnz .LBB43_139
.LBB43_126:
	s_or_b64 exec, exec, s[26:27]
	s_and_b64 s[34:35], s[8:9], s[18:19]
	s_and_saveexec_b64 s[26:27], s[34:35]
	s_cbranch_execnz .LBB43_143
.LBB43_127:
	s_or_b64 exec, exec, s[26:27]
	s_and_b64 s[34:35], s[10:11], s[18:19]
	s_and_saveexec_b64 s[26:27], s[34:35]
	s_cbranch_execnz .LBB43_147
.LBB43_128:
	s_or_b64 exec, exec, s[26:27]
	s_and_b64 s[34:35], s[12:13], s[18:19]
	s_and_saveexec_b64 s[26:27], s[34:35]
	s_cbranch_execnz .LBB43_151
.LBB43_129:
	s_or_b64 exec, exec, s[26:27]
	s_and_b64 s[34:35], s[14:15], s[18:19]
	s_and_saveexec_b64 s[26:27], s[34:35]
	s_cbranch_execnz .LBB43_155
.LBB43_130:
	s_or_b64 exec, exec, s[26:27]
	s_and_b64 s[26:27], s[16:17], s[18:19]
	s_and_saveexec_b64 s[18:19], s[26:27]
	s_cbranch_execnz .LBB43_159
	s_branch .LBB43_163
.LBB43_131:
	s_and_b64 vcc, exec, s[0:1]
	s_cbranch_vccnz .LBB43_133
; %bb.132:
	v_lshl_add_u64 v[40:41], v[0:1], 2, v[38:39]
	flat_load_dword v40, v[40:41]
	s_waitcnt vmcnt(0) lgkmcnt(0)
	v_mul_f32_e32 v40, s28, v40
	s_branch .LBB43_134
.LBB43_133:
	v_mov_b32_e32 v40, 0
.LBB43_134:
	v_add_f32_e32 v34, v34, v35
	v_add_f32_e32 v40, v34, v40
	v_lshl_add_u64 v[34:35], v[0:1], 2, v[36:37]
	flat_store_dword v[34:35], v40
	s_or_b64 exec, exec, s[26:27]
	s_and_b64 s[34:35], s[4:5], s[18:19]
	s_and_saveexec_b64 s[26:27], s[34:35]
	s_cbranch_execz .LBB43_125
.LBB43_135:
	s_and_b64 vcc, exec, s[0:1]
	s_cbranch_vccnz .LBB43_137
; %bb.136:
	v_lshl_add_u64 v[34:35], v[2:3], 2, v[38:39]
	flat_load_dword v34, v[34:35]
	s_waitcnt vmcnt(0) lgkmcnt(0)
	v_mul_f32_e32 v34, s28, v34
	s_branch .LBB43_138
.LBB43_137:
	v_mov_b32_e32 v34, 0
.LBB43_138:
	v_add_f32_e32 v32, v32, v33
	v_add_f32_e32 v34, v32, v34
	v_lshl_add_u64 v[32:33], v[2:3], 2, v[36:37]
	flat_store_dword v[32:33], v34
	s_or_b64 exec, exec, s[26:27]
	s_and_b64 s[34:35], s[6:7], s[18:19]
	s_and_saveexec_b64 s[26:27], s[34:35]
	s_cbranch_execz .LBB43_126
.LBB43_139:
	s_and_b64 vcc, exec, s[0:1]
	s_cbranch_vccnz .LBB43_141
; %bb.140:
	v_lshl_add_u64 v[32:33], v[64:65], 2, v[38:39]
	flat_load_dword v32, v[32:33]
	s_waitcnt vmcnt(0) lgkmcnt(0)
	v_mul_f32_e32 v32, s28, v32
	s_branch .LBB43_142
.LBB43_141:
	v_mov_b32_e32 v32, 0
.LBB43_142:
	v_add_f32_e32 v30, v30, v31
	v_add_f32_e32 v32, v30, v32
	v_lshl_add_u64 v[30:31], v[64:65], 2, v[36:37]
	flat_store_dword v[30:31], v32
	s_or_b64 exec, exec, s[26:27]
	s_and_b64 s[34:35], s[8:9], s[18:19]
	s_and_saveexec_b64 s[26:27], s[34:35]
	s_cbranch_execz .LBB43_127
.LBB43_143:
	s_and_b64 vcc, exec, s[0:1]
	s_cbranch_vccnz .LBB43_145
; %bb.144:
	v_lshl_add_u64 v[30:31], v[62:63], 2, v[38:39]
	flat_load_dword v30, v[30:31]
	s_waitcnt vmcnt(0) lgkmcnt(0)
	v_mul_f32_e32 v30, s28, v30
	s_branch .LBB43_146
.LBB43_145:
	v_mov_b32_e32 v30, 0
.LBB43_146:
	v_add_f32_e32 v28, v28, v29
	v_add_f32_e32 v30, v28, v30
	v_lshl_add_u64 v[28:29], v[62:63], 2, v[36:37]
	flat_store_dword v[28:29], v30
	s_or_b64 exec, exec, s[26:27]
	s_and_b64 s[34:35], s[10:11], s[18:19]
	s_and_saveexec_b64 s[26:27], s[34:35]
	s_cbranch_execz .LBB43_128
.LBB43_147:
	s_and_b64 vcc, exec, s[0:1]
	s_cbranch_vccnz .LBB43_149
; %bb.148:
	v_lshl_add_u64 v[28:29], v[60:61], 2, v[38:39]
	flat_load_dword v28, v[28:29]
	s_waitcnt vmcnt(0) lgkmcnt(0)
	v_mul_f32_e32 v28, s28, v28
	s_branch .LBB43_150
.LBB43_149:
	v_mov_b32_e32 v28, 0
.LBB43_150:
	v_add_f32_e32 v26, v26, v27
	v_add_f32_e32 v28, v26, v28
	v_lshl_add_u64 v[26:27], v[60:61], 2, v[36:37]
	flat_store_dword v[26:27], v28
	s_or_b64 exec, exec, s[26:27]
	s_and_b64 s[34:35], s[12:13], s[18:19]
	s_and_saveexec_b64 s[26:27], s[34:35]
	s_cbranch_execz .LBB43_129
.LBB43_151:
	s_and_b64 vcc, exec, s[0:1]
	s_cbranch_vccnz .LBB43_153
; %bb.152:
	v_lshl_add_u64 v[26:27], v[58:59], 2, v[38:39]
	flat_load_dword v26, v[26:27]
	s_waitcnt vmcnt(0) lgkmcnt(0)
	v_mul_f32_e32 v26, s28, v26
	s_branch .LBB43_154
.LBB43_153:
	v_mov_b32_e32 v26, 0
.LBB43_154:
	v_add_f32_e32 v24, v24, v25
	v_add_f32_e32 v26, v24, v26
	v_lshl_add_u64 v[24:25], v[58:59], 2, v[36:37]
	flat_store_dword v[24:25], v26
	s_or_b64 exec, exec, s[26:27]
	s_and_b64 s[34:35], s[14:15], s[18:19]
	s_and_saveexec_b64 s[26:27], s[34:35]
	s_cbranch_execz .LBB43_130
.LBB43_155:
	s_and_b64 vcc, exec, s[0:1]
	s_cbranch_vccnz .LBB43_157
; %bb.156:
	v_lshl_add_u64 v[24:25], v[56:57], 2, v[38:39]
	flat_load_dword v24, v[24:25]
	s_waitcnt vmcnt(0) lgkmcnt(0)
	v_mul_f32_e32 v24, s28, v24
	s_branch .LBB43_158
.LBB43_157:
	v_mov_b32_e32 v24, 0
.LBB43_158:
	v_add_f32_e32 v22, v22, v23
	v_add_f32_e32 v24, v22, v24
	v_lshl_add_u64 v[22:23], v[56:57], 2, v[36:37]
	flat_store_dword v[22:23], v24
	s_or_b64 exec, exec, s[26:27]
	s_and_b64 s[26:27], s[16:17], s[18:19]
	s_and_saveexec_b64 s[18:19], s[26:27]
	s_cbranch_execz .LBB43_163
.LBB43_159:
	s_and_b64 vcc, exec, s[0:1]
	s_cbranch_vccnz .LBB43_161
; %bb.160:
	v_lshl_add_u64 v[22:23], v[54:55], 2, v[38:39]
	flat_load_dword v22, v[22:23]
	s_waitcnt vmcnt(0) lgkmcnt(0)
	v_mul_f32_e32 v22, s28, v22
	s_branch .LBB43_162
.LBB43_161:
	v_mov_b32_e32 v22, 0
.LBB43_162:
	v_add_f32_e32 v20, v20, v21
	v_add_f32_e32 v22, v20, v22
	v_lshl_add_u64 v[20:21], v[54:55], 2, v[36:37]
	flat_store_dword v[20:21], v22
.LBB43_163:
	s_or_b64 exec, exec, s[18:19]
	v_add_u32_e32 v24, 0x60, v72
	v_cmp_gt_i32_e64 s[18:19], s21, v24
	v_mad_i64_i32 v[20:21], s[20:21], v24, s30, 0
	v_lshl_add_u64 v[22:23], v[20:21], 2, s[24:25]
	v_mad_i64_i32 v[20:21], s[20:21], v24, s29, 0
	v_lshl_add_u64 v[20:21], v[20:21], 2, s[22:23]
	s_and_b64 s[20:21], s[2:3], s[18:19]
	s_and_saveexec_b64 s[2:3], s[20:21]
	s_cbranch_execnz .LBB43_172
; %bb.164:
	s_or_b64 exec, exec, s[2:3]
	s_and_b64 s[4:5], s[4:5], s[18:19]
	s_and_saveexec_b64 s[2:3], s[4:5]
	s_cbranch_execnz .LBB43_176
.LBB43_165:
	s_or_b64 exec, exec, s[2:3]
	s_and_b64 s[4:5], s[6:7], s[18:19]
	s_and_saveexec_b64 s[2:3], s[4:5]
	s_cbranch_execnz .LBB43_180
.LBB43_166:
	s_or_b64 exec, exec, s[2:3]
	s_and_b64 s[4:5], s[8:9], s[18:19]
	s_and_saveexec_b64 s[2:3], s[4:5]
	s_cbranch_execnz .LBB43_184
.LBB43_167:
	s_or_b64 exec, exec, s[2:3]
	s_and_b64 s[4:5], s[10:11], s[18:19]
	s_and_saveexec_b64 s[2:3], s[4:5]
	s_cbranch_execnz .LBB43_188
.LBB43_168:
	s_or_b64 exec, exec, s[2:3]
	s_and_b64 s[4:5], s[12:13], s[18:19]
	s_and_saveexec_b64 s[2:3], s[4:5]
	s_cbranch_execnz .LBB43_192
.LBB43_169:
	s_or_b64 exec, exec, s[2:3]
	s_and_b64 s[4:5], s[14:15], s[18:19]
	s_and_saveexec_b64 s[2:3], s[4:5]
	s_cbranch_execnz .LBB43_196
.LBB43_170:
	s_or_b64 exec, exec, s[2:3]
	s_and_b64 s[2:3], s[16:17], s[18:19]
	s_and_saveexec_b64 s[4:5], s[2:3]
	s_cbranch_execnz .LBB43_200
.LBB43_171:
	s_endpgm
.LBB43_172:
	s_and_b64 vcc, exec, s[0:1]
	s_cbranch_vccnz .LBB43_174
; %bb.173:
	v_lshl_add_u64 v[24:25], v[0:1], 2, v[22:23]
	flat_load_dword v24, v[24:25]
	s_waitcnt vmcnt(0) lgkmcnt(0)
	v_mul_f32_e32 v24, s28, v24
	s_branch .LBB43_175
.LBB43_174:
	v_mov_b32_e32 v24, 0
.LBB43_175:
	v_add_f32_e32 v18, v18, v19
	v_add_f32_e32 v18, v18, v24
	v_lshl_add_u64 v[0:1], v[0:1], 2, v[20:21]
	flat_store_dword v[0:1], v18
	s_or_b64 exec, exec, s[2:3]
	s_and_b64 s[4:5], s[4:5], s[18:19]
	s_and_saveexec_b64 s[2:3], s[4:5]
	s_cbranch_execz .LBB43_165
.LBB43_176:
	s_and_b64 vcc, exec, s[0:1]
	s_cbranch_vccnz .LBB43_178
; %bb.177:
	v_lshl_add_u64 v[0:1], v[2:3], 2, v[22:23]
	flat_load_dword v0, v[0:1]
	s_waitcnt vmcnt(0) lgkmcnt(0)
	v_mul_f32_e32 v0, s28, v0
	s_branch .LBB43_179
.LBB43_178:
	v_mov_b32_e32 v0, 0
.LBB43_179:
	v_add_f32_e32 v1, v16, v17
	v_add_f32_e32 v16, v1, v0
	v_lshl_add_u64 v[0:1], v[2:3], 2, v[20:21]
	flat_store_dword v[0:1], v16
	s_or_b64 exec, exec, s[2:3]
	s_and_b64 s[4:5], s[6:7], s[18:19]
	s_and_saveexec_b64 s[2:3], s[4:5]
	s_cbranch_execz .LBB43_166
.LBB43_180:
	s_and_b64 vcc, exec, s[0:1]
	s_cbranch_vccnz .LBB43_182
; %bb.181:
	v_lshl_add_u64 v[0:1], v[64:65], 2, v[22:23]
	flat_load_dword v0, v[0:1]
	s_waitcnt vmcnt(0) lgkmcnt(0)
	v_mul_f32_e32 v0, s28, v0
	s_branch .LBB43_183
.LBB43_182:
	v_mov_b32_e32 v0, 0
.LBB43_183:
	v_add_f32_e32 v1, v14, v15
	v_add_f32_e32 v2, v1, v0
	v_lshl_add_u64 v[0:1], v[64:65], 2, v[20:21]
	flat_store_dword v[0:1], v2
	s_or_b64 exec, exec, s[2:3]
	s_and_b64 s[4:5], s[8:9], s[18:19]
	s_and_saveexec_b64 s[2:3], s[4:5]
	s_cbranch_execz .LBB43_167
.LBB43_184:
	s_and_b64 vcc, exec, s[0:1]
	s_cbranch_vccnz .LBB43_186
; %bb.185:
	v_lshl_add_u64 v[0:1], v[62:63], 2, v[22:23]
	flat_load_dword v0, v[0:1]
	s_waitcnt vmcnt(0) lgkmcnt(0)
	v_mul_f32_e32 v0, s28, v0
	s_branch .LBB43_187
.LBB43_186:
	v_mov_b32_e32 v0, 0
.LBB43_187:
	v_add_f32_e32 v1, v12, v13
	v_add_f32_e32 v2, v1, v0
	v_lshl_add_u64 v[0:1], v[62:63], 2, v[20:21]
	flat_store_dword v[0:1], v2
	s_or_b64 exec, exec, s[2:3]
	s_and_b64 s[4:5], s[10:11], s[18:19]
	s_and_saveexec_b64 s[2:3], s[4:5]
	s_cbranch_execz .LBB43_168
.LBB43_188:
	s_and_b64 vcc, exec, s[0:1]
	s_cbranch_vccnz .LBB43_190
; %bb.189:
	v_lshl_add_u64 v[0:1], v[60:61], 2, v[22:23]
	flat_load_dword v0, v[0:1]
	s_waitcnt vmcnt(0) lgkmcnt(0)
	v_mul_f32_e32 v0, s28, v0
	s_branch .LBB43_191
.LBB43_190:
	v_mov_b32_e32 v0, 0
.LBB43_191:
	v_add_f32_e32 v1, v10, v11
	v_add_f32_e32 v2, v1, v0
	v_lshl_add_u64 v[0:1], v[60:61], 2, v[20:21]
	flat_store_dword v[0:1], v2
	s_or_b64 exec, exec, s[2:3]
	s_and_b64 s[4:5], s[12:13], s[18:19]
	s_and_saveexec_b64 s[2:3], s[4:5]
	s_cbranch_execz .LBB43_169
.LBB43_192:
	s_and_b64 vcc, exec, s[0:1]
	s_cbranch_vccnz .LBB43_194
; %bb.193:
	v_lshl_add_u64 v[0:1], v[58:59], 2, v[22:23]
	flat_load_dword v0, v[0:1]
	s_waitcnt vmcnt(0) lgkmcnt(0)
	v_mul_f32_e32 v0, s28, v0
	s_branch .LBB43_195
.LBB43_194:
	v_mov_b32_e32 v0, 0
.LBB43_195:
	v_add_f32_e32 v1, v8, v9
	v_add_f32_e32 v2, v1, v0
	v_lshl_add_u64 v[0:1], v[58:59], 2, v[20:21]
	flat_store_dword v[0:1], v2
	s_or_b64 exec, exec, s[2:3]
	s_and_b64 s[4:5], s[14:15], s[18:19]
	s_and_saveexec_b64 s[2:3], s[4:5]
	s_cbranch_execz .LBB43_170
.LBB43_196:
	s_and_b64 vcc, exec, s[0:1]
	s_cbranch_vccnz .LBB43_198
; %bb.197:
	v_lshl_add_u64 v[0:1], v[56:57], 2, v[22:23]
	flat_load_dword v0, v[0:1]
	s_waitcnt vmcnt(0) lgkmcnt(0)
	v_mul_f32_e32 v0, s28, v0
	s_branch .LBB43_199
.LBB43_198:
	v_mov_b32_e32 v0, 0
.LBB43_199:
	v_add_f32_e32 v1, v6, v7
	v_add_f32_e32 v2, v1, v0
	v_lshl_add_u64 v[0:1], v[56:57], 2, v[20:21]
	flat_store_dword v[0:1], v2
	s_or_b64 exec, exec, s[2:3]
	s_and_b64 s[2:3], s[16:17], s[18:19]
	s_and_saveexec_b64 s[4:5], s[2:3]
	s_cbranch_execz .LBB43_171
.LBB43_200:
	s_and_b64 vcc, exec, s[0:1]
	s_cbranch_vccnz .LBB43_202
; %bb.201:
	v_lshl_add_u64 v[0:1], v[54:55], 2, v[22:23]
	flat_load_dword v0, v[0:1]
	s_waitcnt vmcnt(0) lgkmcnt(0)
	v_mul_f32_e32 v0, s28, v0
	s_branch .LBB43_203
.LBB43_202:
	v_mov_b32_e32 v0, 0
.LBB43_203:
	v_add_f32_e32 v1, v4, v5
	v_add_f32_e32 v2, v1, v0
	v_lshl_add_u64 v[0:1], v[54:55], 2, v[20:21]
	flat_store_dword v[0:1], v2
	s_endpgm
	.section	.rodata,"a",@progbits
	.p2align	6, 0x0
	.amdhsa_kernel _ZN12_GLOBAL__N_120geam_min_plus_kernelIf15HIP_vector_typeIfLj2EES2_Li8ELi32ELi64ELi128ELi4ELi64ELi4ELi64ELi4ELc78ELc84ELb1ELb1ELb0EfKPKfKPfEEviiiT16_PT17_ilSA_ilS8_SA_ilPT18_ili26rocblas_geam_ex_operation_
		.amdhsa_group_segment_fixed_size 6144
		.amdhsa_private_segment_fixed_size 0
		.amdhsa_kernarg_size 128
		.amdhsa_user_sgpr_count 2
		.amdhsa_user_sgpr_dispatch_ptr 0
		.amdhsa_user_sgpr_queue_ptr 0
		.amdhsa_user_sgpr_kernarg_segment_ptr 1
		.amdhsa_user_sgpr_dispatch_id 0
		.amdhsa_user_sgpr_kernarg_preload_length 0
		.amdhsa_user_sgpr_kernarg_preload_offset 0
		.amdhsa_user_sgpr_private_segment_size 0
		.amdhsa_uses_dynamic_stack 0
		.amdhsa_enable_private_segment 0
		.amdhsa_system_sgpr_workgroup_id_x 1
		.amdhsa_system_sgpr_workgroup_id_y 0
		.amdhsa_system_sgpr_workgroup_id_z 1
		.amdhsa_system_sgpr_workgroup_info 0
		.amdhsa_system_vgpr_workitem_id 1
		.amdhsa_next_free_vgpr 108
		.amdhsa_next_free_sgpr 36
		.amdhsa_accum_offset 108
		.amdhsa_reserve_vcc 1
		.amdhsa_float_round_mode_32 0
		.amdhsa_float_round_mode_16_64 0
		.amdhsa_float_denorm_mode_32 3
		.amdhsa_float_denorm_mode_16_64 3
		.amdhsa_dx10_clamp 1
		.amdhsa_ieee_mode 1
		.amdhsa_fp16_overflow 0
		.amdhsa_tg_split 0
		.amdhsa_exception_fp_ieee_invalid_op 0
		.amdhsa_exception_fp_denorm_src 0
		.amdhsa_exception_fp_ieee_div_zero 0
		.amdhsa_exception_fp_ieee_overflow 0
		.amdhsa_exception_fp_ieee_underflow 0
		.amdhsa_exception_fp_ieee_inexact 0
		.amdhsa_exception_int_div_zero 0
	.end_amdhsa_kernel
	.section	.text._ZN12_GLOBAL__N_120geam_min_plus_kernelIf15HIP_vector_typeIfLj2EES2_Li8ELi32ELi64ELi128ELi4ELi64ELi4ELi64ELi4ELc78ELc84ELb1ELb1ELb0EfKPKfKPfEEviiiT16_PT17_ilSA_ilS8_SA_ilPT18_ili26rocblas_geam_ex_operation_,"axG",@progbits,_ZN12_GLOBAL__N_120geam_min_plus_kernelIf15HIP_vector_typeIfLj2EES2_Li8ELi32ELi64ELi128ELi4ELi64ELi4ELi64ELi4ELc78ELc84ELb1ELb1ELb0EfKPKfKPfEEviiiT16_PT17_ilSA_ilS8_SA_ilPT18_ili26rocblas_geam_ex_operation_,comdat
.Lfunc_end43:
	.size	_ZN12_GLOBAL__N_120geam_min_plus_kernelIf15HIP_vector_typeIfLj2EES2_Li8ELi32ELi64ELi128ELi4ELi64ELi4ELi64ELi4ELc78ELc84ELb1ELb1ELb0EfKPKfKPfEEviiiT16_PT17_ilSA_ilS8_SA_ilPT18_ili26rocblas_geam_ex_operation_, .Lfunc_end43-_ZN12_GLOBAL__N_120geam_min_plus_kernelIf15HIP_vector_typeIfLj2EES2_Li8ELi32ELi64ELi128ELi4ELi64ELi4ELi64ELi4ELc78ELc84ELb1ELb1ELb0EfKPKfKPfEEviiiT16_PT17_ilSA_ilS8_SA_ilPT18_ili26rocblas_geam_ex_operation_
                                        ; -- End function
	.set _ZN12_GLOBAL__N_120geam_min_plus_kernelIf15HIP_vector_typeIfLj2EES2_Li8ELi32ELi64ELi128ELi4ELi64ELi4ELi64ELi4ELc78ELc84ELb1ELb1ELb0EfKPKfKPfEEviiiT16_PT17_ilSA_ilS8_SA_ilPT18_ili26rocblas_geam_ex_operation_.num_vgpr, 108
	.set _ZN12_GLOBAL__N_120geam_min_plus_kernelIf15HIP_vector_typeIfLj2EES2_Li8ELi32ELi64ELi128ELi4ELi64ELi4ELi64ELi4ELc78ELc84ELb1ELb1ELb0EfKPKfKPfEEviiiT16_PT17_ilSA_ilS8_SA_ilPT18_ili26rocblas_geam_ex_operation_.num_agpr, 0
	.set _ZN12_GLOBAL__N_120geam_min_plus_kernelIf15HIP_vector_typeIfLj2EES2_Li8ELi32ELi64ELi128ELi4ELi64ELi4ELi64ELi4ELc78ELc84ELb1ELb1ELb0EfKPKfKPfEEviiiT16_PT17_ilSA_ilS8_SA_ilPT18_ili26rocblas_geam_ex_operation_.numbered_sgpr, 36
	.set _ZN12_GLOBAL__N_120geam_min_plus_kernelIf15HIP_vector_typeIfLj2EES2_Li8ELi32ELi64ELi128ELi4ELi64ELi4ELi64ELi4ELc78ELc84ELb1ELb1ELb0EfKPKfKPfEEviiiT16_PT17_ilSA_ilS8_SA_ilPT18_ili26rocblas_geam_ex_operation_.num_named_barrier, 0
	.set _ZN12_GLOBAL__N_120geam_min_plus_kernelIf15HIP_vector_typeIfLj2EES2_Li8ELi32ELi64ELi128ELi4ELi64ELi4ELi64ELi4ELc78ELc84ELb1ELb1ELb0EfKPKfKPfEEviiiT16_PT17_ilSA_ilS8_SA_ilPT18_ili26rocblas_geam_ex_operation_.private_seg_size, 0
	.set _ZN12_GLOBAL__N_120geam_min_plus_kernelIf15HIP_vector_typeIfLj2EES2_Li8ELi32ELi64ELi128ELi4ELi64ELi4ELi64ELi4ELc78ELc84ELb1ELb1ELb0EfKPKfKPfEEviiiT16_PT17_ilSA_ilS8_SA_ilPT18_ili26rocblas_geam_ex_operation_.uses_vcc, 1
	.set _ZN12_GLOBAL__N_120geam_min_plus_kernelIf15HIP_vector_typeIfLj2EES2_Li8ELi32ELi64ELi128ELi4ELi64ELi4ELi64ELi4ELc78ELc84ELb1ELb1ELb0EfKPKfKPfEEviiiT16_PT17_ilSA_ilS8_SA_ilPT18_ili26rocblas_geam_ex_operation_.uses_flat_scratch, 0
	.set _ZN12_GLOBAL__N_120geam_min_plus_kernelIf15HIP_vector_typeIfLj2EES2_Li8ELi32ELi64ELi128ELi4ELi64ELi4ELi64ELi4ELc78ELc84ELb1ELb1ELb0EfKPKfKPfEEviiiT16_PT17_ilSA_ilS8_SA_ilPT18_ili26rocblas_geam_ex_operation_.has_dyn_sized_stack, 0
	.set _ZN12_GLOBAL__N_120geam_min_plus_kernelIf15HIP_vector_typeIfLj2EES2_Li8ELi32ELi64ELi128ELi4ELi64ELi4ELi64ELi4ELc78ELc84ELb1ELb1ELb0EfKPKfKPfEEviiiT16_PT17_ilSA_ilS8_SA_ilPT18_ili26rocblas_geam_ex_operation_.has_recursion, 0
	.set _ZN12_GLOBAL__N_120geam_min_plus_kernelIf15HIP_vector_typeIfLj2EES2_Li8ELi32ELi64ELi128ELi4ELi64ELi4ELi64ELi4ELc78ELc84ELb1ELb1ELb0EfKPKfKPfEEviiiT16_PT17_ilSA_ilS8_SA_ilPT18_ili26rocblas_geam_ex_operation_.has_indirect_call, 0
	.section	.AMDGPU.csdata,"",@progbits
; Kernel info:
; codeLenInByte = 7848
; TotalNumSgprs: 42
; NumVgprs: 108
; NumAgprs: 0
; TotalNumVgprs: 108
; ScratchSize: 0
; MemoryBound: 0
; FloatMode: 240
; IeeeMode: 1
; LDSByteSize: 6144 bytes/workgroup (compile time only)
; SGPRBlocks: 5
; VGPRBlocks: 13
; NumSGPRsForWavesPerEU: 42
; NumVGPRsForWavesPerEU: 108
; AccumOffset: 108
; Occupancy: 4
; WaveLimiterHint : 1
; COMPUTE_PGM_RSRC2:SCRATCH_EN: 0
; COMPUTE_PGM_RSRC2:USER_SGPR: 2
; COMPUTE_PGM_RSRC2:TRAP_HANDLER: 0
; COMPUTE_PGM_RSRC2:TGID_X_EN: 1
; COMPUTE_PGM_RSRC2:TGID_Y_EN: 0
; COMPUTE_PGM_RSRC2:TGID_Z_EN: 1
; COMPUTE_PGM_RSRC2:TIDIG_COMP_CNT: 1
; COMPUTE_PGM_RSRC3_GFX90A:ACCUM_OFFSET: 26
; COMPUTE_PGM_RSRC3_GFX90A:TG_SPLIT: 0
	.section	.text._ZN12_GLOBAL__N_120geam_min_plus_kernelIf15HIP_vector_typeIfLj2EES2_Li8ELi32ELi64ELi128ELi4ELi64ELi4ELi64ELi4ELc78ELc84ELb0ELb1ELb0EfKPKfKPfEEviiiT16_PT17_ilSA_ilS8_SA_ilPT18_ili26rocblas_geam_ex_operation_,"axG",@progbits,_ZN12_GLOBAL__N_120geam_min_plus_kernelIf15HIP_vector_typeIfLj2EES2_Li8ELi32ELi64ELi128ELi4ELi64ELi4ELi64ELi4ELc78ELc84ELb0ELb1ELb0EfKPKfKPfEEviiiT16_PT17_ilSA_ilS8_SA_ilPT18_ili26rocblas_geam_ex_operation_,comdat
	.globl	_ZN12_GLOBAL__N_120geam_min_plus_kernelIf15HIP_vector_typeIfLj2EES2_Li8ELi32ELi64ELi128ELi4ELi64ELi4ELi64ELi4ELc78ELc84ELb0ELb1ELb0EfKPKfKPfEEviiiT16_PT17_ilSA_ilS8_SA_ilPT18_ili26rocblas_geam_ex_operation_ ; -- Begin function _ZN12_GLOBAL__N_120geam_min_plus_kernelIf15HIP_vector_typeIfLj2EES2_Li8ELi32ELi64ELi128ELi4ELi64ELi4ELi64ELi4ELc78ELc84ELb0ELb1ELb0EfKPKfKPfEEviiiT16_PT17_ilSA_ilS8_SA_ilPT18_ili26rocblas_geam_ex_operation_
	.p2align	8
	.type	_ZN12_GLOBAL__N_120geam_min_plus_kernelIf15HIP_vector_typeIfLj2EES2_Li8ELi32ELi64ELi128ELi4ELi64ELi4ELi64ELi4ELc78ELc84ELb0ELb1ELb0EfKPKfKPfEEviiiT16_PT17_ilSA_ilS8_SA_ilPT18_ili26rocblas_geam_ex_operation_,@function
_ZN12_GLOBAL__N_120geam_min_plus_kernelIf15HIP_vector_typeIfLj2EES2_Li8ELi32ELi64ELi128ELi4ELi64ELi4ELi64ELi4ELc78ELc84ELb0ELb1ELb0EfKPKfKPfEEviiiT16_PT17_ilSA_ilS8_SA_ilPT18_ili26rocblas_geam_ex_operation_: ; @_ZN12_GLOBAL__N_120geam_min_plus_kernelIf15HIP_vector_typeIfLj2EES2_Li8ELi32ELi64ELi128ELi4ELi64ELi4ELi64ELi4ELc78ELc84ELb0ELb1ELb0EfKPKfKPfEEviiiT16_PT17_ilSA_ilS8_SA_ilPT18_ili26rocblas_geam_ex_operation_
; %bb.0:
	s_load_dwordx4 s[20:23], s[0:1], 0x0
	s_load_dwordx4 s[4:7], s[0:1], 0x20
	s_mov_b32 s8, s3
	s_mov_b32 s9, 0
	s_waitcnt lgkmcnt(0)
	v_cmp_eq_f32_e64 s[10:11], s23, 0
	v_cmp_neq_f32_e64 s[12:13], s23, 0
	s_and_b64 vcc, exec, s[10:11]
	s_cbranch_vccnz .LBB44_3
; %bb.1:
	s_load_dwordx2 s[14:15], s[0:1], 0x10
	s_lshl_b64 s[16:17], s[8:9], 3
	s_waitcnt lgkmcnt(0)
	s_add_u32 s14, s14, s16
	s_addc_u32 s15, s15, s17
	s_load_dwordx2 s[14:15], s[14:15], 0x0
	s_lshl_b64 s[4:5], s[4:5], 2
	s_waitcnt lgkmcnt(0)
	s_add_u32 s18, s14, s4
	s_addc_u32 s19, s15, s5
	s_andn2_b64 vcc, exec, s[10:11]
	s_cbranch_vccnz .LBB44_4
.LBB44_2:
	s_mov_b32 s11, 0
	s_mov_b32 s10, s8
	s_mov_b64 s[24:25], 0
	s_mov_b64 s[14:15], 0
	s_cbranch_execz .LBB44_5
	s_branch .LBB44_6
.LBB44_3:
	s_mov_b64 s[18:19], 0
	s_andn2_b64 vcc, exec, s[10:11]
	s_cbranch_vccz .LBB44_2
.LBB44_4:
	s_mov_b64 s[10:11], s[8:9]
	s_mov_b64 s[24:25], 0
	;; [unrolled: 1-line block ×3, first 2 shown]
.LBB44_5:
	s_lshl_b64 s[8:9], s[8:9], 3
	s_add_u32 s6, s6, s8
	s_load_dwordx2 s[4:5], s[0:1], 0x38
	s_addc_u32 s7, s7, s9
	s_load_dwordx2 s[6:7], s[6:7], 0x0
	s_waitcnt lgkmcnt(0)
	s_lshl_b64 s[4:5], s[4:5], 2
	s_add_u32 s14, s6, s4
	s_addc_u32 s15, s7, s5
.LBB44_6:
	s_load_dword s28, s[0:1], 0x40
	s_load_dwordx4 s[4:7], s[0:1], 0x58
	s_waitcnt lgkmcnt(0)
	v_cmp_eq_f32_e64 s[16:17], s28, 0
	v_cmp_neq_f32_e64 s[8:9], s28, 0
	s_and_b64 vcc, exec, s[16:17]
	s_cbranch_vccnz .LBB44_8
; %bb.7:
	s_load_dwordx2 s[16:17], s[0:1], 0x48
	s_lshl_b64 s[24:25], s[10:11], 3
	s_waitcnt lgkmcnt(0)
	s_add_u32 s16, s16, s24
	s_addc_u32 s17, s17, s25
	s_load_dwordx2 s[16:17], s[16:17], 0x0
	s_lshl_b64 s[4:5], s[4:5], 2
	s_waitcnt lgkmcnt(0)
	s_add_u32 s24, s16, s4
	s_addc_u32 s25, s17, s5
.LBB44_8:
	s_load_dword s31, s[0:1], 0x18
	s_lshl_b64 s[4:5], s[10:11], 3
	v_and_b32_e32 v72, 0x3ff, v0
	v_bfe_u32 v73, v0, 10, 10
	v_mov_b32_e32 v2, 0
	s_waitcnt lgkmcnt(0)
	s_ashr_i32 s33, s31, 31
	s_add_u32 s10, s6, s4
	s_addc_u32 s11, s7, s5
	s_add_i32 s3, s20, -1
	s_ashr_i32 s4, s3, 31
	s_lshr_b32 s4, s4, 26
	s_add_i32 s3, s3, s4
	s_ashr_i32 s3, s3, 6
	s_add_i32 s4, s3, 1
	v_cvt_f32_u32_e32 v1, s4
	s_not_b32 s3, s3
	v_mov_b32_e32 v3, 0
	v_rcp_iflag_f32_e32 v0, v1
	v_lshl_add_u32 v1, v73, 3, v72
	v_and_b32_e32 v79, 63, v1
	v_lshrrev_b32_e32 v74, 6, v1
	v_mul_f32_e32 v0, 0x4f7ffffe, v0
	v_cvt_u32_f32_e32 v0, v0
	v_cmp_gt_i32_e32 vcc, s22, v74
	v_readfirstlane_b32 s5, v0
	s_mul_i32 s3, s3, s5
	s_mul_hi_u32 s3, s5, s3
	s_add_i32 s5, s5, s3
	s_mul_hi_u32 s3, s2, s5
	s_mul_i32 s5, s3, s4
	s_sub_i32 s5, s2, s5
	s_add_i32 s6, s3, 1
	s_sub_i32 s7, s5, s4
	s_cmp_ge_u32 s5, s4
	s_cselect_b32 s3, s6, s3
	s_cselect_b32 s5, s7, s5
	s_add_i32 s6, s3, 1
	s_cmp_ge_u32 s5, s4
	s_cselect_b32 s6, s6, s3
	s_mul_i32 s3, s6, s4
	s_sub_i32 s2, s2, s3
	s_lshl_b32 s29, s2, 6
	v_or_b32_e32 v70, s29, v79
	v_cmp_gt_i32_e64 s[2:3], s20, v70
	s_and_b64 s[4:5], vcc, s[2:3]
	v_ashrrev_i32_e32 v71, 31, v70
	s_and_b64 s[16:17], s[12:13], s[4:5]
	s_and_saveexec_b64 s[4:5], s[16:17]
	s_cbranch_execz .LBB44_10
; %bb.9:
	v_mad_i64_i32 v[0:1], s[16:17], s31, v74, 0
	v_lshl_add_u64 v[0:1], v[0:1], 2, s[18:19]
	v_lshl_add_u64 v[0:1], v[70:71], 2, v[0:1]
	flat_load_dword v0, v[0:1]
	s_waitcnt vmcnt(0) lgkmcnt(0)
	v_mul_f32_e32 v3, s23, v0
.LBB44_10:
	s_or_b64 exec, exec, s[4:5]
	s_load_dword s34, s[0:1], 0x30
	s_add_i32 s35, s22, -1
	s_lshl_b32 s30, s6, 7
	v_min_i32_e32 v0, s35, v74
	v_or_b32_e32 v68, s30, v79
	s_waitcnt lgkmcnt(0)
	v_mad_i64_i32 v[0:1], s[4:5], s34, v0, 0
	v_cmp_le_i32_e32 vcc, s22, v74
	v_cmp_le_i32_e64 s[4:5], s21, v68
	s_or_b64 s[6:7], vcc, s[4:5]
	s_xor_b64 s[16:17], s[12:13], -1
	v_lshl_add_u64 v[0:1], v[0:1], 2, s[14:15]
	s_nor_b64 s[26:27], s[6:7], s[16:17]
	v_ashrrev_i32_e32 v69, 31, v68
	s_and_saveexec_b64 s[6:7], s[26:27]
	s_cbranch_execz .LBB44_12
; %bb.11:
	v_lshl_add_u64 v[4:5], v[68:69], 2, v[0:1]
	flat_load_dword v2, v[4:5]
	s_waitcnt vmcnt(0) lgkmcnt(0)
	v_mul_f32_e32 v2, s23, v2
.LBB44_12:
	s_or_b64 exec, exec, s[6:7]
	v_or_b32_e32 v4, 64, v68
	v_cmp_le_i32_e64 s[6:7], s21, v4
	s_or_b64 s[26:27], vcc, s[6:7]
	s_nor_b64 s[36:37], s[26:27], s[16:17]
	v_mov_b32_e32 v80, 0
	v_mov_b32_e32 v4, 0
	s_and_saveexec_b64 s[26:27], s[36:37]
	s_cbranch_execz .LBB44_14
; %bb.13:
	v_lshl_add_u64 v[0:1], v[68:69], 2, v[0:1]
	flat_load_dword v0, v[0:1] offset:256
	s_waitcnt vmcnt(0) lgkmcnt(0)
	v_mul_f32_e32 v4, s23, v0
.LBB44_14:
	s_or_b64 exec, exec, s[26:27]
	v_add_u32_e32 v0, 4, v74
	v_cmp_gt_i32_e32 vcc, s22, v0
	s_and_b64 s[26:27], s[2:3], vcc
	s_and_b64 s[36:37], s[12:13], s[26:27]
	s_and_saveexec_b64 s[26:27], s[36:37]
	s_cbranch_execz .LBB44_16
; %bb.15:
	v_mad_u64_u32 v[6:7], s[36:37], s31, v0, 0
	v_mov_b32_e32 v8, v7
	v_mad_u64_u32 v[8:9], s[36:37], s33, v0, v[8:9]
	v_mov_b32_e32 v7, v8
	v_lshl_add_u64 v[6:7], v[6:7], 2, s[18:19]
	v_lshl_add_u64 v[6:7], v[70:71], 2, v[6:7]
	flat_load_dword v1, v[6:7]
	s_waitcnt vmcnt(0) lgkmcnt(0)
	v_mul_f32_e32 v80, s23, v1
.LBB44_16:
	s_or_b64 exec, exec, s[26:27]
	v_cmp_le_i32_e32 vcc, s22, v0
	v_min_i32_e32 v0, s35, v0
	v_mad_i64_i32 v[0:1], s[26:27], s34, v0, 0
	s_or_b64 s[26:27], s[4:5], vcc
	v_lshl_add_u64 v[0:1], v[0:1], 2, s[14:15]
	s_nor_b64 s[36:37], s[26:27], s[16:17]
	v_mov_b32_e32 v81, 0
	v_mov_b32_e32 v82, 0
	s_and_saveexec_b64 s[26:27], s[36:37]
	s_cbranch_execz .LBB44_18
; %bb.17:
	v_lshl_add_u64 v[6:7], v[68:69], 2, v[0:1]
	flat_load_dword v5, v[6:7]
	s_waitcnt vmcnt(0) lgkmcnt(0)
	v_mul_f32_e32 v82, s23, v5
.LBB44_18:
	s_or_b64 exec, exec, s[26:27]
	s_load_dwordx2 s[10:11], s[10:11], 0x0
	s_or_b64 s[26:27], s[6:7], vcc
	s_nor_b64 s[36:37], s[26:27], s[16:17]
	s_and_saveexec_b64 s[26:27], s[36:37]
	s_cbranch_execz .LBB44_20
; %bb.19:
	v_lshl_add_u64 v[0:1], v[68:69], 2, v[0:1]
	flat_load_dword v0, v[0:1] offset:256
	s_waitcnt vmcnt(0) lgkmcnt(0)
	v_mul_f32_e32 v81, s23, v0
.LBB44_20:
	s_or_b64 exec, exec, s[26:27]
	v_lshlrev_b32_e32 v0, 4, v79
	v_lshl_add_u32 v75, v74, 2, v0
	v_mov_b32_e32 v0, 0x1000
	v_mov_b32_e32 v66, 0
	ds_write_b32 v75, v3 offset:4096
	ds_write2st64_b32 v75, v2, v4 offset1:4
	v_lshl_add_u32 v76, v72, 4, v0
	s_mov_b32 s36, 0
	s_mov_b64 s[26:27], -1
	v_mov_b32_e32 v67, v66
	v_mov_b32_e32 v64, v66
	v_mov_b32_e32 v65, v66
	v_mov_b32_e32 v62, v66
	v_mov_b32_e32 v63, v66
	v_mov_b32_e32 v60, v66
	v_mov_b32_e32 v61, v66
	v_mov_b32_e32 v58, v66
	v_mov_b32_e32 v59, v66
	v_mov_b32_e32 v56, v66
	v_mov_b32_e32 v57, v66
	v_mov_b32_e32 v54, v66
	v_mov_b32_e32 v55, v66
	v_mov_b32_e32 v52, v66
	v_mov_b32_e32 v53, v66
	v_mov_b32_e32 v50, v66
	v_mov_b32_e32 v51, v66
	v_mov_b32_e32 v48, v66
	v_mov_b32_e32 v49, v66
	v_mov_b32_e32 v46, v66
	v_mov_b32_e32 v47, v66
	v_mov_b32_e32 v44, v66
	v_mov_b32_e32 v45, v66
	v_mov_b32_e32 v42, v66
	v_mov_b32_e32 v43, v66
	v_mov_b32_e32 v40, v66
	v_mov_b32_e32 v41, v66
	v_mov_b32_e32 v38, v66
	v_mov_b32_e32 v39, v66
	v_mov_b32_e32 v36, v66
	v_mov_b32_e32 v37, v66
	v_mov_b32_e32 v34, v66
	v_mov_b32_e32 v35, v66
	v_mov_b32_e32 v32, v66
	v_mov_b32_e32 v33, v66
	v_mov_b32_e32 v30, v66
	v_mov_b32_e32 v31, v66
	v_mov_b32_e32 v28, v66
	v_mov_b32_e32 v29, v66
	v_mov_b32_e32 v26, v66
	v_mov_b32_e32 v27, v66
	v_mov_b32_e32 v24, v66
	v_mov_b32_e32 v25, v66
	v_mov_b32_e32 v22, v66
	v_mov_b32_e32 v23, v66
	v_mov_b32_e32 v20, v66
	v_mov_b32_e32 v21, v66
	v_mov_b32_e32 v18, v66
	v_mov_b32_e32 v19, v66
	v_mov_b32_e32 v16, v66
	v_mov_b32_e32 v17, v66
	v_mov_b32_e32 v14, v66
	v_mov_b32_e32 v15, v66
	v_mov_b32_e32 v12, v66
	v_mov_b32_e32 v13, v66
	v_mov_b32_e32 v10, v66
	v_mov_b32_e32 v11, v66
	v_mov_b32_e32 v8, v66
	v_mov_b32_e32 v9, v66
	v_mov_b32_e32 v6, v66
	v_mov_b32_e32 v7, v66
	v_mov_b32_e32 v4, v66
	v_mov_b32_e32 v5, v66
	v_or_b32_e32 v77, 0x1000, v75
	v_lshlrev_b32_e32 v78, 4, v73
	s_waitcnt lgkmcnt(0)
	s_barrier
.LBB44_21:                              ; =>This Inner Loop Header: Depth=1
	v_cndmask_b32_e64 v0, 0, 1, s[26:27]
	s_lshl_b32 s26, s36, 2
	v_cmp_ne_u32_e32 vcc, 1, v0
	v_add_u32_e32 v0, s26, v76
	ds_read2_b64 v[84:87], v0 offset1:16
	ds_read2_b64 v[88:91], v0 offset0:32 offset1:48
	ds_read2_b64 v[92:95], v0 offset0:64 offset1:80
	ds_read2_b64 v[96:99], v0 offset0:96 offset1:112
	v_add_u32_e32 v0, s26, v78
	ds_read2st64_b64 v[100:103], v0 offset1:1
	ds_read2st64_b64 v[0:3], v0 offset0:2 offset1:3
	s_waitcnt lgkmcnt(5)
	v_max_f32_e32 v104, v85, v85
	v_max_f32_e32 v86, v86, v86
	;; [unrolled: 1-line block ×3, first 2 shown]
	s_waitcnt lgkmcnt(1)
	v_max_f32_e32 v83, v100, v100
	v_max_f32_e32 v100, v84, v84
	;; [unrolled: 1-line block ×3, first 2 shown]
	v_min_f32_e32 v84, v100, v83
	v_min_f32_e32 v85, v104, v101
	v_pk_add_f32 v[66:67], v[66:67], v[84:85]
	v_min_f32_e32 v84, v86, v83
	v_min_f32_e32 v85, v87, v101
	v_max_f32_e32 v88, v88, v88
	v_max_f32_e32 v89, v89, v89
	v_pk_add_f32 v[64:65], v[64:65], v[84:85]
	v_min_f32_e32 v84, v88, v83
	v_min_f32_e32 v85, v89, v101
	v_max_f32_e32 v90, v90, v90
	v_max_f32_e32 v91, v91, v91
	;; [unrolled: 5-line block ×5, first 2 shown]
	v_pk_add_f32 v[56:57], v[56:57], v[84:85]
	v_min_f32_e32 v84, v96, v83
	v_min_f32_e32 v85, v97, v101
	v_max_f32_e32 v98, v98, v98
	v_pk_add_f32 v[54:55], v[54:55], v[84:85]
	v_min_f32_e32 v84, v98, v83
	v_max_f32_e32 v83, v99, v99
	v_min_f32_e32 v85, v83, v101
	v_max_f32_e32 v99, v102, v102
	v_max_f32_e32 v101, v103, v103
	v_pk_add_f32 v[52:53], v[52:53], v[84:85]
	v_min_f32_e32 v84, v100, v99
	v_min_f32_e32 v85, v104, v101
	v_pk_add_f32 v[50:51], v[50:51], v[84:85]
	v_min_f32_e32 v84, v86, v99
	v_min_f32_e32 v85, v87, v101
	;; [unrolled: 3-line block ×8, first 2 shown]
	v_pk_add_f32 v[36:37], v[36:37], v[84:85]
	s_waitcnt lgkmcnt(0)
	v_max_f32_e32 v84, v0, v0
	v_max_f32_e32 v85, v1, v1
	v_min_f32_e32 v0, v100, v84
	v_min_f32_e32 v1, v104, v85
	v_pk_add_f32 v[34:35], v[34:35], v[0:1]
	v_min_f32_e32 v0, v86, v84
	v_min_f32_e32 v1, v87, v85
	v_pk_add_f32 v[32:33], v[32:33], v[0:1]
	;; [unrolled: 3-line block ×7, first 2 shown]
	v_min_f32_e32 v0, v98, v84
	v_min_f32_e32 v1, v83, v85
	v_max_f32_e32 v2, v2, v2
	v_max_f32_e32 v3, v3, v3
	v_pk_add_f32 v[20:21], v[20:21], v[0:1]
	v_min_f32_e32 v0, v100, v2
	v_min_f32_e32 v1, v104, v3
	v_pk_add_f32 v[18:19], v[18:19], v[0:1]
	v_min_f32_e32 v0, v86, v2
	v_min_f32_e32 v1, v87, v3
	;; [unrolled: 3-line block ×8, first 2 shown]
	v_pk_add_f32 v[4:5], v[4:5], v[0:1]
	s_mov_b64 s[26:27], 0
	s_mov_b32 s36, 2
	s_cbranch_vccz .LBB44_21
; %bb.22:
	v_lshlrev_b32_e32 v0, 2, v74
	v_lshl_add_u32 v0, v79, 4, v0
	s_cmp_lt_i32 s22, 9
	ds_write_b32 v0, v80 offset:5120
	ds_write2st64_b32 v0, v82, v81 offset0:8 offset1:12
	s_waitcnt lgkmcnt(0)
	s_barrier
	s_cbranch_scc1 .LBB44_41
; %bb.23:
	v_add_u32_e32 v79, 0x1400, v0
	v_or_b32_e32 v80, 0x800, v0
	v_mov_b32_e32 v0, 0x1400
	v_lshl_add_u32 v81, v72, 4, v0
	v_mov_b32_e32 v0, 0x800
	s_add_i32 s26, s22, -8
	v_lshl_add_u64 v[70:71], v[70:71], 2, s[18:19]
	v_lshl_add_u32 v82, v73, 4, v0
	s_mov_b32 s27, 8
	s_mov_b32 s36, 0
.LBB44_24:                              ; =>This Loop Header: Depth=1
                                        ;     Child Loop BB44_31 Depth 2
                                        ;     Child Loop BB44_39 Depth 2
	v_add_u32_e32 v0, s27, v74
	v_cmp_gt_i32_e32 vcc, s22, v0
	s_and_b64 s[18:19], s[2:3], vcc
	s_and_b64 s[38:39], s[12:13], s[18:19]
	v_mov_b32_e32 v83, 0
	v_mov_b32_e32 v84, 0
	s_and_saveexec_b64 s[18:19], s[38:39]
	s_cbranch_execz .LBB44_26
; %bb.25:                               ;   in Loop: Header=BB44_24 Depth=1
	v_mad_u64_u32 v[2:3], s[38:39], v0, s31, 0
	v_mov_b32_e32 v84, v3
	v_mad_u64_u32 v[84:85], s[38:39], v0, s33, v[84:85]
	v_mov_b32_e32 v3, v84
	v_lshl_add_u64 v[2:3], v[2:3], 2, v[70:71]
	flat_load_dword v1, v[2:3]
	s_waitcnt vmcnt(0) lgkmcnt(0)
	v_mul_f32_e32 v84, s23, v1
.LBB44_26:                              ;   in Loop: Header=BB44_24 Depth=1
	s_or_b64 exec, exec, s[18:19]
	v_cmp_le_i32_e32 vcc, s22, v0
	v_min_i32_e32 v0, s35, v0
	v_mad_i64_i32 v[0:1], s[18:19], v0, s34, 0
	v_lshl_add_u64 v[0:1], v[0:1], 2, s[14:15]
	s_or_b64 s[18:19], s[4:5], vcc
	s_nor_b64 s[38:39], s[18:19], s[16:17]
	v_lshl_add_u64 v[0:1], v[68:69], 2, v[0:1]
	s_and_saveexec_b64 s[18:19], s[38:39]
	s_cbranch_execz .LBB44_28
; %bb.27:                               ;   in Loop: Header=BB44_24 Depth=1
	flat_load_dword v2, v[0:1]
	s_waitcnt vmcnt(0) lgkmcnt(0)
	v_mul_f32_e32 v83, s23, v2
.LBB44_28:                              ;   in Loop: Header=BB44_24 Depth=1
	s_or_b64 exec, exec, s[18:19]
	s_or_b64 s[18:19], s[6:7], vcc
	s_nor_b64 s[38:39], s[18:19], s[16:17]
	v_mov_b32_e32 v85, 0
	s_and_saveexec_b64 s[18:19], s[38:39]
	s_cbranch_execz .LBB44_30
; %bb.29:                               ;   in Loop: Header=BB44_24 Depth=1
	flat_load_dword v0, v[0:1] offset:256
	s_waitcnt vmcnt(0) lgkmcnt(0)
	v_mul_f32_e32 v85, s23, v0
.LBB44_30:                              ;   in Loop: Header=BB44_24 Depth=1
	s_or_b64 exec, exec, s[18:19]
	s_mov_b32 s37, 0
	s_mov_b64 s[18:19], -1
.LBB44_31:                              ;   Parent Loop BB44_24 Depth=1
                                        ; =>  This Inner Loop Header: Depth=2
	v_cndmask_b32_e64 v0, 0, 1, s[18:19]
	s_lshl_b32 s18, s37, 2
	v_cmp_ne_u32_e32 vcc, 1, v0
	v_add_u32_e32 v0, s18, v81
	ds_read2_b64 v[86:89], v0 offset1:16
	ds_read2_b64 v[90:93], v0 offset0:32 offset1:48
	ds_read2_b64 v[94:97], v0 offset0:64 offset1:80
	;; [unrolled: 1-line block ×3, first 2 shown]
	v_add_u32_e32 v0, s18, v82
	ds_read2st64_b64 v[102:105], v0 offset1:1
	ds_read2st64_b64 v[0:3], v0 offset0:2 offset1:3
	s_waitcnt lgkmcnt(5)
	v_max_f32_e32 v106, v86, v86
	v_max_f32_e32 v107, v87, v87
	;; [unrolled: 1-line block ×3, first 2 shown]
	s_waitcnt lgkmcnt(1)
	v_max_f32_e32 v102, v102, v102
	v_max_f32_e32 v103, v103, v103
	v_min_f32_e32 v86, v106, v102
	v_min_f32_e32 v87, v107, v103
	v_max_f32_e32 v89, v89, v89
	v_pk_add_f32 v[66:67], v[66:67], v[86:87]
	v_min_f32_e32 v86, v88, v102
	v_min_f32_e32 v87, v89, v103
	v_max_f32_e32 v90, v90, v90
	v_max_f32_e32 v91, v91, v91
	v_pk_add_f32 v[64:65], v[64:65], v[86:87]
	v_min_f32_e32 v86, v90, v102
	v_min_f32_e32 v87, v91, v103
	v_max_f32_e32 v92, v92, v92
	;; [unrolled: 5-line block ×7, first 2 shown]
	v_max_f32_e32 v103, v105, v105
	v_pk_add_f32 v[52:53], v[52:53], v[86:87]
	v_min_f32_e32 v86, v106, v102
	v_min_f32_e32 v87, v107, v103
	v_pk_add_f32 v[50:51], v[50:51], v[86:87]
	v_min_f32_e32 v86, v88, v102
	v_min_f32_e32 v87, v89, v103
	;; [unrolled: 3-line block ×8, first 2 shown]
	v_pk_add_f32 v[36:37], v[36:37], v[86:87]
	s_waitcnt lgkmcnt(0)
	v_max_f32_e32 v86, v0, v0
	v_max_f32_e32 v87, v1, v1
	v_min_f32_e32 v0, v106, v86
	v_min_f32_e32 v1, v107, v87
	v_pk_add_f32 v[34:35], v[34:35], v[0:1]
	v_min_f32_e32 v0, v88, v86
	v_min_f32_e32 v1, v89, v87
	v_pk_add_f32 v[32:33], v[32:33], v[0:1]
	;; [unrolled: 3-line block ×7, first 2 shown]
	v_min_f32_e32 v0, v100, v86
	v_min_f32_e32 v1, v101, v87
	v_max_f32_e32 v2, v2, v2
	v_max_f32_e32 v3, v3, v3
	v_pk_add_f32 v[20:21], v[20:21], v[0:1]
	v_min_f32_e32 v0, v106, v2
	v_min_f32_e32 v1, v107, v3
	v_pk_add_f32 v[18:19], v[18:19], v[0:1]
	v_min_f32_e32 v0, v88, v2
	v_min_f32_e32 v1, v89, v3
	;; [unrolled: 3-line block ×8, first 2 shown]
	v_pk_add_f32 v[4:5], v[4:5], v[0:1]
	s_mov_b64 s[18:19], 0
	s_mov_b32 s37, 2
	s_cbranch_vccz .LBB44_31
; %bb.32:                               ;   in Loop: Header=BB44_24 Depth=1
	v_add3_u32 v0, v74, s27, 4
	v_cmp_gt_i32_e32 vcc, s22, v0
	s_and_b64 s[18:19], s[2:3], vcc
	ds_write_b32 v77, v84
	ds_write2st64_b32 v75, v83, v85 offset1:4
	s_and_b64 s[38:39], s[12:13], s[18:19]
	v_mov_b32_e32 v83, 0
	v_mov_b32_e32 v84, 0
	s_waitcnt lgkmcnt(0)
	s_barrier
	s_and_saveexec_b64 s[18:19], s[38:39]
	s_cbranch_execz .LBB44_34
; %bb.33:                               ;   in Loop: Header=BB44_24 Depth=1
	v_mad_u64_u32 v[2:3], s[38:39], v0, s31, 0
	v_mov_b32_e32 v84, v3
	v_mad_u64_u32 v[84:85], s[38:39], v0, s33, v[84:85]
	v_mov_b32_e32 v3, v84
	v_lshl_add_u64 v[2:3], v[2:3], 2, v[70:71]
	flat_load_dword v1, v[2:3]
	s_waitcnt vmcnt(0) lgkmcnt(0)
	v_mul_f32_e32 v84, s23, v1
.LBB44_34:                              ;   in Loop: Header=BB44_24 Depth=1
	s_or_b64 exec, exec, s[18:19]
	v_cmp_le_i32_e32 vcc, s22, v0
	v_min_i32_e32 v0, s35, v0
	v_mad_i64_i32 v[0:1], s[18:19], v0, s34, 0
	v_lshl_add_u64 v[0:1], v[0:1], 2, s[14:15]
	s_or_b64 s[18:19], s[4:5], vcc
	s_nor_b64 s[38:39], s[18:19], s[16:17]
	v_lshl_add_u64 v[0:1], v[68:69], 2, v[0:1]
	s_and_saveexec_b64 s[18:19], s[38:39]
	s_cbranch_execz .LBB44_36
; %bb.35:                               ;   in Loop: Header=BB44_24 Depth=1
	flat_load_dword v2, v[0:1]
	s_waitcnt vmcnt(0) lgkmcnt(0)
	v_mul_f32_e32 v83, s23, v2
.LBB44_36:                              ;   in Loop: Header=BB44_24 Depth=1
	s_or_b64 exec, exec, s[18:19]
	s_or_b64 s[18:19], s[6:7], vcc
	s_nor_b64 s[38:39], s[18:19], s[16:17]
	v_mov_b32_e32 v85, 0
	s_and_saveexec_b64 s[18:19], s[38:39]
	s_cbranch_execz .LBB44_38
; %bb.37:                               ;   in Loop: Header=BB44_24 Depth=1
	flat_load_dword v0, v[0:1] offset:256
	s_waitcnt vmcnt(0) lgkmcnt(0)
	v_mul_f32_e32 v85, s23, v0
.LBB44_38:                              ;   in Loop: Header=BB44_24 Depth=1
	s_or_b64 exec, exec, s[18:19]
	s_mov_b32 s37, 0
	s_mov_b64 s[18:19], -1
.LBB44_39:                              ;   Parent Loop BB44_24 Depth=1
                                        ; =>  This Inner Loop Header: Depth=2
	v_cndmask_b32_e64 v0, 0, 1, s[18:19]
	s_lshl_b32 s18, s37, 2
	v_cmp_ne_u32_e32 vcc, 1, v0
	v_add_u32_e32 v0, s18, v76
	ds_read2_b64 v[86:89], v0 offset1:16
	ds_read2_b64 v[90:93], v0 offset0:32 offset1:48
	ds_read2_b64 v[94:97], v0 offset0:64 offset1:80
	;; [unrolled: 1-line block ×3, first 2 shown]
	v_add_u32_e32 v0, s18, v78
	ds_read2st64_b64 v[102:105], v0 offset1:1
	ds_read2st64_b64 v[0:3], v0 offset0:2 offset1:3
	s_waitcnt lgkmcnt(5)
	v_max_f32_e32 v106, v86, v86
	v_max_f32_e32 v107, v87, v87
	;; [unrolled: 1-line block ×3, first 2 shown]
	s_waitcnt lgkmcnt(1)
	v_max_f32_e32 v102, v102, v102
	v_max_f32_e32 v103, v103, v103
	v_min_f32_e32 v86, v106, v102
	v_min_f32_e32 v87, v107, v103
	v_max_f32_e32 v89, v89, v89
	v_pk_add_f32 v[66:67], v[66:67], v[86:87]
	v_min_f32_e32 v86, v88, v102
	v_min_f32_e32 v87, v89, v103
	v_max_f32_e32 v90, v90, v90
	v_max_f32_e32 v91, v91, v91
	v_pk_add_f32 v[64:65], v[64:65], v[86:87]
	v_min_f32_e32 v86, v90, v102
	v_min_f32_e32 v87, v91, v103
	v_max_f32_e32 v92, v92, v92
	;; [unrolled: 5-line block ×7, first 2 shown]
	v_max_f32_e32 v103, v105, v105
	v_pk_add_f32 v[52:53], v[52:53], v[86:87]
	v_min_f32_e32 v86, v106, v102
	v_min_f32_e32 v87, v107, v103
	v_pk_add_f32 v[50:51], v[50:51], v[86:87]
	v_min_f32_e32 v86, v88, v102
	v_min_f32_e32 v87, v89, v103
	;; [unrolled: 3-line block ×8, first 2 shown]
	v_pk_add_f32 v[36:37], v[36:37], v[86:87]
	s_waitcnt lgkmcnt(0)
	v_max_f32_e32 v86, v0, v0
	v_max_f32_e32 v87, v1, v1
	v_min_f32_e32 v0, v106, v86
	v_min_f32_e32 v1, v107, v87
	v_pk_add_f32 v[34:35], v[34:35], v[0:1]
	v_min_f32_e32 v0, v88, v86
	v_min_f32_e32 v1, v89, v87
	v_pk_add_f32 v[32:33], v[32:33], v[0:1]
	;; [unrolled: 3-line block ×7, first 2 shown]
	v_min_f32_e32 v0, v100, v86
	v_min_f32_e32 v1, v101, v87
	v_max_f32_e32 v2, v2, v2
	v_max_f32_e32 v3, v3, v3
	v_pk_add_f32 v[20:21], v[20:21], v[0:1]
	v_min_f32_e32 v0, v106, v2
	v_min_f32_e32 v1, v107, v3
	v_pk_add_f32 v[18:19], v[18:19], v[0:1]
	v_min_f32_e32 v0, v88, v2
	v_min_f32_e32 v1, v89, v3
	v_pk_add_f32 v[16:17], v[16:17], v[0:1]
	v_min_f32_e32 v0, v90, v2
	v_min_f32_e32 v1, v91, v3
	v_pk_add_f32 v[14:15], v[14:15], v[0:1]
	v_min_f32_e32 v0, v92, v2
	v_min_f32_e32 v1, v93, v3
	v_pk_add_f32 v[12:13], v[12:13], v[0:1]
	v_min_f32_e32 v0, v94, v2
	v_min_f32_e32 v1, v95, v3
	v_pk_add_f32 v[10:11], v[10:11], v[0:1]
	v_min_f32_e32 v0, v96, v2
	v_min_f32_e32 v1, v97, v3
	v_pk_add_f32 v[8:9], v[8:9], v[0:1]
	v_min_f32_e32 v0, v98, v2
	v_min_f32_e32 v1, v99, v3
	v_pk_add_f32 v[6:7], v[6:7], v[0:1]
	v_min_f32_e32 v0, v100, v2
	v_min_f32_e32 v1, v101, v3
	v_pk_add_f32 v[4:5], v[4:5], v[0:1]
	s_mov_b64 s[18:19], 0
	s_mov_b32 s37, 2
	s_cbranch_vccz .LBB44_39
; %bb.40:                               ;   in Loop: Header=BB44_24 Depth=1
	s_add_i32 s27, s27, 8
	s_add_i32 s36, s36, 8
	s_cmp_ge_i32 s36, s26
	ds_write_b32 v79, v84
	ds_write2st64_b32 v80, v83, v85 offset1:4
	s_waitcnt lgkmcnt(0)
	s_barrier
	s_cbranch_scc0 .LBB44_24
.LBB44_41:
	v_mov_b32_e32 v0, 0x1400
	v_lshl_add_u32 v68, v72, 4, v0
	v_mov_b32_e32 v0, 0x800
	v_lshl_add_u32 v69, v73, 4, v0
	s_mov_b32 s4, 0
	s_mov_b64 s[2:3], -1
.LBB44_42:                              ; =>This Inner Loop Header: Depth=1
	v_cndmask_b32_e64 v0, 0, 1, s[2:3]
	s_lshl_b32 s2, s4, 2
	v_cmp_ne_u32_e32 vcc, 1, v0
	v_add_u32_e32 v0, s2, v68
	ds_read2_b64 v[74:77], v0 offset1:16
	ds_read2_b64 v[78:81], v0 offset0:32 offset1:48
	ds_read2_b64 v[82:85], v0 offset0:64 offset1:80
	;; [unrolled: 1-line block ×3, first 2 shown]
	v_add_u32_e32 v0, s2, v69
	ds_read2st64_b64 v[90:93], v0 offset1:1
	ds_read2st64_b64 v[0:3], v0 offset0:2 offset1:3
	s_waitcnt lgkmcnt(5)
	v_max_f32_e32 v74, v74, v74
	v_max_f32_e32 v75, v75, v75
	;; [unrolled: 1-line block ×3, first 2 shown]
	s_waitcnt lgkmcnt(1)
	v_max_f32_e32 v90, v90, v90
	v_max_f32_e32 v91, v91, v91
	v_min_f32_e32 v70, v74, v90
	v_min_f32_e32 v71, v75, v91
	v_max_f32_e32 v77, v77, v77
	v_pk_add_f32 v[66:67], v[66:67], v[70:71]
	v_min_f32_e32 v70, v76, v90
	v_min_f32_e32 v71, v77, v91
	v_max_f32_e32 v78, v78, v78
	v_max_f32_e32 v79, v79, v79
	v_pk_add_f32 v[64:65], v[64:65], v[70:71]
	v_min_f32_e32 v70, v78, v90
	v_min_f32_e32 v71, v79, v91
	v_max_f32_e32 v80, v80, v80
	;; [unrolled: 5-line block ×7, first 2 shown]
	v_max_f32_e32 v91, v93, v93
	v_pk_add_f32 v[52:53], v[52:53], v[70:71]
	v_min_f32_e32 v70, v74, v90
	v_min_f32_e32 v71, v75, v91
	v_pk_add_f32 v[50:51], v[50:51], v[70:71]
	v_min_f32_e32 v70, v76, v90
	v_min_f32_e32 v71, v77, v91
	;; [unrolled: 3-line block ×8, first 2 shown]
	v_pk_add_f32 v[36:37], v[36:37], v[70:71]
	s_waitcnt lgkmcnt(0)
	v_max_f32_e32 v70, v0, v0
	v_max_f32_e32 v71, v1, v1
	v_min_f32_e32 v0, v74, v70
	v_min_f32_e32 v1, v75, v71
	v_pk_add_f32 v[34:35], v[34:35], v[0:1]
	v_min_f32_e32 v0, v76, v70
	v_min_f32_e32 v1, v77, v71
	v_pk_add_f32 v[32:33], v[32:33], v[0:1]
	;; [unrolled: 3-line block ×7, first 2 shown]
	v_min_f32_e32 v0, v88, v70
	v_min_f32_e32 v1, v89, v71
	v_max_f32_e32 v2, v2, v2
	v_max_f32_e32 v3, v3, v3
	v_pk_add_f32 v[20:21], v[20:21], v[0:1]
	v_min_f32_e32 v0, v74, v2
	v_min_f32_e32 v1, v75, v3
	v_pk_add_f32 v[18:19], v[18:19], v[0:1]
	v_min_f32_e32 v0, v76, v2
	v_min_f32_e32 v1, v77, v3
	;; [unrolled: 3-line block ×8, first 2 shown]
	v_pk_add_f32 v[4:5], v[4:5], v[0:1]
	s_mov_b64 s[2:3], 0
	s_mov_b32 s4, 2
	s_cbranch_vccz .LBB44_42
; %bb.43:
	s_load_dwordx2 s[2:3], s[0:1], 0x70
	s_load_dword s33, s[0:1], 0x50
	s_load_dword s31, s[0:1], 0x68
	v_add_u32_e32 v0, s29, v72
	v_add_u32_e32 v72, s30, v73
	s_waitcnt lgkmcnt(0)
	s_lshl_b64 s[0:1], s[2:3], 2
	s_add_u32 s22, s10, s0
	s_addc_u32 s23, s11, s1
	v_mad_i64_i32 v[2:3], s[0:1], v72, s33, 0
	v_lshl_add_u64 v[70:71], v[2:3], 2, s[24:25]
	v_mad_i64_i32 v[2:3], s[0:1], v72, s31, 0
	v_cmp_gt_i32_e64 s[18:19], s21, v72
	v_lshl_add_u64 v[68:69], v[2:3], 2, s[22:23]
	v_cmp_gt_i32_e64 s[2:3], s20, v0
	v_cndmask_b32_e64 v2, 0, 1, s[8:9]
	s_and_b64 s[6:7], s[2:3], s[18:19]
	v_ashrrev_i32_e32 v1, 31, v0
	v_cmp_ne_u32_e64 s[0:1], 1, v2
	s_and_saveexec_b64 s[4:5], s[6:7]
	s_cbranch_execz .LBB44_48
; %bb.44:
	s_and_b64 vcc, exec, s[0:1]
	s_cbranch_vccnz .LBB44_46
; %bb.45:
	v_lshl_add_u64 v[2:3], v[0:1], 2, v[70:71]
	flat_load_dword v2, v[2:3]
	s_waitcnt vmcnt(0) lgkmcnt(0)
	v_mul_f32_e32 v2, s28, v2
	s_branch .LBB44_47
.LBB44_46:
	v_mov_b32_e32 v2, 0
.LBB44_47:
	v_add_f32_e32 v3, v66, v67
	v_add_f32_e32 v66, v3, v2
	v_lshl_add_u64 v[2:3], v[0:1], 2, v[68:69]
	flat_store_dword v[2:3], v66
.LBB44_48:
	s_or_b64 exec, exec, s[4:5]
	v_add_u32_e32 v2, 8, v0
	v_cmp_gt_i32_e64 s[4:5], s20, v2
	s_and_b64 s[8:9], s[4:5], s[18:19]
	v_ashrrev_i32_e32 v3, 31, v2
	s_and_saveexec_b64 s[6:7], s[8:9]
	s_cbranch_execz .LBB44_53
; %bb.49:
	s_and_b64 vcc, exec, s[0:1]
	s_cbranch_vccnz .LBB44_51
; %bb.50:
	v_lshl_add_u64 v[66:67], v[2:3], 2, v[70:71]
	flat_load_dword v66, v[66:67]
	s_waitcnt vmcnt(0) lgkmcnt(0)
	v_mul_f32_e32 v66, s28, v66
	s_branch .LBB44_52
.LBB44_51:
	v_mov_b32_e32 v66, 0
.LBB44_52:
	v_add_f32_e32 v64, v64, v65
	v_add_f32_e32 v66, v64, v66
	v_lshl_add_u64 v[64:65], v[2:3], 2, v[68:69]
	flat_store_dword v[64:65], v66
.LBB44_53:
	s_or_b64 exec, exec, s[6:7]
	v_add_u32_e32 v64, 16, v0
	v_cmp_gt_i32_e64 s[6:7], s20, v64
	s_and_b64 s[10:11], s[6:7], s[18:19]
	v_ashrrev_i32_e32 v65, 31, v64
	s_and_saveexec_b64 s[8:9], s[10:11]
	s_cbranch_execz .LBB44_58
; %bb.54:
	s_and_b64 vcc, exec, s[0:1]
	s_cbranch_vccnz .LBB44_56
; %bb.55:
	v_lshl_add_u64 v[66:67], v[64:65], 2, v[70:71]
	flat_load_dword v66, v[66:67]
	s_waitcnt vmcnt(0) lgkmcnt(0)
	v_mul_f32_e32 v66, s28, v66
	s_branch .LBB44_57
.LBB44_56:
	v_mov_b32_e32 v66, 0
.LBB44_57:
	v_add_f32_e32 v62, v62, v63
	v_add_f32_e32 v66, v62, v66
	v_lshl_add_u64 v[62:63], v[64:65], 2, v[68:69]
	flat_store_dword v[62:63], v66
.LBB44_58:
	s_or_b64 exec, exec, s[8:9]
	v_add_u32_e32 v62, 24, v0
	v_cmp_gt_i32_e64 s[8:9], s20, v62
	s_and_b64 s[12:13], s[8:9], s[18:19]
	v_ashrrev_i32_e32 v63, 31, v62
	s_and_saveexec_b64 s[10:11], s[12:13]
	s_cbranch_execz .LBB44_63
; %bb.59:
	s_and_b64 vcc, exec, s[0:1]
	s_cbranch_vccnz .LBB44_61
; %bb.60:
	v_lshl_add_u64 v[66:67], v[62:63], 2, v[70:71]
	flat_load_dword v66, v[66:67]
	s_waitcnt vmcnt(0) lgkmcnt(0)
	v_mul_f32_e32 v66, s28, v66
	s_branch .LBB44_62
.LBB44_61:
	v_mov_b32_e32 v66, 0
.LBB44_62:
	v_add_f32_e32 v60, v60, v61
	v_add_f32_e32 v66, v60, v66
	v_lshl_add_u64 v[60:61], v[62:63], 2, v[68:69]
	flat_store_dword v[60:61], v66
.LBB44_63:
	s_or_b64 exec, exec, s[10:11]
	v_add_u32_e32 v60, 32, v0
	v_cmp_gt_i32_e64 s[10:11], s20, v60
	s_and_b64 s[14:15], s[10:11], s[18:19]
	v_ashrrev_i32_e32 v61, 31, v60
	s_and_saveexec_b64 s[12:13], s[14:15]
	s_cbranch_execz .LBB44_68
; %bb.64:
	s_and_b64 vcc, exec, s[0:1]
	s_cbranch_vccnz .LBB44_66
; %bb.65:
	v_lshl_add_u64 v[66:67], v[60:61], 2, v[70:71]
	flat_load_dword v66, v[66:67]
	s_waitcnt vmcnt(0) lgkmcnt(0)
	v_mul_f32_e32 v66, s28, v66
	s_branch .LBB44_67
.LBB44_66:
	v_mov_b32_e32 v66, 0
.LBB44_67:
	v_add_f32_e32 v58, v58, v59
	v_add_f32_e32 v66, v58, v66
	v_lshl_add_u64 v[58:59], v[60:61], 2, v[68:69]
	flat_store_dword v[58:59], v66
.LBB44_68:
	s_or_b64 exec, exec, s[12:13]
	v_add_u32_e32 v58, 40, v0
	v_cmp_gt_i32_e64 s[12:13], s20, v58
	s_and_b64 s[16:17], s[12:13], s[18:19]
	v_ashrrev_i32_e32 v59, 31, v58
	s_and_saveexec_b64 s[14:15], s[16:17]
	s_cbranch_execz .LBB44_73
; %bb.69:
	s_and_b64 vcc, exec, s[0:1]
	s_cbranch_vccnz .LBB44_71
; %bb.70:
	v_lshl_add_u64 v[66:67], v[58:59], 2, v[70:71]
	flat_load_dword v66, v[66:67]
	s_waitcnt vmcnt(0) lgkmcnt(0)
	v_mul_f32_e32 v66, s28, v66
	s_branch .LBB44_72
.LBB44_71:
	v_mov_b32_e32 v66, 0
.LBB44_72:
	v_add_f32_e32 v56, v56, v57
	v_add_f32_e32 v66, v56, v66
	v_lshl_add_u64 v[56:57], v[58:59], 2, v[68:69]
	flat_store_dword v[56:57], v66
.LBB44_73:
	s_or_b64 exec, exec, s[14:15]
	v_add_u32_e32 v56, 48, v0
	v_cmp_gt_i32_e64 s[14:15], s20, v56
	s_and_b64 s[26:27], s[14:15], s[18:19]
	v_ashrrev_i32_e32 v57, 31, v56
	s_and_saveexec_b64 s[16:17], s[26:27]
	s_cbranch_execz .LBB44_78
; %bb.74:
	s_and_b64 vcc, exec, s[0:1]
	s_cbranch_vccnz .LBB44_76
; %bb.75:
	v_lshl_add_u64 v[66:67], v[56:57], 2, v[70:71]
	flat_load_dword v66, v[66:67]
	s_waitcnt vmcnt(0) lgkmcnt(0)
	v_mul_f32_e32 v66, s28, v66
	s_branch .LBB44_77
.LBB44_76:
	v_mov_b32_e32 v66, 0
.LBB44_77:
	v_add_f32_e32 v54, v54, v55
	v_add_f32_e32 v66, v54, v66
	v_lshl_add_u64 v[54:55], v[56:57], 2, v[68:69]
	flat_store_dword v[54:55], v66
.LBB44_78:
	s_or_b64 exec, exec, s[16:17]
	v_add_u32_e32 v54, 56, v0
	v_cmp_gt_i32_e64 s[16:17], s20, v54
	s_and_b64 s[26:27], s[16:17], s[18:19]
	v_ashrrev_i32_e32 v55, 31, v54
	s_and_saveexec_b64 s[18:19], s[26:27]
	s_cbranch_execz .LBB44_83
; %bb.79:
	s_and_b64 vcc, exec, s[0:1]
	s_cbranch_vccnz .LBB44_81
; %bb.80:
	v_lshl_add_u64 v[66:67], v[54:55], 2, v[70:71]
	flat_load_dword v66, v[66:67]
	s_waitcnt vmcnt(0) lgkmcnt(0)
	v_mul_f32_e32 v66, s28, v66
	s_branch .LBB44_82
.LBB44_81:
	v_mov_b32_e32 v66, 0
.LBB44_82:
	v_add_f32_e32 v52, v52, v53
	v_add_f32_e32 v66, v52, v66
	v_lshl_add_u64 v[52:53], v[54:55], 2, v[68:69]
	flat_store_dword v[52:53], v66
.LBB44_83:
	s_or_b64 exec, exec, s[18:19]
	v_add_u32_e32 v68, 32, v72
	v_mad_i64_i32 v[52:53], s[26:27], v68, s33, 0
	v_cmp_gt_i32_e64 s[18:19], s21, v68
	v_lshl_add_u64 v[66:67], v[52:53], 2, s[24:25]
	v_mad_i64_i32 v[52:53], s[26:27], v68, s31, 0
	v_lshl_add_u64 v[52:53], v[52:53], 2, s[22:23]
	s_and_b64 s[34:35], s[2:3], s[18:19]
	s_and_saveexec_b64 s[26:27], s[34:35]
	s_cbranch_execnz .LBB44_91
; %bb.84:
	s_or_b64 exec, exec, s[26:27]
	s_and_b64 s[34:35], s[4:5], s[18:19]
	s_and_saveexec_b64 s[26:27], s[34:35]
	s_cbranch_execnz .LBB44_95
.LBB44_85:
	s_or_b64 exec, exec, s[26:27]
	s_and_b64 s[34:35], s[6:7], s[18:19]
	s_and_saveexec_b64 s[26:27], s[34:35]
	s_cbranch_execnz .LBB44_99
.LBB44_86:
	s_or_b64 exec, exec, s[26:27]
	s_and_b64 s[34:35], s[8:9], s[18:19]
	s_and_saveexec_b64 s[26:27], s[34:35]
	s_cbranch_execnz .LBB44_103
.LBB44_87:
	s_or_b64 exec, exec, s[26:27]
	s_and_b64 s[34:35], s[10:11], s[18:19]
	s_and_saveexec_b64 s[26:27], s[34:35]
	s_cbranch_execnz .LBB44_107
.LBB44_88:
	s_or_b64 exec, exec, s[26:27]
	s_and_b64 s[34:35], s[12:13], s[18:19]
	s_and_saveexec_b64 s[26:27], s[34:35]
	s_cbranch_execnz .LBB44_111
.LBB44_89:
	s_or_b64 exec, exec, s[26:27]
	s_and_b64 s[34:35], s[14:15], s[18:19]
	s_and_saveexec_b64 s[26:27], s[34:35]
	s_cbranch_execnz .LBB44_115
.LBB44_90:
	s_or_b64 exec, exec, s[26:27]
	s_and_b64 s[26:27], s[16:17], s[18:19]
	s_and_saveexec_b64 s[18:19], s[26:27]
	s_cbranch_execnz .LBB44_119
	s_branch .LBB44_123
.LBB44_91:
	s_and_b64 vcc, exec, s[0:1]
	s_cbranch_vccnz .LBB44_93
; %bb.92:
	v_lshl_add_u64 v[68:69], v[0:1], 2, v[66:67]
	flat_load_dword v68, v[68:69]
	s_waitcnt vmcnt(0) lgkmcnt(0)
	v_mul_f32_e32 v68, s28, v68
	s_branch .LBB44_94
.LBB44_93:
	v_mov_b32_e32 v68, 0
.LBB44_94:
	v_add_f32_e32 v50, v50, v51
	v_add_f32_e32 v68, v50, v68
	v_lshl_add_u64 v[50:51], v[0:1], 2, v[52:53]
	flat_store_dword v[50:51], v68
	s_or_b64 exec, exec, s[26:27]
	s_and_b64 s[34:35], s[4:5], s[18:19]
	s_and_saveexec_b64 s[26:27], s[34:35]
	s_cbranch_execz .LBB44_85
.LBB44_95:
	s_and_b64 vcc, exec, s[0:1]
	s_cbranch_vccnz .LBB44_97
; %bb.96:
	v_lshl_add_u64 v[50:51], v[2:3], 2, v[66:67]
	flat_load_dword v50, v[50:51]
	s_waitcnt vmcnt(0) lgkmcnt(0)
	v_mul_f32_e32 v50, s28, v50
	s_branch .LBB44_98
.LBB44_97:
	v_mov_b32_e32 v50, 0
.LBB44_98:
	v_add_f32_e32 v48, v48, v49
	v_add_f32_e32 v50, v48, v50
	v_lshl_add_u64 v[48:49], v[2:3], 2, v[52:53]
	flat_store_dword v[48:49], v50
	s_or_b64 exec, exec, s[26:27]
	s_and_b64 s[34:35], s[6:7], s[18:19]
	s_and_saveexec_b64 s[26:27], s[34:35]
	s_cbranch_execz .LBB44_86
.LBB44_99:
	s_and_b64 vcc, exec, s[0:1]
	s_cbranch_vccnz .LBB44_101
; %bb.100:
	v_lshl_add_u64 v[48:49], v[64:65], 2, v[66:67]
	flat_load_dword v48, v[48:49]
	s_waitcnt vmcnt(0) lgkmcnt(0)
	v_mul_f32_e32 v48, s28, v48
	s_branch .LBB44_102
.LBB44_101:
	v_mov_b32_e32 v48, 0
.LBB44_102:
	v_add_f32_e32 v46, v46, v47
	v_add_f32_e32 v48, v46, v48
	v_lshl_add_u64 v[46:47], v[64:65], 2, v[52:53]
	flat_store_dword v[46:47], v48
	s_or_b64 exec, exec, s[26:27]
	s_and_b64 s[34:35], s[8:9], s[18:19]
	s_and_saveexec_b64 s[26:27], s[34:35]
	s_cbranch_execz .LBB44_87
.LBB44_103:
	s_and_b64 vcc, exec, s[0:1]
	s_cbranch_vccnz .LBB44_105
; %bb.104:
	v_lshl_add_u64 v[46:47], v[62:63], 2, v[66:67]
	flat_load_dword v46, v[46:47]
	s_waitcnt vmcnt(0) lgkmcnt(0)
	v_mul_f32_e32 v46, s28, v46
	s_branch .LBB44_106
.LBB44_105:
	v_mov_b32_e32 v46, 0
.LBB44_106:
	v_add_f32_e32 v44, v44, v45
	v_add_f32_e32 v46, v44, v46
	v_lshl_add_u64 v[44:45], v[62:63], 2, v[52:53]
	flat_store_dword v[44:45], v46
	s_or_b64 exec, exec, s[26:27]
	s_and_b64 s[34:35], s[10:11], s[18:19]
	s_and_saveexec_b64 s[26:27], s[34:35]
	s_cbranch_execz .LBB44_88
.LBB44_107:
	s_and_b64 vcc, exec, s[0:1]
	s_cbranch_vccnz .LBB44_109
; %bb.108:
	v_lshl_add_u64 v[44:45], v[60:61], 2, v[66:67]
	flat_load_dword v44, v[44:45]
	s_waitcnt vmcnt(0) lgkmcnt(0)
	v_mul_f32_e32 v44, s28, v44
	s_branch .LBB44_110
.LBB44_109:
	v_mov_b32_e32 v44, 0
.LBB44_110:
	v_add_f32_e32 v42, v42, v43
	v_add_f32_e32 v44, v42, v44
	v_lshl_add_u64 v[42:43], v[60:61], 2, v[52:53]
	flat_store_dword v[42:43], v44
	s_or_b64 exec, exec, s[26:27]
	s_and_b64 s[34:35], s[12:13], s[18:19]
	s_and_saveexec_b64 s[26:27], s[34:35]
	s_cbranch_execz .LBB44_89
.LBB44_111:
	s_and_b64 vcc, exec, s[0:1]
	s_cbranch_vccnz .LBB44_113
; %bb.112:
	v_lshl_add_u64 v[42:43], v[58:59], 2, v[66:67]
	flat_load_dword v42, v[42:43]
	s_waitcnt vmcnt(0) lgkmcnt(0)
	v_mul_f32_e32 v42, s28, v42
	s_branch .LBB44_114
.LBB44_113:
	v_mov_b32_e32 v42, 0
.LBB44_114:
	v_add_f32_e32 v40, v40, v41
	v_add_f32_e32 v42, v40, v42
	v_lshl_add_u64 v[40:41], v[58:59], 2, v[52:53]
	flat_store_dword v[40:41], v42
	s_or_b64 exec, exec, s[26:27]
	s_and_b64 s[34:35], s[14:15], s[18:19]
	s_and_saveexec_b64 s[26:27], s[34:35]
	s_cbranch_execz .LBB44_90
.LBB44_115:
	s_and_b64 vcc, exec, s[0:1]
	s_cbranch_vccnz .LBB44_117
; %bb.116:
	v_lshl_add_u64 v[40:41], v[56:57], 2, v[66:67]
	flat_load_dword v40, v[40:41]
	s_waitcnt vmcnt(0) lgkmcnt(0)
	v_mul_f32_e32 v40, s28, v40
	s_branch .LBB44_118
.LBB44_117:
	v_mov_b32_e32 v40, 0
.LBB44_118:
	v_add_f32_e32 v38, v38, v39
	v_add_f32_e32 v40, v38, v40
	v_lshl_add_u64 v[38:39], v[56:57], 2, v[52:53]
	flat_store_dword v[38:39], v40
	s_or_b64 exec, exec, s[26:27]
	s_and_b64 s[26:27], s[16:17], s[18:19]
	s_and_saveexec_b64 s[18:19], s[26:27]
	s_cbranch_execz .LBB44_123
.LBB44_119:
	s_and_b64 vcc, exec, s[0:1]
	s_cbranch_vccnz .LBB44_121
; %bb.120:
	v_lshl_add_u64 v[38:39], v[54:55], 2, v[66:67]
	flat_load_dword v38, v[38:39]
	s_waitcnt vmcnt(0) lgkmcnt(0)
	v_mul_f32_e32 v38, s28, v38
	s_branch .LBB44_122
.LBB44_121:
	v_mov_b32_e32 v38, 0
.LBB44_122:
	v_add_f32_e32 v36, v36, v37
	v_add_f32_e32 v38, v36, v38
	v_lshl_add_u64 v[36:37], v[54:55], 2, v[52:53]
	flat_store_dword v[36:37], v38
.LBB44_123:
	s_or_b64 exec, exec, s[18:19]
	v_add_u32_e32 v40, 64, v72
	v_mad_i64_i32 v[36:37], s[26:27], v40, s33, 0
	v_cmp_gt_i32_e64 s[18:19], s21, v40
	v_lshl_add_u64 v[38:39], v[36:37], 2, s[24:25]
	v_mad_i64_i32 v[36:37], s[26:27], v40, s31, 0
	v_lshl_add_u64 v[36:37], v[36:37], 2, s[22:23]
	s_and_b64 s[34:35], s[2:3], s[18:19]
	s_and_saveexec_b64 s[26:27], s[34:35]
	s_cbranch_execnz .LBB44_131
; %bb.124:
	s_or_b64 exec, exec, s[26:27]
	s_and_b64 s[34:35], s[4:5], s[18:19]
	s_and_saveexec_b64 s[26:27], s[34:35]
	s_cbranch_execnz .LBB44_135
.LBB44_125:
	s_or_b64 exec, exec, s[26:27]
	s_and_b64 s[34:35], s[6:7], s[18:19]
	s_and_saveexec_b64 s[26:27], s[34:35]
	s_cbranch_execnz .LBB44_139
.LBB44_126:
	s_or_b64 exec, exec, s[26:27]
	s_and_b64 s[34:35], s[8:9], s[18:19]
	s_and_saveexec_b64 s[26:27], s[34:35]
	s_cbranch_execnz .LBB44_143
.LBB44_127:
	s_or_b64 exec, exec, s[26:27]
	s_and_b64 s[34:35], s[10:11], s[18:19]
	s_and_saveexec_b64 s[26:27], s[34:35]
	s_cbranch_execnz .LBB44_147
.LBB44_128:
	s_or_b64 exec, exec, s[26:27]
	s_and_b64 s[34:35], s[12:13], s[18:19]
	s_and_saveexec_b64 s[26:27], s[34:35]
	s_cbranch_execnz .LBB44_151
.LBB44_129:
	s_or_b64 exec, exec, s[26:27]
	s_and_b64 s[34:35], s[14:15], s[18:19]
	s_and_saveexec_b64 s[26:27], s[34:35]
	s_cbranch_execnz .LBB44_155
.LBB44_130:
	s_or_b64 exec, exec, s[26:27]
	s_and_b64 s[26:27], s[16:17], s[18:19]
	s_and_saveexec_b64 s[18:19], s[26:27]
	s_cbranch_execnz .LBB44_159
	s_branch .LBB44_163
.LBB44_131:
	s_and_b64 vcc, exec, s[0:1]
	s_cbranch_vccnz .LBB44_133
; %bb.132:
	v_lshl_add_u64 v[40:41], v[0:1], 2, v[38:39]
	flat_load_dword v40, v[40:41]
	s_waitcnt vmcnt(0) lgkmcnt(0)
	v_mul_f32_e32 v40, s28, v40
	s_branch .LBB44_134
.LBB44_133:
	v_mov_b32_e32 v40, 0
.LBB44_134:
	v_add_f32_e32 v34, v34, v35
	v_add_f32_e32 v40, v34, v40
	v_lshl_add_u64 v[34:35], v[0:1], 2, v[36:37]
	flat_store_dword v[34:35], v40
	s_or_b64 exec, exec, s[26:27]
	s_and_b64 s[34:35], s[4:5], s[18:19]
	s_and_saveexec_b64 s[26:27], s[34:35]
	s_cbranch_execz .LBB44_125
.LBB44_135:
	s_and_b64 vcc, exec, s[0:1]
	s_cbranch_vccnz .LBB44_137
; %bb.136:
	v_lshl_add_u64 v[34:35], v[2:3], 2, v[38:39]
	flat_load_dword v34, v[34:35]
	s_waitcnt vmcnt(0) lgkmcnt(0)
	v_mul_f32_e32 v34, s28, v34
	s_branch .LBB44_138
.LBB44_137:
	v_mov_b32_e32 v34, 0
.LBB44_138:
	v_add_f32_e32 v32, v32, v33
	v_add_f32_e32 v34, v32, v34
	v_lshl_add_u64 v[32:33], v[2:3], 2, v[36:37]
	flat_store_dword v[32:33], v34
	s_or_b64 exec, exec, s[26:27]
	s_and_b64 s[34:35], s[6:7], s[18:19]
	s_and_saveexec_b64 s[26:27], s[34:35]
	s_cbranch_execz .LBB44_126
.LBB44_139:
	s_and_b64 vcc, exec, s[0:1]
	s_cbranch_vccnz .LBB44_141
; %bb.140:
	v_lshl_add_u64 v[32:33], v[64:65], 2, v[38:39]
	flat_load_dword v32, v[32:33]
	s_waitcnt vmcnt(0) lgkmcnt(0)
	v_mul_f32_e32 v32, s28, v32
	s_branch .LBB44_142
.LBB44_141:
	v_mov_b32_e32 v32, 0
.LBB44_142:
	v_add_f32_e32 v30, v30, v31
	v_add_f32_e32 v32, v30, v32
	v_lshl_add_u64 v[30:31], v[64:65], 2, v[36:37]
	flat_store_dword v[30:31], v32
	s_or_b64 exec, exec, s[26:27]
	s_and_b64 s[34:35], s[8:9], s[18:19]
	s_and_saveexec_b64 s[26:27], s[34:35]
	s_cbranch_execz .LBB44_127
.LBB44_143:
	s_and_b64 vcc, exec, s[0:1]
	s_cbranch_vccnz .LBB44_145
; %bb.144:
	v_lshl_add_u64 v[30:31], v[62:63], 2, v[38:39]
	flat_load_dword v30, v[30:31]
	s_waitcnt vmcnt(0) lgkmcnt(0)
	v_mul_f32_e32 v30, s28, v30
	s_branch .LBB44_146
.LBB44_145:
	v_mov_b32_e32 v30, 0
.LBB44_146:
	v_add_f32_e32 v28, v28, v29
	v_add_f32_e32 v30, v28, v30
	v_lshl_add_u64 v[28:29], v[62:63], 2, v[36:37]
	flat_store_dword v[28:29], v30
	s_or_b64 exec, exec, s[26:27]
	s_and_b64 s[34:35], s[10:11], s[18:19]
	s_and_saveexec_b64 s[26:27], s[34:35]
	s_cbranch_execz .LBB44_128
.LBB44_147:
	s_and_b64 vcc, exec, s[0:1]
	s_cbranch_vccnz .LBB44_149
; %bb.148:
	v_lshl_add_u64 v[28:29], v[60:61], 2, v[38:39]
	flat_load_dword v28, v[28:29]
	s_waitcnt vmcnt(0) lgkmcnt(0)
	v_mul_f32_e32 v28, s28, v28
	s_branch .LBB44_150
.LBB44_149:
	v_mov_b32_e32 v28, 0
.LBB44_150:
	v_add_f32_e32 v26, v26, v27
	v_add_f32_e32 v28, v26, v28
	v_lshl_add_u64 v[26:27], v[60:61], 2, v[36:37]
	flat_store_dword v[26:27], v28
	s_or_b64 exec, exec, s[26:27]
	s_and_b64 s[34:35], s[12:13], s[18:19]
	s_and_saveexec_b64 s[26:27], s[34:35]
	s_cbranch_execz .LBB44_129
.LBB44_151:
	s_and_b64 vcc, exec, s[0:1]
	s_cbranch_vccnz .LBB44_153
; %bb.152:
	v_lshl_add_u64 v[26:27], v[58:59], 2, v[38:39]
	flat_load_dword v26, v[26:27]
	s_waitcnt vmcnt(0) lgkmcnt(0)
	v_mul_f32_e32 v26, s28, v26
	s_branch .LBB44_154
.LBB44_153:
	v_mov_b32_e32 v26, 0
.LBB44_154:
	v_add_f32_e32 v24, v24, v25
	v_add_f32_e32 v26, v24, v26
	v_lshl_add_u64 v[24:25], v[58:59], 2, v[36:37]
	flat_store_dword v[24:25], v26
	s_or_b64 exec, exec, s[26:27]
	s_and_b64 s[34:35], s[14:15], s[18:19]
	s_and_saveexec_b64 s[26:27], s[34:35]
	s_cbranch_execz .LBB44_130
.LBB44_155:
	s_and_b64 vcc, exec, s[0:1]
	s_cbranch_vccnz .LBB44_157
; %bb.156:
	v_lshl_add_u64 v[24:25], v[56:57], 2, v[38:39]
	flat_load_dword v24, v[24:25]
	s_waitcnt vmcnt(0) lgkmcnt(0)
	v_mul_f32_e32 v24, s28, v24
	s_branch .LBB44_158
.LBB44_157:
	v_mov_b32_e32 v24, 0
.LBB44_158:
	v_add_f32_e32 v22, v22, v23
	v_add_f32_e32 v24, v22, v24
	v_lshl_add_u64 v[22:23], v[56:57], 2, v[36:37]
	flat_store_dword v[22:23], v24
	s_or_b64 exec, exec, s[26:27]
	s_and_b64 s[26:27], s[16:17], s[18:19]
	s_and_saveexec_b64 s[18:19], s[26:27]
	s_cbranch_execz .LBB44_163
.LBB44_159:
	s_and_b64 vcc, exec, s[0:1]
	s_cbranch_vccnz .LBB44_161
; %bb.160:
	v_lshl_add_u64 v[22:23], v[54:55], 2, v[38:39]
	flat_load_dword v22, v[22:23]
	s_waitcnt vmcnt(0) lgkmcnt(0)
	v_mul_f32_e32 v22, s28, v22
	s_branch .LBB44_162
.LBB44_161:
	v_mov_b32_e32 v22, 0
.LBB44_162:
	v_add_f32_e32 v20, v20, v21
	v_add_f32_e32 v22, v20, v22
	v_lshl_add_u64 v[20:21], v[54:55], 2, v[36:37]
	flat_store_dword v[20:21], v22
.LBB44_163:
	s_or_b64 exec, exec, s[18:19]
	v_add_u32_e32 v24, 0x60, v72
	v_cmp_gt_i32_e64 s[18:19], s21, v24
	v_mad_i64_i32 v[20:21], s[20:21], v24, s33, 0
	v_lshl_add_u64 v[22:23], v[20:21], 2, s[24:25]
	v_mad_i64_i32 v[20:21], s[20:21], v24, s31, 0
	v_lshl_add_u64 v[20:21], v[20:21], 2, s[22:23]
	s_and_b64 s[20:21], s[2:3], s[18:19]
	s_and_saveexec_b64 s[2:3], s[20:21]
	s_cbranch_execnz .LBB44_172
; %bb.164:
	s_or_b64 exec, exec, s[2:3]
	s_and_b64 s[4:5], s[4:5], s[18:19]
	s_and_saveexec_b64 s[2:3], s[4:5]
	s_cbranch_execnz .LBB44_176
.LBB44_165:
	s_or_b64 exec, exec, s[2:3]
	s_and_b64 s[4:5], s[6:7], s[18:19]
	s_and_saveexec_b64 s[2:3], s[4:5]
	s_cbranch_execnz .LBB44_180
.LBB44_166:
	s_or_b64 exec, exec, s[2:3]
	s_and_b64 s[4:5], s[8:9], s[18:19]
	s_and_saveexec_b64 s[2:3], s[4:5]
	s_cbranch_execnz .LBB44_184
.LBB44_167:
	s_or_b64 exec, exec, s[2:3]
	s_and_b64 s[4:5], s[10:11], s[18:19]
	s_and_saveexec_b64 s[2:3], s[4:5]
	s_cbranch_execnz .LBB44_188
.LBB44_168:
	s_or_b64 exec, exec, s[2:3]
	s_and_b64 s[4:5], s[12:13], s[18:19]
	s_and_saveexec_b64 s[2:3], s[4:5]
	s_cbranch_execnz .LBB44_192
.LBB44_169:
	s_or_b64 exec, exec, s[2:3]
	s_and_b64 s[4:5], s[14:15], s[18:19]
	s_and_saveexec_b64 s[2:3], s[4:5]
	s_cbranch_execnz .LBB44_196
.LBB44_170:
	s_or_b64 exec, exec, s[2:3]
	s_and_b64 s[2:3], s[16:17], s[18:19]
	s_and_saveexec_b64 s[4:5], s[2:3]
	s_cbranch_execnz .LBB44_200
.LBB44_171:
	s_endpgm
.LBB44_172:
	s_and_b64 vcc, exec, s[0:1]
	s_cbranch_vccnz .LBB44_174
; %bb.173:
	v_lshl_add_u64 v[24:25], v[0:1], 2, v[22:23]
	flat_load_dword v24, v[24:25]
	s_waitcnt vmcnt(0) lgkmcnt(0)
	v_mul_f32_e32 v24, s28, v24
	s_branch .LBB44_175
.LBB44_174:
	v_mov_b32_e32 v24, 0
.LBB44_175:
	v_add_f32_e32 v18, v18, v19
	v_add_f32_e32 v18, v18, v24
	v_lshl_add_u64 v[0:1], v[0:1], 2, v[20:21]
	flat_store_dword v[0:1], v18
	s_or_b64 exec, exec, s[2:3]
	s_and_b64 s[4:5], s[4:5], s[18:19]
	s_and_saveexec_b64 s[2:3], s[4:5]
	s_cbranch_execz .LBB44_165
.LBB44_176:
	s_and_b64 vcc, exec, s[0:1]
	s_cbranch_vccnz .LBB44_178
; %bb.177:
	v_lshl_add_u64 v[0:1], v[2:3], 2, v[22:23]
	flat_load_dword v0, v[0:1]
	s_waitcnt vmcnt(0) lgkmcnt(0)
	v_mul_f32_e32 v0, s28, v0
	s_branch .LBB44_179
.LBB44_178:
	v_mov_b32_e32 v0, 0
.LBB44_179:
	v_add_f32_e32 v1, v16, v17
	v_add_f32_e32 v16, v1, v0
	v_lshl_add_u64 v[0:1], v[2:3], 2, v[20:21]
	flat_store_dword v[0:1], v16
	s_or_b64 exec, exec, s[2:3]
	s_and_b64 s[4:5], s[6:7], s[18:19]
	s_and_saveexec_b64 s[2:3], s[4:5]
	s_cbranch_execz .LBB44_166
.LBB44_180:
	s_and_b64 vcc, exec, s[0:1]
	s_cbranch_vccnz .LBB44_182
; %bb.181:
	v_lshl_add_u64 v[0:1], v[64:65], 2, v[22:23]
	flat_load_dword v0, v[0:1]
	s_waitcnt vmcnt(0) lgkmcnt(0)
	v_mul_f32_e32 v0, s28, v0
	s_branch .LBB44_183
.LBB44_182:
	v_mov_b32_e32 v0, 0
.LBB44_183:
	v_add_f32_e32 v1, v14, v15
	v_add_f32_e32 v2, v1, v0
	v_lshl_add_u64 v[0:1], v[64:65], 2, v[20:21]
	flat_store_dword v[0:1], v2
	s_or_b64 exec, exec, s[2:3]
	s_and_b64 s[4:5], s[8:9], s[18:19]
	s_and_saveexec_b64 s[2:3], s[4:5]
	s_cbranch_execz .LBB44_167
.LBB44_184:
	s_and_b64 vcc, exec, s[0:1]
	s_cbranch_vccnz .LBB44_186
; %bb.185:
	v_lshl_add_u64 v[0:1], v[62:63], 2, v[22:23]
	flat_load_dword v0, v[0:1]
	s_waitcnt vmcnt(0) lgkmcnt(0)
	v_mul_f32_e32 v0, s28, v0
	s_branch .LBB44_187
.LBB44_186:
	v_mov_b32_e32 v0, 0
.LBB44_187:
	v_add_f32_e32 v1, v12, v13
	v_add_f32_e32 v2, v1, v0
	v_lshl_add_u64 v[0:1], v[62:63], 2, v[20:21]
	flat_store_dword v[0:1], v2
	s_or_b64 exec, exec, s[2:3]
	s_and_b64 s[4:5], s[10:11], s[18:19]
	s_and_saveexec_b64 s[2:3], s[4:5]
	s_cbranch_execz .LBB44_168
.LBB44_188:
	s_and_b64 vcc, exec, s[0:1]
	s_cbranch_vccnz .LBB44_190
; %bb.189:
	v_lshl_add_u64 v[0:1], v[60:61], 2, v[22:23]
	flat_load_dword v0, v[0:1]
	s_waitcnt vmcnt(0) lgkmcnt(0)
	v_mul_f32_e32 v0, s28, v0
	s_branch .LBB44_191
.LBB44_190:
	v_mov_b32_e32 v0, 0
.LBB44_191:
	v_add_f32_e32 v1, v10, v11
	v_add_f32_e32 v2, v1, v0
	v_lshl_add_u64 v[0:1], v[60:61], 2, v[20:21]
	flat_store_dword v[0:1], v2
	s_or_b64 exec, exec, s[2:3]
	s_and_b64 s[4:5], s[12:13], s[18:19]
	s_and_saveexec_b64 s[2:3], s[4:5]
	s_cbranch_execz .LBB44_169
.LBB44_192:
	s_and_b64 vcc, exec, s[0:1]
	s_cbranch_vccnz .LBB44_194
; %bb.193:
	v_lshl_add_u64 v[0:1], v[58:59], 2, v[22:23]
	flat_load_dword v0, v[0:1]
	s_waitcnt vmcnt(0) lgkmcnt(0)
	v_mul_f32_e32 v0, s28, v0
	s_branch .LBB44_195
.LBB44_194:
	v_mov_b32_e32 v0, 0
.LBB44_195:
	v_add_f32_e32 v1, v8, v9
	v_add_f32_e32 v2, v1, v0
	v_lshl_add_u64 v[0:1], v[58:59], 2, v[20:21]
	flat_store_dword v[0:1], v2
	s_or_b64 exec, exec, s[2:3]
	s_and_b64 s[4:5], s[14:15], s[18:19]
	s_and_saveexec_b64 s[2:3], s[4:5]
	s_cbranch_execz .LBB44_170
.LBB44_196:
	s_and_b64 vcc, exec, s[0:1]
	s_cbranch_vccnz .LBB44_198
; %bb.197:
	v_lshl_add_u64 v[0:1], v[56:57], 2, v[22:23]
	flat_load_dword v0, v[0:1]
	s_waitcnt vmcnt(0) lgkmcnt(0)
	v_mul_f32_e32 v0, s28, v0
	s_branch .LBB44_199
.LBB44_198:
	v_mov_b32_e32 v0, 0
.LBB44_199:
	v_add_f32_e32 v1, v6, v7
	v_add_f32_e32 v2, v1, v0
	v_lshl_add_u64 v[0:1], v[56:57], 2, v[20:21]
	flat_store_dword v[0:1], v2
	s_or_b64 exec, exec, s[2:3]
	s_and_b64 s[2:3], s[16:17], s[18:19]
	s_and_saveexec_b64 s[4:5], s[2:3]
	s_cbranch_execz .LBB44_171
.LBB44_200:
	s_and_b64 vcc, exec, s[0:1]
	s_cbranch_vccnz .LBB44_202
; %bb.201:
	v_lshl_add_u64 v[0:1], v[54:55], 2, v[22:23]
	flat_load_dword v0, v[0:1]
	s_waitcnt vmcnt(0) lgkmcnt(0)
	v_mul_f32_e32 v0, s28, v0
	s_branch .LBB44_203
.LBB44_202:
	v_mov_b32_e32 v0, 0
.LBB44_203:
	v_add_f32_e32 v1, v4, v5
	v_add_f32_e32 v2, v1, v0
	v_lshl_add_u64 v[0:1], v[54:55], 2, v[20:21]
	flat_store_dword v[0:1], v2
	s_endpgm
	.section	.rodata,"a",@progbits
	.p2align	6, 0x0
	.amdhsa_kernel _ZN12_GLOBAL__N_120geam_min_plus_kernelIf15HIP_vector_typeIfLj2EES2_Li8ELi32ELi64ELi128ELi4ELi64ELi4ELi64ELi4ELc78ELc84ELb0ELb1ELb0EfKPKfKPfEEviiiT16_PT17_ilSA_ilS8_SA_ilPT18_ili26rocblas_geam_ex_operation_
		.amdhsa_group_segment_fixed_size 6144
		.amdhsa_private_segment_fixed_size 0
		.amdhsa_kernarg_size 128
		.amdhsa_user_sgpr_count 2
		.amdhsa_user_sgpr_dispatch_ptr 0
		.amdhsa_user_sgpr_queue_ptr 0
		.amdhsa_user_sgpr_kernarg_segment_ptr 1
		.amdhsa_user_sgpr_dispatch_id 0
		.amdhsa_user_sgpr_kernarg_preload_length 0
		.amdhsa_user_sgpr_kernarg_preload_offset 0
		.amdhsa_user_sgpr_private_segment_size 0
		.amdhsa_uses_dynamic_stack 0
		.amdhsa_enable_private_segment 0
		.amdhsa_system_sgpr_workgroup_id_x 1
		.amdhsa_system_sgpr_workgroup_id_y 0
		.amdhsa_system_sgpr_workgroup_id_z 1
		.amdhsa_system_sgpr_workgroup_info 0
		.amdhsa_system_vgpr_workitem_id 1
		.amdhsa_next_free_vgpr 108
		.amdhsa_next_free_sgpr 40
		.amdhsa_accum_offset 108
		.amdhsa_reserve_vcc 1
		.amdhsa_float_round_mode_32 0
		.amdhsa_float_round_mode_16_64 0
		.amdhsa_float_denorm_mode_32 3
		.amdhsa_float_denorm_mode_16_64 3
		.amdhsa_dx10_clamp 1
		.amdhsa_ieee_mode 1
		.amdhsa_fp16_overflow 0
		.amdhsa_tg_split 0
		.amdhsa_exception_fp_ieee_invalid_op 0
		.amdhsa_exception_fp_denorm_src 0
		.amdhsa_exception_fp_ieee_div_zero 0
		.amdhsa_exception_fp_ieee_overflow 0
		.amdhsa_exception_fp_ieee_underflow 0
		.amdhsa_exception_fp_ieee_inexact 0
		.amdhsa_exception_int_div_zero 0
	.end_amdhsa_kernel
	.section	.text._ZN12_GLOBAL__N_120geam_min_plus_kernelIf15HIP_vector_typeIfLj2EES2_Li8ELi32ELi64ELi128ELi4ELi64ELi4ELi64ELi4ELc78ELc84ELb0ELb1ELb0EfKPKfKPfEEviiiT16_PT17_ilSA_ilS8_SA_ilPT18_ili26rocblas_geam_ex_operation_,"axG",@progbits,_ZN12_GLOBAL__N_120geam_min_plus_kernelIf15HIP_vector_typeIfLj2EES2_Li8ELi32ELi64ELi128ELi4ELi64ELi4ELi64ELi4ELc78ELc84ELb0ELb1ELb0EfKPKfKPfEEviiiT16_PT17_ilSA_ilS8_SA_ilPT18_ili26rocblas_geam_ex_operation_,comdat
.Lfunc_end44:
	.size	_ZN12_GLOBAL__N_120geam_min_plus_kernelIf15HIP_vector_typeIfLj2EES2_Li8ELi32ELi64ELi128ELi4ELi64ELi4ELi64ELi4ELc78ELc84ELb0ELb1ELb0EfKPKfKPfEEviiiT16_PT17_ilSA_ilS8_SA_ilPT18_ili26rocblas_geam_ex_operation_, .Lfunc_end44-_ZN12_GLOBAL__N_120geam_min_plus_kernelIf15HIP_vector_typeIfLj2EES2_Li8ELi32ELi64ELi128ELi4ELi64ELi4ELi64ELi4ELc78ELc84ELb0ELb1ELb0EfKPKfKPfEEviiiT16_PT17_ilSA_ilS8_SA_ilPT18_ili26rocblas_geam_ex_operation_
                                        ; -- End function
	.set _ZN12_GLOBAL__N_120geam_min_plus_kernelIf15HIP_vector_typeIfLj2EES2_Li8ELi32ELi64ELi128ELi4ELi64ELi4ELi64ELi4ELc78ELc84ELb0ELb1ELb0EfKPKfKPfEEviiiT16_PT17_ilSA_ilS8_SA_ilPT18_ili26rocblas_geam_ex_operation_.num_vgpr, 108
	.set _ZN12_GLOBAL__N_120geam_min_plus_kernelIf15HIP_vector_typeIfLj2EES2_Li8ELi32ELi64ELi128ELi4ELi64ELi4ELi64ELi4ELc78ELc84ELb0ELb1ELb0EfKPKfKPfEEviiiT16_PT17_ilSA_ilS8_SA_ilPT18_ili26rocblas_geam_ex_operation_.num_agpr, 0
	.set _ZN12_GLOBAL__N_120geam_min_plus_kernelIf15HIP_vector_typeIfLj2EES2_Li8ELi32ELi64ELi128ELi4ELi64ELi4ELi64ELi4ELc78ELc84ELb0ELb1ELb0EfKPKfKPfEEviiiT16_PT17_ilSA_ilS8_SA_ilPT18_ili26rocblas_geam_ex_operation_.numbered_sgpr, 40
	.set _ZN12_GLOBAL__N_120geam_min_plus_kernelIf15HIP_vector_typeIfLj2EES2_Li8ELi32ELi64ELi128ELi4ELi64ELi4ELi64ELi4ELc78ELc84ELb0ELb1ELb0EfKPKfKPfEEviiiT16_PT17_ilSA_ilS8_SA_ilPT18_ili26rocblas_geam_ex_operation_.num_named_barrier, 0
	.set _ZN12_GLOBAL__N_120geam_min_plus_kernelIf15HIP_vector_typeIfLj2EES2_Li8ELi32ELi64ELi128ELi4ELi64ELi4ELi64ELi4ELc78ELc84ELb0ELb1ELb0EfKPKfKPfEEviiiT16_PT17_ilSA_ilS8_SA_ilPT18_ili26rocblas_geam_ex_operation_.private_seg_size, 0
	.set _ZN12_GLOBAL__N_120geam_min_plus_kernelIf15HIP_vector_typeIfLj2EES2_Li8ELi32ELi64ELi128ELi4ELi64ELi4ELi64ELi4ELc78ELc84ELb0ELb1ELb0EfKPKfKPfEEviiiT16_PT17_ilSA_ilS8_SA_ilPT18_ili26rocblas_geam_ex_operation_.uses_vcc, 1
	.set _ZN12_GLOBAL__N_120geam_min_plus_kernelIf15HIP_vector_typeIfLj2EES2_Li8ELi32ELi64ELi128ELi4ELi64ELi4ELi64ELi4ELc78ELc84ELb0ELb1ELb0EfKPKfKPfEEviiiT16_PT17_ilSA_ilS8_SA_ilPT18_ili26rocblas_geam_ex_operation_.uses_flat_scratch, 0
	.set _ZN12_GLOBAL__N_120geam_min_plus_kernelIf15HIP_vector_typeIfLj2EES2_Li8ELi32ELi64ELi128ELi4ELi64ELi4ELi64ELi4ELc78ELc84ELb0ELb1ELb0EfKPKfKPfEEviiiT16_PT17_ilSA_ilS8_SA_ilPT18_ili26rocblas_geam_ex_operation_.has_dyn_sized_stack, 0
	.set _ZN12_GLOBAL__N_120geam_min_plus_kernelIf15HIP_vector_typeIfLj2EES2_Li8ELi32ELi64ELi128ELi4ELi64ELi4ELi64ELi4ELc78ELc84ELb0ELb1ELb0EfKPKfKPfEEviiiT16_PT17_ilSA_ilS8_SA_ilPT18_ili26rocblas_geam_ex_operation_.has_recursion, 0
	.set _ZN12_GLOBAL__N_120geam_min_plus_kernelIf15HIP_vector_typeIfLj2EES2_Li8ELi32ELi64ELi128ELi4ELi64ELi4ELi64ELi4ELc78ELc84ELb0ELb1ELb0EfKPKfKPfEEviiiT16_PT17_ilSA_ilS8_SA_ilPT18_ili26rocblas_geam_ex_operation_.has_indirect_call, 0
	.section	.AMDGPU.csdata,"",@progbits
; Kernel info:
; codeLenInByte = 7980
; TotalNumSgprs: 46
; NumVgprs: 108
; NumAgprs: 0
; TotalNumVgprs: 108
; ScratchSize: 0
; MemoryBound: 0
; FloatMode: 240
; IeeeMode: 1
; LDSByteSize: 6144 bytes/workgroup (compile time only)
; SGPRBlocks: 5
; VGPRBlocks: 13
; NumSGPRsForWavesPerEU: 46
; NumVGPRsForWavesPerEU: 108
; AccumOffset: 108
; Occupancy: 4
; WaveLimiterHint : 1
; COMPUTE_PGM_RSRC2:SCRATCH_EN: 0
; COMPUTE_PGM_RSRC2:USER_SGPR: 2
; COMPUTE_PGM_RSRC2:TRAP_HANDLER: 0
; COMPUTE_PGM_RSRC2:TGID_X_EN: 1
; COMPUTE_PGM_RSRC2:TGID_Y_EN: 0
; COMPUTE_PGM_RSRC2:TGID_Z_EN: 1
; COMPUTE_PGM_RSRC2:TIDIG_COMP_CNT: 1
; COMPUTE_PGM_RSRC3_GFX90A:ACCUM_OFFSET: 26
; COMPUTE_PGM_RSRC3_GFX90A:TG_SPLIT: 0
	.section	.text._ZN12_GLOBAL__N_120geam_min_plus_kernelIf15HIP_vector_typeIfLj2EES2_Li8ELi32ELi64ELi128ELi4ELi4ELi64ELi64ELi4ELc84ELc84ELb0ELb0ELb0EPKfKS4_KPfEEviiiT16_PT17_ilSA_ilS8_SA_ilPT18_ili26rocblas_geam_ex_operation_,"axG",@progbits,_ZN12_GLOBAL__N_120geam_min_plus_kernelIf15HIP_vector_typeIfLj2EES2_Li8ELi32ELi64ELi128ELi4ELi4ELi64ELi64ELi4ELc84ELc84ELb0ELb0ELb0EPKfKS4_KPfEEviiiT16_PT17_ilSA_ilS8_SA_ilPT18_ili26rocblas_geam_ex_operation_,comdat
	.globl	_ZN12_GLOBAL__N_120geam_min_plus_kernelIf15HIP_vector_typeIfLj2EES2_Li8ELi32ELi64ELi128ELi4ELi4ELi64ELi64ELi4ELc84ELc84ELb0ELb0ELb0EPKfKS4_KPfEEviiiT16_PT17_ilSA_ilS8_SA_ilPT18_ili26rocblas_geam_ex_operation_ ; -- Begin function _ZN12_GLOBAL__N_120geam_min_plus_kernelIf15HIP_vector_typeIfLj2EES2_Li8ELi32ELi64ELi128ELi4ELi4ELi64ELi64ELi4ELc84ELc84ELb0ELb0ELb0EPKfKS4_KPfEEviiiT16_PT17_ilSA_ilS8_SA_ilPT18_ili26rocblas_geam_ex_operation_
	.p2align	8
	.type	_ZN12_GLOBAL__N_120geam_min_plus_kernelIf15HIP_vector_typeIfLj2EES2_Li8ELi32ELi64ELi128ELi4ELi4ELi64ELi64ELi4ELc84ELc84ELb0ELb0ELb0EPKfKS4_KPfEEviiiT16_PT17_ilSA_ilS8_SA_ilPT18_ili26rocblas_geam_ex_operation_,@function
_ZN12_GLOBAL__N_120geam_min_plus_kernelIf15HIP_vector_typeIfLj2EES2_Li8ELi32ELi64ELi128ELi4ELi4ELi64ELi64ELi4ELc84ELc84ELb0ELb0ELb0EPKfKS4_KPfEEviiiT16_PT17_ilSA_ilS8_SA_ilPT18_ili26rocblas_geam_ex_operation_: ; @_ZN12_GLOBAL__N_120geam_min_plus_kernelIf15HIP_vector_typeIfLj2EES2_Li8ELi32ELi64ELi128ELi4ELi4ELi64ELi64ELi4ELc84ELc84ELb0ELb0ELb0EPKfKS4_KPfEEviiiT16_PT17_ilSA_ilS8_SA_ilPT18_ili26rocblas_geam_ex_operation_
; %bb.0:
	s_load_dwordx4 s[4:7], s[0:1], 0x10
	s_load_dwordx4 s[12:15], s[0:1], 0x28
	;; [unrolled: 1-line block ×3, first 2 shown]
	s_mov_b32 s22, s3
	s_mov_b32 s23, 0
	s_lshl_b64 s[18:19], s[22:23], 2
	s_waitcnt lgkmcnt(0)
	s_add_u32 s4, s4, s18
	s_addc_u32 s5, s5, s19
	s_load_dword s16, s[4:5], 0x0
	s_load_dwordx2 s[24:25], s[0:1], 0x50
	s_add_u32 s10, s10, s18
	s_addc_u32 s11, s11, s19
	s_mov_b64 s[18:19], 0
	s_waitcnt lgkmcnt(0)
	v_cmp_eq_f32_e64 s[4:5], s16, 0
	s_and_b64 s[4:5], exec, s[4:5]
	v_cmp_neq_f32_e64 s[26:27], s16, 0
	s_mov_b64 s[20:21], 0
	s_mov_b64 vcc, s[4:5]
	s_cbranch_vccnz .LBB45_2
; %bb.1:
	s_lshl_b64 s[20:21], s[22:23], 3
	s_add_u32 s6, s6, s20
	s_addc_u32 s7, s7, s21
	s_load_dwordx2 s[6:7], s[6:7], 0x0
	s_lshl_b64 s[12:13], s[12:13], 2
	s_waitcnt lgkmcnt(0)
	s_add_u32 s20, s6, s12
	s_addc_u32 s21, s7, s13
.LBB45_2:
	s_load_dword s28, s[10:11], 0x0
	v_cndmask_b32_e64 v1, 0, 1, s[26:27]
	v_cmp_ne_u32_e64 s[6:7], 1, v1
	s_andn2_b64 vcc, exec, s[26:27]
	s_cbranch_vccnz .LBB45_4
; %bb.3:
	s_lshl_b64 s[10:11], s[22:23], 3
	s_add_u32 s10, s14, s10
	s_addc_u32 s11, s15, s11
	s_load_dwordx2 s[10:11], s[10:11], 0x0
	s_lshl_b64 s[8:9], s[8:9], 2
	s_waitcnt lgkmcnt(0)
	s_add_u32 s18, s10, s8
	s_addc_u32 s19, s11, s9
.LBB45_4:
	s_load_dwordx4 s[12:15], s[0:1], 0x60
	s_waitcnt lgkmcnt(0)
	v_cmp_eq_f32_e64 s[8:9], s28, 0
	s_and_b64 s[8:9], exec, s[8:9]
	s_mov_b64 vcc, s[8:9]
	s_cbranch_vccnz .LBB45_6
; %bb.5:
	s_lshl_b64 s[10:11], s[22:23], 3
	s_add_u32 s10, s24, s10
	s_addc_u32 s11, s25, s11
	s_load_dwordx2 s[10:11], s[10:11], 0x0
	s_lshl_b64 s[12:13], s[12:13], 2
	s_waitcnt lgkmcnt(0)
	s_add_u32 s10, s10, s12
	s_addc_u32 s11, s11, s13
	s_branch .LBB45_7
.LBB45_6:
	s_mov_b64 s[10:11], 0
.LBB45_7:
	s_load_dword s24, s[0:1], 0x38
	s_load_dword s3, s[0:1], 0x0
	;; [unrolled: 1-line block ×3, first 2 shown]
	s_lshl_b64 s[12:13], s[22:23], 3
	v_and_b32_e32 v78, 0x3ff, v0
	s_waitcnt lgkmcnt(0)
	s_ashr_i32 s22, s24, 31
	s_add_u32 s12, s14, s12
	s_addc_u32 s13, s15, s13
	s_add_i32 s3, s3, -1
	s_ashr_i32 s14, s3, 31
	s_lshr_b32 s14, s14, 26
	s_add_i32 s3, s3, s14
	s_ashr_i32 s3, s3, 6
	s_add_i32 s14, s3, 1
	v_cvt_f32_u32_e32 v1, s14
	s_not_b32 s3, s3
	v_bfe_u32 v79, v0, 10, 10
	v_and_b32_e32 v80, 3, v0
	v_rcp_iflag_f32_e32 v1, v1
	v_lshl_add_u32 v0, v79, 3, v78
	v_and_b32_e32 v72, 63, v0
	v_lshrrev_b32_e32 v4, 2, v0
	v_mul_f32_e32 v1, 0x4f7ffffe, v1
	v_cvt_u32_f32_e32 v1, v1
	v_lshrrev_b32_e32 v81, 6, v0
	v_mov_b32_e32 v74, 0
	v_lshlrev_b32_e32 v0, 2, v80
	v_readfirstlane_b32 s15, v1
	s_mul_i32 s3, s3, s15
	s_mul_hi_u32 s3, s15, s3
	s_add_i32 s15, s15, s3
	s_mul_hi_u32 s3, s2, s15
	s_mul_i32 s15, s3, s14
	s_sub_i32 s15, s2, s15
	s_add_i32 s23, s3, 1
	s_sub_i32 s25, s15, s14
	s_cmp_ge_u32 s15, s14
	s_cselect_b32 s3, s23, s3
	s_cselect_b32 s15, s25, s15
	s_add_i32 s23, s3, 1
	s_cmp_ge_u32 s15, s14
	s_cselect_b32 s3, s23, s3
	s_mul_i32 s14, s3, s14
	s_sub_i32 s2, s2, s14
	s_lshl_b32 s15, s3, 7
	s_lshl_b32 s14, s2, 6
	v_or_b32_e32 v70, s15, v72
	s_and_b64 vcc, exec, s[6:7]
	v_add_u32_e32 v73, s14, v4
	v_ashrrev_i32_e32 v71, 31, v70
	v_mov_b32_e32 v5, 0
	v_mov_b32_e32 v2, 0
	;; [unrolled: 1-line block ×3, first 2 shown]
	s_cbranch_vccnz .LBB45_9
; %bb.8:
	v_mad_i64_i32 v[2:3], s[2:3], v73, s17, 0
	v_mad_i64_i32 v[6:7], s[2:3], s24, v81, 0
	v_lshl_add_u64 v[2:3], v[2:3], 2, s[20:21]
	v_mov_b32_e32 v1, 0
	v_lshl_add_u64 v[6:7], v[6:7], 2, s[18:19]
	v_lshl_add_u64 v[2:3], v[2:3], 0, v[0:1]
	;; [unrolled: 1-line block ×3, first 2 shown]
	flat_load_dword v2, v[2:3]
	s_nop 0
	flat_load_dword v1, v[6:7]
	flat_load_dword v3, v[6:7] offset:256
	s_waitcnt vmcnt(0) lgkmcnt(0)
	v_mul_f32_e32 v5, s16, v1
	v_pk_mul_f32 v[2:3], s[16:17], v[2:3] op_sel_hi:[0,1]
.LBB45_9:
	s_load_dwordx2 s[2:3], s[12:13], 0x0
	s_and_b64 vcc, exec, s[6:7]
	v_add_u32_e32 v82, 4, v81
	v_mov_b32_e32 v68, 0
	v_mov_b32_e32 v69, 0
	s_cbranch_vccnz .LBB45_11
; %bb.10:
	v_mad_i64_i32 v[6:7], s[6:7], v73, s17, 0
	v_mad_i64_i32 v[8:9], s[6:7], s24, v82, 0
	v_lshl_add_u64 v[6:7], v[6:7], 2, s[20:21]
	v_mov_b32_e32 v1, 0
	v_lshl_add_u64 v[8:9], v[8:9], 2, s[18:19]
	v_lshl_add_u64 v[6:7], v[6:7], 0, v[0:1]
	;; [unrolled: 1-line block ×3, first 2 shown]
	flat_load_dword v6, v[6:7] offset:16
	s_nop 0
	flat_load_dword v1, v[8:9]
	flat_load_dword v7, v[8:9] offset:256
	s_waitcnt vmcnt(0) lgkmcnt(0)
	v_mul_f32_e32 v74, s16, v1
	v_pk_mul_f32 v[68:69], s[16:17], v[6:7] op_sel_hi:[0,1]
.LBB45_11:
	v_lshl_or_b32 v75, v4, 4, v0
	v_lshlrev_b32_e32 v0, 4, v72
	v_lshl_add_u32 v83, v81, 2, v0
	v_mov_b32_e32 v0, 0x1000
	v_mov_b32_e32 v66, 0
	v_cmp_neq_f32_e64 s[6:7], s28, 0
	ds_write2st64_b32 v83, v5, v3 offset1:4
	v_lshl_add_u32 v84, v78, 4, v0
	s_mov_b32 s23, 0
	s_mov_b64 s[12:13], -1
	v_mov_b32_e32 v67, v66
	v_mov_b32_e32 v64, v66
	;; [unrolled: 1-line block ×63, first 2 shown]
	v_add_u32_e32 v85, 0x1000, v75
	v_lshlrev_b32_e32 v86, 4, v79
	ds_write_b32 v75, v2 offset:4096
	s_waitcnt lgkmcnt(0)
	s_barrier
.LBB45_12:                              ; =>This Inner Loop Header: Depth=1
	v_cndmask_b32_e64 v0, 0, 1, s[12:13]
	s_lshl_b32 s12, s23, 2
	v_cmp_ne_u32_e32 vcc, 1, v0
	v_add_u32_e32 v0, s12, v84
	ds_read2_b64 v[88:91], v0 offset1:16
	ds_read2_b64 v[92:95], v0 offset0:32 offset1:48
	ds_read2_b64 v[96:99], v0 offset0:64 offset1:80
	;; [unrolled: 1-line block ×3, first 2 shown]
	v_add_u32_e32 v0, s12, v86
	ds_read2st64_b64 v[104:107], v0 offset1:1
	ds_read2st64_b64 v[0:3], v0 offset0:2 offset1:3
	s_waitcnt lgkmcnt(5)
	v_max_f32_e32 v88, v88, v88
	v_max_f32_e32 v89, v89, v89
	;; [unrolled: 1-line block ×3, first 2 shown]
	s_waitcnt lgkmcnt(1)
	v_max_f32_e32 v87, v104, v104
	v_max_f32_e32 v104, v105, v105
	v_min_f32_e32 v76, v88, v87
	v_min_f32_e32 v77, v89, v104
	v_max_f32_e32 v91, v91, v91
	v_pk_add_f32 v[66:67], v[76:77], v[66:67]
	v_min_f32_e32 v76, v90, v87
	v_min_f32_e32 v77, v91, v104
	v_max_f32_e32 v92, v92, v92
	v_max_f32_e32 v93, v93, v93
	v_pk_add_f32 v[64:65], v[76:77], v[64:65]
	v_min_f32_e32 v76, v92, v87
	v_min_f32_e32 v77, v93, v104
	v_max_f32_e32 v94, v94, v94
	;; [unrolled: 5-line block ×6, first 2 shown]
	v_pk_add_f32 v[54:55], v[76:77], v[54:55]
	v_min_f32_e32 v76, v102, v87
	v_max_f32_e32 v87, v103, v103
	v_min_f32_e32 v77, v87, v104
	v_max_f32_e32 v103, v106, v106
	v_max_f32_e32 v104, v107, v107
	v_pk_add_f32 v[52:53], v[76:77], v[52:53]
	v_min_f32_e32 v76, v88, v103
	v_min_f32_e32 v77, v89, v104
	v_pk_add_f32 v[50:51], v[76:77], v[50:51]
	v_min_f32_e32 v76, v90, v103
	v_min_f32_e32 v77, v91, v104
	;; [unrolled: 3-line block ×8, first 2 shown]
	v_pk_add_f32 v[36:37], v[76:77], v[36:37]
	s_waitcnt lgkmcnt(0)
	v_max_f32_e32 v76, v0, v0
	v_max_f32_e32 v77, v1, v1
	v_min_f32_e32 v0, v88, v76
	v_min_f32_e32 v1, v89, v77
	v_pk_add_f32 v[34:35], v[0:1], v[34:35]
	v_min_f32_e32 v0, v90, v76
	v_min_f32_e32 v1, v91, v77
	v_pk_add_f32 v[32:33], v[0:1], v[32:33]
	v_min_f32_e32 v0, v92, v76
	v_min_f32_e32 v1, v93, v77
	v_pk_add_f32 v[30:31], v[0:1], v[30:31]
	v_min_f32_e32 v0, v94, v76
	v_min_f32_e32 v1, v95, v77
	v_pk_add_f32 v[28:29], v[0:1], v[28:29]
	v_min_f32_e32 v0, v96, v76
	v_min_f32_e32 v1, v97, v77
	v_pk_add_f32 v[26:27], v[0:1], v[26:27]
	v_min_f32_e32 v0, v98, v76
	v_min_f32_e32 v1, v99, v77
	v_pk_add_f32 v[24:25], v[0:1], v[24:25]
	v_min_f32_e32 v0, v100, v76
	v_min_f32_e32 v1, v101, v77
	v_pk_add_f32 v[22:23], v[0:1], v[22:23]
	v_min_f32_e32 v0, v102, v76
	v_min_f32_e32 v1, v87, v77
	v_max_f32_e32 v2, v2, v2
	v_max_f32_e32 v3, v3, v3
	v_pk_add_f32 v[20:21], v[0:1], v[20:21]
	v_min_f32_e32 v0, v88, v2
	v_min_f32_e32 v1, v89, v3
	v_pk_add_f32 v[18:19], v[0:1], v[18:19]
	v_min_f32_e32 v0, v90, v2
	v_min_f32_e32 v1, v91, v3
	;; [unrolled: 3-line block ×8, first 2 shown]
	v_pk_add_f32 v[4:5], v[0:1], v[4:5]
	s_mov_b64 s[12:13], 0
	s_mov_b32 s23, 2
	s_cbranch_vccz .LBB45_12
; %bb.13:
	s_load_dword s23, s[0:1], 0x8
	v_lshlrev_b32_e32 v0, 2, v81
	v_lshl_add_u32 v0, v72, 4, v0
	ds_write_b32 v75, v68 offset:5120
	ds_write2st64_b32 v0, v74, v69 offset0:8 offset1:12
	s_waitcnt lgkmcnt(0)
	s_cmp_lt_i32 s23, 9
	s_barrier
	s_cbranch_scc1 .LBB45_28
; %bb.14:
	v_or_b32_e32 v88, 0x800, v0
	v_mad_i64_i32 v[0:1], s[12:13], v73, s17, 0
	v_lshl_add_u64 v[68:69], v[0:1], 2, s[20:21]
	v_mov_b32_e32 v0, 0x1400
	v_lshl_add_u32 v89, v78, 4, v0
	v_mov_b32_e32 v0, 0x800
	v_add_u32_e32 v87, 0x1400, v75
	s_add_i32 s23, s23, -8
	v_lshl_add_u32 v90, v79, 4, v0
	v_lshl_add_u64 v[70:71], v[70:71], 2, s[18:19]
	s_mov_b32 s17, s16
	s_mov_b32 s18, 8
	;; [unrolled: 1-line block ×3, first 2 shown]
	v_mov_b32_e32 v73, 0
.LBB45_15:                              ; =>This Loop Header: Depth=1
                                        ;     Child Loop BB45_20 Depth 2
                                        ;     Child Loop BB45_26 Depth 2
	s_mov_b64 s[12:13], -1
	s_mov_b64 vcc, s[4:5]
                                        ; implicit-def: $vgpr74_vgpr75
	s_cbranch_vccz .LBB45_17
; %bb.16:                               ;   in Loop: Header=BB45_15 Depth=1
	v_mov_b32_e32 v74, v73
	s_mov_b64 s[12:13], 0
.LBB45_17:                              ;   in Loop: Header=BB45_15 Depth=1
	v_mov_b32_e32 v76, 0
	s_andn2_b64 vcc, exec, s[12:13]
	v_mov_b32_e32 v77, 0
	s_cbranch_vccnz .LBB45_19
; %bb.18:                               ;   in Loop: Header=BB45_15 Depth=1
	v_or_b32_e32 v72, s18, v80
	v_lshl_add_u64 v[0:1], v[72:73], 2, v[68:69]
	flat_load_dword v0, v[0:1]
	v_add_u32_e32 v1, s18, v81
	v_mad_u64_u32 v[2:3], s[12:13], v1, s24, 0
	v_mov_b32_e32 v72, v3
	v_mad_u64_u32 v[74:75], s[12:13], v1, s22, v[72:73]
	v_mov_b32_e32 v3, v74
	v_lshl_add_u64 v[2:3], v[2:3], 2, v[70:71]
	flat_load_dword v72, v[2:3]
	flat_load_dword v1, v[2:3] offset:256
	s_waitcnt vmcnt(0) lgkmcnt(0)
	v_mul_f32_e32 v74, s16, v72
	v_pk_mul_f32 v[76:77], s[16:17], v[0:1]
.LBB45_19:                              ;   in Loop: Header=BB45_15 Depth=1
	s_mov_b32 s20, 0
	s_mov_b64 s[12:13], -1
.LBB45_20:                              ;   Parent Loop BB45_15 Depth=1
                                        ; =>  This Inner Loop Header: Depth=2
	v_cndmask_b32_e64 v0, 0, 1, s[12:13]
	s_lshl_b32 s12, s20, 2
	v_cmp_ne_u32_e32 vcc, 1, v0
	v_add_u32_e32 v0, s12, v89
	ds_read2_b64 v[92:95], v0 offset1:16
	ds_read2_b64 v[96:99], v0 offset0:32 offset1:48
	ds_read2_b64 v[100:103], v0 offset0:64 offset1:80
	;; [unrolled: 1-line block ×3, first 2 shown]
	v_add_u32_e32 v0, s12, v90
	ds_read2st64_b64 v[108:111], v0 offset1:1
	ds_read2st64_b64 v[0:3], v0 offset0:2 offset1:3
	s_waitcnt lgkmcnt(5)
	v_max_f32_e32 v75, v92, v92
	v_max_f32_e32 v94, v94, v94
	;; [unrolled: 1-line block ×3, first 2 shown]
	s_waitcnt lgkmcnt(1)
	v_max_f32_e32 v72, v108, v108
	v_max_f32_e32 v91, v109, v109
	;; [unrolled: 1-line block ×3, first 2 shown]
	v_min_f32_e32 v92, v75, v72
	v_min_f32_e32 v93, v108, v91
	v_pk_add_f32 v[66:67], v[92:93], v[66:67]
	v_min_f32_e32 v92, v94, v72
	v_min_f32_e32 v93, v95, v91
	v_max_f32_e32 v96, v96, v96
	v_max_f32_e32 v97, v97, v97
	v_pk_add_f32 v[64:65], v[92:93], v[64:65]
	v_min_f32_e32 v92, v96, v72
	v_min_f32_e32 v93, v97, v91
	v_max_f32_e32 v98, v98, v98
	v_max_f32_e32 v99, v99, v99
	;; [unrolled: 5-line block ×5, first 2 shown]
	v_pk_add_f32 v[56:57], v[92:93], v[56:57]
	v_min_f32_e32 v92, v104, v72
	v_min_f32_e32 v93, v105, v91
	v_max_f32_e32 v106, v106, v106
	v_pk_add_f32 v[54:55], v[92:93], v[54:55]
	v_min_f32_e32 v92, v106, v72
	v_max_f32_e32 v72, v107, v107
	v_min_f32_e32 v93, v72, v91
	v_max_f32_e32 v91, v110, v110
	v_max_f32_e32 v107, v111, v111
	v_pk_add_f32 v[52:53], v[92:93], v[52:53]
	v_min_f32_e32 v92, v75, v91
	v_min_f32_e32 v93, v108, v107
	v_pk_add_f32 v[50:51], v[92:93], v[50:51]
	v_min_f32_e32 v92, v94, v91
	v_min_f32_e32 v93, v95, v107
	;; [unrolled: 3-line block ×8, first 2 shown]
	v_pk_add_f32 v[36:37], v[92:93], v[36:37]
	s_waitcnt lgkmcnt(0)
	v_max_f32_e32 v91, v0, v0
	v_max_f32_e32 v92, v1, v1
	v_min_f32_e32 v0, v75, v91
	v_min_f32_e32 v1, v108, v92
	v_pk_add_f32 v[34:35], v[0:1], v[34:35]
	v_min_f32_e32 v0, v94, v91
	v_min_f32_e32 v1, v95, v92
	v_pk_add_f32 v[32:33], v[0:1], v[32:33]
	;; [unrolled: 3-line block ×7, first 2 shown]
	v_min_f32_e32 v0, v106, v91
	v_min_f32_e32 v1, v72, v92
	v_max_f32_e32 v2, v2, v2
	v_max_f32_e32 v3, v3, v3
	v_pk_add_f32 v[20:21], v[0:1], v[20:21]
	v_min_f32_e32 v0, v75, v2
	v_min_f32_e32 v1, v108, v3
	v_pk_add_f32 v[18:19], v[0:1], v[18:19]
	v_min_f32_e32 v0, v94, v2
	v_min_f32_e32 v1, v95, v3
	;; [unrolled: 3-line block ×8, first 2 shown]
	v_pk_add_f32 v[4:5], v[0:1], v[4:5]
	s_mov_b64 s[12:13], 0
	s_mov_b32 s20, 2
	s_cbranch_vccz .LBB45_20
; %bb.21:                               ;   in Loop: Header=BB45_15 Depth=1
	s_mov_b64 s[12:13], -1
	s_mov_b64 vcc, s[4:5]
	ds_write_b32 v85, v76
	ds_write2st64_b32 v83, v74, v77 offset1:4
	s_waitcnt lgkmcnt(0)
	s_barrier
                                        ; implicit-def: $vgpr74_vgpr75
	s_cbranch_vccz .LBB45_23
; %bb.22:                               ;   in Loop: Header=BB45_15 Depth=1
	v_mov_b32_e32 v74, v73
	s_mov_b64 s[12:13], 0
.LBB45_23:                              ;   in Loop: Header=BB45_15 Depth=1
	v_mov_b32_e32 v76, 0
	s_andn2_b64 vcc, exec, s[12:13]
	v_mov_b32_e32 v77, 0
	s_cbranch_vccnz .LBB45_25
; %bb.24:                               ;   in Loop: Header=BB45_15 Depth=1
	v_or_b32_e32 v72, s18, v80
	v_lshl_add_u64 v[0:1], v[72:73], 2, v[68:69]
	flat_load_dword v0, v[0:1] offset:16
	v_add_u32_e32 v1, s18, v82
	v_mad_u64_u32 v[2:3], s[12:13], v1, s24, 0
	v_mov_b32_e32 v72, v3
	v_mad_u64_u32 v[74:75], s[12:13], v1, s22, v[72:73]
	v_mov_b32_e32 v3, v74
	v_lshl_add_u64 v[2:3], v[2:3], 2, v[70:71]
	flat_load_dword v72, v[2:3]
	flat_load_dword v1, v[2:3] offset:256
	s_waitcnt vmcnt(0) lgkmcnt(0)
	v_mul_f32_e32 v74, s16, v72
	v_pk_mul_f32 v[76:77], s[16:17], v[0:1]
.LBB45_25:                              ;   in Loop: Header=BB45_15 Depth=1
	s_mov_b32 s20, 0
	s_mov_b64 s[12:13], -1
.LBB45_26:                              ;   Parent Loop BB45_15 Depth=1
                                        ; =>  This Inner Loop Header: Depth=2
	v_cndmask_b32_e64 v0, 0, 1, s[12:13]
	s_lshl_b32 s12, s20, 2
	v_cmp_ne_u32_e32 vcc, 1, v0
	v_add_u32_e32 v0, s12, v84
	ds_read2_b64 v[92:95], v0 offset1:16
	ds_read2_b64 v[96:99], v0 offset0:32 offset1:48
	ds_read2_b64 v[100:103], v0 offset0:64 offset1:80
	;; [unrolled: 1-line block ×3, first 2 shown]
	v_add_u32_e32 v0, s12, v86
	ds_read2st64_b64 v[108:111], v0 offset1:1
	ds_read2st64_b64 v[0:3], v0 offset0:2 offset1:3
	s_waitcnt lgkmcnt(5)
	v_max_f32_e32 v75, v92, v92
	v_max_f32_e32 v94, v94, v94
	;; [unrolled: 1-line block ×3, first 2 shown]
	s_waitcnt lgkmcnt(1)
	v_max_f32_e32 v72, v108, v108
	v_max_f32_e32 v91, v109, v109
	;; [unrolled: 1-line block ×3, first 2 shown]
	v_min_f32_e32 v92, v75, v72
	v_min_f32_e32 v93, v108, v91
	v_pk_add_f32 v[66:67], v[92:93], v[66:67]
	v_min_f32_e32 v92, v94, v72
	v_min_f32_e32 v93, v95, v91
	v_max_f32_e32 v96, v96, v96
	v_max_f32_e32 v97, v97, v97
	v_pk_add_f32 v[64:65], v[92:93], v[64:65]
	v_min_f32_e32 v92, v96, v72
	v_min_f32_e32 v93, v97, v91
	v_max_f32_e32 v98, v98, v98
	v_max_f32_e32 v99, v99, v99
	;; [unrolled: 5-line block ×5, first 2 shown]
	v_pk_add_f32 v[56:57], v[92:93], v[56:57]
	v_min_f32_e32 v92, v104, v72
	v_min_f32_e32 v93, v105, v91
	v_max_f32_e32 v106, v106, v106
	v_pk_add_f32 v[54:55], v[92:93], v[54:55]
	v_min_f32_e32 v92, v106, v72
	v_max_f32_e32 v72, v107, v107
	v_min_f32_e32 v93, v72, v91
	v_max_f32_e32 v91, v110, v110
	v_max_f32_e32 v107, v111, v111
	v_pk_add_f32 v[52:53], v[92:93], v[52:53]
	v_min_f32_e32 v92, v75, v91
	v_min_f32_e32 v93, v108, v107
	v_pk_add_f32 v[50:51], v[92:93], v[50:51]
	v_min_f32_e32 v92, v94, v91
	v_min_f32_e32 v93, v95, v107
	;; [unrolled: 3-line block ×8, first 2 shown]
	v_pk_add_f32 v[36:37], v[92:93], v[36:37]
	s_waitcnt lgkmcnt(0)
	v_max_f32_e32 v91, v0, v0
	v_max_f32_e32 v92, v1, v1
	v_min_f32_e32 v0, v75, v91
	v_min_f32_e32 v1, v108, v92
	v_pk_add_f32 v[34:35], v[0:1], v[34:35]
	v_min_f32_e32 v0, v94, v91
	v_min_f32_e32 v1, v95, v92
	v_pk_add_f32 v[32:33], v[0:1], v[32:33]
	;; [unrolled: 3-line block ×7, first 2 shown]
	v_min_f32_e32 v0, v106, v91
	v_min_f32_e32 v1, v72, v92
	v_max_f32_e32 v2, v2, v2
	v_max_f32_e32 v3, v3, v3
	v_pk_add_f32 v[20:21], v[0:1], v[20:21]
	v_min_f32_e32 v0, v75, v2
	v_min_f32_e32 v1, v108, v3
	v_pk_add_f32 v[18:19], v[0:1], v[18:19]
	v_min_f32_e32 v0, v94, v2
	v_min_f32_e32 v1, v95, v3
	;; [unrolled: 3-line block ×8, first 2 shown]
	v_pk_add_f32 v[4:5], v[0:1], v[4:5]
	s_mov_b64 s[12:13], 0
	s_mov_b32 s20, 2
	s_cbranch_vccz .LBB45_26
; %bb.27:                               ;   in Loop: Header=BB45_15 Depth=1
	s_add_i32 s18, s18, 8
	s_add_i32 s19, s19, 8
	s_cmp_ge_i32 s19, s23
	ds_write_b32 v87, v76
	ds_write2st64_b32 v88, v74, v77 offset1:4
	s_waitcnt lgkmcnt(0)
	s_barrier
	s_cbranch_scc0 .LBB45_15
.LBB45_28:
	v_mov_b32_e32 v0, 0x1400
	v_lshl_add_u32 v68, v78, 4, v0
	v_mov_b32_e32 v0, 0x800
	v_lshl_add_u32 v69, v79, 4, v0
	s_mov_b32 s12, 0
	s_mov_b64 s[4:5], -1
.LBB45_29:                              ; =>This Inner Loop Header: Depth=1
	v_cndmask_b32_e64 v0, 0, 1, s[4:5]
	s_lshl_b32 s4, s12, 2
	v_cmp_ne_u32_e32 vcc, 1, v0
	v_add_u32_e32 v0, s4, v68
	ds_read2_b64 v[70:73], v0 offset1:16
	ds_read2_b64 v[74:77], v0 offset0:32 offset1:48
	ds_read2_b64 v[80:83], v0 offset0:64 offset1:80
	;; [unrolled: 1-line block ×3, first 2 shown]
	v_add_u32_e32 v0, s4, v69
	ds_read2st64_b64 v[88:91], v0 offset1:1
	ds_read2st64_b64 v[0:3], v0 offset0:2 offset1:3
	s_waitcnt lgkmcnt(5)
	v_max_f32_e32 v92, v70, v70
	v_max_f32_e32 v93, v71, v71
	;; [unrolled: 1-line block ×3, first 2 shown]
	s_waitcnt lgkmcnt(1)
	v_max_f32_e32 v88, v88, v88
	v_max_f32_e32 v89, v89, v89
	v_min_f32_e32 v70, v92, v88
	v_min_f32_e32 v71, v93, v89
	v_max_f32_e32 v73, v73, v73
	v_pk_add_f32 v[66:67], v[70:71], v[66:67]
	v_min_f32_e32 v70, v72, v88
	v_min_f32_e32 v71, v73, v89
	v_max_f32_e32 v74, v74, v74
	v_max_f32_e32 v75, v75, v75
	v_pk_add_f32 v[64:65], v[70:71], v[64:65]
	v_min_f32_e32 v70, v74, v88
	v_min_f32_e32 v71, v75, v89
	v_max_f32_e32 v76, v76, v76
	;; [unrolled: 5-line block ×7, first 2 shown]
	v_max_f32_e32 v89, v91, v91
	v_pk_add_f32 v[52:53], v[70:71], v[52:53]
	v_min_f32_e32 v70, v92, v88
	v_min_f32_e32 v71, v93, v89
	v_pk_add_f32 v[50:51], v[70:71], v[50:51]
	v_min_f32_e32 v70, v72, v88
	v_min_f32_e32 v71, v73, v89
	;; [unrolled: 3-line block ×8, first 2 shown]
	v_pk_add_f32 v[36:37], v[70:71], v[36:37]
	s_waitcnt lgkmcnt(0)
	v_max_f32_e32 v70, v0, v0
	v_max_f32_e32 v71, v1, v1
	v_min_f32_e32 v0, v92, v70
	v_min_f32_e32 v1, v93, v71
	v_pk_add_f32 v[34:35], v[0:1], v[34:35]
	v_min_f32_e32 v0, v72, v70
	v_min_f32_e32 v1, v73, v71
	v_pk_add_f32 v[32:33], v[0:1], v[32:33]
	;; [unrolled: 3-line block ×7, first 2 shown]
	v_min_f32_e32 v0, v86, v70
	v_min_f32_e32 v1, v87, v71
	v_max_f32_e32 v2, v2, v2
	v_max_f32_e32 v3, v3, v3
	v_pk_add_f32 v[20:21], v[0:1], v[20:21]
	v_min_f32_e32 v0, v92, v2
	v_min_f32_e32 v1, v93, v3
	v_pk_add_f32 v[18:19], v[0:1], v[18:19]
	v_min_f32_e32 v0, v72, v2
	v_min_f32_e32 v1, v73, v3
	;; [unrolled: 3-line block ×8, first 2 shown]
	v_pk_add_f32 v[4:5], v[0:1], v[4:5]
	s_mov_b64 s[4:5], 0
	s_mov_b32 s12, 2
	s_cbranch_vccz .LBB45_29
; %bb.30:
	s_load_dword s12, s[0:1], 0x58
	v_add_u32_e32 v72, s15, v79
	v_add_u32_e32 v0, s14, v78
	v_ashrrev_i32_e32 v1, 31, v0
	v_mov_b32_e32 v73, 0
	s_waitcnt lgkmcnt(0)
	v_mad_i64_i32 v[2:3], s[4:5], v72, s12, 0
	v_lshl_add_u64 v[68:69], v[2:3], 2, s[10:11]
	v_cndmask_b32_e64 v2, 0, 1, s[6:7]
	v_cmp_ne_u32_e64 s[4:5], 1, v2
	s_andn2_b64 vcc, exec, s[6:7]
	v_mov_b32_e32 v74, 0
	s_cbranch_vccnz .LBB45_32
; %bb.31:
	v_lshl_add_u64 v[2:3], v[0:1], 2, v[68:69]
	flat_load_dword v2, v[2:3]
	s_waitcnt vmcnt(0) lgkmcnt(0)
	v_mul_f32_e32 v74, s28, v2
.LBB45_32:
	s_load_dwordx2 s[14:15], s[0:1], 0x78
	s_load_dword s6, s[0:1], 0x70
	v_add_u32_e32 v2, 8, v0
	v_add_f32_e32 v66, v66, v67
	v_ashrrev_i32_e32 v3, 31, v2
	s_waitcnt lgkmcnt(0)
	s_lshl_b64 s[0:1], s[14:15], 2
	s_add_u32 s0, s2, s0
	s_addc_u32 s1, s3, s1
	v_mad_i64_i32 v[70:71], s[2:3], v72, s6, 0
	v_lshl_add_u64 v[70:71], v[70:71], 2, s[0:1]
	v_add_f32_e32 v74, v66, v74
	v_lshl_add_u64 v[66:67], v[0:1], 2, v[70:71]
	s_and_b64 vcc, exec, s[4:5]
	flat_store_dword v[66:67], v74
	s_cbranch_vccnz .LBB45_34
; %bb.33:
	v_lshl_add_u64 v[66:67], v[2:3], 2, v[68:69]
	flat_load_dword v66, v[66:67]
	s_waitcnt vmcnt(0) lgkmcnt(0)
	v_mul_f32_e32 v73, s28, v66
.LBB45_34:
	v_add_f32_e32 v66, v64, v65
	v_add_u32_e32 v64, 16, v0
	v_add_f32_e32 v73, v66, v73
	v_lshl_add_u64 v[66:67], v[2:3], 2, v[70:71]
	v_ashrrev_i32_e32 v65, 31, v64
	flat_store_dword v[66:67], v73
	v_mov_b32_e32 v66, 0
	s_and_b64 vcc, exec, s[4:5]
	v_mov_b32_e32 v67, 0
	s_cbranch_vccnz .LBB45_36
; %bb.35:
	v_lshl_add_u64 v[74:75], v[64:65], 2, v[68:69]
	flat_load_dword v67, v[74:75]
	s_waitcnt vmcnt(0) lgkmcnt(0)
	v_mul_f32_e32 v67, s28, v67
.LBB45_36:
	v_add_f32_e32 v73, v62, v63
	v_add_u32_e32 v62, 24, v0
	v_ashrrev_i32_e32 v63, 31, v62
	v_add_f32_e32 v67, v73, v67
	v_lshl_add_u64 v[74:75], v[64:65], 2, v[70:71]
	s_and_b64 vcc, exec, s[4:5]
	flat_store_dword v[74:75], v67
	s_cbranch_vccnz .LBB45_38
; %bb.37:
	v_lshl_add_u64 v[66:67], v[62:63], 2, v[68:69]
	flat_load_dword v66, v[66:67]
	s_waitcnt vmcnt(0) lgkmcnt(0)
	v_mul_f32_e32 v66, s28, v66
.LBB45_38:
	v_add_f32_e32 v67, v60, v61
	v_add_u32_e32 v60, 32, v0
	v_add_f32_e32 v73, v67, v66
	v_lshl_add_u64 v[66:67], v[62:63], 2, v[70:71]
	v_ashrrev_i32_e32 v61, 31, v60
	flat_store_dword v[66:67], v73
	v_mov_b32_e32 v66, 0
	s_and_b64 vcc, exec, s[4:5]
	v_mov_b32_e32 v67, 0
	s_cbranch_vccnz .LBB45_40
; %bb.39:
	v_lshl_add_u64 v[74:75], v[60:61], 2, v[68:69]
	flat_load_dword v67, v[74:75]
	s_waitcnt vmcnt(0) lgkmcnt(0)
	v_mul_f32_e32 v67, s28, v67
.LBB45_40:
	v_add_f32_e32 v73, v58, v59
	v_add_u32_e32 v58, 40, v0
	v_ashrrev_i32_e32 v59, 31, v58
	;; [unrolled: 30-line block ×3, first 2 shown]
	v_add_f32_e32 v67, v73, v67
	v_lshl_add_u64 v[74:75], v[56:57], 2, v[70:71]
	s_and_b64 vcc, exec, s[4:5]
	flat_store_dword v[74:75], v67
	s_cbranch_vccnz .LBB45_46
; %bb.45:
	v_lshl_add_u64 v[66:67], v[54:55], 2, v[68:69]
	flat_load_dword v66, v[66:67]
	s_waitcnt vmcnt(0) lgkmcnt(0)
	v_mul_f32_e32 v66, s28, v66
.LBB45_46:
	v_add_f32_e32 v52, v52, v53
	v_add_f32_e32 v66, v52, v66
	v_lshl_add_u64 v[52:53], v[54:55], 2, v[70:71]
	flat_store_dword v[52:53], v66
	v_add_u32_e32 v66, 32, v72
	v_mad_i64_i32 v[52:53], s[2:3], v66, s12, 0
	v_lshl_add_u64 v[52:53], v[52:53], 2, s[10:11]
	v_mov_b32_e32 v68, 0
	s_and_b64 vcc, exec, s[4:5]
	v_mov_b32_e32 v69, 0
	s_cbranch_vccnz .LBB45_48
; %bb.47:
	v_lshl_add_u64 v[70:71], v[0:1], 2, v[52:53]
	flat_load_dword v67, v[70:71]
	s_waitcnt vmcnt(0) lgkmcnt(0)
	v_mul_f32_e32 v69, s28, v67
.LBB45_48:
	v_mad_i64_i32 v[66:67], s[2:3], v66, s6, 0
	v_lshl_add_u64 v[66:67], v[66:67], 2, s[0:1]
	v_add_f32_e32 v50, v50, v51
	v_add_f32_e32 v69, v50, v69
	v_lshl_add_u64 v[50:51], v[0:1], 2, v[66:67]
	s_and_b64 vcc, exec, s[4:5]
	flat_store_dword v[50:51], v69
	s_cbranch_vccnz .LBB45_50
; %bb.49:
	v_lshl_add_u64 v[50:51], v[2:3], 2, v[52:53]
	flat_load_dword v50, v[50:51]
	s_waitcnt vmcnt(0) lgkmcnt(0)
	v_mul_f32_e32 v68, s28, v50
.LBB45_50:
	v_add_f32_e32 v48, v48, v49
	v_add_f32_e32 v50, v48, v68
	v_lshl_add_u64 v[48:49], v[2:3], 2, v[66:67]
	flat_store_dword v[48:49], v50
	v_mov_b32_e32 v48, 0
	s_and_b64 vcc, exec, s[4:5]
	v_mov_b32_e32 v49, 0
	s_cbranch_vccnz .LBB45_52
; %bb.51:
	v_lshl_add_u64 v[50:51], v[64:65], 2, v[52:53]
	flat_load_dword v49, v[50:51]
	s_waitcnt vmcnt(0) lgkmcnt(0)
	v_mul_f32_e32 v49, s28, v49
.LBB45_52:
	v_add_f32_e32 v46, v46, v47
	v_add_f32_e32 v49, v46, v49
	v_lshl_add_u64 v[46:47], v[64:65], 2, v[66:67]
	s_and_b64 vcc, exec, s[4:5]
	flat_store_dword v[46:47], v49
	s_cbranch_vccnz .LBB45_54
; %bb.53:
	v_lshl_add_u64 v[46:47], v[62:63], 2, v[52:53]
	flat_load_dword v46, v[46:47]
	s_waitcnt vmcnt(0) lgkmcnt(0)
	v_mul_f32_e32 v48, s28, v46
.LBB45_54:
	v_add_f32_e32 v44, v44, v45
	v_add_f32_e32 v46, v44, v48
	v_lshl_add_u64 v[44:45], v[62:63], 2, v[66:67]
	flat_store_dword v[44:45], v46
	v_mov_b32_e32 v44, 0
	s_and_b64 vcc, exec, s[4:5]
	v_mov_b32_e32 v45, 0
	s_cbranch_vccnz .LBB45_56
; %bb.55:
	v_lshl_add_u64 v[46:47], v[60:61], 2, v[52:53]
	flat_load_dword v45, v[46:47]
	s_waitcnt vmcnt(0) lgkmcnt(0)
	v_mul_f32_e32 v45, s28, v45
.LBB45_56:
	;; [unrolled: 26-line block ×3, first 2 shown]
	v_add_f32_e32 v38, v38, v39
	v_add_f32_e32 v41, v38, v41
	v_lshl_add_u64 v[38:39], v[56:57], 2, v[66:67]
	s_and_b64 vcc, exec, s[4:5]
	flat_store_dword v[38:39], v41
	s_cbranch_vccnz .LBB45_62
; %bb.61:
	v_lshl_add_u64 v[38:39], v[54:55], 2, v[52:53]
	flat_load_dword v38, v[38:39]
	s_waitcnt vmcnt(0) lgkmcnt(0)
	v_mul_f32_e32 v40, s28, v38
.LBB45_62:
	v_add_f32_e32 v36, v36, v37
	v_add_f32_e32 v38, v36, v40
	v_lshl_add_u64 v[36:37], v[54:55], 2, v[66:67]
	flat_store_dword v[36:37], v38
	v_add_u32_e32 v38, 64, v72
	v_mad_i64_i32 v[36:37], s[2:3], v38, s12, 0
	v_lshl_add_u64 v[36:37], v[36:37], 2, s[10:11]
	v_mov_b32_e32 v40, 0
	s_and_b64 vcc, exec, s[4:5]
	v_mov_b32_e32 v41, 0
	s_cbranch_vccnz .LBB45_64
; %bb.63:
	v_lshl_add_u64 v[42:43], v[0:1], 2, v[36:37]
	flat_load_dword v39, v[42:43]
	s_waitcnt vmcnt(0) lgkmcnt(0)
	v_mul_f32_e32 v41, s28, v39
.LBB45_64:
	v_mad_i64_i32 v[38:39], s[2:3], v38, s6, 0
	v_lshl_add_u64 v[38:39], v[38:39], 2, s[0:1]
	v_add_f32_e32 v34, v34, v35
	v_add_f32_e32 v41, v34, v41
	v_lshl_add_u64 v[34:35], v[0:1], 2, v[38:39]
	s_and_b64 vcc, exec, s[4:5]
	flat_store_dword v[34:35], v41
	s_cbranch_vccnz .LBB45_66
; %bb.65:
	v_lshl_add_u64 v[34:35], v[2:3], 2, v[36:37]
	flat_load_dword v34, v[34:35]
	s_waitcnt vmcnt(0) lgkmcnt(0)
	v_mul_f32_e32 v40, s28, v34
.LBB45_66:
	v_add_f32_e32 v32, v32, v33
	v_add_f32_e32 v34, v32, v40
	v_lshl_add_u64 v[32:33], v[2:3], 2, v[38:39]
	flat_store_dword v[32:33], v34
	v_mov_b32_e32 v32, 0
	s_and_b64 vcc, exec, s[4:5]
	v_mov_b32_e32 v33, 0
	s_cbranch_vccnz .LBB45_68
; %bb.67:
	v_lshl_add_u64 v[34:35], v[64:65], 2, v[36:37]
	flat_load_dword v33, v[34:35]
	s_waitcnt vmcnt(0) lgkmcnt(0)
	v_mul_f32_e32 v33, s28, v33
.LBB45_68:
	v_add_f32_e32 v30, v30, v31
	v_add_f32_e32 v33, v30, v33
	v_lshl_add_u64 v[30:31], v[64:65], 2, v[38:39]
	s_and_b64 vcc, exec, s[4:5]
	flat_store_dword v[30:31], v33
	s_cbranch_vccnz .LBB45_70
; %bb.69:
	v_lshl_add_u64 v[30:31], v[62:63], 2, v[36:37]
	flat_load_dword v30, v[30:31]
	s_waitcnt vmcnt(0) lgkmcnt(0)
	v_mul_f32_e32 v32, s28, v30
.LBB45_70:
	v_add_f32_e32 v28, v28, v29
	v_add_f32_e32 v30, v28, v32
	v_lshl_add_u64 v[28:29], v[62:63], 2, v[38:39]
	flat_store_dword v[28:29], v30
	v_mov_b32_e32 v28, 0
	s_and_b64 vcc, exec, s[4:5]
	v_mov_b32_e32 v29, 0
	s_cbranch_vccnz .LBB45_72
; %bb.71:
	v_lshl_add_u64 v[30:31], v[60:61], 2, v[36:37]
	flat_load_dword v29, v[30:31]
	s_waitcnt vmcnt(0) lgkmcnt(0)
	v_mul_f32_e32 v29, s28, v29
.LBB45_72:
	;; [unrolled: 26-line block ×3, first 2 shown]
	v_add_f32_e32 v22, v22, v23
	v_add_f32_e32 v25, v22, v25
	v_lshl_add_u64 v[22:23], v[56:57], 2, v[38:39]
	s_and_b64 vcc, exec, s[4:5]
	flat_store_dword v[22:23], v25
	s_cbranch_vccnz .LBB45_78
; %bb.77:
	v_lshl_add_u64 v[22:23], v[54:55], 2, v[36:37]
	flat_load_dword v22, v[22:23]
	s_waitcnt vmcnt(0) lgkmcnt(0)
	v_mul_f32_e32 v24, s28, v22
.LBB45_78:
	v_add_f32_e32 v20, v20, v21
	v_add_f32_e32 v22, v20, v24
	v_lshl_add_u64 v[20:21], v[54:55], 2, v[38:39]
	flat_store_dword v[20:21], v22
	v_add_u32_e32 v22, 0x60, v72
	v_mad_i64_i32 v[20:21], s[2:3], v22, s12, 0
	v_lshl_add_u64 v[20:21], v[20:21], 2, s[10:11]
	v_mov_b32_e32 v24, 0
	s_and_b64 vcc, exec, s[4:5]
	v_mov_b32_e32 v25, 0
	s_cbranch_vccnz .LBB45_80
; %bb.79:
	v_lshl_add_u64 v[26:27], v[0:1], 2, v[20:21]
	flat_load_dword v23, v[26:27]
	s_waitcnt vmcnt(0) lgkmcnt(0)
	v_mul_f32_e32 v25, s28, v23
.LBB45_80:
	v_mad_i64_i32 v[22:23], s[2:3], v22, s6, 0
	v_lshl_add_u64 v[22:23], v[22:23], 2, s[0:1]
	v_add_f32_e32 v18, v18, v19
	v_add_f32_e32 v18, v18, v25
	v_lshl_add_u64 v[0:1], v[0:1], 2, v[22:23]
	s_and_b64 vcc, exec, s[4:5]
	flat_store_dword v[0:1], v18
	s_cbranch_vccnz .LBB45_82
; %bb.81:
	v_lshl_add_u64 v[0:1], v[2:3], 2, v[20:21]
	flat_load_dword v0, v[0:1]
	s_waitcnt vmcnt(0) lgkmcnt(0)
	v_mul_f32_e32 v24, s28, v0
.LBB45_82:
	v_add_f32_e32 v0, v16, v17
	v_add_f32_e32 v16, v0, v24
	v_lshl_add_u64 v[0:1], v[2:3], 2, v[22:23]
	flat_store_dword v[0:1], v16
	v_mov_b32_e32 v0, 0
	s_and_b64 vcc, exec, s[4:5]
	v_mov_b32_e32 v1, 0
	s_cbranch_vccnz .LBB45_84
; %bb.83:
	v_lshl_add_u64 v[2:3], v[64:65], 2, v[20:21]
	flat_load_dword v1, v[2:3]
	s_waitcnt vmcnt(0) lgkmcnt(0)
	v_mul_f32_e32 v1, s28, v1
.LBB45_84:
	v_add_f32_e32 v2, v14, v15
	v_add_f32_e32 v1, v2, v1
	v_lshl_add_u64 v[2:3], v[64:65], 2, v[22:23]
	s_and_b64 vcc, exec, s[4:5]
	flat_store_dword v[2:3], v1
	s_cbranch_vccnz .LBB45_86
; %bb.85:
	v_lshl_add_u64 v[0:1], v[62:63], 2, v[20:21]
	flat_load_dword v0, v[0:1]
	s_waitcnt vmcnt(0) lgkmcnt(0)
	v_mul_f32_e32 v0, s28, v0
.LBB45_86:
	v_add_f32_e32 v1, v12, v13
	v_add_f32_e32 v2, v1, v0
	v_lshl_add_u64 v[0:1], v[62:63], 2, v[22:23]
	flat_store_dword v[0:1], v2
	v_mov_b32_e32 v0, 0
	s_and_b64 vcc, exec, s[4:5]
	v_mov_b32_e32 v1, 0
	s_cbranch_vccnz .LBB45_88
; %bb.87:
	v_lshl_add_u64 v[2:3], v[60:61], 2, v[20:21]
	flat_load_dword v1, v[2:3]
	s_waitcnt vmcnt(0) lgkmcnt(0)
	v_mul_f32_e32 v1, s28, v1
.LBB45_88:
	v_add_f32_e32 v2, v10, v11
	v_add_f32_e32 v1, v2, v1
	v_lshl_add_u64 v[2:3], v[60:61], 2, v[22:23]
	s_and_b64 vcc, exec, s[4:5]
	flat_store_dword v[2:3], v1
	s_cbranch_vccnz .LBB45_90
; %bb.89:
	v_lshl_add_u64 v[0:1], v[58:59], 2, v[20:21]
	flat_load_dword v0, v[0:1]
	s_waitcnt vmcnt(0) lgkmcnt(0)
	v_mul_f32_e32 v0, s28, v0
.LBB45_90:
	v_add_f32_e32 v1, v8, v9
	v_add_f32_e32 v2, v1, v0
	v_lshl_add_u64 v[0:1], v[58:59], 2, v[22:23]
	flat_store_dword v[0:1], v2
	v_add_f32_e32 v0, v6, v7
	s_mov_b64 s[0:1], -1
	s_mov_b64 vcc, s[8:9]
	s_cbranch_vccz .LBB45_92
; %bb.91:
	v_add_f32_e32 v1, 0, v0
	v_lshl_add_u64 v[2:3], v[56:57], 2, v[22:23]
	flat_store_dword v[2:3], v1
	s_mov_b64 s[0:1], 0
.LBB45_92:
	s_andn2_b64 vcc, exec, s[0:1]
	v_mov_b32_e32 v1, 0
	s_cbranch_vccnz .LBB45_94
; %bb.93:
	v_lshlrev_b64 v[2:3], 2, v[56:57]
	v_lshl_add_u64 v[6:7], v[20:21], 0, v[2:3]
	flat_load_dword v1, v[6:7]
	v_lshl_add_u64 v[2:3], v[22:23], 0, v[2:3]
	s_waitcnt vmcnt(0) lgkmcnt(0)
	v_fmac_f32_e32 v0, s28, v1
	flat_store_dword v[2:3], v0
	v_lshl_add_u64 v[0:1], v[54:55], 2, v[20:21]
	flat_load_dword v0, v[0:1]
	s_waitcnt vmcnt(0) lgkmcnt(0)
	v_mul_f32_e32 v1, s28, v0
.LBB45_94:
	v_add_f32_e32 v0, v4, v5
	v_add_f32_e32 v2, v0, v1
	v_lshl_add_u64 v[0:1], v[54:55], 2, v[22:23]
	flat_store_dword v[0:1], v2
	s_endpgm
	.section	.rodata,"a",@progbits
	.p2align	6, 0x0
	.amdhsa_kernel _ZN12_GLOBAL__N_120geam_min_plus_kernelIf15HIP_vector_typeIfLj2EES2_Li8ELi32ELi64ELi128ELi4ELi4ELi64ELi64ELi4ELc84ELc84ELb0ELb0ELb0EPKfKS4_KPfEEviiiT16_PT17_ilSA_ilS8_SA_ilPT18_ili26rocblas_geam_ex_operation_
		.amdhsa_group_segment_fixed_size 6144
		.amdhsa_private_segment_fixed_size 0
		.amdhsa_kernarg_size 136
		.amdhsa_user_sgpr_count 2
		.amdhsa_user_sgpr_dispatch_ptr 0
		.amdhsa_user_sgpr_queue_ptr 0
		.amdhsa_user_sgpr_kernarg_segment_ptr 1
		.amdhsa_user_sgpr_dispatch_id 0
		.amdhsa_user_sgpr_kernarg_preload_length 0
		.amdhsa_user_sgpr_kernarg_preload_offset 0
		.amdhsa_user_sgpr_private_segment_size 0
		.amdhsa_uses_dynamic_stack 0
		.amdhsa_enable_private_segment 0
		.amdhsa_system_sgpr_workgroup_id_x 1
		.amdhsa_system_sgpr_workgroup_id_y 0
		.amdhsa_system_sgpr_workgroup_id_z 1
		.amdhsa_system_sgpr_workgroup_info 0
		.amdhsa_system_vgpr_workitem_id 1
		.amdhsa_next_free_vgpr 112
		.amdhsa_next_free_sgpr 29
		.amdhsa_accum_offset 112
		.amdhsa_reserve_vcc 1
		.amdhsa_float_round_mode_32 0
		.amdhsa_float_round_mode_16_64 0
		.amdhsa_float_denorm_mode_32 3
		.amdhsa_float_denorm_mode_16_64 3
		.amdhsa_dx10_clamp 1
		.amdhsa_ieee_mode 1
		.amdhsa_fp16_overflow 0
		.amdhsa_tg_split 0
		.amdhsa_exception_fp_ieee_invalid_op 0
		.amdhsa_exception_fp_denorm_src 0
		.amdhsa_exception_fp_ieee_div_zero 0
		.amdhsa_exception_fp_ieee_overflow 0
		.amdhsa_exception_fp_ieee_underflow 0
		.amdhsa_exception_fp_ieee_inexact 0
		.amdhsa_exception_int_div_zero 0
	.end_amdhsa_kernel
	.section	.text._ZN12_GLOBAL__N_120geam_min_plus_kernelIf15HIP_vector_typeIfLj2EES2_Li8ELi32ELi64ELi128ELi4ELi4ELi64ELi64ELi4ELc84ELc84ELb0ELb0ELb0EPKfKS4_KPfEEviiiT16_PT17_ilSA_ilS8_SA_ilPT18_ili26rocblas_geam_ex_operation_,"axG",@progbits,_ZN12_GLOBAL__N_120geam_min_plus_kernelIf15HIP_vector_typeIfLj2EES2_Li8ELi32ELi64ELi128ELi4ELi4ELi64ELi64ELi4ELc84ELc84ELb0ELb0ELb0EPKfKS4_KPfEEviiiT16_PT17_ilSA_ilS8_SA_ilPT18_ili26rocblas_geam_ex_operation_,comdat
.Lfunc_end45:
	.size	_ZN12_GLOBAL__N_120geam_min_plus_kernelIf15HIP_vector_typeIfLj2EES2_Li8ELi32ELi64ELi128ELi4ELi4ELi64ELi64ELi4ELc84ELc84ELb0ELb0ELb0EPKfKS4_KPfEEviiiT16_PT17_ilSA_ilS8_SA_ilPT18_ili26rocblas_geam_ex_operation_, .Lfunc_end45-_ZN12_GLOBAL__N_120geam_min_plus_kernelIf15HIP_vector_typeIfLj2EES2_Li8ELi32ELi64ELi128ELi4ELi4ELi64ELi64ELi4ELc84ELc84ELb0ELb0ELb0EPKfKS4_KPfEEviiiT16_PT17_ilSA_ilS8_SA_ilPT18_ili26rocblas_geam_ex_operation_
                                        ; -- End function
	.set _ZN12_GLOBAL__N_120geam_min_plus_kernelIf15HIP_vector_typeIfLj2EES2_Li8ELi32ELi64ELi128ELi4ELi4ELi64ELi64ELi4ELc84ELc84ELb0ELb0ELb0EPKfKS4_KPfEEviiiT16_PT17_ilSA_ilS8_SA_ilPT18_ili26rocblas_geam_ex_operation_.num_vgpr, 112
	.set _ZN12_GLOBAL__N_120geam_min_plus_kernelIf15HIP_vector_typeIfLj2EES2_Li8ELi32ELi64ELi128ELi4ELi4ELi64ELi64ELi4ELc84ELc84ELb0ELb0ELb0EPKfKS4_KPfEEviiiT16_PT17_ilSA_ilS8_SA_ilPT18_ili26rocblas_geam_ex_operation_.num_agpr, 0
	.set _ZN12_GLOBAL__N_120geam_min_plus_kernelIf15HIP_vector_typeIfLj2EES2_Li8ELi32ELi64ELi128ELi4ELi4ELi64ELi64ELi4ELc84ELc84ELb0ELb0ELb0EPKfKS4_KPfEEviiiT16_PT17_ilSA_ilS8_SA_ilPT18_ili26rocblas_geam_ex_operation_.numbered_sgpr, 29
	.set _ZN12_GLOBAL__N_120geam_min_plus_kernelIf15HIP_vector_typeIfLj2EES2_Li8ELi32ELi64ELi128ELi4ELi4ELi64ELi64ELi4ELc84ELc84ELb0ELb0ELb0EPKfKS4_KPfEEviiiT16_PT17_ilSA_ilS8_SA_ilPT18_ili26rocblas_geam_ex_operation_.num_named_barrier, 0
	.set _ZN12_GLOBAL__N_120geam_min_plus_kernelIf15HIP_vector_typeIfLj2EES2_Li8ELi32ELi64ELi128ELi4ELi4ELi64ELi64ELi4ELc84ELc84ELb0ELb0ELb0EPKfKS4_KPfEEviiiT16_PT17_ilSA_ilS8_SA_ilPT18_ili26rocblas_geam_ex_operation_.private_seg_size, 0
	.set _ZN12_GLOBAL__N_120geam_min_plus_kernelIf15HIP_vector_typeIfLj2EES2_Li8ELi32ELi64ELi128ELi4ELi4ELi64ELi64ELi4ELc84ELc84ELb0ELb0ELb0EPKfKS4_KPfEEviiiT16_PT17_ilSA_ilS8_SA_ilPT18_ili26rocblas_geam_ex_operation_.uses_vcc, 1
	.set _ZN12_GLOBAL__N_120geam_min_plus_kernelIf15HIP_vector_typeIfLj2EES2_Li8ELi32ELi64ELi128ELi4ELi4ELi64ELi64ELi4ELc84ELc84ELb0ELb0ELb0EPKfKS4_KPfEEviiiT16_PT17_ilSA_ilS8_SA_ilPT18_ili26rocblas_geam_ex_operation_.uses_flat_scratch, 0
	.set _ZN12_GLOBAL__N_120geam_min_plus_kernelIf15HIP_vector_typeIfLj2EES2_Li8ELi32ELi64ELi128ELi4ELi4ELi64ELi64ELi4ELc84ELc84ELb0ELb0ELb0EPKfKS4_KPfEEviiiT16_PT17_ilSA_ilS8_SA_ilPT18_ili26rocblas_geam_ex_operation_.has_dyn_sized_stack, 0
	.set _ZN12_GLOBAL__N_120geam_min_plus_kernelIf15HIP_vector_typeIfLj2EES2_Li8ELi32ELi64ELi128ELi4ELi4ELi64ELi64ELi4ELc84ELc84ELb0ELb0ELb0EPKfKS4_KPfEEviiiT16_PT17_ilSA_ilS8_SA_ilPT18_ili26rocblas_geam_ex_operation_.has_recursion, 0
	.set _ZN12_GLOBAL__N_120geam_min_plus_kernelIf15HIP_vector_typeIfLj2EES2_Li8ELi32ELi64ELi128ELi4ELi4ELi64ELi64ELi4ELc84ELc84ELb0ELb0ELb0EPKfKS4_KPfEEviiiT16_PT17_ilSA_ilS8_SA_ilPT18_ili26rocblas_geam_ex_operation_.has_indirect_call, 0
	.section	.AMDGPU.csdata,"",@progbits
; Kernel info:
; codeLenInByte = 6656
; TotalNumSgprs: 35
; NumVgprs: 112
; NumAgprs: 0
; TotalNumVgprs: 112
; ScratchSize: 0
; MemoryBound: 0
; FloatMode: 240
; IeeeMode: 1
; LDSByteSize: 6144 bytes/workgroup (compile time only)
; SGPRBlocks: 4
; VGPRBlocks: 13
; NumSGPRsForWavesPerEU: 35
; NumVGPRsForWavesPerEU: 112
; AccumOffset: 112
; Occupancy: 4
; WaveLimiterHint : 1
; COMPUTE_PGM_RSRC2:SCRATCH_EN: 0
; COMPUTE_PGM_RSRC2:USER_SGPR: 2
; COMPUTE_PGM_RSRC2:TRAP_HANDLER: 0
; COMPUTE_PGM_RSRC2:TGID_X_EN: 1
; COMPUTE_PGM_RSRC2:TGID_Y_EN: 0
; COMPUTE_PGM_RSRC2:TGID_Z_EN: 1
; COMPUTE_PGM_RSRC2:TIDIG_COMP_CNT: 1
; COMPUTE_PGM_RSRC3_GFX90A:ACCUM_OFFSET: 27
; COMPUTE_PGM_RSRC3_GFX90A:TG_SPLIT: 0
	.section	.text._ZN12_GLOBAL__N_120geam_min_plus_kernelIf15HIP_vector_typeIfLj2EES2_Li8ELi32ELi64ELi128ELi4ELi4ELi64ELi64ELi4ELc84ELc84ELb1ELb0ELb0EfKPKfKPfEEviiiT16_PT17_ilSA_ilS8_SA_ilPT18_ili26rocblas_geam_ex_operation_,"axG",@progbits,_ZN12_GLOBAL__N_120geam_min_plus_kernelIf15HIP_vector_typeIfLj2EES2_Li8ELi32ELi64ELi128ELi4ELi4ELi64ELi64ELi4ELc84ELc84ELb1ELb0ELb0EfKPKfKPfEEviiiT16_PT17_ilSA_ilS8_SA_ilPT18_ili26rocblas_geam_ex_operation_,comdat
	.globl	_ZN12_GLOBAL__N_120geam_min_plus_kernelIf15HIP_vector_typeIfLj2EES2_Li8ELi32ELi64ELi128ELi4ELi4ELi64ELi64ELi4ELc84ELc84ELb1ELb0ELb0EfKPKfKPfEEviiiT16_PT17_ilSA_ilS8_SA_ilPT18_ili26rocblas_geam_ex_operation_ ; -- Begin function _ZN12_GLOBAL__N_120geam_min_plus_kernelIf15HIP_vector_typeIfLj2EES2_Li8ELi32ELi64ELi128ELi4ELi4ELi64ELi64ELi4ELc84ELc84ELb1ELb0ELb0EfKPKfKPfEEviiiT16_PT17_ilSA_ilS8_SA_ilPT18_ili26rocblas_geam_ex_operation_
	.p2align	8
	.type	_ZN12_GLOBAL__N_120geam_min_plus_kernelIf15HIP_vector_typeIfLj2EES2_Li8ELi32ELi64ELi128ELi4ELi4ELi64ELi64ELi4ELc84ELc84ELb1ELb0ELb0EfKPKfKPfEEviiiT16_PT17_ilSA_ilS8_SA_ilPT18_ili26rocblas_geam_ex_operation_,@function
_ZN12_GLOBAL__N_120geam_min_plus_kernelIf15HIP_vector_typeIfLj2EES2_Li8ELi32ELi64ELi128ELi4ELi4ELi64ELi64ELi4ELc84ELc84ELb1ELb0ELb0EfKPKfKPfEEviiiT16_PT17_ilSA_ilS8_SA_ilPT18_ili26rocblas_geam_ex_operation_: ; @_ZN12_GLOBAL__N_120geam_min_plus_kernelIf15HIP_vector_typeIfLj2EES2_Li8ELi32ELi64ELi128ELi4ELi4ELi64ELi64ELi4ELc84ELc84ELb1ELb0ELb0EfKPKfKPfEEviiiT16_PT17_ilSA_ilS8_SA_ilPT18_ili26rocblas_geam_ex_operation_
; %bb.0:
	s_load_dwordx2 s[14:15], s[0:1], 0x8
	s_load_dwordx4 s[4:7], s[0:1], 0x20
	s_mov_b32 s8, s3
	s_mov_b32 s9, 0
	s_waitcnt lgkmcnt(0)
	v_cmp_eq_f32_e64 s[10:11], s15, 0
	s_and_b64 vcc, exec, s[10:11]
	s_cbranch_vccnz .LBB46_3
; %bb.1:
	s_load_dwordx2 s[12:13], s[0:1], 0x10
	s_lshl_b64 s[16:17], s[8:9], 3
	s_waitcnt lgkmcnt(0)
	s_add_u32 s12, s12, s16
	s_addc_u32 s13, s13, s17
	s_load_dwordx2 s[12:13], s[12:13], 0x0
	s_lshl_b64 s[4:5], s[4:5], 2
	s_waitcnt lgkmcnt(0)
	s_add_u32 s16, s12, s4
	s_addc_u32 s17, s13, s5
	s_andn2_b64 vcc, exec, s[10:11]
	s_cbranch_vccnz .LBB46_4
.LBB46_2:
	s_mov_b32 s19, 0
	s_mov_b32 s18, s8
	s_mov_b64 s[12:13], 0
	s_mov_b64 s[4:5], 0
	s_cbranch_execz .LBB46_5
	s_branch .LBB46_6
.LBB46_3:
	s_mov_b64 s[16:17], 0
	s_andn2_b64 vcc, exec, s[10:11]
	s_cbranch_vccz .LBB46_2
.LBB46_4:
	s_mov_b64 s[18:19], s[8:9]
	s_mov_b64 s[12:13], 0
	;; [unrolled: 1-line block ×3, first 2 shown]
.LBB46_5:
	s_lshl_b64 s[8:9], s[8:9], 3
	s_add_u32 s6, s6, s8
	s_load_dwordx2 s[4:5], s[0:1], 0x38
	s_addc_u32 s7, s7, s9
	s_load_dwordx2 s[6:7], s[6:7], 0x0
	s_waitcnt lgkmcnt(0)
	s_lshl_b64 s[4:5], s[4:5], 2
	s_add_u32 s4, s6, s4
	s_addc_u32 s5, s7, s5
.LBB46_6:
	s_load_dword s15, s[0:1], 0x40
	s_load_dwordx4 s[8:11], s[0:1], 0x58
	s_mov_b32 s22, 0
	s_waitcnt lgkmcnt(0)
	v_cmp_eq_f32_e64 s[6:7], s15, 0
	s_and_b64 s[6:7], exec, s[6:7]
	s_mov_b64 vcc, s[6:7]
	s_cbranch_vccnz .LBB46_8
; %bb.7:
	s_load_dwordx2 s[12:13], s[0:1], 0x48
	s_lshl_b64 s[20:21], s[18:19], 3
	s_waitcnt lgkmcnt(0)
	s_add_u32 s12, s12, s20
	s_addc_u32 s13, s13, s21
	s_load_dwordx2 s[12:13], s[12:13], 0x0
	s_lshl_b64 s[8:9], s[8:9], 2
	s_waitcnt lgkmcnt(0)
	s_add_u32 s12, s12, s8
	s_addc_u32 s13, s13, s9
.LBB46_8:
	s_load_dword s20, s[0:1], 0x30
	s_load_dword s3, s[0:1], 0x0
	;; [unrolled: 1-line block ×3, first 2 shown]
	s_lshl_b64 s[8:9], s[18:19], 3
	v_and_b32_e32 v76, 0x3ff, v0
	s_waitcnt lgkmcnt(0)
	s_ashr_i32 s21, s20, 31
	s_add_u32 s8, s10, s8
	s_addc_u32 s9, s11, s9
	s_add_i32 s3, s3, -1
	s_ashr_i32 s10, s3, 31
	s_lshr_b32 s10, s10, 26
	s_add_i32 s3, s3, s10
	s_ashr_i32 s3, s3, 6
	s_add_i32 s10, s3, 1
	v_cvt_f32_u32_e32 v1, s10
	s_not_b32 s3, s3
	v_bfe_u32 v77, v0, 10, 10
	v_and_b32_e32 v78, 3, v0
	v_rcp_iflag_f32_e32 v1, v1
	v_lshl_add_u32 v0, v77, 3, v76
	v_lshrrev_b32_e32 v6, 2, v0
	v_and_b32_e32 v72, 63, v0
	v_mul_f32_e32 v1, 0x4f7ffffe, v1
	v_cvt_u32_f32_e32 v1, v1
	v_lshrrev_b32_e32 v79, 6, v0
	v_add_u32_e32 v80, 4, v79
	v_lshlrev_b32_e32 v62, 2, v78
	v_readfirstlane_b32 s11, v1
	s_mul_i32 s3, s3, s11
	s_mul_hi_u32 s3, s11, s3
	s_add_i32 s11, s11, s3
	s_mul_hi_u32 s3, s2, s11
	s_mul_i32 s11, s3, s10
	s_sub_i32 s11, s2, s11
	s_add_i32 s18, s3, 1
	s_sub_i32 s19, s11, s10
	s_cmp_ge_u32 s11, s10
	s_cselect_b32 s3, s18, s3
	s_cselect_b32 s11, s19, s11
	s_add_i32 s18, s3, 1
	s_cmp_ge_u32 s11, s10
	s_cselect_b32 s3, s18, s3
	s_mul_i32 s10, s3, s10
	s_sub_i32 s2, s2, s10
	s_lshl_b32 s18, s2, 6
	s_lshl_b32 s19, s3, 7
	v_add_u32_e32 v0, s18, v6
	v_mad_i64_i32 v[0:1], s[2:3], v0, s23, 0
	v_or_b32_e32 v70, s19, v72
	v_lshl_add_u64 v[68:69], v[0:1], 2, s[16:17]
	v_mad_i64_i32 v[0:1], s[2:3], s20, v79, 0
	v_ashrrev_i32_e32 v71, 31, v70
	v_lshl_add_u64 v[0:1], v[0:1], 2, s[4:5]
	v_lshlrev_b64 v[2:3], 2, v[70:71]
	v_mad_i64_i32 v[4:5], s[2:3], s20, v80, 0
	v_lshl_add_u64 v[0:1], v[0:1], 0, v[2:3]
	v_mov_b32_e32 v63, 0
	v_lshl_add_u64 v[4:5], v[4:5], 2, s[4:5]
	flat_load_dword v7, v[0:1]
	flat_load_dword v8, v[0:1] offset:256
	v_lshl_add_u64 v[0:1], v[68:69], 0, v[62:63]
	v_lshl_add_u64 v[2:3], v[4:5], 0, v[2:3]
	flat_load_dword v9, v[0:1]
	flat_load_dword v73, v[2:3]
	flat_load_dword v74, v[2:3] offset:256
	flat_load_dword v75, v[0:1] offset:16
	s_load_dwordx2 s[8:9], s[8:9], 0x0
	v_mov_b32_e32 v0, 0x1000
	v_lshl_add_u32 v81, v76, 4, v0
	v_lshlrev_b32_e32 v0, 4, v72
	v_lshl_or_b32 v85, v6, 4, v62
	v_lshl_add_u32 v82, v79, 2, v0
	v_cmp_neq_f32_e64 s[2:3], s15, 0
	s_mov_b64 s[10:11], -1
	v_mov_b32_e32 v66, v63
	v_mov_b32_e32 v67, v63
	v_mov_b32_e32 v64, v63
	v_mov_b32_e32 v65, v63
	v_mov_b32_e32 v60, v63
	v_mov_b32_e32 v61, v63
	v_mov_b32_e32 v58, v63
	v_mov_b32_e32 v59, v63
	v_mov_b32_e32 v56, v63
	v_mov_b32_e32 v57, v63
	v_mov_b32_e32 v54, v63
	v_mov_b32_e32 v55, v63
	v_mov_b32_e32 v52, v63
	v_mov_b32_e32 v53, v63
	v_mov_b32_e32 v50, v63
	v_mov_b32_e32 v51, v63
	v_mov_b32_e32 v48, v63
	v_mov_b32_e32 v49, v63
	v_mov_b32_e32 v46, v63
	v_mov_b32_e32 v47, v63
	v_mov_b32_e32 v44, v63
	v_mov_b32_e32 v45, v63
	v_mov_b32_e32 v42, v63
	v_mov_b32_e32 v43, v63
	v_mov_b32_e32 v40, v63
	v_mov_b32_e32 v41, v63
	v_mov_b32_e32 v38, v63
	v_mov_b32_e32 v39, v63
	v_mov_b32_e32 v36, v63
	v_mov_b32_e32 v37, v63
	v_mov_b32_e32 v34, v63
	v_mov_b32_e32 v35, v63
	v_mov_b32_e32 v32, v63
	v_mov_b32_e32 v33, v63
	v_mov_b32_e32 v30, v63
	v_mov_b32_e32 v31, v63
	v_mov_b32_e32 v28, v63
	v_mov_b32_e32 v29, v63
	v_mov_b32_e32 v26, v63
	v_mov_b32_e32 v27, v63
	v_mov_b32_e32 v24, v63
	v_mov_b32_e32 v25, v63
	v_mov_b32_e32 v22, v63
	v_mov_b32_e32 v23, v63
	v_mov_b32_e32 v62, v63
	v_mov_b32_e32 v20, v63
	v_mov_b32_e32 v21, v63
	v_mov_b32_e32 v18, v63
	v_mov_b32_e32 v19, v63
	v_mov_b32_e32 v16, v63
	v_mov_b32_e32 v17, v63
	v_mov_b32_e32 v14, v63
	v_mov_b32_e32 v15, v63
	s_waitcnt vmcnt(0) lgkmcnt(0)
	ds_write2st64_b32 v82, v7, v8 offset1:4
	ds_write_b32 v85, v9 offset:4096
	v_mov_b32_e32 v12, v63
	v_mov_b32_e32 v13, v63
	;; [unrolled: 1-line block ×10, first 2 shown]
	v_add_u32_e32 v83, 0x1000, v85
	v_lshlrev_b32_e32 v84, 4, v77
	s_waitcnt lgkmcnt(0)
	s_barrier
.LBB46_9:                               ; =>This Inner Loop Header: Depth=1
	v_cndmask_b32_e64 v0, 0, 1, s[10:11]
	s_lshl_b32 s10, s22, 2
	v_cmp_ne_u32_e32 vcc, 1, v0
	v_add_u32_e32 v0, s10, v81
	ds_read2_b64 v[86:89], v0 offset1:16
	ds_read2_b64 v[90:93], v0 offset0:32 offset1:48
	ds_read2_b64 v[94:97], v0 offset0:64 offset1:80
	;; [unrolled: 1-line block ×3, first 2 shown]
	v_add_u32_e32 v0, s10, v84
	ds_read2st64_b64 v[102:105], v0 offset1:1
	ds_read2st64_b64 v[0:3], v0 offset0:2 offset1:3
	s_waitcnt lgkmcnt(5)
	v_max_f32_e32 v106, v86, v86
	v_max_f32_e32 v107, v87, v87
	;; [unrolled: 1-line block ×3, first 2 shown]
	s_waitcnt lgkmcnt(1)
	v_max_f32_e32 v102, v102, v102
	v_max_f32_e32 v103, v103, v103
	v_min_f32_e32 v86, v106, v102
	v_min_f32_e32 v87, v107, v103
	v_max_f32_e32 v89, v89, v89
	v_pk_add_f32 v[62:63], v[86:87], v[62:63]
	v_min_f32_e32 v86, v88, v102
	v_min_f32_e32 v87, v89, v103
	v_max_f32_e32 v90, v90, v90
	v_max_f32_e32 v91, v91, v91
	v_pk_add_f32 v[66:67], v[86:87], v[66:67]
	v_min_f32_e32 v86, v90, v102
	v_min_f32_e32 v87, v91, v103
	v_max_f32_e32 v92, v92, v92
	;; [unrolled: 5-line block ×7, first 2 shown]
	v_max_f32_e32 v103, v105, v105
	v_pk_add_f32 v[52:53], v[86:87], v[52:53]
	v_min_f32_e32 v86, v106, v102
	v_min_f32_e32 v87, v107, v103
	v_pk_add_f32 v[50:51], v[86:87], v[50:51]
	v_min_f32_e32 v86, v88, v102
	v_min_f32_e32 v87, v89, v103
	;; [unrolled: 3-line block ×8, first 2 shown]
	v_pk_add_f32 v[36:37], v[86:87], v[36:37]
	s_waitcnt lgkmcnt(0)
	v_max_f32_e32 v86, v0, v0
	v_max_f32_e32 v87, v1, v1
	v_min_f32_e32 v0, v106, v86
	v_min_f32_e32 v1, v107, v87
	v_pk_add_f32 v[34:35], v[0:1], v[34:35]
	v_min_f32_e32 v0, v88, v86
	v_min_f32_e32 v1, v89, v87
	v_pk_add_f32 v[32:33], v[0:1], v[32:33]
	;; [unrolled: 3-line block ×7, first 2 shown]
	v_min_f32_e32 v0, v100, v86
	v_min_f32_e32 v1, v101, v87
	v_max_f32_e32 v2, v2, v2
	v_max_f32_e32 v3, v3, v3
	v_pk_add_f32 v[20:21], v[0:1], v[20:21]
	v_min_f32_e32 v0, v106, v2
	v_min_f32_e32 v1, v107, v3
	v_pk_add_f32 v[18:19], v[0:1], v[18:19]
	v_min_f32_e32 v0, v88, v2
	v_min_f32_e32 v1, v89, v3
	;; [unrolled: 3-line block ×8, first 2 shown]
	v_pk_add_f32 v[4:5], v[0:1], v[4:5]
	s_mov_b64 s[10:11], 0
	s_mov_b32 s22, 2
	s_cbranch_vccz .LBB46_9
; %bb.10:
	v_lshlrev_b32_e32 v0, 2, v79
	v_lshl_add_u32 v0, v72, 4, v0
	s_cmp_lt_i32 s14, 9
	ds_write_b32 v85, v75 offset:5120
	ds_write2st64_b32 v0, v73, v74 offset0:8 offset1:12
	s_waitcnt lgkmcnt(0)
	s_barrier
	s_cbranch_scc1 .LBB46_17
; %bb.11:
	v_or_b32_e32 v86, 0x800, v0
	v_mov_b32_e32 v0, 0x1400
	v_lshl_add_u32 v87, v76, 4, v0
	v_mov_b32_e32 v0, 0x800
	v_add_u32_e32 v85, 0x1400, v85
	s_add_i32 s10, s14, -8
	v_lshl_add_u32 v88, v77, 4, v0
	v_lshl_add_u64 v[70:71], v[70:71], 2, s[4:5]
	s_mov_b32 s11, 8
	s_mov_b32 s14, 0
	v_mov_b32_e32 v73, 0
.LBB46_12:                              ; =>This Loop Header: Depth=1
                                        ;     Child Loop BB46_13 Depth 2
                                        ;     Child Loop BB46_15 Depth 2
	v_add_u32_e32 v3, s11, v79
	v_mad_u64_u32 v[0:1], s[4:5], v3, s20, 0
	v_mov_b32_e32 v2, v1
	v_mad_u64_u32 v[2:3], s[4:5], v3, s21, v[2:3]
	v_or_b32_e32 v72, s11, v78
	v_mov_b32_e32 v1, v2
	v_lshl_add_u64 v[74:75], v[72:73], 2, v[68:69]
	v_lshl_add_u64 v[0:1], v[0:1], 2, v[70:71]
	flat_load_dword v72, v[74:75]
	flat_load_dword v89, v[0:1]
	flat_load_dword v90, v[0:1] offset:256
	s_mov_b64 s[4:5], -1
	s_mov_b32 s16, 0
.LBB46_13:                              ;   Parent Loop BB46_12 Depth=1
                                        ; =>  This Inner Loop Header: Depth=2
	v_cndmask_b32_e64 v0, 0, 1, s[4:5]
	s_lshl_b32 s4, s16, 2
	v_cmp_ne_u32_e32 vcc, 1, v0
	v_add_u32_e32 v0, s4, v87
	ds_read2_b64 v[92:95], v0 offset1:16
	ds_read2_b64 v[96:99], v0 offset0:32 offset1:48
	ds_read2_b64 v[100:103], v0 offset0:64 offset1:80
	;; [unrolled: 1-line block ×3, first 2 shown]
	v_add_u32_e32 v0, s4, v88
	ds_read2st64_b64 v[108:111], v0 offset1:1
	ds_read2st64_b64 v[0:3], v0 offset0:2 offset1:3
	s_waitcnt lgkmcnt(0)
	v_max_f32_e32 v112, v93, v93
	v_max_f32_e32 v94, v94, v94
	;; [unrolled: 1-line block ×6, first 2 shown]
	v_min_f32_e32 v92, v108, v91
	v_min_f32_e32 v93, v112, v109
	v_pk_add_f32 v[62:63], v[92:93], v[62:63]
	v_min_f32_e32 v92, v94, v91
	v_min_f32_e32 v93, v95, v109
	v_max_f32_e32 v96, v96, v96
	v_max_f32_e32 v97, v97, v97
	v_pk_add_f32 v[66:67], v[92:93], v[66:67]
	v_min_f32_e32 v92, v96, v91
	v_min_f32_e32 v93, v97, v109
	v_max_f32_e32 v98, v98, v98
	v_max_f32_e32 v99, v99, v99
	;; [unrolled: 5-line block ×5, first 2 shown]
	v_pk_add_f32 v[56:57], v[92:93], v[56:57]
	v_min_f32_e32 v92, v104, v91
	v_min_f32_e32 v93, v105, v109
	v_max_f32_e32 v106, v106, v106
	v_pk_add_f32 v[54:55], v[92:93], v[54:55]
	v_min_f32_e32 v92, v106, v91
	v_max_f32_e32 v91, v107, v107
	v_min_f32_e32 v93, v91, v109
	v_max_f32_e32 v107, v110, v110
	v_max_f32_e32 v109, v111, v111
	v_pk_add_f32 v[52:53], v[92:93], v[52:53]
	v_min_f32_e32 v92, v108, v107
	v_min_f32_e32 v93, v112, v109
	v_pk_add_f32 v[50:51], v[92:93], v[50:51]
	v_min_f32_e32 v92, v94, v107
	v_min_f32_e32 v93, v95, v109
	;; [unrolled: 3-line block ×8, first 2 shown]
	v_pk_add_f32 v[36:37], v[92:93], v[36:37]
	v_max_f32_e32 v92, v0, v0
	v_max_f32_e32 v93, v1, v1
	v_min_f32_e32 v0, v108, v92
	v_min_f32_e32 v1, v112, v93
	v_pk_add_f32 v[34:35], v[0:1], v[34:35]
	v_min_f32_e32 v0, v94, v92
	v_min_f32_e32 v1, v95, v93
	v_pk_add_f32 v[32:33], v[0:1], v[32:33]
	;; [unrolled: 3-line block ×7, first 2 shown]
	v_min_f32_e32 v0, v106, v92
	v_min_f32_e32 v1, v91, v93
	v_max_f32_e32 v2, v2, v2
	v_max_f32_e32 v3, v3, v3
	v_pk_add_f32 v[20:21], v[0:1], v[20:21]
	v_min_f32_e32 v0, v108, v2
	v_min_f32_e32 v1, v112, v3
	v_pk_add_f32 v[18:19], v[0:1], v[18:19]
	v_min_f32_e32 v0, v94, v2
	v_min_f32_e32 v1, v95, v3
	;; [unrolled: 3-line block ×8, first 2 shown]
	v_pk_add_f32 v[4:5], v[0:1], v[4:5]
	s_mov_b64 s[4:5], 0
	s_mov_b32 s16, 2
	s_cbranch_vccz .LBB46_13
; %bb.14:                               ;   in Loop: Header=BB46_12 Depth=1
	v_add_u32_e32 v3, s11, v80
	v_mad_u64_u32 v[0:1], s[4:5], v3, s20, 0
	v_mov_b32_e32 v2, v1
	v_mad_u64_u32 v[2:3], s[4:5], v3, s21, v[2:3]
	v_mov_b32_e32 v1, v2
	v_lshl_add_u64 v[0:1], v[0:1], 2, v[70:71]
	s_waitcnt vmcnt(0)
	ds_write_b32 v83, v72
	ds_write2st64_b32 v82, v89, v90 offset1:4
	s_waitcnt lgkmcnt(0)
	s_barrier
	flat_load_dword v72, v[74:75] offset:16
	s_nop 0
	flat_load_dword v74, v[0:1]
	flat_load_dword v75, v[0:1] offset:256
	s_mov_b32 s16, 0
	s_mov_b64 s[4:5], -1
.LBB46_15:                              ;   Parent Loop BB46_12 Depth=1
                                        ; =>  This Inner Loop Header: Depth=2
	v_cndmask_b32_e64 v0, 0, 1, s[4:5]
	s_lshl_b32 s4, s16, 2
	v_cmp_ne_u32_e32 vcc, 1, v0
	v_add_u32_e32 v0, s4, v81
	ds_read2_b64 v[90:93], v0 offset1:16
	ds_read2_b64 v[94:97], v0 offset0:32 offset1:48
	ds_read2_b64 v[98:101], v0 offset0:64 offset1:80
	;; [unrolled: 1-line block ×3, first 2 shown]
	v_add_u32_e32 v0, s4, v84
	ds_read2st64_b64 v[106:109], v0 offset1:1
	ds_read2st64_b64 v[0:3], v0 offset0:2 offset1:3
	s_waitcnt lgkmcnt(0)
	v_max_f32_e32 v110, v91, v91
	v_max_f32_e32 v92, v92, v92
	v_max_f32_e32 v93, v93, v93
	v_max_f32_e32 v89, v106, v106
	v_max_f32_e32 v106, v90, v90
	v_max_f32_e32 v107, v107, v107
	v_min_f32_e32 v90, v106, v89
	v_min_f32_e32 v91, v110, v107
	v_pk_add_f32 v[62:63], v[90:91], v[62:63]
	v_min_f32_e32 v90, v92, v89
	v_min_f32_e32 v91, v93, v107
	v_max_f32_e32 v94, v94, v94
	v_max_f32_e32 v95, v95, v95
	v_pk_add_f32 v[66:67], v[90:91], v[66:67]
	v_min_f32_e32 v90, v94, v89
	v_min_f32_e32 v91, v95, v107
	v_max_f32_e32 v96, v96, v96
	v_max_f32_e32 v97, v97, v97
	;; [unrolled: 5-line block ×5, first 2 shown]
	v_pk_add_f32 v[56:57], v[90:91], v[56:57]
	v_min_f32_e32 v90, v102, v89
	v_min_f32_e32 v91, v103, v107
	v_max_f32_e32 v104, v104, v104
	v_pk_add_f32 v[54:55], v[90:91], v[54:55]
	v_min_f32_e32 v90, v104, v89
	v_max_f32_e32 v89, v105, v105
	v_min_f32_e32 v91, v89, v107
	v_max_f32_e32 v105, v108, v108
	v_max_f32_e32 v107, v109, v109
	v_pk_add_f32 v[52:53], v[90:91], v[52:53]
	v_min_f32_e32 v90, v106, v105
	v_min_f32_e32 v91, v110, v107
	v_pk_add_f32 v[50:51], v[90:91], v[50:51]
	v_min_f32_e32 v90, v92, v105
	v_min_f32_e32 v91, v93, v107
	;; [unrolled: 3-line block ×8, first 2 shown]
	v_pk_add_f32 v[36:37], v[90:91], v[36:37]
	v_max_f32_e32 v90, v0, v0
	v_max_f32_e32 v91, v1, v1
	v_min_f32_e32 v0, v106, v90
	v_min_f32_e32 v1, v110, v91
	v_pk_add_f32 v[34:35], v[0:1], v[34:35]
	v_min_f32_e32 v0, v92, v90
	v_min_f32_e32 v1, v93, v91
	v_pk_add_f32 v[32:33], v[0:1], v[32:33]
	;; [unrolled: 3-line block ×7, first 2 shown]
	v_min_f32_e32 v0, v104, v90
	v_min_f32_e32 v1, v89, v91
	v_max_f32_e32 v2, v2, v2
	v_max_f32_e32 v3, v3, v3
	v_pk_add_f32 v[20:21], v[0:1], v[20:21]
	v_min_f32_e32 v0, v106, v2
	v_min_f32_e32 v1, v110, v3
	v_pk_add_f32 v[18:19], v[0:1], v[18:19]
	v_min_f32_e32 v0, v92, v2
	v_min_f32_e32 v1, v93, v3
	;; [unrolled: 3-line block ×8, first 2 shown]
	v_pk_add_f32 v[4:5], v[0:1], v[4:5]
	s_mov_b64 s[4:5], 0
	s_mov_b32 s16, 2
	s_cbranch_vccz .LBB46_15
; %bb.16:                               ;   in Loop: Header=BB46_12 Depth=1
	s_add_i32 s11, s11, 8
	s_add_i32 s14, s14, 8
	s_cmp_ge_i32 s14, s10
	s_waitcnt vmcnt(0)
	ds_write_b32 v85, v72
	ds_write2st64_b32 v86, v74, v75 offset1:4
	s_waitcnt lgkmcnt(0)
	s_barrier
	s_cbranch_scc0 .LBB46_12
.LBB46_17:
	v_mov_b32_e32 v0, 0x1400
	v_lshl_add_u32 v68, v76, 4, v0
	v_mov_b32_e32 v0, 0x800
	v_lshl_add_u32 v69, v77, 4, v0
	s_mov_b32 s10, 0
	s_mov_b64 s[4:5], -1
.LBB46_18:                              ; =>This Inner Loop Header: Depth=1
	v_cndmask_b32_e64 v0, 0, 1, s[4:5]
	s_lshl_b32 s4, s10, 2
	v_cmp_ne_u32_e32 vcc, 1, v0
	v_add_u32_e32 v0, s4, v68
	ds_read2_b64 v[70:73], v0 offset1:16
	ds_read2_b64 v[78:81], v0 offset0:32 offset1:48
	ds_read2_b64 v[82:85], v0 offset0:64 offset1:80
	ds_read2_b64 v[86:89], v0 offset0:96 offset1:112
	v_add_u32_e32 v0, s4, v69
	ds_read2st64_b64 v[90:93], v0 offset1:1
	ds_read2st64_b64 v[0:3], v0 offset0:2 offset1:3
	s_waitcnt lgkmcnt(5)
	v_max_f32_e32 v75, v70, v70
	v_max_f32_e32 v72, v72, v72
	;; [unrolled: 1-line block ×3, first 2 shown]
	s_waitcnt lgkmcnt(1)
	v_max_f32_e32 v74, v90, v90
	v_max_f32_e32 v90, v91, v91
	;; [unrolled: 1-line block ×3, first 2 shown]
	v_min_f32_e32 v70, v75, v74
	v_min_f32_e32 v71, v91, v90
	v_pk_add_f32 v[62:63], v[70:71], v[62:63]
	v_min_f32_e32 v70, v72, v74
	v_min_f32_e32 v71, v73, v90
	v_max_f32_e32 v78, v78, v78
	v_max_f32_e32 v79, v79, v79
	v_pk_add_f32 v[66:67], v[70:71], v[66:67]
	v_min_f32_e32 v70, v78, v74
	v_min_f32_e32 v71, v79, v90
	v_max_f32_e32 v80, v80, v80
	v_max_f32_e32 v81, v81, v81
	;; [unrolled: 5-line block ×5, first 2 shown]
	v_pk_add_f32 v[56:57], v[70:71], v[56:57]
	v_min_f32_e32 v70, v86, v74
	v_min_f32_e32 v71, v87, v90
	v_max_f32_e32 v88, v88, v88
	v_pk_add_f32 v[54:55], v[70:71], v[54:55]
	v_min_f32_e32 v70, v88, v74
	v_max_f32_e32 v74, v89, v89
	v_min_f32_e32 v71, v74, v90
	v_max_f32_e32 v89, v92, v92
	v_max_f32_e32 v90, v93, v93
	v_pk_add_f32 v[52:53], v[70:71], v[52:53]
	v_min_f32_e32 v70, v75, v89
	v_min_f32_e32 v71, v91, v90
	v_pk_add_f32 v[50:51], v[70:71], v[50:51]
	v_min_f32_e32 v70, v72, v89
	v_min_f32_e32 v71, v73, v90
	;; [unrolled: 3-line block ×8, first 2 shown]
	v_pk_add_f32 v[36:37], v[70:71], v[36:37]
	s_waitcnt lgkmcnt(0)
	v_max_f32_e32 v70, v0, v0
	v_max_f32_e32 v71, v1, v1
	v_min_f32_e32 v0, v75, v70
	v_min_f32_e32 v1, v91, v71
	v_pk_add_f32 v[34:35], v[0:1], v[34:35]
	v_min_f32_e32 v0, v72, v70
	v_min_f32_e32 v1, v73, v71
	v_pk_add_f32 v[32:33], v[0:1], v[32:33]
	;; [unrolled: 3-line block ×7, first 2 shown]
	v_min_f32_e32 v0, v88, v70
	v_min_f32_e32 v1, v74, v71
	v_max_f32_e32 v2, v2, v2
	v_max_f32_e32 v3, v3, v3
	v_pk_add_f32 v[20:21], v[0:1], v[20:21]
	v_min_f32_e32 v0, v75, v2
	v_min_f32_e32 v1, v91, v3
	v_pk_add_f32 v[18:19], v[0:1], v[18:19]
	v_min_f32_e32 v0, v72, v2
	v_min_f32_e32 v1, v73, v3
	;; [unrolled: 3-line block ×8, first 2 shown]
	v_pk_add_f32 v[4:5], v[0:1], v[4:5]
	s_mov_b64 s[4:5], 0
	s_mov_b32 s10, 2
	s_cbranch_vccz .LBB46_18
; %bb.19:
	s_load_dword s10, s[0:1], 0x50
	v_add_u32_e32 v72, s19, v77
	v_add_u32_e32 v0, s18, v76
	v_ashrrev_i32_e32 v1, 31, v0
	v_mov_b32_e32 v73, 0
	s_waitcnt lgkmcnt(0)
	v_mad_i64_i32 v[2:3], s[4:5], v72, s10, 0
	v_lshl_add_u64 v[68:69], v[2:3], 2, s[12:13]
	v_cndmask_b32_e64 v2, 0, 1, s[2:3]
	v_cmp_ne_u32_e64 s[4:5], 1, v2
	s_andn2_b64 vcc, exec, s[2:3]
	v_mov_b32_e32 v74, 0
	s_cbranch_vccnz .LBB46_21
; %bb.20:
	v_lshl_add_u64 v[2:3], v[0:1], 2, v[68:69]
	flat_load_dword v2, v[2:3]
	s_waitcnt vmcnt(0) lgkmcnt(0)
	v_mul_f32_e32 v74, s15, v2
.LBB46_21:
	s_load_dwordx2 s[16:17], s[0:1], 0x70
	s_load_dword s2, s[0:1], 0x68
	v_add_u32_e32 v2, 8, v0
	v_add_f32_e32 v62, v62, v63
	v_ashrrev_i32_e32 v3, 31, v2
	s_waitcnt lgkmcnt(0)
	s_lshl_b64 s[0:1], s[16:17], 2
	s_add_u32 s0, s8, s0
	s_addc_u32 s1, s9, s1
	v_mad_i64_i32 v[70:71], s[8:9], v72, s2, 0
	v_lshl_add_u64 v[70:71], v[70:71], 2, s[0:1]
	v_add_f32_e32 v74, v62, v74
	v_lshl_add_u64 v[62:63], v[0:1], 2, v[70:71]
	s_and_b64 vcc, exec, s[4:5]
	flat_store_dword v[62:63], v74
	s_cbranch_vccnz .LBB46_23
; %bb.22:
	v_lshl_add_u64 v[62:63], v[2:3], 2, v[68:69]
	flat_load_dword v62, v[62:63]
	s_waitcnt vmcnt(0) lgkmcnt(0)
	v_mul_f32_e32 v73, s15, v62
.LBB46_23:
	v_add_f32_e32 v66, v66, v67
	v_add_u32_e32 v62, 16, v0
	v_add_f32_e32 v73, v66, v73
	v_lshl_add_u64 v[66:67], v[2:3], 2, v[70:71]
	v_ashrrev_i32_e32 v63, 31, v62
	flat_store_dword v[66:67], v73
	v_mov_b32_e32 v66, 0
	s_and_b64 vcc, exec, s[4:5]
	v_mov_b32_e32 v67, 0
	s_cbranch_vccnz .LBB46_25
; %bb.24:
	v_lshl_add_u64 v[74:75], v[62:63], 2, v[68:69]
	flat_load_dword v67, v[74:75]
	s_waitcnt vmcnt(0) lgkmcnt(0)
	v_mul_f32_e32 v67, s15, v67
.LBB46_25:
	v_add_f32_e32 v73, v64, v65
	v_add_u32_e32 v64, 24, v0
	v_ashrrev_i32_e32 v65, 31, v64
	v_add_f32_e32 v67, v73, v67
	v_lshl_add_u64 v[74:75], v[62:63], 2, v[70:71]
	s_and_b64 vcc, exec, s[4:5]
	flat_store_dword v[74:75], v67
	s_cbranch_vccnz .LBB46_27
; %bb.26:
	v_lshl_add_u64 v[66:67], v[64:65], 2, v[68:69]
	flat_load_dword v66, v[66:67]
	s_waitcnt vmcnt(0) lgkmcnt(0)
	v_mul_f32_e32 v66, s15, v66
.LBB46_27:
	v_add_f32_e32 v67, v60, v61
	v_add_u32_e32 v60, 32, v0
	v_add_f32_e32 v73, v67, v66
	v_lshl_add_u64 v[66:67], v[64:65], 2, v[70:71]
	v_ashrrev_i32_e32 v61, 31, v60
	flat_store_dword v[66:67], v73
	v_mov_b32_e32 v66, 0
	s_and_b64 vcc, exec, s[4:5]
	v_mov_b32_e32 v67, 0
	s_cbranch_vccnz .LBB46_29
; %bb.28:
	v_lshl_add_u64 v[74:75], v[60:61], 2, v[68:69]
	flat_load_dword v67, v[74:75]
	s_waitcnt vmcnt(0) lgkmcnt(0)
	v_mul_f32_e32 v67, s15, v67
.LBB46_29:
	v_add_f32_e32 v73, v58, v59
	v_add_u32_e32 v58, 40, v0
	v_ashrrev_i32_e32 v59, 31, v58
	;; [unrolled: 30-line block ×3, first 2 shown]
	v_add_f32_e32 v67, v73, v67
	v_lshl_add_u64 v[74:75], v[56:57], 2, v[70:71]
	s_and_b64 vcc, exec, s[4:5]
	flat_store_dword v[74:75], v67
	s_cbranch_vccnz .LBB46_35
; %bb.34:
	v_lshl_add_u64 v[66:67], v[54:55], 2, v[68:69]
	flat_load_dword v66, v[66:67]
	s_waitcnt vmcnt(0) lgkmcnt(0)
	v_mul_f32_e32 v66, s15, v66
.LBB46_35:
	v_add_f32_e32 v52, v52, v53
	v_add_f32_e32 v66, v52, v66
	v_lshl_add_u64 v[52:53], v[54:55], 2, v[70:71]
	flat_store_dword v[52:53], v66
	v_add_u32_e32 v66, 32, v72
	v_mad_i64_i32 v[52:53], s[8:9], v66, s10, 0
	v_lshl_add_u64 v[52:53], v[52:53], 2, s[12:13]
	v_mov_b32_e32 v68, 0
	s_and_b64 vcc, exec, s[4:5]
	v_mov_b32_e32 v69, 0
	s_cbranch_vccnz .LBB46_37
; %bb.36:
	v_lshl_add_u64 v[70:71], v[0:1], 2, v[52:53]
	flat_load_dword v67, v[70:71]
	s_waitcnt vmcnt(0) lgkmcnt(0)
	v_mul_f32_e32 v69, s15, v67
.LBB46_37:
	v_mad_i64_i32 v[66:67], s[8:9], v66, s2, 0
	v_lshl_add_u64 v[66:67], v[66:67], 2, s[0:1]
	v_add_f32_e32 v50, v50, v51
	v_add_f32_e32 v69, v50, v69
	v_lshl_add_u64 v[50:51], v[0:1], 2, v[66:67]
	s_and_b64 vcc, exec, s[4:5]
	flat_store_dword v[50:51], v69
	s_cbranch_vccnz .LBB46_39
; %bb.38:
	v_lshl_add_u64 v[50:51], v[2:3], 2, v[52:53]
	flat_load_dword v50, v[50:51]
	s_waitcnt vmcnt(0) lgkmcnt(0)
	v_mul_f32_e32 v68, s15, v50
.LBB46_39:
	v_add_f32_e32 v48, v48, v49
	v_add_f32_e32 v50, v48, v68
	v_lshl_add_u64 v[48:49], v[2:3], 2, v[66:67]
	flat_store_dword v[48:49], v50
	v_mov_b32_e32 v48, 0
	s_and_b64 vcc, exec, s[4:5]
	v_mov_b32_e32 v49, 0
	s_cbranch_vccnz .LBB46_41
; %bb.40:
	v_lshl_add_u64 v[50:51], v[62:63], 2, v[52:53]
	flat_load_dword v49, v[50:51]
	s_waitcnt vmcnt(0) lgkmcnt(0)
	v_mul_f32_e32 v49, s15, v49
.LBB46_41:
	v_add_f32_e32 v46, v46, v47
	v_add_f32_e32 v49, v46, v49
	v_lshl_add_u64 v[46:47], v[62:63], 2, v[66:67]
	s_and_b64 vcc, exec, s[4:5]
	flat_store_dword v[46:47], v49
	s_cbranch_vccnz .LBB46_43
; %bb.42:
	v_lshl_add_u64 v[46:47], v[64:65], 2, v[52:53]
	flat_load_dword v46, v[46:47]
	s_waitcnt vmcnt(0) lgkmcnt(0)
	v_mul_f32_e32 v48, s15, v46
.LBB46_43:
	v_add_f32_e32 v44, v44, v45
	v_add_f32_e32 v46, v44, v48
	v_lshl_add_u64 v[44:45], v[64:65], 2, v[66:67]
	flat_store_dword v[44:45], v46
	v_mov_b32_e32 v44, 0
	s_and_b64 vcc, exec, s[4:5]
	v_mov_b32_e32 v45, 0
	s_cbranch_vccnz .LBB46_45
; %bb.44:
	v_lshl_add_u64 v[46:47], v[60:61], 2, v[52:53]
	flat_load_dword v45, v[46:47]
	s_waitcnt vmcnt(0) lgkmcnt(0)
	v_mul_f32_e32 v45, s15, v45
.LBB46_45:
	v_add_f32_e32 v42, v42, v43
	v_add_f32_e32 v45, v42, v45
	v_lshl_add_u64 v[42:43], v[60:61], 2, v[66:67]
	s_and_b64 vcc, exec, s[4:5]
	flat_store_dword v[42:43], v45
	s_cbranch_vccnz .LBB46_47
; %bb.46:
	v_lshl_add_u64 v[42:43], v[58:59], 2, v[52:53]
	flat_load_dword v42, v[42:43]
	s_waitcnt vmcnt(0) lgkmcnt(0)
	v_mul_f32_e32 v44, s15, v42
.LBB46_47:
	v_add_f32_e32 v40, v40, v41
	v_add_f32_e32 v42, v40, v44
	v_lshl_add_u64 v[40:41], v[58:59], 2, v[66:67]
	flat_store_dword v[40:41], v42
	v_mov_b32_e32 v40, 0
	s_and_b64 vcc, exec, s[4:5]
	v_mov_b32_e32 v41, 0
	s_cbranch_vccnz .LBB46_49
; %bb.48:
	v_lshl_add_u64 v[42:43], v[56:57], 2, v[52:53]
	flat_load_dword v41, v[42:43]
	s_waitcnt vmcnt(0) lgkmcnt(0)
	v_mul_f32_e32 v41, s15, v41
.LBB46_49:
	v_add_f32_e32 v38, v38, v39
	v_add_f32_e32 v41, v38, v41
	v_lshl_add_u64 v[38:39], v[56:57], 2, v[66:67]
	s_and_b64 vcc, exec, s[4:5]
	flat_store_dword v[38:39], v41
	s_cbranch_vccnz .LBB46_51
; %bb.50:
	v_lshl_add_u64 v[38:39], v[54:55], 2, v[52:53]
	flat_load_dword v38, v[38:39]
	s_waitcnt vmcnt(0) lgkmcnt(0)
	v_mul_f32_e32 v40, s15, v38
.LBB46_51:
	v_add_f32_e32 v36, v36, v37
	v_add_f32_e32 v38, v36, v40
	v_lshl_add_u64 v[36:37], v[54:55], 2, v[66:67]
	flat_store_dword v[36:37], v38
	v_add_u32_e32 v38, 64, v72
	v_mad_i64_i32 v[36:37], s[8:9], v38, s10, 0
	v_lshl_add_u64 v[36:37], v[36:37], 2, s[12:13]
	v_mov_b32_e32 v40, 0
	s_and_b64 vcc, exec, s[4:5]
	v_mov_b32_e32 v41, 0
	s_cbranch_vccnz .LBB46_53
; %bb.52:
	v_lshl_add_u64 v[42:43], v[0:1], 2, v[36:37]
	flat_load_dword v39, v[42:43]
	s_waitcnt vmcnt(0) lgkmcnt(0)
	v_mul_f32_e32 v41, s15, v39
.LBB46_53:
	v_mad_i64_i32 v[38:39], s[8:9], v38, s2, 0
	v_lshl_add_u64 v[38:39], v[38:39], 2, s[0:1]
	v_add_f32_e32 v34, v34, v35
	v_add_f32_e32 v41, v34, v41
	v_lshl_add_u64 v[34:35], v[0:1], 2, v[38:39]
	s_and_b64 vcc, exec, s[4:5]
	flat_store_dword v[34:35], v41
	s_cbranch_vccnz .LBB46_55
; %bb.54:
	v_lshl_add_u64 v[34:35], v[2:3], 2, v[36:37]
	flat_load_dword v34, v[34:35]
	s_waitcnt vmcnt(0) lgkmcnt(0)
	v_mul_f32_e32 v40, s15, v34
.LBB46_55:
	v_add_f32_e32 v32, v32, v33
	v_add_f32_e32 v34, v32, v40
	v_lshl_add_u64 v[32:33], v[2:3], 2, v[38:39]
	flat_store_dword v[32:33], v34
	v_mov_b32_e32 v32, 0
	s_and_b64 vcc, exec, s[4:5]
	v_mov_b32_e32 v33, 0
	s_cbranch_vccnz .LBB46_57
; %bb.56:
	v_lshl_add_u64 v[34:35], v[62:63], 2, v[36:37]
	flat_load_dword v33, v[34:35]
	s_waitcnt vmcnt(0) lgkmcnt(0)
	v_mul_f32_e32 v33, s15, v33
.LBB46_57:
	v_add_f32_e32 v30, v30, v31
	v_add_f32_e32 v33, v30, v33
	v_lshl_add_u64 v[30:31], v[62:63], 2, v[38:39]
	s_and_b64 vcc, exec, s[4:5]
	flat_store_dword v[30:31], v33
	s_cbranch_vccnz .LBB46_59
; %bb.58:
	v_lshl_add_u64 v[30:31], v[64:65], 2, v[36:37]
	flat_load_dword v30, v[30:31]
	s_waitcnt vmcnt(0) lgkmcnt(0)
	v_mul_f32_e32 v32, s15, v30
.LBB46_59:
	v_add_f32_e32 v28, v28, v29
	v_add_f32_e32 v30, v28, v32
	v_lshl_add_u64 v[28:29], v[64:65], 2, v[38:39]
	flat_store_dword v[28:29], v30
	v_mov_b32_e32 v28, 0
	s_and_b64 vcc, exec, s[4:5]
	v_mov_b32_e32 v29, 0
	s_cbranch_vccnz .LBB46_61
; %bb.60:
	v_lshl_add_u64 v[30:31], v[60:61], 2, v[36:37]
	flat_load_dword v29, v[30:31]
	s_waitcnt vmcnt(0) lgkmcnt(0)
	v_mul_f32_e32 v29, s15, v29
.LBB46_61:
	;; [unrolled: 26-line block ×3, first 2 shown]
	v_add_f32_e32 v22, v22, v23
	v_add_f32_e32 v25, v22, v25
	v_lshl_add_u64 v[22:23], v[56:57], 2, v[38:39]
	s_and_b64 vcc, exec, s[4:5]
	flat_store_dword v[22:23], v25
	s_cbranch_vccnz .LBB46_67
; %bb.66:
	v_lshl_add_u64 v[22:23], v[54:55], 2, v[36:37]
	flat_load_dword v22, v[22:23]
	s_waitcnt vmcnt(0) lgkmcnt(0)
	v_mul_f32_e32 v24, s15, v22
.LBB46_67:
	v_add_f32_e32 v20, v20, v21
	v_add_f32_e32 v22, v20, v24
	v_lshl_add_u64 v[20:21], v[54:55], 2, v[38:39]
	flat_store_dword v[20:21], v22
	v_add_u32_e32 v22, 0x60, v72
	v_mad_i64_i32 v[20:21], s[8:9], v22, s10, 0
	v_lshl_add_u64 v[20:21], v[20:21], 2, s[12:13]
	v_mov_b32_e32 v24, 0
	s_and_b64 vcc, exec, s[4:5]
	v_mov_b32_e32 v25, 0
	s_cbranch_vccnz .LBB46_69
; %bb.68:
	v_lshl_add_u64 v[26:27], v[0:1], 2, v[20:21]
	flat_load_dword v23, v[26:27]
	s_waitcnt vmcnt(0) lgkmcnt(0)
	v_mul_f32_e32 v25, s15, v23
.LBB46_69:
	v_mad_i64_i32 v[22:23], s[2:3], v22, s2, 0
	v_lshl_add_u64 v[22:23], v[22:23], 2, s[0:1]
	v_add_f32_e32 v18, v18, v19
	v_add_f32_e32 v18, v18, v25
	v_lshl_add_u64 v[0:1], v[0:1], 2, v[22:23]
	s_and_b64 vcc, exec, s[4:5]
	flat_store_dword v[0:1], v18
	s_cbranch_vccnz .LBB46_71
; %bb.70:
	v_lshl_add_u64 v[0:1], v[2:3], 2, v[20:21]
	flat_load_dword v0, v[0:1]
	s_waitcnt vmcnt(0) lgkmcnt(0)
	v_mul_f32_e32 v24, s15, v0
.LBB46_71:
	v_add_f32_e32 v0, v16, v17
	v_add_f32_e32 v16, v0, v24
	v_lshl_add_u64 v[0:1], v[2:3], 2, v[22:23]
	flat_store_dword v[0:1], v16
	v_mov_b32_e32 v0, 0
	s_and_b64 vcc, exec, s[4:5]
	v_mov_b32_e32 v1, 0
	s_cbranch_vccnz .LBB46_73
; %bb.72:
	v_lshl_add_u64 v[2:3], v[62:63], 2, v[20:21]
	flat_load_dword v1, v[2:3]
	s_waitcnt vmcnt(0) lgkmcnt(0)
	v_mul_f32_e32 v1, s15, v1
.LBB46_73:
	v_add_f32_e32 v2, v14, v15
	v_add_f32_e32 v1, v2, v1
	v_lshl_add_u64 v[2:3], v[62:63], 2, v[22:23]
	s_and_b64 vcc, exec, s[4:5]
	flat_store_dword v[2:3], v1
	s_cbranch_vccnz .LBB46_75
; %bb.74:
	v_lshl_add_u64 v[0:1], v[64:65], 2, v[20:21]
	flat_load_dword v0, v[0:1]
	s_waitcnt vmcnt(0) lgkmcnt(0)
	v_mul_f32_e32 v0, s15, v0
.LBB46_75:
	v_add_f32_e32 v1, v12, v13
	v_add_f32_e32 v2, v1, v0
	v_lshl_add_u64 v[0:1], v[64:65], 2, v[22:23]
	flat_store_dword v[0:1], v2
	v_mov_b32_e32 v0, 0
	s_and_b64 vcc, exec, s[4:5]
	v_mov_b32_e32 v1, 0
	s_cbranch_vccnz .LBB46_77
; %bb.76:
	v_lshl_add_u64 v[2:3], v[60:61], 2, v[20:21]
	flat_load_dword v1, v[2:3]
	s_waitcnt vmcnt(0) lgkmcnt(0)
	v_mul_f32_e32 v1, s15, v1
.LBB46_77:
	v_add_f32_e32 v2, v10, v11
	v_add_f32_e32 v1, v2, v1
	v_lshl_add_u64 v[2:3], v[60:61], 2, v[22:23]
	s_and_b64 vcc, exec, s[4:5]
	flat_store_dword v[2:3], v1
	s_cbranch_vccnz .LBB46_79
; %bb.78:
	v_lshl_add_u64 v[0:1], v[58:59], 2, v[20:21]
	flat_load_dword v0, v[0:1]
	s_waitcnt vmcnt(0) lgkmcnt(0)
	v_mul_f32_e32 v0, s15, v0
.LBB46_79:
	v_add_f32_e32 v1, v8, v9
	v_add_f32_e32 v2, v1, v0
	v_lshl_add_u64 v[0:1], v[58:59], 2, v[22:23]
	flat_store_dword v[0:1], v2
	v_add_f32_e32 v0, v6, v7
	s_mov_b64 s[0:1], -1
	s_mov_b64 vcc, s[6:7]
	s_cbranch_vccz .LBB46_81
; %bb.80:
	v_add_f32_e32 v1, 0, v0
	v_lshl_add_u64 v[2:3], v[56:57], 2, v[22:23]
	flat_store_dword v[2:3], v1
	s_mov_b64 s[0:1], 0
.LBB46_81:
	s_andn2_b64 vcc, exec, s[0:1]
	v_mov_b32_e32 v1, 0
	s_cbranch_vccnz .LBB46_83
; %bb.82:
	v_lshlrev_b64 v[2:3], 2, v[56:57]
	v_lshl_add_u64 v[6:7], v[20:21], 0, v[2:3]
	flat_load_dword v1, v[6:7]
	v_lshl_add_u64 v[2:3], v[22:23], 0, v[2:3]
	s_waitcnt vmcnt(0) lgkmcnt(0)
	v_fmac_f32_e32 v0, s15, v1
	flat_store_dword v[2:3], v0
	v_lshl_add_u64 v[0:1], v[54:55], 2, v[20:21]
	flat_load_dword v0, v[0:1]
	s_waitcnt vmcnt(0) lgkmcnt(0)
	v_mul_f32_e32 v1, s15, v0
.LBB46_83:
	v_add_f32_e32 v0, v4, v5
	v_add_f32_e32 v2, v0, v1
	v_lshl_add_u64 v[0:1], v[54:55], 2, v[22:23]
	flat_store_dword v[0:1], v2
	s_endpgm
	.section	.rodata,"a",@progbits
	.p2align	6, 0x0
	.amdhsa_kernel _ZN12_GLOBAL__N_120geam_min_plus_kernelIf15HIP_vector_typeIfLj2EES2_Li8ELi32ELi64ELi128ELi4ELi4ELi64ELi64ELi4ELc84ELc84ELb1ELb0ELb0EfKPKfKPfEEviiiT16_PT17_ilSA_ilS8_SA_ilPT18_ili26rocblas_geam_ex_operation_
		.amdhsa_group_segment_fixed_size 6144
		.amdhsa_private_segment_fixed_size 0
		.amdhsa_kernarg_size 128
		.amdhsa_user_sgpr_count 2
		.amdhsa_user_sgpr_dispatch_ptr 0
		.amdhsa_user_sgpr_queue_ptr 0
		.amdhsa_user_sgpr_kernarg_segment_ptr 1
		.amdhsa_user_sgpr_dispatch_id 0
		.amdhsa_user_sgpr_kernarg_preload_length 0
		.amdhsa_user_sgpr_kernarg_preload_offset 0
		.amdhsa_user_sgpr_private_segment_size 0
		.amdhsa_uses_dynamic_stack 0
		.amdhsa_enable_private_segment 0
		.amdhsa_system_sgpr_workgroup_id_x 1
		.amdhsa_system_sgpr_workgroup_id_y 0
		.amdhsa_system_sgpr_workgroup_id_z 1
		.amdhsa_system_sgpr_workgroup_info 0
		.amdhsa_system_vgpr_workitem_id 1
		.amdhsa_next_free_vgpr 113
		.amdhsa_next_free_sgpr 24
		.amdhsa_accum_offset 116
		.amdhsa_reserve_vcc 1
		.amdhsa_float_round_mode_32 0
		.amdhsa_float_round_mode_16_64 0
		.amdhsa_float_denorm_mode_32 3
		.amdhsa_float_denorm_mode_16_64 3
		.amdhsa_dx10_clamp 1
		.amdhsa_ieee_mode 1
		.amdhsa_fp16_overflow 0
		.amdhsa_tg_split 0
		.amdhsa_exception_fp_ieee_invalid_op 0
		.amdhsa_exception_fp_denorm_src 0
		.amdhsa_exception_fp_ieee_div_zero 0
		.amdhsa_exception_fp_ieee_overflow 0
		.amdhsa_exception_fp_ieee_underflow 0
		.amdhsa_exception_fp_ieee_inexact 0
		.amdhsa_exception_int_div_zero 0
	.end_amdhsa_kernel
	.section	.text._ZN12_GLOBAL__N_120geam_min_plus_kernelIf15HIP_vector_typeIfLj2EES2_Li8ELi32ELi64ELi128ELi4ELi4ELi64ELi64ELi4ELc84ELc84ELb1ELb0ELb0EfKPKfKPfEEviiiT16_PT17_ilSA_ilS8_SA_ilPT18_ili26rocblas_geam_ex_operation_,"axG",@progbits,_ZN12_GLOBAL__N_120geam_min_plus_kernelIf15HIP_vector_typeIfLj2EES2_Li8ELi32ELi64ELi128ELi4ELi4ELi64ELi64ELi4ELc84ELc84ELb1ELb0ELb0EfKPKfKPfEEviiiT16_PT17_ilSA_ilS8_SA_ilPT18_ili26rocblas_geam_ex_operation_,comdat
.Lfunc_end46:
	.size	_ZN12_GLOBAL__N_120geam_min_plus_kernelIf15HIP_vector_typeIfLj2EES2_Li8ELi32ELi64ELi128ELi4ELi4ELi64ELi64ELi4ELc84ELc84ELb1ELb0ELb0EfKPKfKPfEEviiiT16_PT17_ilSA_ilS8_SA_ilPT18_ili26rocblas_geam_ex_operation_, .Lfunc_end46-_ZN12_GLOBAL__N_120geam_min_plus_kernelIf15HIP_vector_typeIfLj2EES2_Li8ELi32ELi64ELi128ELi4ELi4ELi64ELi64ELi4ELc84ELc84ELb1ELb0ELb0EfKPKfKPfEEviiiT16_PT17_ilSA_ilS8_SA_ilPT18_ili26rocblas_geam_ex_operation_
                                        ; -- End function
	.set _ZN12_GLOBAL__N_120geam_min_plus_kernelIf15HIP_vector_typeIfLj2EES2_Li8ELi32ELi64ELi128ELi4ELi4ELi64ELi64ELi4ELc84ELc84ELb1ELb0ELb0EfKPKfKPfEEviiiT16_PT17_ilSA_ilS8_SA_ilPT18_ili26rocblas_geam_ex_operation_.num_vgpr, 113
	.set _ZN12_GLOBAL__N_120geam_min_plus_kernelIf15HIP_vector_typeIfLj2EES2_Li8ELi32ELi64ELi128ELi4ELi4ELi64ELi64ELi4ELc84ELc84ELb1ELb0ELb0EfKPKfKPfEEviiiT16_PT17_ilSA_ilS8_SA_ilPT18_ili26rocblas_geam_ex_operation_.num_agpr, 0
	.set _ZN12_GLOBAL__N_120geam_min_plus_kernelIf15HIP_vector_typeIfLj2EES2_Li8ELi32ELi64ELi128ELi4ELi4ELi64ELi64ELi4ELc84ELc84ELb1ELb0ELb0EfKPKfKPfEEviiiT16_PT17_ilSA_ilS8_SA_ilPT18_ili26rocblas_geam_ex_operation_.numbered_sgpr, 24
	.set _ZN12_GLOBAL__N_120geam_min_plus_kernelIf15HIP_vector_typeIfLj2EES2_Li8ELi32ELi64ELi128ELi4ELi4ELi64ELi64ELi4ELc84ELc84ELb1ELb0ELb0EfKPKfKPfEEviiiT16_PT17_ilSA_ilS8_SA_ilPT18_ili26rocblas_geam_ex_operation_.num_named_barrier, 0
	.set _ZN12_GLOBAL__N_120geam_min_plus_kernelIf15HIP_vector_typeIfLj2EES2_Li8ELi32ELi64ELi128ELi4ELi4ELi64ELi64ELi4ELc84ELc84ELb1ELb0ELb0EfKPKfKPfEEviiiT16_PT17_ilSA_ilS8_SA_ilPT18_ili26rocblas_geam_ex_operation_.private_seg_size, 0
	.set _ZN12_GLOBAL__N_120geam_min_plus_kernelIf15HIP_vector_typeIfLj2EES2_Li8ELi32ELi64ELi128ELi4ELi4ELi64ELi64ELi4ELc84ELc84ELb1ELb0ELb0EfKPKfKPfEEviiiT16_PT17_ilSA_ilS8_SA_ilPT18_ili26rocblas_geam_ex_operation_.uses_vcc, 1
	.set _ZN12_GLOBAL__N_120geam_min_plus_kernelIf15HIP_vector_typeIfLj2EES2_Li8ELi32ELi64ELi128ELi4ELi4ELi64ELi64ELi4ELc84ELc84ELb1ELb0ELb0EfKPKfKPfEEviiiT16_PT17_ilSA_ilS8_SA_ilPT18_ili26rocblas_geam_ex_operation_.uses_flat_scratch, 0
	.set _ZN12_GLOBAL__N_120geam_min_plus_kernelIf15HIP_vector_typeIfLj2EES2_Li8ELi32ELi64ELi128ELi4ELi4ELi64ELi64ELi4ELc84ELc84ELb1ELb0ELb0EfKPKfKPfEEviiiT16_PT17_ilSA_ilS8_SA_ilPT18_ili26rocblas_geam_ex_operation_.has_dyn_sized_stack, 0
	.set _ZN12_GLOBAL__N_120geam_min_plus_kernelIf15HIP_vector_typeIfLj2EES2_Li8ELi32ELi64ELi128ELi4ELi4ELi64ELi64ELi4ELc84ELc84ELb1ELb0ELb0EfKPKfKPfEEviiiT16_PT17_ilSA_ilS8_SA_ilPT18_ili26rocblas_geam_ex_operation_.has_recursion, 0
	.set _ZN12_GLOBAL__N_120geam_min_plus_kernelIf15HIP_vector_typeIfLj2EES2_Li8ELi32ELi64ELi128ELi4ELi4ELi64ELi64ELi4ELc84ELc84ELb1ELb0ELb0EfKPKfKPfEEviiiT16_PT17_ilSA_ilS8_SA_ilPT18_ili26rocblas_geam_ex_operation_.has_indirect_call, 0
	.section	.AMDGPU.csdata,"",@progbits
; Kernel info:
; codeLenInByte = 6396
; TotalNumSgprs: 30
; NumVgprs: 113
; NumAgprs: 0
; TotalNumVgprs: 113
; ScratchSize: 0
; MemoryBound: 0
; FloatMode: 240
; IeeeMode: 1
; LDSByteSize: 6144 bytes/workgroup (compile time only)
; SGPRBlocks: 3
; VGPRBlocks: 14
; NumSGPRsForWavesPerEU: 30
; NumVGPRsForWavesPerEU: 113
; AccumOffset: 116
; Occupancy: 4
; WaveLimiterHint : 1
; COMPUTE_PGM_RSRC2:SCRATCH_EN: 0
; COMPUTE_PGM_RSRC2:USER_SGPR: 2
; COMPUTE_PGM_RSRC2:TRAP_HANDLER: 0
; COMPUTE_PGM_RSRC2:TGID_X_EN: 1
; COMPUTE_PGM_RSRC2:TGID_Y_EN: 0
; COMPUTE_PGM_RSRC2:TGID_Z_EN: 1
; COMPUTE_PGM_RSRC2:TIDIG_COMP_CNT: 1
; COMPUTE_PGM_RSRC3_GFX90A:ACCUM_OFFSET: 28
; COMPUTE_PGM_RSRC3_GFX90A:TG_SPLIT: 0
	.section	.text._ZN12_GLOBAL__N_120geam_min_plus_kernelIf15HIP_vector_typeIfLj2EES2_Li8ELi32ELi64ELi128ELi4ELi4ELi64ELi64ELi4ELc84ELc84ELb0ELb0ELb0EfKPKfKPfEEviiiT16_PT17_ilSA_ilS8_SA_ilPT18_ili26rocblas_geam_ex_operation_,"axG",@progbits,_ZN12_GLOBAL__N_120geam_min_plus_kernelIf15HIP_vector_typeIfLj2EES2_Li8ELi32ELi64ELi128ELi4ELi4ELi64ELi64ELi4ELc84ELc84ELb0ELb0ELb0EfKPKfKPfEEviiiT16_PT17_ilSA_ilS8_SA_ilPT18_ili26rocblas_geam_ex_operation_,comdat
	.globl	_ZN12_GLOBAL__N_120geam_min_plus_kernelIf15HIP_vector_typeIfLj2EES2_Li8ELi32ELi64ELi128ELi4ELi4ELi64ELi64ELi4ELc84ELc84ELb0ELb0ELb0EfKPKfKPfEEviiiT16_PT17_ilSA_ilS8_SA_ilPT18_ili26rocblas_geam_ex_operation_ ; -- Begin function _ZN12_GLOBAL__N_120geam_min_plus_kernelIf15HIP_vector_typeIfLj2EES2_Li8ELi32ELi64ELi128ELi4ELi4ELi64ELi64ELi4ELc84ELc84ELb0ELb0ELb0EfKPKfKPfEEviiiT16_PT17_ilSA_ilS8_SA_ilPT18_ili26rocblas_geam_ex_operation_
	.p2align	8
	.type	_ZN12_GLOBAL__N_120geam_min_plus_kernelIf15HIP_vector_typeIfLj2EES2_Li8ELi32ELi64ELi128ELi4ELi4ELi64ELi64ELi4ELc84ELc84ELb0ELb0ELb0EfKPKfKPfEEviiiT16_PT17_ilSA_ilS8_SA_ilPT18_ili26rocblas_geam_ex_operation_,@function
_ZN12_GLOBAL__N_120geam_min_plus_kernelIf15HIP_vector_typeIfLj2EES2_Li8ELi32ELi64ELi128ELi4ELi4ELi64ELi64ELi4ELc84ELc84ELb0ELb0ELb0EfKPKfKPfEEviiiT16_PT17_ilSA_ilS8_SA_ilPT18_ili26rocblas_geam_ex_operation_: ; @_ZN12_GLOBAL__N_120geam_min_plus_kernelIf15HIP_vector_typeIfLj2EES2_Li8ELi32ELi64ELi128ELi4ELi4ELi64ELi64ELi4ELc84ELc84ELb0ELb0ELb0EfKPKfKPfEEviiiT16_PT17_ilSA_ilS8_SA_ilPT18_ili26rocblas_geam_ex_operation_
; %bb.0:
	s_load_dwordx2 s[18:19], s[0:1], 0x8
	s_load_dwordx4 s[8:11], s[0:1], 0x20
	s_mov_b32 s12, s3
	s_mov_b32 s13, 0
	s_waitcnt lgkmcnt(0)
	v_cmp_eq_f32_e64 s[6:7], s19, 0
	s_and_b64 s[4:5], exec, s[6:7]
	s_mov_b64 vcc, s[4:5]
	s_cbranch_vccnz .LBB47_3
; %bb.1:
	s_load_dwordx2 s[14:15], s[0:1], 0x10
	s_lshl_b64 s[16:17], s[12:13], 3
	s_waitcnt lgkmcnt(0)
	s_add_u32 s14, s14, s16
	s_addc_u32 s15, s15, s17
	s_load_dwordx2 s[14:15], s[14:15], 0x0
	s_lshl_b64 s[8:9], s[8:9], 2
	s_waitcnt lgkmcnt(0)
	s_add_u32 s20, s14, s8
	s_addc_u32 s21, s15, s9
	s_andn2_b64 vcc, exec, s[6:7]
	s_cbranch_vccnz .LBB47_4
.LBB47_2:
	s_mov_b32 s7, 0
	s_mov_b32 s6, s12
	s_mov_b64 s[16:17], 0
	s_mov_b64 s[22:23], 0
	s_cbranch_execz .LBB47_5
	s_branch .LBB47_6
.LBB47_3:
	s_mov_b64 s[20:21], 0
	s_andn2_b64 vcc, exec, s[6:7]
	s_cbranch_vccz .LBB47_2
.LBB47_4:
	s_mov_b64 s[6:7], s[12:13]
	s_mov_b64 s[16:17], 0
	;; [unrolled: 1-line block ×3, first 2 shown]
.LBB47_5:
	s_lshl_b64 s[12:13], s[12:13], 3
	s_add_u32 s10, s10, s12
	s_load_dwordx2 s[8:9], s[0:1], 0x38
	s_addc_u32 s11, s11, s13
	s_load_dwordx2 s[10:11], s[10:11], 0x0
	s_waitcnt lgkmcnt(0)
	s_lshl_b64 s[8:9], s[8:9], 2
	s_add_u32 s22, s10, s8
	s_addc_u32 s23, s11, s9
.LBB47_6:
	s_load_dword s26, s[0:1], 0x40
	s_load_dwordx4 s[12:15], s[0:1], 0x58
	v_cmp_neq_f32_e64 s[24:25], s19, 0
	s_waitcnt lgkmcnt(0)
	v_cmp_eq_f32_e64 s[8:9], s26, 0
	s_and_b64 s[8:9], exec, s[8:9]
	s_mov_b64 vcc, s[8:9]
	s_cbranch_vccnz .LBB47_8
; %bb.7:
	s_load_dwordx2 s[10:11], s[0:1], 0x48
	s_lshl_b64 s[16:17], s[6:7], 3
	s_waitcnt lgkmcnt(0)
	s_add_u32 s10, s10, s16
	s_addc_u32 s11, s11, s17
	s_load_dwordx2 s[10:11], s[10:11], 0x0
	s_lshl_b64 s[12:13], s[12:13], 2
	s_waitcnt lgkmcnt(0)
	s_add_u32 s16, s10, s12
	s_addc_u32 s17, s11, s13
.LBB47_8:
	s_load_dword s27, s[0:1], 0x30
	s_load_dword s3, s[0:1], 0x0
	;; [unrolled: 1-line block ×3, first 2 shown]
	s_lshl_b64 s[6:7], s[6:7], 3
	v_and_b32_e32 v78, 0x3ff, v0
	s_waitcnt lgkmcnt(0)
	s_ashr_i32 s28, s27, 31
	s_add_u32 s10, s14, s6
	s_addc_u32 s11, s15, s7
	s_add_i32 s3, s3, -1
	s_ashr_i32 s6, s3, 31
	s_lshr_b32 s6, s6, 26
	s_add_i32 s3, s3, s6
	s_ashr_i32 s3, s3, 6
	s_add_i32 s6, s3, 1
	v_cvt_f32_u32_e32 v1, s6
	s_not_b32 s3, s3
	v_bfe_u32 v79, v0, 10, 10
	v_and_b32_e32 v80, 3, v0
	v_rcp_iflag_f32_e32 v1, v1
	v_lshl_add_u32 v0, v79, 3, v78
	v_and_b32_e32 v72, 63, v0
	v_lshrrev_b32_e32 v4, 2, v0
	v_mul_f32_e32 v1, 0x4f7ffffe, v1
	v_cvt_u32_f32_e32 v1, v1
	v_lshrrev_b32_e32 v81, 6, v0
	v_cndmask_b32_e64 v0, 0, 1, s[24:25]
	v_mov_b32_e32 v74, 0
	v_readfirstlane_b32 s7, v1
	s_mul_i32 s3, s3, s7
	s_mul_hi_u32 s3, s7, s3
	s_add_i32 s7, s7, s3
	s_mul_hi_u32 s3, s2, s7
	s_mul_i32 s7, s3, s6
	s_sub_i32 s7, s2, s7
	s_add_i32 s12, s3, 1
	s_sub_i32 s13, s7, s6
	s_cmp_ge_u32 s7, s6
	s_cselect_b32 s3, s12, s3
	s_cselect_b32 s7, s13, s7
	s_add_i32 s12, s3, 1
	s_cmp_ge_u32 s7, s6
	s_cselect_b32 s3, s12, s3
	s_mul_i32 s6, s3, s6
	s_sub_i32 s2, s2, s6
	s_lshl_b32 s13, s3, 7
	s_lshl_b32 s12, s2, 6
	v_or_b32_e32 v70, s13, v72
	v_cmp_ne_u32_e64 s[6:7], 1, v0
	s_andn2_b64 vcc, exec, s[24:25]
	v_add_u32_e32 v73, s12, v4
	v_lshlrev_b32_e32 v0, 2, v80
	v_ashrrev_i32_e32 v71, 31, v70
	v_mov_b32_e32 v5, 0
	v_mov_b32_e32 v2, 0
	;; [unrolled: 1-line block ×3, first 2 shown]
	s_cbranch_vccnz .LBB47_10
; %bb.9:
	v_mad_i64_i32 v[2:3], s[2:3], v73, s29, 0
	v_mad_i64_i32 v[6:7], s[2:3], s27, v81, 0
	v_lshl_add_u64 v[2:3], v[2:3], 2, s[20:21]
	v_mov_b32_e32 v1, 0
	v_lshl_add_u64 v[6:7], v[6:7], 2, s[22:23]
	v_lshl_add_u64 v[2:3], v[2:3], 0, v[0:1]
	;; [unrolled: 1-line block ×3, first 2 shown]
	flat_load_dword v2, v[2:3]
	s_nop 0
	flat_load_dword v1, v[6:7]
	flat_load_dword v3, v[6:7] offset:256
	s_mov_b32 s2, s19
	s_waitcnt vmcnt(0) lgkmcnt(0)
	v_mul_f32_e32 v5, s19, v1
	v_pk_mul_f32 v[2:3], s[2:3], v[2:3] op_sel_hi:[0,1]
.LBB47_10:
	s_load_dwordx2 s[2:3], s[10:11], 0x0
	s_and_b64 vcc, exec, s[6:7]
	v_add_u32_e32 v82, 4, v81
	v_mov_b32_e32 v68, 0
	v_mov_b32_e32 v69, 0
	s_cbranch_vccnz .LBB47_12
; %bb.11:
	v_mad_i64_i32 v[6:7], s[6:7], v73, s29, 0
	v_mad_i64_i32 v[8:9], s[6:7], s27, v82, 0
	v_lshl_add_u64 v[6:7], v[6:7], 2, s[20:21]
	v_mov_b32_e32 v1, 0
	v_lshl_add_u64 v[8:9], v[8:9], 2, s[22:23]
	v_lshl_add_u64 v[6:7], v[6:7], 0, v[0:1]
	;; [unrolled: 1-line block ×3, first 2 shown]
	flat_load_dword v6, v[6:7] offset:16
	s_nop 0
	flat_load_dword v1, v[8:9]
	flat_load_dword v7, v[8:9] offset:256
	s_mov_b32 s6, s19
	s_waitcnt vmcnt(0) lgkmcnt(0)
	v_mul_f32_e32 v74, s19, v1
	v_pk_mul_f32 v[68:69], s[6:7], v[6:7] op_sel_hi:[0,1]
.LBB47_12:
	v_lshl_or_b32 v75, v4, 4, v0
	v_lshlrev_b32_e32 v0, 4, v72
	v_lshl_add_u32 v83, v81, 2, v0
	v_mov_b32_e32 v0, 0x1000
	v_mov_b32_e32 v66, 0
	v_cmp_neq_f32_e64 s[6:7], s26, 0
	ds_write2st64_b32 v83, v5, v3 offset1:4
	v_lshl_add_u32 v84, v78, 4, v0
	s_mov_b32 s14, 0
	s_mov_b64 s[10:11], -1
	v_mov_b32_e32 v67, v66
	v_mov_b32_e32 v64, v66
	v_mov_b32_e32 v65, v66
	v_mov_b32_e32 v62, v66
	v_mov_b32_e32 v63, v66
	v_mov_b32_e32 v60, v66
	v_mov_b32_e32 v61, v66
	v_mov_b32_e32 v58, v66
	v_mov_b32_e32 v59, v66
	v_mov_b32_e32 v56, v66
	v_mov_b32_e32 v57, v66
	v_mov_b32_e32 v54, v66
	v_mov_b32_e32 v55, v66
	v_mov_b32_e32 v52, v66
	v_mov_b32_e32 v53, v66
	v_mov_b32_e32 v50, v66
	v_mov_b32_e32 v51, v66
	v_mov_b32_e32 v48, v66
	v_mov_b32_e32 v49, v66
	v_mov_b32_e32 v46, v66
	v_mov_b32_e32 v47, v66
	v_mov_b32_e32 v44, v66
	v_mov_b32_e32 v45, v66
	v_mov_b32_e32 v42, v66
	v_mov_b32_e32 v43, v66
	v_mov_b32_e32 v40, v66
	v_mov_b32_e32 v41, v66
	v_mov_b32_e32 v38, v66
	v_mov_b32_e32 v39, v66
	v_mov_b32_e32 v36, v66
	v_mov_b32_e32 v37, v66
	v_mov_b32_e32 v34, v66
	v_mov_b32_e32 v35, v66
	v_mov_b32_e32 v32, v66
	v_mov_b32_e32 v33, v66
	v_mov_b32_e32 v30, v66
	v_mov_b32_e32 v31, v66
	v_mov_b32_e32 v28, v66
	v_mov_b32_e32 v29, v66
	v_mov_b32_e32 v26, v66
	v_mov_b32_e32 v27, v66
	v_mov_b32_e32 v24, v66
	v_mov_b32_e32 v25, v66
	v_mov_b32_e32 v22, v66
	v_mov_b32_e32 v23, v66
	v_mov_b32_e32 v20, v66
	v_mov_b32_e32 v21, v66
	v_mov_b32_e32 v18, v66
	v_mov_b32_e32 v19, v66
	v_mov_b32_e32 v16, v66
	v_mov_b32_e32 v17, v66
	v_mov_b32_e32 v14, v66
	v_mov_b32_e32 v15, v66
	v_mov_b32_e32 v12, v66
	v_mov_b32_e32 v13, v66
	v_mov_b32_e32 v10, v66
	v_mov_b32_e32 v11, v66
	v_mov_b32_e32 v8, v66
	v_mov_b32_e32 v9, v66
	v_mov_b32_e32 v6, v66
	v_mov_b32_e32 v7, v66
	v_mov_b32_e32 v4, v66
	v_mov_b32_e32 v5, v66
	v_add_u32_e32 v85, 0x1000, v75
	v_lshlrev_b32_e32 v86, 4, v79
	ds_write_b32 v75, v2 offset:4096
	s_waitcnt lgkmcnt(0)
	s_barrier
.LBB47_13:                              ; =>This Inner Loop Header: Depth=1
	v_cndmask_b32_e64 v0, 0, 1, s[10:11]
	s_lshl_b32 s10, s14, 2
	v_cmp_ne_u32_e32 vcc, 1, v0
	v_add_u32_e32 v0, s10, v84
	ds_read2_b64 v[88:91], v0 offset1:16
	ds_read2_b64 v[92:95], v0 offset0:32 offset1:48
	ds_read2_b64 v[96:99], v0 offset0:64 offset1:80
	;; [unrolled: 1-line block ×3, first 2 shown]
	v_add_u32_e32 v0, s10, v86
	ds_read2st64_b64 v[104:107], v0 offset1:1
	ds_read2st64_b64 v[0:3], v0 offset0:2 offset1:3
	s_waitcnt lgkmcnt(5)
	v_max_f32_e32 v88, v88, v88
	v_max_f32_e32 v89, v89, v89
	;; [unrolled: 1-line block ×3, first 2 shown]
	s_waitcnt lgkmcnt(1)
	v_max_f32_e32 v87, v104, v104
	v_max_f32_e32 v104, v105, v105
	v_min_f32_e32 v76, v88, v87
	v_min_f32_e32 v77, v89, v104
	v_max_f32_e32 v91, v91, v91
	v_pk_add_f32 v[66:67], v[76:77], v[66:67]
	v_min_f32_e32 v76, v90, v87
	v_min_f32_e32 v77, v91, v104
	v_max_f32_e32 v92, v92, v92
	v_max_f32_e32 v93, v93, v93
	v_pk_add_f32 v[64:65], v[76:77], v[64:65]
	v_min_f32_e32 v76, v92, v87
	v_min_f32_e32 v77, v93, v104
	v_max_f32_e32 v94, v94, v94
	;; [unrolled: 5-line block ×6, first 2 shown]
	v_pk_add_f32 v[54:55], v[76:77], v[54:55]
	v_min_f32_e32 v76, v102, v87
	v_max_f32_e32 v87, v103, v103
	v_min_f32_e32 v77, v87, v104
	v_max_f32_e32 v103, v106, v106
	v_max_f32_e32 v104, v107, v107
	v_pk_add_f32 v[52:53], v[76:77], v[52:53]
	v_min_f32_e32 v76, v88, v103
	v_min_f32_e32 v77, v89, v104
	v_pk_add_f32 v[50:51], v[76:77], v[50:51]
	v_min_f32_e32 v76, v90, v103
	v_min_f32_e32 v77, v91, v104
	;; [unrolled: 3-line block ×8, first 2 shown]
	v_pk_add_f32 v[36:37], v[76:77], v[36:37]
	s_waitcnt lgkmcnt(0)
	v_max_f32_e32 v76, v0, v0
	v_max_f32_e32 v77, v1, v1
	v_min_f32_e32 v0, v88, v76
	v_min_f32_e32 v1, v89, v77
	v_pk_add_f32 v[34:35], v[0:1], v[34:35]
	v_min_f32_e32 v0, v90, v76
	v_min_f32_e32 v1, v91, v77
	v_pk_add_f32 v[32:33], v[0:1], v[32:33]
	;; [unrolled: 3-line block ×7, first 2 shown]
	v_min_f32_e32 v0, v102, v76
	v_min_f32_e32 v1, v87, v77
	v_max_f32_e32 v2, v2, v2
	v_max_f32_e32 v3, v3, v3
	v_pk_add_f32 v[20:21], v[0:1], v[20:21]
	v_min_f32_e32 v0, v88, v2
	v_min_f32_e32 v1, v89, v3
	v_pk_add_f32 v[18:19], v[0:1], v[18:19]
	v_min_f32_e32 v0, v90, v2
	v_min_f32_e32 v1, v91, v3
	;; [unrolled: 3-line block ×8, first 2 shown]
	v_pk_add_f32 v[4:5], v[0:1], v[4:5]
	s_mov_b64 s[10:11], 0
	s_mov_b32 s14, 2
	s_cbranch_vccz .LBB47_13
; %bb.14:
	v_lshlrev_b32_e32 v0, 2, v81
	v_lshl_add_u32 v0, v72, 4, v0
	s_cmp_lt_i32 s18, 9
	ds_write_b32 v75, v68 offset:5120
	ds_write2st64_b32 v0, v74, v69 offset0:8 offset1:12
	s_waitcnt lgkmcnt(0)
	s_barrier
	s_cbranch_scc1 .LBB47_29
; %bb.15:
	v_or_b32_e32 v88, 0x800, v0
	v_mad_i64_i32 v[0:1], s[10:11], v73, s29, 0
	v_lshl_add_u64 v[68:69], v[0:1], 2, s[20:21]
	v_mov_b32_e32 v0, 0x1400
	v_lshl_add_u32 v89, v78, 4, v0
	v_mov_b32_e32 v0, 0x800
	v_add_u32_e32 v87, 0x1400, v75
	s_add_i32 s14, s18, -8
	v_lshl_add_u32 v90, v79, 4, v0
	v_lshl_add_u64 v[70:71], v[70:71], 2, s[22:23]
	s_mov_b32 s18, s19
	s_mov_b32 s15, 8
	;; [unrolled: 1-line block ×3, first 2 shown]
	v_mov_b32_e32 v73, 0
.LBB47_16:                              ; =>This Loop Header: Depth=1
                                        ;     Child Loop BB47_21 Depth 2
                                        ;     Child Loop BB47_27 Depth 2
	s_mov_b64 s[10:11], -1
	s_mov_b64 vcc, s[4:5]
                                        ; implicit-def: $vgpr74_vgpr75
	s_cbranch_vccz .LBB47_18
; %bb.17:                               ;   in Loop: Header=BB47_16 Depth=1
	v_mov_b32_e32 v74, v73
	s_mov_b64 s[10:11], 0
.LBB47_18:                              ;   in Loop: Header=BB47_16 Depth=1
	v_mov_b32_e32 v76, 0
	s_andn2_b64 vcc, exec, s[10:11]
	v_mov_b32_e32 v77, 0
	s_cbranch_vccnz .LBB47_20
; %bb.19:                               ;   in Loop: Header=BB47_16 Depth=1
	v_or_b32_e32 v72, s15, v80
	v_lshl_add_u64 v[0:1], v[72:73], 2, v[68:69]
	flat_load_dword v0, v[0:1]
	v_add_u32_e32 v1, s15, v81
	v_mad_u64_u32 v[2:3], s[10:11], v1, s27, 0
	v_mov_b32_e32 v72, v3
	v_mad_u64_u32 v[74:75], s[10:11], v1, s28, v[72:73]
	v_mov_b32_e32 v3, v74
	v_lshl_add_u64 v[2:3], v[2:3], 2, v[70:71]
	flat_load_dword v72, v[2:3]
	flat_load_dword v1, v[2:3] offset:256
	s_waitcnt vmcnt(0) lgkmcnt(0)
	v_mul_f32_e32 v74, s19, v72
	v_pk_mul_f32 v[76:77], s[18:19], v[0:1]
.LBB47_20:                              ;   in Loop: Header=BB47_16 Depth=1
	s_mov_b32 s21, 0
	s_mov_b64 s[10:11], -1
.LBB47_21:                              ;   Parent Loop BB47_16 Depth=1
                                        ; =>  This Inner Loop Header: Depth=2
	v_cndmask_b32_e64 v0, 0, 1, s[10:11]
	s_lshl_b32 s10, s21, 2
	v_cmp_ne_u32_e32 vcc, 1, v0
	v_add_u32_e32 v0, s10, v89
	ds_read2_b64 v[92:95], v0 offset1:16
	ds_read2_b64 v[96:99], v0 offset0:32 offset1:48
	ds_read2_b64 v[100:103], v0 offset0:64 offset1:80
	;; [unrolled: 1-line block ×3, first 2 shown]
	v_add_u32_e32 v0, s10, v90
	ds_read2st64_b64 v[108:111], v0 offset1:1
	ds_read2st64_b64 v[0:3], v0 offset0:2 offset1:3
	s_waitcnt lgkmcnt(5)
	v_max_f32_e32 v75, v92, v92
	v_max_f32_e32 v94, v94, v94
	;; [unrolled: 1-line block ×3, first 2 shown]
	s_waitcnt lgkmcnt(1)
	v_max_f32_e32 v72, v108, v108
	v_max_f32_e32 v91, v109, v109
	;; [unrolled: 1-line block ×3, first 2 shown]
	v_min_f32_e32 v92, v75, v72
	v_min_f32_e32 v93, v108, v91
	v_pk_add_f32 v[66:67], v[92:93], v[66:67]
	v_min_f32_e32 v92, v94, v72
	v_min_f32_e32 v93, v95, v91
	v_max_f32_e32 v96, v96, v96
	v_max_f32_e32 v97, v97, v97
	v_pk_add_f32 v[64:65], v[92:93], v[64:65]
	v_min_f32_e32 v92, v96, v72
	v_min_f32_e32 v93, v97, v91
	v_max_f32_e32 v98, v98, v98
	v_max_f32_e32 v99, v99, v99
	;; [unrolled: 5-line block ×5, first 2 shown]
	v_pk_add_f32 v[56:57], v[92:93], v[56:57]
	v_min_f32_e32 v92, v104, v72
	v_min_f32_e32 v93, v105, v91
	v_max_f32_e32 v106, v106, v106
	v_pk_add_f32 v[54:55], v[92:93], v[54:55]
	v_min_f32_e32 v92, v106, v72
	v_max_f32_e32 v72, v107, v107
	v_min_f32_e32 v93, v72, v91
	v_max_f32_e32 v91, v110, v110
	v_max_f32_e32 v107, v111, v111
	v_pk_add_f32 v[52:53], v[92:93], v[52:53]
	v_min_f32_e32 v92, v75, v91
	v_min_f32_e32 v93, v108, v107
	v_pk_add_f32 v[50:51], v[92:93], v[50:51]
	v_min_f32_e32 v92, v94, v91
	v_min_f32_e32 v93, v95, v107
	;; [unrolled: 3-line block ×8, first 2 shown]
	v_pk_add_f32 v[36:37], v[92:93], v[36:37]
	s_waitcnt lgkmcnt(0)
	v_max_f32_e32 v91, v0, v0
	v_max_f32_e32 v92, v1, v1
	v_min_f32_e32 v0, v75, v91
	v_min_f32_e32 v1, v108, v92
	v_pk_add_f32 v[34:35], v[0:1], v[34:35]
	v_min_f32_e32 v0, v94, v91
	v_min_f32_e32 v1, v95, v92
	v_pk_add_f32 v[32:33], v[0:1], v[32:33]
	v_min_f32_e32 v0, v96, v91
	v_min_f32_e32 v1, v97, v92
	v_pk_add_f32 v[30:31], v[0:1], v[30:31]
	v_min_f32_e32 v0, v98, v91
	v_min_f32_e32 v1, v99, v92
	v_pk_add_f32 v[28:29], v[0:1], v[28:29]
	v_min_f32_e32 v0, v100, v91
	v_min_f32_e32 v1, v101, v92
	v_pk_add_f32 v[26:27], v[0:1], v[26:27]
	v_min_f32_e32 v0, v102, v91
	v_min_f32_e32 v1, v103, v92
	v_pk_add_f32 v[24:25], v[0:1], v[24:25]
	v_min_f32_e32 v0, v104, v91
	v_min_f32_e32 v1, v105, v92
	v_pk_add_f32 v[22:23], v[0:1], v[22:23]
	v_min_f32_e32 v0, v106, v91
	v_min_f32_e32 v1, v72, v92
	v_max_f32_e32 v2, v2, v2
	v_max_f32_e32 v3, v3, v3
	v_pk_add_f32 v[20:21], v[0:1], v[20:21]
	v_min_f32_e32 v0, v75, v2
	v_min_f32_e32 v1, v108, v3
	v_pk_add_f32 v[18:19], v[0:1], v[18:19]
	v_min_f32_e32 v0, v94, v2
	v_min_f32_e32 v1, v95, v3
	;; [unrolled: 3-line block ×8, first 2 shown]
	v_pk_add_f32 v[4:5], v[0:1], v[4:5]
	s_mov_b64 s[10:11], 0
	s_mov_b32 s21, 2
	s_cbranch_vccz .LBB47_21
; %bb.22:                               ;   in Loop: Header=BB47_16 Depth=1
	s_mov_b64 s[10:11], -1
	s_mov_b64 vcc, s[4:5]
	ds_write_b32 v85, v76
	ds_write2st64_b32 v83, v74, v77 offset1:4
	s_waitcnt lgkmcnt(0)
	s_barrier
                                        ; implicit-def: $vgpr74_vgpr75
	s_cbranch_vccz .LBB47_24
; %bb.23:                               ;   in Loop: Header=BB47_16 Depth=1
	v_mov_b32_e32 v74, v73
	s_mov_b64 s[10:11], 0
.LBB47_24:                              ;   in Loop: Header=BB47_16 Depth=1
	v_mov_b32_e32 v76, 0
	s_andn2_b64 vcc, exec, s[10:11]
	v_mov_b32_e32 v77, 0
	s_cbranch_vccnz .LBB47_26
; %bb.25:                               ;   in Loop: Header=BB47_16 Depth=1
	v_or_b32_e32 v72, s15, v80
	v_lshl_add_u64 v[0:1], v[72:73], 2, v[68:69]
	flat_load_dword v0, v[0:1] offset:16
	v_add_u32_e32 v1, s15, v82
	v_mad_u64_u32 v[2:3], s[10:11], v1, s27, 0
	v_mov_b32_e32 v72, v3
	v_mad_u64_u32 v[74:75], s[10:11], v1, s28, v[72:73]
	v_mov_b32_e32 v3, v74
	v_lshl_add_u64 v[2:3], v[2:3], 2, v[70:71]
	flat_load_dword v72, v[2:3]
	flat_load_dword v1, v[2:3] offset:256
	s_waitcnt vmcnt(0) lgkmcnt(0)
	v_mul_f32_e32 v74, s19, v72
	v_pk_mul_f32 v[76:77], s[18:19], v[0:1]
.LBB47_26:                              ;   in Loop: Header=BB47_16 Depth=1
	s_mov_b32 s21, 0
	s_mov_b64 s[10:11], -1
.LBB47_27:                              ;   Parent Loop BB47_16 Depth=1
                                        ; =>  This Inner Loop Header: Depth=2
	v_cndmask_b32_e64 v0, 0, 1, s[10:11]
	s_lshl_b32 s10, s21, 2
	v_cmp_ne_u32_e32 vcc, 1, v0
	v_add_u32_e32 v0, s10, v84
	ds_read2_b64 v[92:95], v0 offset1:16
	ds_read2_b64 v[96:99], v0 offset0:32 offset1:48
	ds_read2_b64 v[100:103], v0 offset0:64 offset1:80
	ds_read2_b64 v[104:107], v0 offset0:96 offset1:112
	v_add_u32_e32 v0, s10, v86
	ds_read2st64_b64 v[108:111], v0 offset1:1
	ds_read2st64_b64 v[0:3], v0 offset0:2 offset1:3
	s_waitcnt lgkmcnt(5)
	v_max_f32_e32 v75, v92, v92
	v_max_f32_e32 v94, v94, v94
	;; [unrolled: 1-line block ×3, first 2 shown]
	s_waitcnt lgkmcnt(1)
	v_max_f32_e32 v72, v108, v108
	v_max_f32_e32 v91, v109, v109
	;; [unrolled: 1-line block ×3, first 2 shown]
	v_min_f32_e32 v92, v75, v72
	v_min_f32_e32 v93, v108, v91
	v_pk_add_f32 v[66:67], v[92:93], v[66:67]
	v_min_f32_e32 v92, v94, v72
	v_min_f32_e32 v93, v95, v91
	v_max_f32_e32 v96, v96, v96
	v_max_f32_e32 v97, v97, v97
	v_pk_add_f32 v[64:65], v[92:93], v[64:65]
	v_min_f32_e32 v92, v96, v72
	v_min_f32_e32 v93, v97, v91
	v_max_f32_e32 v98, v98, v98
	v_max_f32_e32 v99, v99, v99
	;; [unrolled: 5-line block ×5, first 2 shown]
	v_pk_add_f32 v[56:57], v[92:93], v[56:57]
	v_min_f32_e32 v92, v104, v72
	v_min_f32_e32 v93, v105, v91
	v_max_f32_e32 v106, v106, v106
	v_pk_add_f32 v[54:55], v[92:93], v[54:55]
	v_min_f32_e32 v92, v106, v72
	v_max_f32_e32 v72, v107, v107
	v_min_f32_e32 v93, v72, v91
	v_max_f32_e32 v91, v110, v110
	v_max_f32_e32 v107, v111, v111
	v_pk_add_f32 v[52:53], v[92:93], v[52:53]
	v_min_f32_e32 v92, v75, v91
	v_min_f32_e32 v93, v108, v107
	v_pk_add_f32 v[50:51], v[92:93], v[50:51]
	v_min_f32_e32 v92, v94, v91
	v_min_f32_e32 v93, v95, v107
	;; [unrolled: 3-line block ×8, first 2 shown]
	v_pk_add_f32 v[36:37], v[92:93], v[36:37]
	s_waitcnt lgkmcnt(0)
	v_max_f32_e32 v91, v0, v0
	v_max_f32_e32 v92, v1, v1
	v_min_f32_e32 v0, v75, v91
	v_min_f32_e32 v1, v108, v92
	v_pk_add_f32 v[34:35], v[0:1], v[34:35]
	v_min_f32_e32 v0, v94, v91
	v_min_f32_e32 v1, v95, v92
	v_pk_add_f32 v[32:33], v[0:1], v[32:33]
	v_min_f32_e32 v0, v96, v91
	v_min_f32_e32 v1, v97, v92
	v_pk_add_f32 v[30:31], v[0:1], v[30:31]
	v_min_f32_e32 v0, v98, v91
	v_min_f32_e32 v1, v99, v92
	v_pk_add_f32 v[28:29], v[0:1], v[28:29]
	v_min_f32_e32 v0, v100, v91
	v_min_f32_e32 v1, v101, v92
	v_pk_add_f32 v[26:27], v[0:1], v[26:27]
	v_min_f32_e32 v0, v102, v91
	v_min_f32_e32 v1, v103, v92
	v_pk_add_f32 v[24:25], v[0:1], v[24:25]
	v_min_f32_e32 v0, v104, v91
	v_min_f32_e32 v1, v105, v92
	v_pk_add_f32 v[22:23], v[0:1], v[22:23]
	v_min_f32_e32 v0, v106, v91
	v_min_f32_e32 v1, v72, v92
	v_max_f32_e32 v2, v2, v2
	v_max_f32_e32 v3, v3, v3
	v_pk_add_f32 v[20:21], v[0:1], v[20:21]
	v_min_f32_e32 v0, v75, v2
	v_min_f32_e32 v1, v108, v3
	v_pk_add_f32 v[18:19], v[0:1], v[18:19]
	v_min_f32_e32 v0, v94, v2
	v_min_f32_e32 v1, v95, v3
	v_pk_add_f32 v[16:17], v[0:1], v[16:17]
	v_min_f32_e32 v0, v96, v2
	v_min_f32_e32 v1, v97, v3
	v_pk_add_f32 v[14:15], v[0:1], v[14:15]
	v_min_f32_e32 v0, v98, v2
	v_min_f32_e32 v1, v99, v3
	v_pk_add_f32 v[12:13], v[0:1], v[12:13]
	v_min_f32_e32 v0, v100, v2
	v_min_f32_e32 v1, v101, v3
	v_pk_add_f32 v[10:11], v[0:1], v[10:11]
	v_min_f32_e32 v0, v102, v2
	v_min_f32_e32 v1, v103, v3
	v_pk_add_f32 v[8:9], v[0:1], v[8:9]
	v_min_f32_e32 v0, v104, v2
	v_min_f32_e32 v1, v105, v3
	v_pk_add_f32 v[6:7], v[0:1], v[6:7]
	v_min_f32_e32 v0, v106, v2
	v_min_f32_e32 v1, v72, v3
	v_pk_add_f32 v[4:5], v[0:1], v[4:5]
	s_mov_b64 s[10:11], 0
	s_mov_b32 s21, 2
	s_cbranch_vccz .LBB47_27
; %bb.28:                               ;   in Loop: Header=BB47_16 Depth=1
	s_add_i32 s15, s15, 8
	s_add_i32 s20, s20, 8
	s_cmp_ge_i32 s20, s14
	ds_write_b32 v87, v76
	ds_write2st64_b32 v88, v74, v77 offset1:4
	s_waitcnt lgkmcnt(0)
	s_barrier
	s_cbranch_scc0 .LBB47_16
.LBB47_29:
	v_mov_b32_e32 v0, 0x1400
	v_lshl_add_u32 v68, v78, 4, v0
	v_mov_b32_e32 v0, 0x800
	v_lshl_add_u32 v69, v79, 4, v0
	s_mov_b32 s10, 0
	s_mov_b64 s[4:5], -1
.LBB47_30:                              ; =>This Inner Loop Header: Depth=1
	v_cndmask_b32_e64 v0, 0, 1, s[4:5]
	s_lshl_b32 s4, s10, 2
	v_cmp_ne_u32_e32 vcc, 1, v0
	v_add_u32_e32 v0, s4, v68
	ds_read2_b64 v[70:73], v0 offset1:16
	ds_read2_b64 v[74:77], v0 offset0:32 offset1:48
	ds_read2_b64 v[80:83], v0 offset0:64 offset1:80
	;; [unrolled: 1-line block ×3, first 2 shown]
	v_add_u32_e32 v0, s4, v69
	ds_read2st64_b64 v[88:91], v0 offset1:1
	ds_read2st64_b64 v[0:3], v0 offset0:2 offset1:3
	s_waitcnt lgkmcnt(5)
	v_max_f32_e32 v92, v70, v70
	v_max_f32_e32 v93, v71, v71
	;; [unrolled: 1-line block ×3, first 2 shown]
	s_waitcnt lgkmcnt(1)
	v_max_f32_e32 v88, v88, v88
	v_max_f32_e32 v89, v89, v89
	v_min_f32_e32 v70, v92, v88
	v_min_f32_e32 v71, v93, v89
	v_max_f32_e32 v73, v73, v73
	v_pk_add_f32 v[66:67], v[70:71], v[66:67]
	v_min_f32_e32 v70, v72, v88
	v_min_f32_e32 v71, v73, v89
	v_max_f32_e32 v74, v74, v74
	v_max_f32_e32 v75, v75, v75
	v_pk_add_f32 v[64:65], v[70:71], v[64:65]
	v_min_f32_e32 v70, v74, v88
	v_min_f32_e32 v71, v75, v89
	v_max_f32_e32 v76, v76, v76
	;; [unrolled: 5-line block ×7, first 2 shown]
	v_max_f32_e32 v89, v91, v91
	v_pk_add_f32 v[52:53], v[70:71], v[52:53]
	v_min_f32_e32 v70, v92, v88
	v_min_f32_e32 v71, v93, v89
	v_pk_add_f32 v[50:51], v[70:71], v[50:51]
	v_min_f32_e32 v70, v72, v88
	v_min_f32_e32 v71, v73, v89
	;; [unrolled: 3-line block ×8, first 2 shown]
	v_pk_add_f32 v[36:37], v[70:71], v[36:37]
	s_waitcnt lgkmcnt(0)
	v_max_f32_e32 v70, v0, v0
	v_max_f32_e32 v71, v1, v1
	v_min_f32_e32 v0, v92, v70
	v_min_f32_e32 v1, v93, v71
	v_pk_add_f32 v[34:35], v[0:1], v[34:35]
	v_min_f32_e32 v0, v72, v70
	v_min_f32_e32 v1, v73, v71
	v_pk_add_f32 v[32:33], v[0:1], v[32:33]
	;; [unrolled: 3-line block ×7, first 2 shown]
	v_min_f32_e32 v0, v86, v70
	v_min_f32_e32 v1, v87, v71
	v_max_f32_e32 v2, v2, v2
	v_max_f32_e32 v3, v3, v3
	v_pk_add_f32 v[20:21], v[0:1], v[20:21]
	v_min_f32_e32 v0, v92, v2
	v_min_f32_e32 v1, v93, v3
	v_pk_add_f32 v[18:19], v[0:1], v[18:19]
	v_min_f32_e32 v0, v72, v2
	v_min_f32_e32 v1, v73, v3
	;; [unrolled: 3-line block ×8, first 2 shown]
	v_pk_add_f32 v[4:5], v[0:1], v[4:5]
	s_mov_b64 s[4:5], 0
	s_mov_b32 s10, 2
	s_cbranch_vccz .LBB47_30
; %bb.31:
	s_load_dword s10, s[0:1], 0x50
	v_add_u32_e32 v72, s13, v79
	v_add_u32_e32 v0, s12, v78
	v_ashrrev_i32_e32 v1, 31, v0
	v_mov_b32_e32 v73, 0
	s_waitcnt lgkmcnt(0)
	v_mad_i64_i32 v[2:3], s[4:5], v72, s10, 0
	v_lshl_add_u64 v[68:69], v[2:3], 2, s[16:17]
	v_cndmask_b32_e64 v2, 0, 1, s[6:7]
	v_cmp_ne_u32_e64 s[4:5], 1, v2
	s_andn2_b64 vcc, exec, s[6:7]
	v_mov_b32_e32 v74, 0
	s_cbranch_vccnz .LBB47_33
; %bb.32:
	v_lshl_add_u64 v[2:3], v[0:1], 2, v[68:69]
	flat_load_dword v2, v[2:3]
	s_waitcnt vmcnt(0) lgkmcnt(0)
	v_mul_f32_e32 v74, s26, v2
.LBB47_33:
	s_load_dwordx2 s[12:13], s[0:1], 0x70
	s_load_dword s6, s[0:1], 0x68
	v_add_u32_e32 v2, 8, v0
	v_add_f32_e32 v66, v66, v67
	v_ashrrev_i32_e32 v3, 31, v2
	s_waitcnt lgkmcnt(0)
	s_lshl_b64 s[0:1], s[12:13], 2
	s_add_u32 s0, s2, s0
	s_addc_u32 s1, s3, s1
	v_mad_i64_i32 v[70:71], s[2:3], v72, s6, 0
	v_lshl_add_u64 v[70:71], v[70:71], 2, s[0:1]
	v_add_f32_e32 v74, v66, v74
	v_lshl_add_u64 v[66:67], v[0:1], 2, v[70:71]
	s_and_b64 vcc, exec, s[4:5]
	flat_store_dword v[66:67], v74
	s_cbranch_vccnz .LBB47_35
; %bb.34:
	v_lshl_add_u64 v[66:67], v[2:3], 2, v[68:69]
	flat_load_dword v66, v[66:67]
	s_waitcnt vmcnt(0) lgkmcnt(0)
	v_mul_f32_e32 v73, s26, v66
.LBB47_35:
	v_add_f32_e32 v66, v64, v65
	v_add_u32_e32 v64, 16, v0
	v_add_f32_e32 v73, v66, v73
	v_lshl_add_u64 v[66:67], v[2:3], 2, v[70:71]
	v_ashrrev_i32_e32 v65, 31, v64
	flat_store_dword v[66:67], v73
	v_mov_b32_e32 v66, 0
	s_and_b64 vcc, exec, s[4:5]
	v_mov_b32_e32 v67, 0
	s_cbranch_vccnz .LBB47_37
; %bb.36:
	v_lshl_add_u64 v[74:75], v[64:65], 2, v[68:69]
	flat_load_dword v67, v[74:75]
	s_waitcnt vmcnt(0) lgkmcnt(0)
	v_mul_f32_e32 v67, s26, v67
.LBB47_37:
	v_add_f32_e32 v73, v62, v63
	v_add_u32_e32 v62, 24, v0
	v_ashrrev_i32_e32 v63, 31, v62
	v_add_f32_e32 v67, v73, v67
	v_lshl_add_u64 v[74:75], v[64:65], 2, v[70:71]
	s_and_b64 vcc, exec, s[4:5]
	flat_store_dword v[74:75], v67
	s_cbranch_vccnz .LBB47_39
; %bb.38:
	v_lshl_add_u64 v[66:67], v[62:63], 2, v[68:69]
	flat_load_dword v66, v[66:67]
	s_waitcnt vmcnt(0) lgkmcnt(0)
	v_mul_f32_e32 v66, s26, v66
.LBB47_39:
	v_add_f32_e32 v67, v60, v61
	v_add_u32_e32 v60, 32, v0
	v_add_f32_e32 v73, v67, v66
	v_lshl_add_u64 v[66:67], v[62:63], 2, v[70:71]
	v_ashrrev_i32_e32 v61, 31, v60
	flat_store_dword v[66:67], v73
	v_mov_b32_e32 v66, 0
	s_and_b64 vcc, exec, s[4:5]
	v_mov_b32_e32 v67, 0
	s_cbranch_vccnz .LBB47_41
; %bb.40:
	v_lshl_add_u64 v[74:75], v[60:61], 2, v[68:69]
	flat_load_dword v67, v[74:75]
	s_waitcnt vmcnt(0) lgkmcnt(0)
	v_mul_f32_e32 v67, s26, v67
.LBB47_41:
	v_add_f32_e32 v73, v58, v59
	v_add_u32_e32 v58, 40, v0
	v_ashrrev_i32_e32 v59, 31, v58
	;; [unrolled: 30-line block ×3, first 2 shown]
	v_add_f32_e32 v67, v73, v67
	v_lshl_add_u64 v[74:75], v[56:57], 2, v[70:71]
	s_and_b64 vcc, exec, s[4:5]
	flat_store_dword v[74:75], v67
	s_cbranch_vccnz .LBB47_47
; %bb.46:
	v_lshl_add_u64 v[66:67], v[54:55], 2, v[68:69]
	flat_load_dword v66, v[66:67]
	s_waitcnt vmcnt(0) lgkmcnt(0)
	v_mul_f32_e32 v66, s26, v66
.LBB47_47:
	v_add_f32_e32 v52, v52, v53
	v_add_f32_e32 v66, v52, v66
	v_lshl_add_u64 v[52:53], v[54:55], 2, v[70:71]
	flat_store_dword v[52:53], v66
	v_add_u32_e32 v66, 32, v72
	v_mad_i64_i32 v[52:53], s[2:3], v66, s10, 0
	v_lshl_add_u64 v[52:53], v[52:53], 2, s[16:17]
	v_mov_b32_e32 v68, 0
	s_and_b64 vcc, exec, s[4:5]
	v_mov_b32_e32 v69, 0
	s_cbranch_vccnz .LBB47_49
; %bb.48:
	v_lshl_add_u64 v[70:71], v[0:1], 2, v[52:53]
	flat_load_dword v67, v[70:71]
	s_waitcnt vmcnt(0) lgkmcnt(0)
	v_mul_f32_e32 v69, s26, v67
.LBB47_49:
	v_mad_i64_i32 v[66:67], s[2:3], v66, s6, 0
	v_lshl_add_u64 v[66:67], v[66:67], 2, s[0:1]
	v_add_f32_e32 v50, v50, v51
	v_add_f32_e32 v69, v50, v69
	v_lshl_add_u64 v[50:51], v[0:1], 2, v[66:67]
	s_and_b64 vcc, exec, s[4:5]
	flat_store_dword v[50:51], v69
	s_cbranch_vccnz .LBB47_51
; %bb.50:
	v_lshl_add_u64 v[50:51], v[2:3], 2, v[52:53]
	flat_load_dword v50, v[50:51]
	s_waitcnt vmcnt(0) lgkmcnt(0)
	v_mul_f32_e32 v68, s26, v50
.LBB47_51:
	v_add_f32_e32 v48, v48, v49
	v_add_f32_e32 v50, v48, v68
	v_lshl_add_u64 v[48:49], v[2:3], 2, v[66:67]
	flat_store_dword v[48:49], v50
	v_mov_b32_e32 v48, 0
	s_and_b64 vcc, exec, s[4:5]
	v_mov_b32_e32 v49, 0
	s_cbranch_vccnz .LBB47_53
; %bb.52:
	v_lshl_add_u64 v[50:51], v[64:65], 2, v[52:53]
	flat_load_dword v49, v[50:51]
	s_waitcnt vmcnt(0) lgkmcnt(0)
	v_mul_f32_e32 v49, s26, v49
.LBB47_53:
	v_add_f32_e32 v46, v46, v47
	v_add_f32_e32 v49, v46, v49
	v_lshl_add_u64 v[46:47], v[64:65], 2, v[66:67]
	s_and_b64 vcc, exec, s[4:5]
	flat_store_dword v[46:47], v49
	s_cbranch_vccnz .LBB47_55
; %bb.54:
	v_lshl_add_u64 v[46:47], v[62:63], 2, v[52:53]
	flat_load_dword v46, v[46:47]
	s_waitcnt vmcnt(0) lgkmcnt(0)
	v_mul_f32_e32 v48, s26, v46
.LBB47_55:
	v_add_f32_e32 v44, v44, v45
	v_add_f32_e32 v46, v44, v48
	v_lshl_add_u64 v[44:45], v[62:63], 2, v[66:67]
	flat_store_dword v[44:45], v46
	v_mov_b32_e32 v44, 0
	s_and_b64 vcc, exec, s[4:5]
	v_mov_b32_e32 v45, 0
	s_cbranch_vccnz .LBB47_57
; %bb.56:
	v_lshl_add_u64 v[46:47], v[60:61], 2, v[52:53]
	flat_load_dword v45, v[46:47]
	s_waitcnt vmcnt(0) lgkmcnt(0)
	v_mul_f32_e32 v45, s26, v45
.LBB47_57:
	;; [unrolled: 26-line block ×3, first 2 shown]
	v_add_f32_e32 v38, v38, v39
	v_add_f32_e32 v41, v38, v41
	v_lshl_add_u64 v[38:39], v[56:57], 2, v[66:67]
	s_and_b64 vcc, exec, s[4:5]
	flat_store_dword v[38:39], v41
	s_cbranch_vccnz .LBB47_63
; %bb.62:
	v_lshl_add_u64 v[38:39], v[54:55], 2, v[52:53]
	flat_load_dword v38, v[38:39]
	s_waitcnt vmcnt(0) lgkmcnt(0)
	v_mul_f32_e32 v40, s26, v38
.LBB47_63:
	v_add_f32_e32 v36, v36, v37
	v_add_f32_e32 v38, v36, v40
	v_lshl_add_u64 v[36:37], v[54:55], 2, v[66:67]
	flat_store_dword v[36:37], v38
	v_add_u32_e32 v38, 64, v72
	v_mad_i64_i32 v[36:37], s[2:3], v38, s10, 0
	v_lshl_add_u64 v[36:37], v[36:37], 2, s[16:17]
	v_mov_b32_e32 v40, 0
	s_and_b64 vcc, exec, s[4:5]
	v_mov_b32_e32 v41, 0
	s_cbranch_vccnz .LBB47_65
; %bb.64:
	v_lshl_add_u64 v[42:43], v[0:1], 2, v[36:37]
	flat_load_dword v39, v[42:43]
	s_waitcnt vmcnt(0) lgkmcnt(0)
	v_mul_f32_e32 v41, s26, v39
.LBB47_65:
	v_mad_i64_i32 v[38:39], s[2:3], v38, s6, 0
	v_lshl_add_u64 v[38:39], v[38:39], 2, s[0:1]
	v_add_f32_e32 v34, v34, v35
	v_add_f32_e32 v41, v34, v41
	v_lshl_add_u64 v[34:35], v[0:1], 2, v[38:39]
	s_and_b64 vcc, exec, s[4:5]
	flat_store_dword v[34:35], v41
	s_cbranch_vccnz .LBB47_67
; %bb.66:
	v_lshl_add_u64 v[34:35], v[2:3], 2, v[36:37]
	flat_load_dword v34, v[34:35]
	s_waitcnt vmcnt(0) lgkmcnt(0)
	v_mul_f32_e32 v40, s26, v34
.LBB47_67:
	v_add_f32_e32 v32, v32, v33
	v_add_f32_e32 v34, v32, v40
	v_lshl_add_u64 v[32:33], v[2:3], 2, v[38:39]
	flat_store_dword v[32:33], v34
	v_mov_b32_e32 v32, 0
	s_and_b64 vcc, exec, s[4:5]
	v_mov_b32_e32 v33, 0
	s_cbranch_vccnz .LBB47_69
; %bb.68:
	v_lshl_add_u64 v[34:35], v[64:65], 2, v[36:37]
	flat_load_dword v33, v[34:35]
	s_waitcnt vmcnt(0) lgkmcnt(0)
	v_mul_f32_e32 v33, s26, v33
.LBB47_69:
	v_add_f32_e32 v30, v30, v31
	v_add_f32_e32 v33, v30, v33
	v_lshl_add_u64 v[30:31], v[64:65], 2, v[38:39]
	s_and_b64 vcc, exec, s[4:5]
	flat_store_dword v[30:31], v33
	s_cbranch_vccnz .LBB47_71
; %bb.70:
	v_lshl_add_u64 v[30:31], v[62:63], 2, v[36:37]
	flat_load_dword v30, v[30:31]
	s_waitcnt vmcnt(0) lgkmcnt(0)
	v_mul_f32_e32 v32, s26, v30
.LBB47_71:
	v_add_f32_e32 v28, v28, v29
	v_add_f32_e32 v30, v28, v32
	v_lshl_add_u64 v[28:29], v[62:63], 2, v[38:39]
	flat_store_dword v[28:29], v30
	v_mov_b32_e32 v28, 0
	s_and_b64 vcc, exec, s[4:5]
	v_mov_b32_e32 v29, 0
	s_cbranch_vccnz .LBB47_73
; %bb.72:
	v_lshl_add_u64 v[30:31], v[60:61], 2, v[36:37]
	flat_load_dword v29, v[30:31]
	s_waitcnt vmcnt(0) lgkmcnt(0)
	v_mul_f32_e32 v29, s26, v29
.LBB47_73:
	v_add_f32_e32 v26, v26, v27
	v_add_f32_e32 v29, v26, v29
	v_lshl_add_u64 v[26:27], v[60:61], 2, v[38:39]
	s_and_b64 vcc, exec, s[4:5]
	flat_store_dword v[26:27], v29
	s_cbranch_vccnz .LBB47_75
; %bb.74:
	v_lshl_add_u64 v[26:27], v[58:59], 2, v[36:37]
	flat_load_dword v26, v[26:27]
	s_waitcnt vmcnt(0) lgkmcnt(0)
	v_mul_f32_e32 v28, s26, v26
.LBB47_75:
	v_add_f32_e32 v24, v24, v25
	v_add_f32_e32 v26, v24, v28
	v_lshl_add_u64 v[24:25], v[58:59], 2, v[38:39]
	flat_store_dword v[24:25], v26
	v_mov_b32_e32 v24, 0
	s_and_b64 vcc, exec, s[4:5]
	v_mov_b32_e32 v25, 0
	s_cbranch_vccnz .LBB47_77
; %bb.76:
	v_lshl_add_u64 v[26:27], v[56:57], 2, v[36:37]
	flat_load_dword v25, v[26:27]
	s_waitcnt vmcnt(0) lgkmcnt(0)
	v_mul_f32_e32 v25, s26, v25
.LBB47_77:
	v_add_f32_e32 v22, v22, v23
	v_add_f32_e32 v25, v22, v25
	v_lshl_add_u64 v[22:23], v[56:57], 2, v[38:39]
	s_and_b64 vcc, exec, s[4:5]
	flat_store_dword v[22:23], v25
	s_cbranch_vccnz .LBB47_79
; %bb.78:
	v_lshl_add_u64 v[22:23], v[54:55], 2, v[36:37]
	flat_load_dword v22, v[22:23]
	s_waitcnt vmcnt(0) lgkmcnt(0)
	v_mul_f32_e32 v24, s26, v22
.LBB47_79:
	v_add_f32_e32 v20, v20, v21
	v_add_f32_e32 v22, v20, v24
	v_lshl_add_u64 v[20:21], v[54:55], 2, v[38:39]
	flat_store_dword v[20:21], v22
	v_add_u32_e32 v22, 0x60, v72
	v_mad_i64_i32 v[20:21], s[2:3], v22, s10, 0
	v_lshl_add_u64 v[20:21], v[20:21], 2, s[16:17]
	v_mov_b32_e32 v24, 0
	s_and_b64 vcc, exec, s[4:5]
	v_mov_b32_e32 v25, 0
	s_cbranch_vccnz .LBB47_81
; %bb.80:
	v_lshl_add_u64 v[26:27], v[0:1], 2, v[20:21]
	flat_load_dword v23, v[26:27]
	s_waitcnt vmcnt(0) lgkmcnt(0)
	v_mul_f32_e32 v25, s26, v23
.LBB47_81:
	v_mad_i64_i32 v[22:23], s[2:3], v22, s6, 0
	v_lshl_add_u64 v[22:23], v[22:23], 2, s[0:1]
	v_add_f32_e32 v18, v18, v19
	v_add_f32_e32 v18, v18, v25
	v_lshl_add_u64 v[0:1], v[0:1], 2, v[22:23]
	s_and_b64 vcc, exec, s[4:5]
	flat_store_dword v[0:1], v18
	s_cbranch_vccnz .LBB47_83
; %bb.82:
	v_lshl_add_u64 v[0:1], v[2:3], 2, v[20:21]
	flat_load_dword v0, v[0:1]
	s_waitcnt vmcnt(0) lgkmcnt(0)
	v_mul_f32_e32 v24, s26, v0
.LBB47_83:
	v_add_f32_e32 v0, v16, v17
	v_add_f32_e32 v16, v0, v24
	v_lshl_add_u64 v[0:1], v[2:3], 2, v[22:23]
	flat_store_dword v[0:1], v16
	v_mov_b32_e32 v0, 0
	s_and_b64 vcc, exec, s[4:5]
	v_mov_b32_e32 v1, 0
	s_cbranch_vccnz .LBB47_85
; %bb.84:
	v_lshl_add_u64 v[2:3], v[64:65], 2, v[20:21]
	flat_load_dword v1, v[2:3]
	s_waitcnt vmcnt(0) lgkmcnt(0)
	v_mul_f32_e32 v1, s26, v1
.LBB47_85:
	v_add_f32_e32 v2, v14, v15
	v_add_f32_e32 v1, v2, v1
	v_lshl_add_u64 v[2:3], v[64:65], 2, v[22:23]
	s_and_b64 vcc, exec, s[4:5]
	flat_store_dword v[2:3], v1
	s_cbranch_vccnz .LBB47_87
; %bb.86:
	v_lshl_add_u64 v[0:1], v[62:63], 2, v[20:21]
	flat_load_dword v0, v[0:1]
	s_waitcnt vmcnt(0) lgkmcnt(0)
	v_mul_f32_e32 v0, s26, v0
.LBB47_87:
	v_add_f32_e32 v1, v12, v13
	v_add_f32_e32 v2, v1, v0
	v_lshl_add_u64 v[0:1], v[62:63], 2, v[22:23]
	flat_store_dword v[0:1], v2
	v_mov_b32_e32 v0, 0
	s_and_b64 vcc, exec, s[4:5]
	v_mov_b32_e32 v1, 0
	s_cbranch_vccnz .LBB47_89
; %bb.88:
	v_lshl_add_u64 v[2:3], v[60:61], 2, v[20:21]
	flat_load_dword v1, v[2:3]
	s_waitcnt vmcnt(0) lgkmcnt(0)
	v_mul_f32_e32 v1, s26, v1
.LBB47_89:
	v_add_f32_e32 v2, v10, v11
	v_add_f32_e32 v1, v2, v1
	v_lshl_add_u64 v[2:3], v[60:61], 2, v[22:23]
	s_and_b64 vcc, exec, s[4:5]
	flat_store_dword v[2:3], v1
	s_cbranch_vccnz .LBB47_91
; %bb.90:
	v_lshl_add_u64 v[0:1], v[58:59], 2, v[20:21]
	flat_load_dword v0, v[0:1]
	s_waitcnt vmcnt(0) lgkmcnt(0)
	v_mul_f32_e32 v0, s26, v0
.LBB47_91:
	v_add_f32_e32 v1, v8, v9
	v_add_f32_e32 v2, v1, v0
	v_lshl_add_u64 v[0:1], v[58:59], 2, v[22:23]
	flat_store_dword v[0:1], v2
	v_add_f32_e32 v0, v6, v7
	s_mov_b64 s[0:1], -1
	s_mov_b64 vcc, s[8:9]
	s_cbranch_vccz .LBB47_93
; %bb.92:
	v_add_f32_e32 v1, 0, v0
	v_lshl_add_u64 v[2:3], v[56:57], 2, v[22:23]
	flat_store_dword v[2:3], v1
	s_mov_b64 s[0:1], 0
.LBB47_93:
	s_andn2_b64 vcc, exec, s[0:1]
	v_mov_b32_e32 v1, 0
	s_cbranch_vccnz .LBB47_95
; %bb.94:
	v_lshlrev_b64 v[2:3], 2, v[56:57]
	v_lshl_add_u64 v[6:7], v[20:21], 0, v[2:3]
	flat_load_dword v1, v[6:7]
	v_lshl_add_u64 v[2:3], v[22:23], 0, v[2:3]
	s_waitcnt vmcnt(0) lgkmcnt(0)
	v_fmac_f32_e32 v0, s26, v1
	flat_store_dword v[2:3], v0
	v_lshl_add_u64 v[0:1], v[54:55], 2, v[20:21]
	flat_load_dword v0, v[0:1]
	s_waitcnt vmcnt(0) lgkmcnt(0)
	v_mul_f32_e32 v1, s26, v0
.LBB47_95:
	v_add_f32_e32 v0, v4, v5
	v_add_f32_e32 v2, v0, v1
	v_lshl_add_u64 v[0:1], v[54:55], 2, v[22:23]
	flat_store_dword v[0:1], v2
	s_endpgm
	.section	.rodata,"a",@progbits
	.p2align	6, 0x0
	.amdhsa_kernel _ZN12_GLOBAL__N_120geam_min_plus_kernelIf15HIP_vector_typeIfLj2EES2_Li8ELi32ELi64ELi128ELi4ELi4ELi64ELi64ELi4ELc84ELc84ELb0ELb0ELb0EfKPKfKPfEEviiiT16_PT17_ilSA_ilS8_SA_ilPT18_ili26rocblas_geam_ex_operation_
		.amdhsa_group_segment_fixed_size 6144
		.amdhsa_private_segment_fixed_size 0
		.amdhsa_kernarg_size 128
		.amdhsa_user_sgpr_count 2
		.amdhsa_user_sgpr_dispatch_ptr 0
		.amdhsa_user_sgpr_queue_ptr 0
		.amdhsa_user_sgpr_kernarg_segment_ptr 1
		.amdhsa_user_sgpr_dispatch_id 0
		.amdhsa_user_sgpr_kernarg_preload_length 0
		.amdhsa_user_sgpr_kernarg_preload_offset 0
		.amdhsa_user_sgpr_private_segment_size 0
		.amdhsa_uses_dynamic_stack 0
		.amdhsa_enable_private_segment 0
		.amdhsa_system_sgpr_workgroup_id_x 1
		.amdhsa_system_sgpr_workgroup_id_y 0
		.amdhsa_system_sgpr_workgroup_id_z 1
		.amdhsa_system_sgpr_workgroup_info 0
		.amdhsa_system_vgpr_workitem_id 1
		.amdhsa_next_free_vgpr 112
		.amdhsa_next_free_sgpr 30
		.amdhsa_accum_offset 112
		.amdhsa_reserve_vcc 1
		.amdhsa_float_round_mode_32 0
		.amdhsa_float_round_mode_16_64 0
		.amdhsa_float_denorm_mode_32 3
		.amdhsa_float_denorm_mode_16_64 3
		.amdhsa_dx10_clamp 1
		.amdhsa_ieee_mode 1
		.amdhsa_fp16_overflow 0
		.amdhsa_tg_split 0
		.amdhsa_exception_fp_ieee_invalid_op 0
		.amdhsa_exception_fp_denorm_src 0
		.amdhsa_exception_fp_ieee_div_zero 0
		.amdhsa_exception_fp_ieee_overflow 0
		.amdhsa_exception_fp_ieee_underflow 0
		.amdhsa_exception_fp_ieee_inexact 0
		.amdhsa_exception_int_div_zero 0
	.end_amdhsa_kernel
	.section	.text._ZN12_GLOBAL__N_120geam_min_plus_kernelIf15HIP_vector_typeIfLj2EES2_Li8ELi32ELi64ELi128ELi4ELi4ELi64ELi64ELi4ELc84ELc84ELb0ELb0ELb0EfKPKfKPfEEviiiT16_PT17_ilSA_ilS8_SA_ilPT18_ili26rocblas_geam_ex_operation_,"axG",@progbits,_ZN12_GLOBAL__N_120geam_min_plus_kernelIf15HIP_vector_typeIfLj2EES2_Li8ELi32ELi64ELi128ELi4ELi4ELi64ELi64ELi4ELc84ELc84ELb0ELb0ELb0EfKPKfKPfEEviiiT16_PT17_ilSA_ilS8_SA_ilPT18_ili26rocblas_geam_ex_operation_,comdat
.Lfunc_end47:
	.size	_ZN12_GLOBAL__N_120geam_min_plus_kernelIf15HIP_vector_typeIfLj2EES2_Li8ELi32ELi64ELi128ELi4ELi4ELi64ELi64ELi4ELc84ELc84ELb0ELb0ELb0EfKPKfKPfEEviiiT16_PT17_ilSA_ilS8_SA_ilPT18_ili26rocblas_geam_ex_operation_, .Lfunc_end47-_ZN12_GLOBAL__N_120geam_min_plus_kernelIf15HIP_vector_typeIfLj2EES2_Li8ELi32ELi64ELi128ELi4ELi4ELi64ELi64ELi4ELc84ELc84ELb0ELb0ELb0EfKPKfKPfEEviiiT16_PT17_ilSA_ilS8_SA_ilPT18_ili26rocblas_geam_ex_operation_
                                        ; -- End function
	.set _ZN12_GLOBAL__N_120geam_min_plus_kernelIf15HIP_vector_typeIfLj2EES2_Li8ELi32ELi64ELi128ELi4ELi4ELi64ELi64ELi4ELc84ELc84ELb0ELb0ELb0EfKPKfKPfEEviiiT16_PT17_ilSA_ilS8_SA_ilPT18_ili26rocblas_geam_ex_operation_.num_vgpr, 112
	.set _ZN12_GLOBAL__N_120geam_min_plus_kernelIf15HIP_vector_typeIfLj2EES2_Li8ELi32ELi64ELi128ELi4ELi4ELi64ELi64ELi4ELc84ELc84ELb0ELb0ELb0EfKPKfKPfEEviiiT16_PT17_ilSA_ilS8_SA_ilPT18_ili26rocblas_geam_ex_operation_.num_agpr, 0
	.set _ZN12_GLOBAL__N_120geam_min_plus_kernelIf15HIP_vector_typeIfLj2EES2_Li8ELi32ELi64ELi128ELi4ELi4ELi64ELi64ELi4ELc84ELc84ELb0ELb0ELb0EfKPKfKPfEEviiiT16_PT17_ilSA_ilS8_SA_ilPT18_ili26rocblas_geam_ex_operation_.numbered_sgpr, 30
	.set _ZN12_GLOBAL__N_120geam_min_plus_kernelIf15HIP_vector_typeIfLj2EES2_Li8ELi32ELi64ELi128ELi4ELi4ELi64ELi64ELi4ELc84ELc84ELb0ELb0ELb0EfKPKfKPfEEviiiT16_PT17_ilSA_ilS8_SA_ilPT18_ili26rocblas_geam_ex_operation_.num_named_barrier, 0
	.set _ZN12_GLOBAL__N_120geam_min_plus_kernelIf15HIP_vector_typeIfLj2EES2_Li8ELi32ELi64ELi128ELi4ELi4ELi64ELi64ELi4ELc84ELc84ELb0ELb0ELb0EfKPKfKPfEEviiiT16_PT17_ilSA_ilS8_SA_ilPT18_ili26rocblas_geam_ex_operation_.private_seg_size, 0
	.set _ZN12_GLOBAL__N_120geam_min_plus_kernelIf15HIP_vector_typeIfLj2EES2_Li8ELi32ELi64ELi128ELi4ELi4ELi64ELi64ELi4ELc84ELc84ELb0ELb0ELb0EfKPKfKPfEEviiiT16_PT17_ilSA_ilS8_SA_ilPT18_ili26rocblas_geam_ex_operation_.uses_vcc, 1
	.set _ZN12_GLOBAL__N_120geam_min_plus_kernelIf15HIP_vector_typeIfLj2EES2_Li8ELi32ELi64ELi128ELi4ELi4ELi64ELi64ELi4ELc84ELc84ELb0ELb0ELb0EfKPKfKPfEEviiiT16_PT17_ilSA_ilS8_SA_ilPT18_ili26rocblas_geam_ex_operation_.uses_flat_scratch, 0
	.set _ZN12_GLOBAL__N_120geam_min_plus_kernelIf15HIP_vector_typeIfLj2EES2_Li8ELi32ELi64ELi128ELi4ELi4ELi64ELi64ELi4ELc84ELc84ELb0ELb0ELb0EfKPKfKPfEEviiiT16_PT17_ilSA_ilS8_SA_ilPT18_ili26rocblas_geam_ex_operation_.has_dyn_sized_stack, 0
	.set _ZN12_GLOBAL__N_120geam_min_plus_kernelIf15HIP_vector_typeIfLj2EES2_Li8ELi32ELi64ELi128ELi4ELi4ELi64ELi64ELi4ELc84ELc84ELb0ELb0ELb0EfKPKfKPfEEviiiT16_PT17_ilSA_ilS8_SA_ilPT18_ili26rocblas_geam_ex_operation_.has_recursion, 0
	.set _ZN12_GLOBAL__N_120geam_min_plus_kernelIf15HIP_vector_typeIfLj2EES2_Li8ELi32ELi64ELi128ELi4ELi4ELi64ELi64ELi4ELc84ELc84ELb0ELb0ELb0EfKPKfKPfEEviiiT16_PT17_ilSA_ilS8_SA_ilPT18_ili26rocblas_geam_ex_operation_.has_indirect_call, 0
	.section	.AMDGPU.csdata,"",@progbits
; Kernel info:
; codeLenInByte = 6672
; TotalNumSgprs: 36
; NumVgprs: 112
; NumAgprs: 0
; TotalNumVgprs: 112
; ScratchSize: 0
; MemoryBound: 0
; FloatMode: 240
; IeeeMode: 1
; LDSByteSize: 6144 bytes/workgroup (compile time only)
; SGPRBlocks: 4
; VGPRBlocks: 13
; NumSGPRsForWavesPerEU: 36
; NumVGPRsForWavesPerEU: 112
; AccumOffset: 112
; Occupancy: 4
; WaveLimiterHint : 1
; COMPUTE_PGM_RSRC2:SCRATCH_EN: 0
; COMPUTE_PGM_RSRC2:USER_SGPR: 2
; COMPUTE_PGM_RSRC2:TRAP_HANDLER: 0
; COMPUTE_PGM_RSRC2:TGID_X_EN: 1
; COMPUTE_PGM_RSRC2:TGID_Y_EN: 0
; COMPUTE_PGM_RSRC2:TGID_Z_EN: 1
; COMPUTE_PGM_RSRC2:TIDIG_COMP_CNT: 1
; COMPUTE_PGM_RSRC3_GFX90A:ACCUM_OFFSET: 27
; COMPUTE_PGM_RSRC3_GFX90A:TG_SPLIT: 0
	.section	.text._ZN12_GLOBAL__N_120geam_min_plus_kernelIf15HIP_vector_typeIfLj2EES2_Li8ELi32ELi64ELi128ELi4ELi4ELi64ELi64ELi4ELc84ELc84ELb0ELb1ELb0EPKfKS4_KPfEEviiiT16_PT17_ilSA_ilS8_SA_ilPT18_ili26rocblas_geam_ex_operation_,"axG",@progbits,_ZN12_GLOBAL__N_120geam_min_plus_kernelIf15HIP_vector_typeIfLj2EES2_Li8ELi32ELi64ELi128ELi4ELi4ELi64ELi64ELi4ELc84ELc84ELb0ELb1ELb0EPKfKS4_KPfEEviiiT16_PT17_ilSA_ilS8_SA_ilPT18_ili26rocblas_geam_ex_operation_,comdat
	.globl	_ZN12_GLOBAL__N_120geam_min_plus_kernelIf15HIP_vector_typeIfLj2EES2_Li8ELi32ELi64ELi128ELi4ELi4ELi64ELi64ELi4ELc84ELc84ELb0ELb1ELb0EPKfKS4_KPfEEviiiT16_PT17_ilSA_ilS8_SA_ilPT18_ili26rocblas_geam_ex_operation_ ; -- Begin function _ZN12_GLOBAL__N_120geam_min_plus_kernelIf15HIP_vector_typeIfLj2EES2_Li8ELi32ELi64ELi128ELi4ELi4ELi64ELi64ELi4ELc84ELc84ELb0ELb1ELb0EPKfKS4_KPfEEviiiT16_PT17_ilSA_ilS8_SA_ilPT18_ili26rocblas_geam_ex_operation_
	.p2align	8
	.type	_ZN12_GLOBAL__N_120geam_min_plus_kernelIf15HIP_vector_typeIfLj2EES2_Li8ELi32ELi64ELi128ELi4ELi4ELi64ELi64ELi4ELc84ELc84ELb0ELb1ELb0EPKfKS4_KPfEEviiiT16_PT17_ilSA_ilS8_SA_ilPT18_ili26rocblas_geam_ex_operation_,@function
_ZN12_GLOBAL__N_120geam_min_plus_kernelIf15HIP_vector_typeIfLj2EES2_Li8ELi32ELi64ELi128ELi4ELi4ELi64ELi64ELi4ELc84ELc84ELb0ELb1ELb0EPKfKS4_KPfEEviiiT16_PT17_ilSA_ilS8_SA_ilPT18_ili26rocblas_geam_ex_operation_: ; @_ZN12_GLOBAL__N_120geam_min_plus_kernelIf15HIP_vector_typeIfLj2EES2_Li8ELi32ELi64ELi128ELi4ELi4ELi64ELi64ELi4ELc84ELc84ELb0ELb1ELb0EPKfKS4_KPfEEviiiT16_PT17_ilSA_ilS8_SA_ilPT18_ili26rocblas_geam_ex_operation_
; %bb.0:
	s_load_dwordx4 s[12:15], s[0:1], 0x10
	s_load_dwordx4 s[8:11], s[0:1], 0x28
	s_load_dwordx4 s[4:7], s[0:1], 0x40
	s_mov_b32 s26, s3
	s_mov_b32 s27, 0
	s_lshl_b64 s[16:17], s[26:27], 2
	s_waitcnt lgkmcnt(0)
	s_add_u32 s12, s12, s16
	s_addc_u32 s13, s13, s17
	s_load_dword s30, s[12:13], 0x0
	s_load_dwordx2 s[20:21], s[0:1], 0x50
	s_add_u32 s6, s6, s16
	s_addc_u32 s7, s7, s17
	s_mov_b64 s[16:17], 0
	s_waitcnt lgkmcnt(0)
	v_cmp_eq_f32_e64 s[18:19], s30, 0
	v_cmp_neq_f32_e64 s[12:13], s30, 0
	s_and_b64 vcc, exec, s[18:19]
	s_mov_b64 s[18:19], 0
	s_cbranch_vccnz .LBB48_2
; %bb.1:
	s_lshl_b64 s[18:19], s[26:27], 3
	s_add_u32 s14, s14, s18
	s_addc_u32 s15, s15, s19
	s_load_dwordx2 s[14:15], s[14:15], 0x0
	s_lshl_b64 s[8:9], s[8:9], 2
	s_waitcnt lgkmcnt(0)
	s_add_u32 s18, s14, s8
	s_addc_u32 s19, s15, s9
.LBB48_2:
	s_load_dword s28, s[6:7], 0x0
	s_andn2_b64 vcc, exec, s[12:13]
	s_cbranch_vccnz .LBB48_4
; %bb.3:
	s_lshl_b64 s[6:7], s[26:27], 3
	s_add_u32 s6, s10, s6
	s_addc_u32 s7, s11, s7
	s_load_dwordx2 s[6:7], s[6:7], 0x0
	s_lshl_b64 s[4:5], s[4:5], 2
	s_waitcnt lgkmcnt(0)
	s_add_u32 s16, s6, s4
	s_addc_u32 s17, s7, s5
.LBB48_4:
	s_load_dwordx4 s[4:7], s[0:1], 0x60
	s_waitcnt lgkmcnt(0)
	v_cmp_eq_f32_e64 s[10:11], s28, 0
	v_cmp_neq_f32_e64 s[8:9], s28, 0
	s_and_b64 vcc, exec, s[10:11]
	s_cbranch_vccnz .LBB48_6
; %bb.5:
	s_lshl_b64 s[10:11], s[26:27], 3
	s_add_u32 s10, s20, s10
	s_addc_u32 s11, s21, s11
	s_load_dwordx2 s[10:11], s[10:11], 0x0
	s_lshl_b64 s[4:5], s[4:5], 2
	s_waitcnt lgkmcnt(0)
	s_add_u32 s24, s10, s4
	s_addc_u32 s25, s11, s5
	s_branch .LBB48_7
.LBB48_6:
	s_mov_b64 s[24:25], 0
.LBB48_7:
	s_load_dwordx4 s[20:23], s[0:1], 0x0
	s_load_dword s34, s[0:1], 0x20
	s_lshl_b64 s[4:5], s[26:27], 3
	s_add_u32 s10, s6, s4
	s_addc_u32 s11, s7, s5
	s_waitcnt lgkmcnt(0)
	s_add_i32 s3, s20, -1
	s_ashr_i32 s4, s3, 31
	s_lshr_b32 s4, s4, 26
	s_add_i32 s3, s3, s4
	s_ashr_i32 s3, s3, 6
	s_add_i32 s4, s3, 1
	v_cvt_f32_u32_e32 v1, s4
	v_and_b32_e32 v74, 0x3ff, v0
	v_bfe_u32 v75, v0, 10, 10
	v_and_b32_e32 v76, 3, v0
	v_rcp_iflag_f32_e32 v1, v1
	s_not_b32 s3, s3
	v_lshl_add_u32 v2, v75, 3, v74
	v_lshrrev_b32_e32 v4, 2, v2
	v_mul_f32_e32 v0, 0x4f7ffffe, v1
	v_cvt_u32_f32_e32 v0, v0
	v_cmp_gt_i32_e32 vcc, s22, v76
	v_mov_b32_e32 v5, 0
	v_mov_b32_e32 v6, 0
	v_readfirstlane_b32 s5, v0
	s_mul_i32 s3, s3, s5
	s_mul_hi_u32 s3, s5, s3
	s_add_i32 s5, s5, s3
	s_mul_hi_u32 s3, s2, s5
	s_mul_i32 s5, s3, s4
	s_sub_i32 s5, s2, s5
	s_add_i32 s6, s3, 1
	s_sub_i32 s7, s5, s4
	s_cmp_ge_u32 s5, s4
	s_cselect_b32 s3, s6, s3
	s_cselect_b32 s5, s7, s5
	s_add_i32 s6, s3, 1
	s_cmp_ge_u32 s5, s4
	s_cselect_b32 s6, s6, s3
	s_mul_i32 s3, s6, s4
	s_sub_i32 s2, s2, s3
	s_lshl_b32 s23, s2, 6
	v_add_u32_e32 v70, s23, v4
	v_cmp_gt_i32_e64 s[2:3], s20, v70
	s_and_b64 s[4:5], vcc, s[2:3]
	s_and_b64 s[14:15], s[12:13], s[4:5]
	v_lshlrev_b32_e32 v0, 2, v76
	s_and_saveexec_b64 s[4:5], s[14:15]
	s_cbranch_execz .LBB48_9
; %bb.8:
	v_mad_i64_i32 v[6:7], s[14:15], v70, s34, 0
	v_lshl_add_u64 v[6:7], v[6:7], 2, s[18:19]
	v_mov_b32_e32 v1, 0
	v_lshl_add_u64 v[6:7], v[6:7], 0, v[0:1]
	flat_load_dword v1, v[6:7]
	s_waitcnt vmcnt(0) lgkmcnt(0)
	v_mul_f32_e32 v6, s30, v1
.LBB48_9:
	s_or_b64 exec, exec, s[4:5]
	s_load_dword s31, s[0:1], 0x38
	v_lshrrev_b32_e32 v77, 6, v2
	s_add_i32 s33, s22, -1
	v_and_b32_e32 v7, 63, v2
	s_lshl_b32 s29, s6, 7
	v_min_i32_e32 v1, s33, v77
	v_or_b32_e32 v68, s29, v7
	s_waitcnt lgkmcnt(0)
	v_mad_i64_i32 v[2:3], s[4:5], s31, v1, 0
	v_cmp_le_i32_e32 vcc, s22, v77
	v_cmp_le_i32_e64 s[4:5], s21, v68
	s_or_b64 s[6:7], s[4:5], vcc
	s_xor_b64 s[14:15], s[12:13], -1
	v_lshl_add_u64 v[2:3], v[2:3], 2, s[16:17]
	s_nor_b64 s[26:27], s[6:7], s[14:15]
	v_ashrrev_i32_e32 v69, 31, v68
	s_and_saveexec_b64 s[6:7], s[26:27]
	s_cbranch_execz .LBB48_11
; %bb.10:
	v_lshl_add_u64 v[8:9], v[68:69], 2, v[2:3]
	flat_load_dword v1, v[8:9]
	s_waitcnt vmcnt(0) lgkmcnt(0)
	v_mul_f32_e32 v5, s30, v1
.LBB48_11:
	s_or_b64 exec, exec, s[6:7]
	v_or_b32_e32 v1, 64, v68
	v_cmp_le_i32_e64 s[6:7], s21, v1
	s_or_b64 s[26:27], s[6:7], vcc
	s_nor_b64 s[36:37], s[26:27], s[14:15]
	v_mov_b32_e32 v71, 0
	v_mov_b32_e32 v8, 0
	s_and_saveexec_b64 s[26:27], s[36:37]
	s_cbranch_execz .LBB48_13
; %bb.12:
	v_lshl_add_u64 v[2:3], v[68:69], 2, v[2:3]
	flat_load_dword v1, v[2:3] offset:256
	s_waitcnt vmcnt(0) lgkmcnt(0)
	v_mul_f32_e32 v8, s30, v1
.LBB48_13:
	s_or_b64 exec, exec, s[26:27]
	v_or_b32_e32 v1, 4, v76
	v_cmp_gt_i32_e32 vcc, s22, v1
	s_and_b64 s[26:27], vcc, s[2:3]
	s_and_b64 s[36:37], s[12:13], s[26:27]
	s_and_saveexec_b64 s[26:27], s[36:37]
	s_cbranch_execz .LBB48_15
; %bb.14:
	v_mad_i64_i32 v[2:3], s[36:37], v70, s34, 0
	v_lshl_add_u64 v[2:3], v[2:3], 2, s[18:19]
	v_mov_b32_e32 v1, 0
	v_lshl_add_u64 v[2:3], v[2:3], 0, v[0:1]
	flat_load_dword v1, v[2:3] offset:16
	s_waitcnt vmcnt(0) lgkmcnt(0)
	v_mul_f32_e32 v71, s30, v1
.LBB48_15:
	s_or_b64 exec, exec, s[26:27]
	v_add_u32_e32 v1, 4, v77
	v_cmp_le_i32_e32 vcc, s22, v1
	v_min_i32_e32 v1, s33, v1
	v_mad_i64_i32 v[2:3], s[26:27], s31, v1, 0
	s_or_b64 s[26:27], s[4:5], vcc
	v_lshl_add_u64 v[2:3], v[2:3], 2, s[16:17]
	s_nor_b64 s[36:37], s[26:27], s[14:15]
	v_mov_b32_e32 v72, 0
	v_mov_b32_e32 v73, 0
	s_and_saveexec_b64 s[26:27], s[36:37]
	s_cbranch_execz .LBB48_17
; %bb.16:
	v_lshl_add_u64 v[10:11], v[68:69], 2, v[2:3]
	flat_load_dword v1, v[10:11]
	s_waitcnt vmcnt(0) lgkmcnt(0)
	v_mul_f32_e32 v73, s30, v1
.LBB48_17:
	s_or_b64 exec, exec, s[26:27]
	s_load_dwordx2 s[10:11], s[10:11], 0x0
	s_or_b64 s[26:27], s[6:7], vcc
	s_nor_b64 s[36:37], s[26:27], s[14:15]
	s_and_saveexec_b64 s[26:27], s[36:37]
	s_cbranch_execz .LBB48_19
; %bb.18:
	v_lshl_add_u64 v[2:3], v[68:69], 2, v[2:3]
	flat_load_dword v1, v[2:3] offset:256
	s_waitcnt vmcnt(0) lgkmcnt(0)
	v_mul_f32_e32 v72, s30, v1
.LBB48_19:
	s_or_b64 exec, exec, s[26:27]
	v_lshl_or_b32 v82, v4, 4, v0
	v_lshlrev_b32_e32 v0, 4, v7
	v_lshl_add_u32 v78, v77, 2, v0
	v_mov_b32_e32 v0, 0x1000
	v_mov_b32_e32 v66, 0
	ds_write_b32 v82, v6 offset:4096
	ds_write2st64_b32 v78, v5, v8 offset1:4
	v_lshl_add_u32 v79, v74, 4, v0
	s_mov_b32 s35, 0
	s_mov_b64 s[26:27], -1
	v_mov_b32_e32 v67, v66
	v_mov_b32_e32 v64, v66
	;; [unrolled: 1-line block ×63, first 2 shown]
	v_add_u32_e32 v80, 0x1000, v82
	v_lshlrev_b32_e32 v81, 4, v75
	s_waitcnt lgkmcnt(0)
	s_barrier
.LBB48_20:                              ; =>This Inner Loop Header: Depth=1
	v_cndmask_b32_e64 v0, 0, 1, s[26:27]
	s_lshl_b32 s26, s35, 2
	v_cmp_ne_u32_e32 vcc, 1, v0
	v_add_u32_e32 v0, s26, v79
	ds_read2_b64 v[84:87], v0 offset1:16
	ds_read2_b64 v[88:91], v0 offset0:32 offset1:48
	ds_read2_b64 v[92:95], v0 offset0:64 offset1:80
	;; [unrolled: 1-line block ×3, first 2 shown]
	v_add_u32_e32 v0, s26, v81
	ds_read2st64_b64 v[100:103], v0 offset1:1
	ds_read2st64_b64 v[0:3], v0 offset0:2 offset1:3
	s_waitcnt lgkmcnt(5)
	v_max_f32_e32 v104, v85, v85
	v_max_f32_e32 v86, v86, v86
	;; [unrolled: 1-line block ×3, first 2 shown]
	s_waitcnt lgkmcnt(1)
	v_max_f32_e32 v83, v100, v100
	v_max_f32_e32 v100, v84, v84
	;; [unrolled: 1-line block ×3, first 2 shown]
	v_min_f32_e32 v84, v100, v83
	v_min_f32_e32 v85, v104, v101
	v_pk_add_f32 v[66:67], v[66:67], v[84:85]
	v_min_f32_e32 v84, v86, v83
	v_min_f32_e32 v85, v87, v101
	v_max_f32_e32 v88, v88, v88
	v_max_f32_e32 v89, v89, v89
	v_pk_add_f32 v[64:65], v[64:65], v[84:85]
	v_min_f32_e32 v84, v88, v83
	v_min_f32_e32 v85, v89, v101
	v_max_f32_e32 v90, v90, v90
	v_max_f32_e32 v91, v91, v91
	;; [unrolled: 5-line block ×5, first 2 shown]
	v_pk_add_f32 v[56:57], v[56:57], v[84:85]
	v_min_f32_e32 v84, v96, v83
	v_min_f32_e32 v85, v97, v101
	v_max_f32_e32 v98, v98, v98
	v_pk_add_f32 v[54:55], v[54:55], v[84:85]
	v_min_f32_e32 v84, v98, v83
	v_max_f32_e32 v83, v99, v99
	v_min_f32_e32 v85, v83, v101
	v_max_f32_e32 v99, v102, v102
	v_max_f32_e32 v101, v103, v103
	v_pk_add_f32 v[52:53], v[52:53], v[84:85]
	v_min_f32_e32 v84, v100, v99
	v_min_f32_e32 v85, v104, v101
	v_pk_add_f32 v[50:51], v[50:51], v[84:85]
	v_min_f32_e32 v84, v86, v99
	v_min_f32_e32 v85, v87, v101
	;; [unrolled: 3-line block ×8, first 2 shown]
	v_pk_add_f32 v[36:37], v[36:37], v[84:85]
	s_waitcnt lgkmcnt(0)
	v_max_f32_e32 v84, v0, v0
	v_max_f32_e32 v85, v1, v1
	v_min_f32_e32 v0, v100, v84
	v_min_f32_e32 v1, v104, v85
	v_pk_add_f32 v[34:35], v[34:35], v[0:1]
	v_min_f32_e32 v0, v86, v84
	v_min_f32_e32 v1, v87, v85
	v_pk_add_f32 v[32:33], v[32:33], v[0:1]
	;; [unrolled: 3-line block ×7, first 2 shown]
	v_min_f32_e32 v0, v98, v84
	v_min_f32_e32 v1, v83, v85
	v_max_f32_e32 v2, v2, v2
	v_max_f32_e32 v3, v3, v3
	v_pk_add_f32 v[20:21], v[20:21], v[0:1]
	v_min_f32_e32 v0, v100, v2
	v_min_f32_e32 v1, v104, v3
	v_pk_add_f32 v[18:19], v[18:19], v[0:1]
	v_min_f32_e32 v0, v86, v2
	v_min_f32_e32 v1, v87, v3
	;; [unrolled: 3-line block ×8, first 2 shown]
	v_pk_add_f32 v[4:5], v[4:5], v[0:1]
	s_mov_b64 s[26:27], 0
	s_mov_b32 s35, 2
	s_cbranch_vccz .LBB48_20
; %bb.21:
	s_cmp_lt_i32 s22, 9
	ds_write_b32 v82, v71 offset:5120
	ds_write2st64_b32 v78, v73, v72 offset0:8 offset1:12
	s_waitcnt lgkmcnt(0)
	s_barrier
	s_cbranch_scc1 .LBB48_40
; %bb.22:
	v_mad_i64_i32 v[0:1], s[34:35], v70, s34, 0
	v_lshl_add_u64 v[70:71], v[0:1], 2, s[18:19]
	v_mov_b32_e32 v0, 0x1400
	v_lshl_add_u32 v84, v74, 4, v0
	v_mov_b32_e32 v0, 0x800
	v_add_u32_e32 v82, 0x1400, v82
	v_add_u32_e32 v83, 0x800, v78
	s_add_i32 s26, s22, -8
	v_lshl_add_u32 v85, v75, 4, v0
	s_mov_b32 s27, 8
	s_mov_b32 s34, 0
	v_mov_b32_e32 v73, 0
.LBB48_23:                              ; =>This Loop Header: Depth=1
                                        ;     Child Loop BB48_30 Depth 2
                                        ;     Child Loop BB48_38 Depth 2
	v_or_b32_e32 v72, s27, v76
	v_cmp_gt_i32_e32 vcc, s22, v72
	s_and_b64 s[18:19], vcc, s[2:3]
	s_and_b64 s[36:37], s[12:13], s[18:19]
	v_mov_b32_e32 v86, 0
	s_and_saveexec_b64 s[18:19], s[36:37]
	s_cbranch_execz .LBB48_25
; %bb.24:                               ;   in Loop: Header=BB48_23 Depth=1
	v_lshl_add_u64 v[0:1], v[72:73], 2, v[70:71]
	flat_load_dword v0, v[0:1]
	s_waitcnt vmcnt(0) lgkmcnt(0)
	v_mul_f32_e32 v86, s30, v0
.LBB48_25:                              ;   in Loop: Header=BB48_23 Depth=1
	s_or_b64 exec, exec, s[18:19]
	v_add_u32_e32 v0, s27, v77
	v_cmp_le_i32_e32 vcc, s22, v0
	v_min_i32_e32 v0, s33, v0
	v_mad_i64_i32 v[0:1], s[18:19], v0, s31, 0
	v_lshl_add_u64 v[0:1], v[0:1], 2, s[16:17]
	s_or_b64 s[18:19], s[4:5], vcc
	s_nor_b64 s[36:37], s[18:19], s[14:15]
	v_mov_b32_e32 v87, 0
	v_lshl_add_u64 v[0:1], v[68:69], 2, v[0:1]
	v_mov_b32_e32 v88, 0
	s_and_saveexec_b64 s[18:19], s[36:37]
	s_cbranch_execz .LBB48_27
; %bb.26:                               ;   in Loop: Header=BB48_23 Depth=1
	flat_load_dword v2, v[0:1]
	s_waitcnt vmcnt(0) lgkmcnt(0)
	v_mul_f32_e32 v88, s30, v2
.LBB48_27:                              ;   in Loop: Header=BB48_23 Depth=1
	s_or_b64 exec, exec, s[18:19]
	s_or_b64 s[18:19], s[6:7], vcc
	s_nor_b64 s[36:37], s[18:19], s[14:15]
	s_and_saveexec_b64 s[18:19], s[36:37]
	s_cbranch_execz .LBB48_29
; %bb.28:                               ;   in Loop: Header=BB48_23 Depth=1
	flat_load_dword v0, v[0:1] offset:256
	s_waitcnt vmcnt(0) lgkmcnt(0)
	v_mul_f32_e32 v87, s30, v0
.LBB48_29:                              ;   in Loop: Header=BB48_23 Depth=1
	s_or_b64 exec, exec, s[18:19]
	s_mov_b32 s35, 0
	s_mov_b64 s[18:19], -1
.LBB48_30:                              ;   Parent Loop BB48_23 Depth=1
                                        ; =>  This Inner Loop Header: Depth=2
	v_cndmask_b32_e64 v0, 0, 1, s[18:19]
	s_lshl_b32 s18, s35, 2
	v_cmp_ne_u32_e32 vcc, 1, v0
	v_add_u32_e32 v0, s18, v84
	ds_read2_b64 v[90:93], v0 offset1:16
	ds_read2_b64 v[94:97], v0 offset0:32 offset1:48
	ds_read2_b64 v[98:101], v0 offset0:64 offset1:80
	;; [unrolled: 1-line block ×3, first 2 shown]
	v_add_u32_e32 v0, s18, v85
	ds_read2st64_b64 v[106:109], v0 offset1:1
	ds_read2st64_b64 v[0:3], v0 offset0:2 offset1:3
	s_waitcnt lgkmcnt(5)
	v_max_f32_e32 v110, v91, v91
	v_max_f32_e32 v92, v92, v92
	;; [unrolled: 1-line block ×3, first 2 shown]
	s_waitcnt lgkmcnt(1)
	v_max_f32_e32 v89, v106, v106
	v_max_f32_e32 v106, v90, v90
	;; [unrolled: 1-line block ×3, first 2 shown]
	v_min_f32_e32 v90, v106, v89
	v_min_f32_e32 v91, v110, v107
	v_pk_add_f32 v[66:67], v[66:67], v[90:91]
	v_min_f32_e32 v90, v92, v89
	v_min_f32_e32 v91, v93, v107
	v_max_f32_e32 v94, v94, v94
	v_max_f32_e32 v95, v95, v95
	v_pk_add_f32 v[64:65], v[64:65], v[90:91]
	v_min_f32_e32 v90, v94, v89
	v_min_f32_e32 v91, v95, v107
	v_max_f32_e32 v96, v96, v96
	v_max_f32_e32 v97, v97, v97
	;; [unrolled: 5-line block ×5, first 2 shown]
	v_pk_add_f32 v[56:57], v[56:57], v[90:91]
	v_min_f32_e32 v90, v102, v89
	v_min_f32_e32 v91, v103, v107
	v_max_f32_e32 v104, v104, v104
	v_pk_add_f32 v[54:55], v[54:55], v[90:91]
	v_min_f32_e32 v90, v104, v89
	v_max_f32_e32 v89, v105, v105
	v_min_f32_e32 v91, v89, v107
	v_max_f32_e32 v105, v108, v108
	v_max_f32_e32 v107, v109, v109
	v_pk_add_f32 v[52:53], v[52:53], v[90:91]
	v_min_f32_e32 v90, v106, v105
	v_min_f32_e32 v91, v110, v107
	v_pk_add_f32 v[50:51], v[50:51], v[90:91]
	v_min_f32_e32 v90, v92, v105
	v_min_f32_e32 v91, v93, v107
	;; [unrolled: 3-line block ×8, first 2 shown]
	v_pk_add_f32 v[36:37], v[36:37], v[90:91]
	s_waitcnt lgkmcnt(0)
	v_max_f32_e32 v90, v0, v0
	v_max_f32_e32 v91, v1, v1
	v_min_f32_e32 v0, v106, v90
	v_min_f32_e32 v1, v110, v91
	v_pk_add_f32 v[34:35], v[34:35], v[0:1]
	v_min_f32_e32 v0, v92, v90
	v_min_f32_e32 v1, v93, v91
	v_pk_add_f32 v[32:33], v[32:33], v[0:1]
	;; [unrolled: 3-line block ×7, first 2 shown]
	v_min_f32_e32 v0, v104, v90
	v_min_f32_e32 v1, v89, v91
	v_max_f32_e32 v2, v2, v2
	v_max_f32_e32 v3, v3, v3
	v_pk_add_f32 v[20:21], v[20:21], v[0:1]
	v_min_f32_e32 v0, v106, v2
	v_min_f32_e32 v1, v110, v3
	v_pk_add_f32 v[18:19], v[18:19], v[0:1]
	v_min_f32_e32 v0, v92, v2
	v_min_f32_e32 v1, v93, v3
	;; [unrolled: 3-line block ×8, first 2 shown]
	v_pk_add_f32 v[4:5], v[4:5], v[0:1]
	s_mov_b64 s[18:19], 0
	s_mov_b32 s35, 2
	s_cbranch_vccz .LBB48_30
; %bb.31:                               ;   in Loop: Header=BB48_23 Depth=1
	v_or_b32_e32 v0, 4, v72
	v_cmp_gt_i32_e32 vcc, s22, v0
	s_and_b64 s[18:19], vcc, s[2:3]
	ds_write_b32 v80, v86
	ds_write2st64_b32 v78, v88, v87 offset1:4
	s_and_b64 s[36:37], s[12:13], s[18:19]
	v_mov_b32_e32 v86, 0
	v_mov_b32_e32 v87, 0
	s_waitcnt lgkmcnt(0)
	s_barrier
	s_and_saveexec_b64 s[18:19], s[36:37]
	s_cbranch_execz .LBB48_33
; %bb.32:                               ;   in Loop: Header=BB48_23 Depth=1
	v_lshl_add_u64 v[0:1], v[72:73], 2, v[70:71]
	flat_load_dword v0, v[0:1] offset:16
	s_waitcnt vmcnt(0) lgkmcnt(0)
	v_mul_f32_e32 v87, s30, v0
.LBB48_33:                              ;   in Loop: Header=BB48_23 Depth=1
	s_or_b64 exec, exec, s[18:19]
	v_add3_u32 v0, v77, s27, 4
	v_cmp_le_i32_e32 vcc, s22, v0
	v_min_i32_e32 v0, s33, v0
	v_mad_i64_i32 v[0:1], s[18:19], v0, s31, 0
	v_lshl_add_u64 v[0:1], v[0:1], 2, s[16:17]
	s_or_b64 s[18:19], s[4:5], vcc
	s_nor_b64 s[36:37], s[18:19], s[14:15]
	v_lshl_add_u64 v[0:1], v[68:69], 2, v[0:1]
	s_and_saveexec_b64 s[18:19], s[36:37]
	s_cbranch_execz .LBB48_35
; %bb.34:                               ;   in Loop: Header=BB48_23 Depth=1
	flat_load_dword v2, v[0:1]
	s_waitcnt vmcnt(0) lgkmcnt(0)
	v_mul_f32_e32 v86, s30, v2
.LBB48_35:                              ;   in Loop: Header=BB48_23 Depth=1
	s_or_b64 exec, exec, s[18:19]
	s_or_b64 s[18:19], s[6:7], vcc
	s_nor_b64 s[36:37], s[18:19], s[14:15]
	v_mov_b32_e32 v72, 0
	s_and_saveexec_b64 s[18:19], s[36:37]
	s_cbranch_execz .LBB48_37
; %bb.36:                               ;   in Loop: Header=BB48_23 Depth=1
	flat_load_dword v0, v[0:1] offset:256
	s_waitcnt vmcnt(0) lgkmcnt(0)
	v_mul_f32_e32 v72, s30, v0
.LBB48_37:                              ;   in Loop: Header=BB48_23 Depth=1
	s_or_b64 exec, exec, s[18:19]
	s_mov_b32 s35, 0
	s_mov_b64 s[18:19], -1
.LBB48_38:                              ;   Parent Loop BB48_23 Depth=1
                                        ; =>  This Inner Loop Header: Depth=2
	v_cndmask_b32_e64 v0, 0, 1, s[18:19]
	s_lshl_b32 s18, s35, 2
	v_cmp_ne_u32_e32 vcc, 1, v0
	v_add_u32_e32 v0, s18, v79
	ds_read2_b64 v[88:91], v0 offset1:16
	ds_read2_b64 v[92:95], v0 offset0:32 offset1:48
	ds_read2_b64 v[96:99], v0 offset0:64 offset1:80
	;; [unrolled: 1-line block ×3, first 2 shown]
	v_add_u32_e32 v0, s18, v81
	ds_read2st64_b64 v[104:107], v0 offset1:1
	ds_read2st64_b64 v[0:3], v0 offset0:2 offset1:3
	s_waitcnt lgkmcnt(5)
	v_max_f32_e32 v108, v88, v88
	v_max_f32_e32 v109, v89, v89
	;; [unrolled: 1-line block ×3, first 2 shown]
	s_waitcnt lgkmcnt(1)
	v_max_f32_e32 v104, v104, v104
	v_max_f32_e32 v105, v105, v105
	v_min_f32_e32 v88, v108, v104
	v_min_f32_e32 v89, v109, v105
	v_max_f32_e32 v91, v91, v91
	v_pk_add_f32 v[66:67], v[66:67], v[88:89]
	v_min_f32_e32 v88, v90, v104
	v_min_f32_e32 v89, v91, v105
	v_max_f32_e32 v92, v92, v92
	v_max_f32_e32 v93, v93, v93
	v_pk_add_f32 v[64:65], v[64:65], v[88:89]
	v_min_f32_e32 v88, v92, v104
	v_min_f32_e32 v89, v93, v105
	v_max_f32_e32 v94, v94, v94
	;; [unrolled: 5-line block ×7, first 2 shown]
	v_max_f32_e32 v105, v107, v107
	v_pk_add_f32 v[52:53], v[52:53], v[88:89]
	v_min_f32_e32 v88, v108, v104
	v_min_f32_e32 v89, v109, v105
	v_pk_add_f32 v[50:51], v[50:51], v[88:89]
	v_min_f32_e32 v88, v90, v104
	v_min_f32_e32 v89, v91, v105
	v_pk_add_f32 v[48:49], v[48:49], v[88:89]
	v_min_f32_e32 v88, v92, v104
	v_min_f32_e32 v89, v93, v105
	v_pk_add_f32 v[46:47], v[46:47], v[88:89]
	v_min_f32_e32 v88, v94, v104
	v_min_f32_e32 v89, v95, v105
	v_pk_add_f32 v[44:45], v[44:45], v[88:89]
	v_min_f32_e32 v88, v96, v104
	v_min_f32_e32 v89, v97, v105
	v_pk_add_f32 v[42:43], v[42:43], v[88:89]
	v_min_f32_e32 v88, v98, v104
	v_min_f32_e32 v89, v99, v105
	v_pk_add_f32 v[40:41], v[40:41], v[88:89]
	v_min_f32_e32 v88, v100, v104
	v_min_f32_e32 v89, v101, v105
	v_pk_add_f32 v[38:39], v[38:39], v[88:89]
	v_min_f32_e32 v88, v102, v104
	v_min_f32_e32 v89, v103, v105
	v_pk_add_f32 v[36:37], v[36:37], v[88:89]
	s_waitcnt lgkmcnt(0)
	v_max_f32_e32 v88, v0, v0
	v_max_f32_e32 v89, v1, v1
	v_min_f32_e32 v0, v108, v88
	v_min_f32_e32 v1, v109, v89
	v_pk_add_f32 v[34:35], v[34:35], v[0:1]
	v_min_f32_e32 v0, v90, v88
	v_min_f32_e32 v1, v91, v89
	v_pk_add_f32 v[32:33], v[32:33], v[0:1]
	;; [unrolled: 3-line block ×7, first 2 shown]
	v_min_f32_e32 v0, v102, v88
	v_min_f32_e32 v1, v103, v89
	v_max_f32_e32 v2, v2, v2
	v_max_f32_e32 v3, v3, v3
	v_pk_add_f32 v[20:21], v[20:21], v[0:1]
	v_min_f32_e32 v0, v108, v2
	v_min_f32_e32 v1, v109, v3
	v_pk_add_f32 v[18:19], v[18:19], v[0:1]
	v_min_f32_e32 v0, v90, v2
	v_min_f32_e32 v1, v91, v3
	;; [unrolled: 3-line block ×8, first 2 shown]
	v_pk_add_f32 v[4:5], v[4:5], v[0:1]
	s_mov_b64 s[18:19], 0
	s_mov_b32 s35, 2
	s_cbranch_vccz .LBB48_38
; %bb.39:                               ;   in Loop: Header=BB48_23 Depth=1
	s_add_i32 s27, s27, 8
	s_add_i32 s34, s34, 8
	s_cmp_ge_i32 s34, s26
	ds_write_b32 v82, v87
	ds_write2st64_b32 v83, v86, v72 offset1:4
	s_waitcnt lgkmcnt(0)
	s_barrier
	s_cbranch_scc0 .LBB48_23
.LBB48_40:
	v_mov_b32_e32 v0, 0x1400
	v_lshl_add_u32 v68, v74, 4, v0
	v_mov_b32_e32 v0, 0x800
	v_lshl_add_u32 v69, v75, 4, v0
	s_mov_b32 s4, 0
	s_mov_b64 s[2:3], -1
.LBB48_41:                              ; =>This Inner Loop Header: Depth=1
	v_cndmask_b32_e64 v0, 0, 1, s[2:3]
	s_lshl_b32 s2, s4, 2
	v_cmp_ne_u32_e32 vcc, 1, v0
	v_add_u32_e32 v0, s2, v68
	ds_read2_b64 v[70:73], v0 offset1:16
	ds_read2_b64 v[76:79], v0 offset0:32 offset1:48
	ds_read2_b64 v[80:83], v0 offset0:64 offset1:80
	;; [unrolled: 1-line block ×3, first 2 shown]
	v_add_u32_e32 v0, s2, v69
	ds_read2st64_b64 v[88:91], v0 offset1:1
	ds_read2st64_b64 v[0:3], v0 offset0:2 offset1:3
	s_waitcnt lgkmcnt(5)
	v_max_f32_e32 v92, v70, v70
	v_max_f32_e32 v93, v71, v71
	;; [unrolled: 1-line block ×3, first 2 shown]
	s_waitcnt lgkmcnt(1)
	v_max_f32_e32 v88, v88, v88
	v_max_f32_e32 v89, v89, v89
	v_min_f32_e32 v70, v92, v88
	v_min_f32_e32 v71, v93, v89
	v_max_f32_e32 v73, v73, v73
	v_pk_add_f32 v[66:67], v[66:67], v[70:71]
	v_min_f32_e32 v70, v72, v88
	v_min_f32_e32 v71, v73, v89
	v_max_f32_e32 v76, v76, v76
	v_max_f32_e32 v77, v77, v77
	v_pk_add_f32 v[64:65], v[64:65], v[70:71]
	v_min_f32_e32 v70, v76, v88
	v_min_f32_e32 v71, v77, v89
	v_max_f32_e32 v78, v78, v78
	;; [unrolled: 5-line block ×7, first 2 shown]
	v_max_f32_e32 v89, v91, v91
	v_pk_add_f32 v[52:53], v[52:53], v[70:71]
	v_min_f32_e32 v70, v92, v88
	v_min_f32_e32 v71, v93, v89
	v_pk_add_f32 v[50:51], v[50:51], v[70:71]
	v_min_f32_e32 v70, v72, v88
	v_min_f32_e32 v71, v73, v89
	;; [unrolled: 3-line block ×8, first 2 shown]
	v_pk_add_f32 v[36:37], v[36:37], v[70:71]
	s_waitcnt lgkmcnt(0)
	v_max_f32_e32 v70, v0, v0
	v_max_f32_e32 v71, v1, v1
	v_min_f32_e32 v0, v92, v70
	v_min_f32_e32 v1, v93, v71
	v_pk_add_f32 v[34:35], v[34:35], v[0:1]
	v_min_f32_e32 v0, v72, v70
	v_min_f32_e32 v1, v73, v71
	v_pk_add_f32 v[32:33], v[32:33], v[0:1]
	;; [unrolled: 3-line block ×7, first 2 shown]
	v_min_f32_e32 v0, v86, v70
	v_min_f32_e32 v1, v87, v71
	v_max_f32_e32 v2, v2, v2
	v_max_f32_e32 v3, v3, v3
	v_pk_add_f32 v[20:21], v[20:21], v[0:1]
	v_min_f32_e32 v0, v92, v2
	v_min_f32_e32 v1, v93, v3
	v_pk_add_f32 v[18:19], v[18:19], v[0:1]
	v_min_f32_e32 v0, v72, v2
	v_min_f32_e32 v1, v73, v3
	;; [unrolled: 3-line block ×8, first 2 shown]
	v_pk_add_f32 v[4:5], v[4:5], v[0:1]
	s_mov_b64 s[2:3], 0
	s_mov_b32 s4, 2
	s_cbranch_vccz .LBB48_41
; %bb.42:
	s_load_dwordx2 s[2:3], s[0:1], 0x78
	s_load_dword s31, s[0:1], 0x58
	s_load_dword s30, s[0:1], 0x70
	v_add_u32_e32 v72, s29, v75
	v_add_u32_e32 v0, s23, v74
	s_waitcnt lgkmcnt(0)
	s_lshl_b64 s[0:1], s[2:3], 2
	s_add_u32 s22, s10, s0
	s_addc_u32 s23, s11, s1
	v_mad_i64_i32 v[2:3], s[0:1], v72, s31, 0
	v_lshl_add_u64 v[70:71], v[2:3], 2, s[24:25]
	v_mad_i64_i32 v[2:3], s[0:1], v72, s30, 0
	v_cmp_gt_i32_e64 s[18:19], s21, v72
	v_lshl_add_u64 v[68:69], v[2:3], 2, s[22:23]
	v_cmp_gt_i32_e64 s[2:3], s20, v0
	v_cndmask_b32_e64 v2, 0, 1, s[8:9]
	s_and_b64 s[6:7], s[2:3], s[18:19]
	v_ashrrev_i32_e32 v1, 31, v0
	v_cmp_ne_u32_e64 s[0:1], 1, v2
	s_and_saveexec_b64 s[4:5], s[6:7]
	s_cbranch_execz .LBB48_47
; %bb.43:
	s_and_b64 vcc, exec, s[0:1]
	s_cbranch_vccnz .LBB48_45
; %bb.44:
	v_lshl_add_u64 v[2:3], v[0:1], 2, v[70:71]
	flat_load_dword v2, v[2:3]
	s_waitcnt vmcnt(0) lgkmcnt(0)
	v_mul_f32_e32 v2, s28, v2
	s_branch .LBB48_46
.LBB48_45:
	v_mov_b32_e32 v2, 0
.LBB48_46:
	v_add_f32_e32 v3, v66, v67
	v_add_f32_e32 v66, v3, v2
	v_lshl_add_u64 v[2:3], v[0:1], 2, v[68:69]
	flat_store_dword v[2:3], v66
.LBB48_47:
	s_or_b64 exec, exec, s[4:5]
	v_add_u32_e32 v2, 8, v0
	v_cmp_gt_i32_e64 s[4:5], s20, v2
	s_and_b64 s[8:9], s[4:5], s[18:19]
	v_ashrrev_i32_e32 v3, 31, v2
	s_and_saveexec_b64 s[6:7], s[8:9]
	s_cbranch_execz .LBB48_52
; %bb.48:
	s_and_b64 vcc, exec, s[0:1]
	s_cbranch_vccnz .LBB48_50
; %bb.49:
	v_lshl_add_u64 v[66:67], v[2:3], 2, v[70:71]
	flat_load_dword v66, v[66:67]
	s_waitcnt vmcnt(0) lgkmcnt(0)
	v_mul_f32_e32 v66, s28, v66
	s_branch .LBB48_51
.LBB48_50:
	v_mov_b32_e32 v66, 0
.LBB48_51:
	v_add_f32_e32 v64, v64, v65
	v_add_f32_e32 v66, v64, v66
	v_lshl_add_u64 v[64:65], v[2:3], 2, v[68:69]
	flat_store_dword v[64:65], v66
.LBB48_52:
	s_or_b64 exec, exec, s[6:7]
	v_add_u32_e32 v64, 16, v0
	v_cmp_gt_i32_e64 s[6:7], s20, v64
	s_and_b64 s[10:11], s[6:7], s[18:19]
	v_ashrrev_i32_e32 v65, 31, v64
	;; [unrolled: 24-line block ×7, first 2 shown]
	s_and_saveexec_b64 s[18:19], s[26:27]
	s_cbranch_execz .LBB48_82
; %bb.78:
	s_and_b64 vcc, exec, s[0:1]
	s_cbranch_vccnz .LBB48_80
; %bb.79:
	v_lshl_add_u64 v[66:67], v[54:55], 2, v[70:71]
	flat_load_dword v66, v[66:67]
	s_waitcnt vmcnt(0) lgkmcnt(0)
	v_mul_f32_e32 v66, s28, v66
	s_branch .LBB48_81
.LBB48_80:
	v_mov_b32_e32 v66, 0
.LBB48_81:
	v_add_f32_e32 v52, v52, v53
	v_add_f32_e32 v66, v52, v66
	v_lshl_add_u64 v[52:53], v[54:55], 2, v[68:69]
	flat_store_dword v[52:53], v66
.LBB48_82:
	s_or_b64 exec, exec, s[18:19]
	v_add_u32_e32 v68, 32, v72
	v_mad_i64_i32 v[52:53], s[26:27], v68, s31, 0
	v_cmp_gt_i32_e64 s[18:19], s21, v68
	v_lshl_add_u64 v[66:67], v[52:53], 2, s[24:25]
	v_mad_i64_i32 v[52:53], s[26:27], v68, s30, 0
	v_lshl_add_u64 v[52:53], v[52:53], 2, s[22:23]
	s_and_b64 s[34:35], s[2:3], s[18:19]
	s_and_saveexec_b64 s[26:27], s[34:35]
	s_cbranch_execnz .LBB48_90
; %bb.83:
	s_or_b64 exec, exec, s[26:27]
	s_and_b64 s[34:35], s[4:5], s[18:19]
	s_and_saveexec_b64 s[26:27], s[34:35]
	s_cbranch_execnz .LBB48_94
.LBB48_84:
	s_or_b64 exec, exec, s[26:27]
	s_and_b64 s[34:35], s[6:7], s[18:19]
	s_and_saveexec_b64 s[26:27], s[34:35]
	s_cbranch_execnz .LBB48_98
.LBB48_85:
	s_or_b64 exec, exec, s[26:27]
	s_and_b64 s[34:35], s[8:9], s[18:19]
	s_and_saveexec_b64 s[26:27], s[34:35]
	s_cbranch_execnz .LBB48_102
.LBB48_86:
	s_or_b64 exec, exec, s[26:27]
	s_and_b64 s[34:35], s[10:11], s[18:19]
	s_and_saveexec_b64 s[26:27], s[34:35]
	s_cbranch_execnz .LBB48_106
.LBB48_87:
	s_or_b64 exec, exec, s[26:27]
	s_and_b64 s[34:35], s[12:13], s[18:19]
	s_and_saveexec_b64 s[26:27], s[34:35]
	s_cbranch_execnz .LBB48_110
.LBB48_88:
	s_or_b64 exec, exec, s[26:27]
	s_and_b64 s[34:35], s[14:15], s[18:19]
	s_and_saveexec_b64 s[26:27], s[34:35]
	s_cbranch_execnz .LBB48_114
.LBB48_89:
	s_or_b64 exec, exec, s[26:27]
	s_and_b64 s[26:27], s[16:17], s[18:19]
	s_and_saveexec_b64 s[18:19], s[26:27]
	s_cbranch_execnz .LBB48_118
	s_branch .LBB48_122
.LBB48_90:
	s_and_b64 vcc, exec, s[0:1]
	s_cbranch_vccnz .LBB48_92
; %bb.91:
	v_lshl_add_u64 v[68:69], v[0:1], 2, v[66:67]
	flat_load_dword v68, v[68:69]
	s_waitcnt vmcnt(0) lgkmcnt(0)
	v_mul_f32_e32 v68, s28, v68
	s_branch .LBB48_93
.LBB48_92:
	v_mov_b32_e32 v68, 0
.LBB48_93:
	v_add_f32_e32 v50, v50, v51
	v_add_f32_e32 v68, v50, v68
	v_lshl_add_u64 v[50:51], v[0:1], 2, v[52:53]
	flat_store_dword v[50:51], v68
	s_or_b64 exec, exec, s[26:27]
	s_and_b64 s[34:35], s[4:5], s[18:19]
	s_and_saveexec_b64 s[26:27], s[34:35]
	s_cbranch_execz .LBB48_84
.LBB48_94:
	s_and_b64 vcc, exec, s[0:1]
	s_cbranch_vccnz .LBB48_96
; %bb.95:
	v_lshl_add_u64 v[50:51], v[2:3], 2, v[66:67]
	flat_load_dword v50, v[50:51]
	s_waitcnt vmcnt(0) lgkmcnt(0)
	v_mul_f32_e32 v50, s28, v50
	s_branch .LBB48_97
.LBB48_96:
	v_mov_b32_e32 v50, 0
.LBB48_97:
	v_add_f32_e32 v48, v48, v49
	v_add_f32_e32 v50, v48, v50
	v_lshl_add_u64 v[48:49], v[2:3], 2, v[52:53]
	flat_store_dword v[48:49], v50
	s_or_b64 exec, exec, s[26:27]
	s_and_b64 s[34:35], s[6:7], s[18:19]
	s_and_saveexec_b64 s[26:27], s[34:35]
	s_cbranch_execz .LBB48_85
.LBB48_98:
	s_and_b64 vcc, exec, s[0:1]
	s_cbranch_vccnz .LBB48_100
; %bb.99:
	v_lshl_add_u64 v[48:49], v[64:65], 2, v[66:67]
	flat_load_dword v48, v[48:49]
	s_waitcnt vmcnt(0) lgkmcnt(0)
	v_mul_f32_e32 v48, s28, v48
	s_branch .LBB48_101
.LBB48_100:
	v_mov_b32_e32 v48, 0
.LBB48_101:
	v_add_f32_e32 v46, v46, v47
	v_add_f32_e32 v48, v46, v48
	v_lshl_add_u64 v[46:47], v[64:65], 2, v[52:53]
	flat_store_dword v[46:47], v48
	s_or_b64 exec, exec, s[26:27]
	s_and_b64 s[34:35], s[8:9], s[18:19]
	s_and_saveexec_b64 s[26:27], s[34:35]
	s_cbranch_execz .LBB48_86
.LBB48_102:
	s_and_b64 vcc, exec, s[0:1]
	s_cbranch_vccnz .LBB48_104
; %bb.103:
	v_lshl_add_u64 v[46:47], v[62:63], 2, v[66:67]
	flat_load_dword v46, v[46:47]
	s_waitcnt vmcnt(0) lgkmcnt(0)
	v_mul_f32_e32 v46, s28, v46
	s_branch .LBB48_105
.LBB48_104:
	v_mov_b32_e32 v46, 0
.LBB48_105:
	v_add_f32_e32 v44, v44, v45
	v_add_f32_e32 v46, v44, v46
	v_lshl_add_u64 v[44:45], v[62:63], 2, v[52:53]
	flat_store_dword v[44:45], v46
	s_or_b64 exec, exec, s[26:27]
	s_and_b64 s[34:35], s[10:11], s[18:19]
	s_and_saveexec_b64 s[26:27], s[34:35]
	s_cbranch_execz .LBB48_87
.LBB48_106:
	s_and_b64 vcc, exec, s[0:1]
	s_cbranch_vccnz .LBB48_108
; %bb.107:
	v_lshl_add_u64 v[44:45], v[60:61], 2, v[66:67]
	flat_load_dword v44, v[44:45]
	s_waitcnt vmcnt(0) lgkmcnt(0)
	v_mul_f32_e32 v44, s28, v44
	s_branch .LBB48_109
.LBB48_108:
	v_mov_b32_e32 v44, 0
.LBB48_109:
	v_add_f32_e32 v42, v42, v43
	v_add_f32_e32 v44, v42, v44
	v_lshl_add_u64 v[42:43], v[60:61], 2, v[52:53]
	flat_store_dword v[42:43], v44
	s_or_b64 exec, exec, s[26:27]
	s_and_b64 s[34:35], s[12:13], s[18:19]
	s_and_saveexec_b64 s[26:27], s[34:35]
	s_cbranch_execz .LBB48_88
.LBB48_110:
	s_and_b64 vcc, exec, s[0:1]
	s_cbranch_vccnz .LBB48_112
; %bb.111:
	v_lshl_add_u64 v[42:43], v[58:59], 2, v[66:67]
	flat_load_dword v42, v[42:43]
	s_waitcnt vmcnt(0) lgkmcnt(0)
	v_mul_f32_e32 v42, s28, v42
	s_branch .LBB48_113
.LBB48_112:
	v_mov_b32_e32 v42, 0
.LBB48_113:
	v_add_f32_e32 v40, v40, v41
	v_add_f32_e32 v42, v40, v42
	v_lshl_add_u64 v[40:41], v[58:59], 2, v[52:53]
	flat_store_dword v[40:41], v42
	s_or_b64 exec, exec, s[26:27]
	s_and_b64 s[34:35], s[14:15], s[18:19]
	s_and_saveexec_b64 s[26:27], s[34:35]
	s_cbranch_execz .LBB48_89
.LBB48_114:
	s_and_b64 vcc, exec, s[0:1]
	s_cbranch_vccnz .LBB48_116
; %bb.115:
	v_lshl_add_u64 v[40:41], v[56:57], 2, v[66:67]
	flat_load_dword v40, v[40:41]
	s_waitcnt vmcnt(0) lgkmcnt(0)
	v_mul_f32_e32 v40, s28, v40
	s_branch .LBB48_117
.LBB48_116:
	v_mov_b32_e32 v40, 0
.LBB48_117:
	v_add_f32_e32 v38, v38, v39
	v_add_f32_e32 v40, v38, v40
	v_lshl_add_u64 v[38:39], v[56:57], 2, v[52:53]
	flat_store_dword v[38:39], v40
	s_or_b64 exec, exec, s[26:27]
	s_and_b64 s[26:27], s[16:17], s[18:19]
	s_and_saveexec_b64 s[18:19], s[26:27]
	s_cbranch_execz .LBB48_122
.LBB48_118:
	s_and_b64 vcc, exec, s[0:1]
	s_cbranch_vccnz .LBB48_120
; %bb.119:
	v_lshl_add_u64 v[38:39], v[54:55], 2, v[66:67]
	flat_load_dword v38, v[38:39]
	s_waitcnt vmcnt(0) lgkmcnt(0)
	v_mul_f32_e32 v38, s28, v38
	s_branch .LBB48_121
.LBB48_120:
	v_mov_b32_e32 v38, 0
.LBB48_121:
	v_add_f32_e32 v36, v36, v37
	v_add_f32_e32 v38, v36, v38
	v_lshl_add_u64 v[36:37], v[54:55], 2, v[52:53]
	flat_store_dword v[36:37], v38
.LBB48_122:
	s_or_b64 exec, exec, s[18:19]
	v_add_u32_e32 v40, 64, v72
	v_mad_i64_i32 v[36:37], s[26:27], v40, s31, 0
	v_cmp_gt_i32_e64 s[18:19], s21, v40
	v_lshl_add_u64 v[38:39], v[36:37], 2, s[24:25]
	v_mad_i64_i32 v[36:37], s[26:27], v40, s30, 0
	v_lshl_add_u64 v[36:37], v[36:37], 2, s[22:23]
	s_and_b64 s[34:35], s[2:3], s[18:19]
	s_and_saveexec_b64 s[26:27], s[34:35]
	s_cbranch_execnz .LBB48_130
; %bb.123:
	s_or_b64 exec, exec, s[26:27]
	s_and_b64 s[34:35], s[4:5], s[18:19]
	s_and_saveexec_b64 s[26:27], s[34:35]
	s_cbranch_execnz .LBB48_134
.LBB48_124:
	s_or_b64 exec, exec, s[26:27]
	s_and_b64 s[34:35], s[6:7], s[18:19]
	s_and_saveexec_b64 s[26:27], s[34:35]
	s_cbranch_execnz .LBB48_138
.LBB48_125:
	s_or_b64 exec, exec, s[26:27]
	s_and_b64 s[34:35], s[8:9], s[18:19]
	s_and_saveexec_b64 s[26:27], s[34:35]
	s_cbranch_execnz .LBB48_142
.LBB48_126:
	s_or_b64 exec, exec, s[26:27]
	s_and_b64 s[34:35], s[10:11], s[18:19]
	s_and_saveexec_b64 s[26:27], s[34:35]
	s_cbranch_execnz .LBB48_146
.LBB48_127:
	s_or_b64 exec, exec, s[26:27]
	s_and_b64 s[34:35], s[12:13], s[18:19]
	s_and_saveexec_b64 s[26:27], s[34:35]
	s_cbranch_execnz .LBB48_150
.LBB48_128:
	s_or_b64 exec, exec, s[26:27]
	s_and_b64 s[34:35], s[14:15], s[18:19]
	s_and_saveexec_b64 s[26:27], s[34:35]
	s_cbranch_execnz .LBB48_154
.LBB48_129:
	s_or_b64 exec, exec, s[26:27]
	s_and_b64 s[26:27], s[16:17], s[18:19]
	s_and_saveexec_b64 s[18:19], s[26:27]
	s_cbranch_execnz .LBB48_158
	s_branch .LBB48_162
.LBB48_130:
	s_and_b64 vcc, exec, s[0:1]
	s_cbranch_vccnz .LBB48_132
; %bb.131:
	v_lshl_add_u64 v[40:41], v[0:1], 2, v[38:39]
	flat_load_dword v40, v[40:41]
	s_waitcnt vmcnt(0) lgkmcnt(0)
	v_mul_f32_e32 v40, s28, v40
	s_branch .LBB48_133
.LBB48_132:
	v_mov_b32_e32 v40, 0
.LBB48_133:
	v_add_f32_e32 v34, v34, v35
	v_add_f32_e32 v40, v34, v40
	v_lshl_add_u64 v[34:35], v[0:1], 2, v[36:37]
	flat_store_dword v[34:35], v40
	s_or_b64 exec, exec, s[26:27]
	s_and_b64 s[34:35], s[4:5], s[18:19]
	s_and_saveexec_b64 s[26:27], s[34:35]
	s_cbranch_execz .LBB48_124
.LBB48_134:
	s_and_b64 vcc, exec, s[0:1]
	s_cbranch_vccnz .LBB48_136
; %bb.135:
	v_lshl_add_u64 v[34:35], v[2:3], 2, v[38:39]
	flat_load_dword v34, v[34:35]
	s_waitcnt vmcnt(0) lgkmcnt(0)
	v_mul_f32_e32 v34, s28, v34
	s_branch .LBB48_137
.LBB48_136:
	v_mov_b32_e32 v34, 0
.LBB48_137:
	v_add_f32_e32 v32, v32, v33
	v_add_f32_e32 v34, v32, v34
	v_lshl_add_u64 v[32:33], v[2:3], 2, v[36:37]
	flat_store_dword v[32:33], v34
	s_or_b64 exec, exec, s[26:27]
	s_and_b64 s[34:35], s[6:7], s[18:19]
	s_and_saveexec_b64 s[26:27], s[34:35]
	s_cbranch_execz .LBB48_125
.LBB48_138:
	s_and_b64 vcc, exec, s[0:1]
	s_cbranch_vccnz .LBB48_140
; %bb.139:
	v_lshl_add_u64 v[32:33], v[64:65], 2, v[38:39]
	flat_load_dword v32, v[32:33]
	s_waitcnt vmcnt(0) lgkmcnt(0)
	v_mul_f32_e32 v32, s28, v32
	s_branch .LBB48_141
.LBB48_140:
	v_mov_b32_e32 v32, 0
.LBB48_141:
	v_add_f32_e32 v30, v30, v31
	v_add_f32_e32 v32, v30, v32
	v_lshl_add_u64 v[30:31], v[64:65], 2, v[36:37]
	flat_store_dword v[30:31], v32
	s_or_b64 exec, exec, s[26:27]
	s_and_b64 s[34:35], s[8:9], s[18:19]
	s_and_saveexec_b64 s[26:27], s[34:35]
	s_cbranch_execz .LBB48_126
.LBB48_142:
	s_and_b64 vcc, exec, s[0:1]
	s_cbranch_vccnz .LBB48_144
; %bb.143:
	v_lshl_add_u64 v[30:31], v[62:63], 2, v[38:39]
	flat_load_dword v30, v[30:31]
	s_waitcnt vmcnt(0) lgkmcnt(0)
	v_mul_f32_e32 v30, s28, v30
	s_branch .LBB48_145
.LBB48_144:
	v_mov_b32_e32 v30, 0
.LBB48_145:
	v_add_f32_e32 v28, v28, v29
	v_add_f32_e32 v30, v28, v30
	v_lshl_add_u64 v[28:29], v[62:63], 2, v[36:37]
	flat_store_dword v[28:29], v30
	s_or_b64 exec, exec, s[26:27]
	s_and_b64 s[34:35], s[10:11], s[18:19]
	s_and_saveexec_b64 s[26:27], s[34:35]
	s_cbranch_execz .LBB48_127
.LBB48_146:
	s_and_b64 vcc, exec, s[0:1]
	s_cbranch_vccnz .LBB48_148
; %bb.147:
	v_lshl_add_u64 v[28:29], v[60:61], 2, v[38:39]
	flat_load_dword v28, v[28:29]
	s_waitcnt vmcnt(0) lgkmcnt(0)
	v_mul_f32_e32 v28, s28, v28
	s_branch .LBB48_149
.LBB48_148:
	v_mov_b32_e32 v28, 0
.LBB48_149:
	v_add_f32_e32 v26, v26, v27
	v_add_f32_e32 v28, v26, v28
	v_lshl_add_u64 v[26:27], v[60:61], 2, v[36:37]
	flat_store_dword v[26:27], v28
	s_or_b64 exec, exec, s[26:27]
	s_and_b64 s[34:35], s[12:13], s[18:19]
	s_and_saveexec_b64 s[26:27], s[34:35]
	s_cbranch_execz .LBB48_128
.LBB48_150:
	s_and_b64 vcc, exec, s[0:1]
	s_cbranch_vccnz .LBB48_152
; %bb.151:
	v_lshl_add_u64 v[26:27], v[58:59], 2, v[38:39]
	flat_load_dword v26, v[26:27]
	s_waitcnt vmcnt(0) lgkmcnt(0)
	v_mul_f32_e32 v26, s28, v26
	s_branch .LBB48_153
.LBB48_152:
	v_mov_b32_e32 v26, 0
.LBB48_153:
	v_add_f32_e32 v24, v24, v25
	v_add_f32_e32 v26, v24, v26
	v_lshl_add_u64 v[24:25], v[58:59], 2, v[36:37]
	flat_store_dword v[24:25], v26
	s_or_b64 exec, exec, s[26:27]
	s_and_b64 s[34:35], s[14:15], s[18:19]
	s_and_saveexec_b64 s[26:27], s[34:35]
	s_cbranch_execz .LBB48_129
.LBB48_154:
	s_and_b64 vcc, exec, s[0:1]
	s_cbranch_vccnz .LBB48_156
; %bb.155:
	v_lshl_add_u64 v[24:25], v[56:57], 2, v[38:39]
	flat_load_dword v24, v[24:25]
	s_waitcnt vmcnt(0) lgkmcnt(0)
	v_mul_f32_e32 v24, s28, v24
	s_branch .LBB48_157
.LBB48_156:
	v_mov_b32_e32 v24, 0
.LBB48_157:
	v_add_f32_e32 v22, v22, v23
	v_add_f32_e32 v24, v22, v24
	v_lshl_add_u64 v[22:23], v[56:57], 2, v[36:37]
	flat_store_dword v[22:23], v24
	s_or_b64 exec, exec, s[26:27]
	s_and_b64 s[26:27], s[16:17], s[18:19]
	s_and_saveexec_b64 s[18:19], s[26:27]
	s_cbranch_execz .LBB48_162
.LBB48_158:
	s_and_b64 vcc, exec, s[0:1]
	s_cbranch_vccnz .LBB48_160
; %bb.159:
	v_lshl_add_u64 v[22:23], v[54:55], 2, v[38:39]
	flat_load_dword v22, v[22:23]
	s_waitcnt vmcnt(0) lgkmcnt(0)
	v_mul_f32_e32 v22, s28, v22
	s_branch .LBB48_161
.LBB48_160:
	v_mov_b32_e32 v22, 0
.LBB48_161:
	v_add_f32_e32 v20, v20, v21
	v_add_f32_e32 v22, v20, v22
	v_lshl_add_u64 v[20:21], v[54:55], 2, v[36:37]
	flat_store_dword v[20:21], v22
.LBB48_162:
	s_or_b64 exec, exec, s[18:19]
	v_add_u32_e32 v24, 0x60, v72
	v_cmp_gt_i32_e64 s[18:19], s21, v24
	v_mad_i64_i32 v[20:21], s[20:21], v24, s31, 0
	v_lshl_add_u64 v[22:23], v[20:21], 2, s[24:25]
	v_mad_i64_i32 v[20:21], s[20:21], v24, s30, 0
	v_lshl_add_u64 v[20:21], v[20:21], 2, s[22:23]
	s_and_b64 s[20:21], s[2:3], s[18:19]
	s_and_saveexec_b64 s[2:3], s[20:21]
	s_cbranch_execnz .LBB48_171
; %bb.163:
	s_or_b64 exec, exec, s[2:3]
	s_and_b64 s[4:5], s[4:5], s[18:19]
	s_and_saveexec_b64 s[2:3], s[4:5]
	s_cbranch_execnz .LBB48_175
.LBB48_164:
	s_or_b64 exec, exec, s[2:3]
	s_and_b64 s[4:5], s[6:7], s[18:19]
	s_and_saveexec_b64 s[2:3], s[4:5]
	s_cbranch_execnz .LBB48_179
.LBB48_165:
	s_or_b64 exec, exec, s[2:3]
	s_and_b64 s[4:5], s[8:9], s[18:19]
	s_and_saveexec_b64 s[2:3], s[4:5]
	s_cbranch_execnz .LBB48_183
.LBB48_166:
	s_or_b64 exec, exec, s[2:3]
	s_and_b64 s[4:5], s[10:11], s[18:19]
	s_and_saveexec_b64 s[2:3], s[4:5]
	s_cbranch_execnz .LBB48_187
.LBB48_167:
	s_or_b64 exec, exec, s[2:3]
	s_and_b64 s[4:5], s[12:13], s[18:19]
	s_and_saveexec_b64 s[2:3], s[4:5]
	s_cbranch_execnz .LBB48_191
.LBB48_168:
	s_or_b64 exec, exec, s[2:3]
	s_and_b64 s[4:5], s[14:15], s[18:19]
	s_and_saveexec_b64 s[2:3], s[4:5]
	s_cbranch_execnz .LBB48_195
.LBB48_169:
	s_or_b64 exec, exec, s[2:3]
	s_and_b64 s[2:3], s[16:17], s[18:19]
	s_and_saveexec_b64 s[4:5], s[2:3]
	s_cbranch_execnz .LBB48_199
.LBB48_170:
	s_endpgm
.LBB48_171:
	s_and_b64 vcc, exec, s[0:1]
	s_cbranch_vccnz .LBB48_173
; %bb.172:
	v_lshl_add_u64 v[24:25], v[0:1], 2, v[22:23]
	flat_load_dword v24, v[24:25]
	s_waitcnt vmcnt(0) lgkmcnt(0)
	v_mul_f32_e32 v24, s28, v24
	s_branch .LBB48_174
.LBB48_173:
	v_mov_b32_e32 v24, 0
.LBB48_174:
	v_add_f32_e32 v18, v18, v19
	v_add_f32_e32 v18, v18, v24
	v_lshl_add_u64 v[0:1], v[0:1], 2, v[20:21]
	flat_store_dword v[0:1], v18
	s_or_b64 exec, exec, s[2:3]
	s_and_b64 s[4:5], s[4:5], s[18:19]
	s_and_saveexec_b64 s[2:3], s[4:5]
	s_cbranch_execz .LBB48_164
.LBB48_175:
	s_and_b64 vcc, exec, s[0:1]
	s_cbranch_vccnz .LBB48_177
; %bb.176:
	v_lshl_add_u64 v[0:1], v[2:3], 2, v[22:23]
	flat_load_dword v0, v[0:1]
	s_waitcnt vmcnt(0) lgkmcnt(0)
	v_mul_f32_e32 v0, s28, v0
	s_branch .LBB48_178
.LBB48_177:
	v_mov_b32_e32 v0, 0
.LBB48_178:
	v_add_f32_e32 v1, v16, v17
	v_add_f32_e32 v16, v1, v0
	v_lshl_add_u64 v[0:1], v[2:3], 2, v[20:21]
	flat_store_dword v[0:1], v16
	s_or_b64 exec, exec, s[2:3]
	s_and_b64 s[4:5], s[6:7], s[18:19]
	s_and_saveexec_b64 s[2:3], s[4:5]
	s_cbranch_execz .LBB48_165
.LBB48_179:
	s_and_b64 vcc, exec, s[0:1]
	s_cbranch_vccnz .LBB48_181
; %bb.180:
	v_lshl_add_u64 v[0:1], v[64:65], 2, v[22:23]
	flat_load_dword v0, v[0:1]
	s_waitcnt vmcnt(0) lgkmcnt(0)
	v_mul_f32_e32 v0, s28, v0
	s_branch .LBB48_182
.LBB48_181:
	v_mov_b32_e32 v0, 0
.LBB48_182:
	v_add_f32_e32 v1, v14, v15
	v_add_f32_e32 v2, v1, v0
	v_lshl_add_u64 v[0:1], v[64:65], 2, v[20:21]
	flat_store_dword v[0:1], v2
	s_or_b64 exec, exec, s[2:3]
	s_and_b64 s[4:5], s[8:9], s[18:19]
	s_and_saveexec_b64 s[2:3], s[4:5]
	s_cbranch_execz .LBB48_166
.LBB48_183:
	s_and_b64 vcc, exec, s[0:1]
	s_cbranch_vccnz .LBB48_185
; %bb.184:
	v_lshl_add_u64 v[0:1], v[62:63], 2, v[22:23]
	flat_load_dword v0, v[0:1]
	s_waitcnt vmcnt(0) lgkmcnt(0)
	v_mul_f32_e32 v0, s28, v0
	s_branch .LBB48_186
.LBB48_185:
	v_mov_b32_e32 v0, 0
.LBB48_186:
	v_add_f32_e32 v1, v12, v13
	v_add_f32_e32 v2, v1, v0
	v_lshl_add_u64 v[0:1], v[62:63], 2, v[20:21]
	flat_store_dword v[0:1], v2
	s_or_b64 exec, exec, s[2:3]
	s_and_b64 s[4:5], s[10:11], s[18:19]
	s_and_saveexec_b64 s[2:3], s[4:5]
	s_cbranch_execz .LBB48_167
.LBB48_187:
	s_and_b64 vcc, exec, s[0:1]
	s_cbranch_vccnz .LBB48_189
; %bb.188:
	v_lshl_add_u64 v[0:1], v[60:61], 2, v[22:23]
	flat_load_dword v0, v[0:1]
	s_waitcnt vmcnt(0) lgkmcnt(0)
	v_mul_f32_e32 v0, s28, v0
	s_branch .LBB48_190
.LBB48_189:
	v_mov_b32_e32 v0, 0
.LBB48_190:
	v_add_f32_e32 v1, v10, v11
	v_add_f32_e32 v2, v1, v0
	v_lshl_add_u64 v[0:1], v[60:61], 2, v[20:21]
	flat_store_dword v[0:1], v2
	s_or_b64 exec, exec, s[2:3]
	s_and_b64 s[4:5], s[12:13], s[18:19]
	s_and_saveexec_b64 s[2:3], s[4:5]
	s_cbranch_execz .LBB48_168
.LBB48_191:
	s_and_b64 vcc, exec, s[0:1]
	s_cbranch_vccnz .LBB48_193
; %bb.192:
	v_lshl_add_u64 v[0:1], v[58:59], 2, v[22:23]
	flat_load_dword v0, v[0:1]
	s_waitcnt vmcnt(0) lgkmcnt(0)
	v_mul_f32_e32 v0, s28, v0
	s_branch .LBB48_194
.LBB48_193:
	v_mov_b32_e32 v0, 0
.LBB48_194:
	v_add_f32_e32 v1, v8, v9
	v_add_f32_e32 v2, v1, v0
	v_lshl_add_u64 v[0:1], v[58:59], 2, v[20:21]
	flat_store_dword v[0:1], v2
	s_or_b64 exec, exec, s[2:3]
	s_and_b64 s[4:5], s[14:15], s[18:19]
	s_and_saveexec_b64 s[2:3], s[4:5]
	s_cbranch_execz .LBB48_169
.LBB48_195:
	s_and_b64 vcc, exec, s[0:1]
	s_cbranch_vccnz .LBB48_197
; %bb.196:
	v_lshl_add_u64 v[0:1], v[56:57], 2, v[22:23]
	flat_load_dword v0, v[0:1]
	s_waitcnt vmcnt(0) lgkmcnt(0)
	v_mul_f32_e32 v0, s28, v0
	s_branch .LBB48_198
.LBB48_197:
	v_mov_b32_e32 v0, 0
.LBB48_198:
	v_add_f32_e32 v1, v6, v7
	v_add_f32_e32 v2, v1, v0
	v_lshl_add_u64 v[0:1], v[56:57], 2, v[20:21]
	flat_store_dword v[0:1], v2
	s_or_b64 exec, exec, s[2:3]
	s_and_b64 s[2:3], s[16:17], s[18:19]
	s_and_saveexec_b64 s[4:5], s[2:3]
	s_cbranch_execz .LBB48_170
.LBB48_199:
	s_and_b64 vcc, exec, s[0:1]
	s_cbranch_vccnz .LBB48_201
; %bb.200:
	v_lshl_add_u64 v[0:1], v[54:55], 2, v[22:23]
	flat_load_dword v0, v[0:1]
	s_waitcnt vmcnt(0) lgkmcnt(0)
	v_mul_f32_e32 v0, s28, v0
	s_branch .LBB48_202
.LBB48_201:
	v_mov_b32_e32 v0, 0
.LBB48_202:
	v_add_f32_e32 v1, v4, v5
	v_add_f32_e32 v2, v1, v0
	v_lshl_add_u64 v[0:1], v[54:55], 2, v[20:21]
	flat_store_dword v[0:1], v2
	s_endpgm
	.section	.rodata,"a",@progbits
	.p2align	6, 0x0
	.amdhsa_kernel _ZN12_GLOBAL__N_120geam_min_plus_kernelIf15HIP_vector_typeIfLj2EES2_Li8ELi32ELi64ELi128ELi4ELi4ELi64ELi64ELi4ELc84ELc84ELb0ELb1ELb0EPKfKS4_KPfEEviiiT16_PT17_ilSA_ilS8_SA_ilPT18_ili26rocblas_geam_ex_operation_
		.amdhsa_group_segment_fixed_size 6144
		.amdhsa_private_segment_fixed_size 0
		.amdhsa_kernarg_size 136
		.amdhsa_user_sgpr_count 2
		.amdhsa_user_sgpr_dispatch_ptr 0
		.amdhsa_user_sgpr_queue_ptr 0
		.amdhsa_user_sgpr_kernarg_segment_ptr 1
		.amdhsa_user_sgpr_dispatch_id 0
		.amdhsa_user_sgpr_kernarg_preload_length 0
		.amdhsa_user_sgpr_kernarg_preload_offset 0
		.amdhsa_user_sgpr_private_segment_size 0
		.amdhsa_uses_dynamic_stack 0
		.amdhsa_enable_private_segment 0
		.amdhsa_system_sgpr_workgroup_id_x 1
		.amdhsa_system_sgpr_workgroup_id_y 0
		.amdhsa_system_sgpr_workgroup_id_z 1
		.amdhsa_system_sgpr_workgroup_info 0
		.amdhsa_system_vgpr_workitem_id 1
		.amdhsa_next_free_vgpr 111
		.amdhsa_next_free_sgpr 38
		.amdhsa_accum_offset 112
		.amdhsa_reserve_vcc 1
		.amdhsa_float_round_mode_32 0
		.amdhsa_float_round_mode_16_64 0
		.amdhsa_float_denorm_mode_32 3
		.amdhsa_float_denorm_mode_16_64 3
		.amdhsa_dx10_clamp 1
		.amdhsa_ieee_mode 1
		.amdhsa_fp16_overflow 0
		.amdhsa_tg_split 0
		.amdhsa_exception_fp_ieee_invalid_op 0
		.amdhsa_exception_fp_denorm_src 0
		.amdhsa_exception_fp_ieee_div_zero 0
		.amdhsa_exception_fp_ieee_overflow 0
		.amdhsa_exception_fp_ieee_underflow 0
		.amdhsa_exception_fp_ieee_inexact 0
		.amdhsa_exception_int_div_zero 0
	.end_amdhsa_kernel
	.section	.text._ZN12_GLOBAL__N_120geam_min_plus_kernelIf15HIP_vector_typeIfLj2EES2_Li8ELi32ELi64ELi128ELi4ELi4ELi64ELi64ELi4ELc84ELc84ELb0ELb1ELb0EPKfKS4_KPfEEviiiT16_PT17_ilSA_ilS8_SA_ilPT18_ili26rocblas_geam_ex_operation_,"axG",@progbits,_ZN12_GLOBAL__N_120geam_min_plus_kernelIf15HIP_vector_typeIfLj2EES2_Li8ELi32ELi64ELi128ELi4ELi4ELi64ELi64ELi4ELc84ELc84ELb0ELb1ELb0EPKfKS4_KPfEEviiiT16_PT17_ilSA_ilS8_SA_ilPT18_ili26rocblas_geam_ex_operation_,comdat
.Lfunc_end48:
	.size	_ZN12_GLOBAL__N_120geam_min_plus_kernelIf15HIP_vector_typeIfLj2EES2_Li8ELi32ELi64ELi128ELi4ELi4ELi64ELi64ELi4ELc84ELc84ELb0ELb1ELb0EPKfKS4_KPfEEviiiT16_PT17_ilSA_ilS8_SA_ilPT18_ili26rocblas_geam_ex_operation_, .Lfunc_end48-_ZN12_GLOBAL__N_120geam_min_plus_kernelIf15HIP_vector_typeIfLj2EES2_Li8ELi32ELi64ELi128ELi4ELi4ELi64ELi64ELi4ELc84ELc84ELb0ELb1ELb0EPKfKS4_KPfEEviiiT16_PT17_ilSA_ilS8_SA_ilPT18_ili26rocblas_geam_ex_operation_
                                        ; -- End function
	.set _ZN12_GLOBAL__N_120geam_min_plus_kernelIf15HIP_vector_typeIfLj2EES2_Li8ELi32ELi64ELi128ELi4ELi4ELi64ELi64ELi4ELc84ELc84ELb0ELb1ELb0EPKfKS4_KPfEEviiiT16_PT17_ilSA_ilS8_SA_ilPT18_ili26rocblas_geam_ex_operation_.num_vgpr, 111
	.set _ZN12_GLOBAL__N_120geam_min_plus_kernelIf15HIP_vector_typeIfLj2EES2_Li8ELi32ELi64ELi128ELi4ELi4ELi64ELi64ELi4ELc84ELc84ELb0ELb1ELb0EPKfKS4_KPfEEviiiT16_PT17_ilSA_ilS8_SA_ilPT18_ili26rocblas_geam_ex_operation_.num_agpr, 0
	.set _ZN12_GLOBAL__N_120geam_min_plus_kernelIf15HIP_vector_typeIfLj2EES2_Li8ELi32ELi64ELi128ELi4ELi4ELi64ELi64ELi4ELc84ELc84ELb0ELb1ELb0EPKfKS4_KPfEEviiiT16_PT17_ilSA_ilS8_SA_ilPT18_ili26rocblas_geam_ex_operation_.numbered_sgpr, 38
	.set _ZN12_GLOBAL__N_120geam_min_plus_kernelIf15HIP_vector_typeIfLj2EES2_Li8ELi32ELi64ELi128ELi4ELi4ELi64ELi64ELi4ELc84ELc84ELb0ELb1ELb0EPKfKS4_KPfEEviiiT16_PT17_ilSA_ilS8_SA_ilPT18_ili26rocblas_geam_ex_operation_.num_named_barrier, 0
	.set _ZN12_GLOBAL__N_120geam_min_plus_kernelIf15HIP_vector_typeIfLj2EES2_Li8ELi32ELi64ELi128ELi4ELi4ELi64ELi64ELi4ELc84ELc84ELb0ELb1ELb0EPKfKS4_KPfEEviiiT16_PT17_ilSA_ilS8_SA_ilPT18_ili26rocblas_geam_ex_operation_.private_seg_size, 0
	.set _ZN12_GLOBAL__N_120geam_min_plus_kernelIf15HIP_vector_typeIfLj2EES2_Li8ELi32ELi64ELi128ELi4ELi4ELi64ELi64ELi4ELc84ELc84ELb0ELb1ELb0EPKfKS4_KPfEEviiiT16_PT17_ilSA_ilS8_SA_ilPT18_ili26rocblas_geam_ex_operation_.uses_vcc, 1
	.set _ZN12_GLOBAL__N_120geam_min_plus_kernelIf15HIP_vector_typeIfLj2EES2_Li8ELi32ELi64ELi128ELi4ELi4ELi64ELi64ELi4ELc84ELc84ELb0ELb1ELb0EPKfKS4_KPfEEviiiT16_PT17_ilSA_ilS8_SA_ilPT18_ili26rocblas_geam_ex_operation_.uses_flat_scratch, 0
	.set _ZN12_GLOBAL__N_120geam_min_plus_kernelIf15HIP_vector_typeIfLj2EES2_Li8ELi32ELi64ELi128ELi4ELi4ELi64ELi64ELi4ELc84ELc84ELb0ELb1ELb0EPKfKS4_KPfEEviiiT16_PT17_ilSA_ilS8_SA_ilPT18_ili26rocblas_geam_ex_operation_.has_dyn_sized_stack, 0
	.set _ZN12_GLOBAL__N_120geam_min_plus_kernelIf15HIP_vector_typeIfLj2EES2_Li8ELi32ELi64ELi128ELi4ELi4ELi64ELi64ELi4ELc84ELc84ELb0ELb1ELb0EPKfKS4_KPfEEviiiT16_PT17_ilSA_ilS8_SA_ilPT18_ili26rocblas_geam_ex_operation_.has_recursion, 0
	.set _ZN12_GLOBAL__N_120geam_min_plus_kernelIf15HIP_vector_typeIfLj2EES2_Li8ELi32ELi64ELi128ELi4ELi4ELi64ELi64ELi4ELc84ELc84ELb0ELb1ELb0EPKfKS4_KPfEEviiiT16_PT17_ilSA_ilS8_SA_ilPT18_ili26rocblas_geam_ex_operation_.has_indirect_call, 0
	.section	.AMDGPU.csdata,"",@progbits
; Kernel info:
; codeLenInByte = 7940
; TotalNumSgprs: 44
; NumVgprs: 111
; NumAgprs: 0
; TotalNumVgprs: 111
; ScratchSize: 0
; MemoryBound: 0
; FloatMode: 240
; IeeeMode: 1
; LDSByteSize: 6144 bytes/workgroup (compile time only)
; SGPRBlocks: 5
; VGPRBlocks: 13
; NumSGPRsForWavesPerEU: 44
; NumVGPRsForWavesPerEU: 111
; AccumOffset: 112
; Occupancy: 4
; WaveLimiterHint : 1
; COMPUTE_PGM_RSRC2:SCRATCH_EN: 0
; COMPUTE_PGM_RSRC2:USER_SGPR: 2
; COMPUTE_PGM_RSRC2:TRAP_HANDLER: 0
; COMPUTE_PGM_RSRC2:TGID_X_EN: 1
; COMPUTE_PGM_RSRC2:TGID_Y_EN: 0
; COMPUTE_PGM_RSRC2:TGID_Z_EN: 1
; COMPUTE_PGM_RSRC2:TIDIG_COMP_CNT: 1
; COMPUTE_PGM_RSRC3_GFX90A:ACCUM_OFFSET: 27
; COMPUTE_PGM_RSRC3_GFX90A:TG_SPLIT: 0
	.section	.text._ZN12_GLOBAL__N_120geam_min_plus_kernelIf15HIP_vector_typeIfLj2EES2_Li8ELi32ELi64ELi128ELi4ELi4ELi64ELi64ELi4ELc84ELc84ELb1ELb1ELb0EfKPKfKPfEEviiiT16_PT17_ilSA_ilS8_SA_ilPT18_ili26rocblas_geam_ex_operation_,"axG",@progbits,_ZN12_GLOBAL__N_120geam_min_plus_kernelIf15HIP_vector_typeIfLj2EES2_Li8ELi32ELi64ELi128ELi4ELi4ELi64ELi64ELi4ELc84ELc84ELb1ELb1ELb0EfKPKfKPfEEviiiT16_PT17_ilSA_ilS8_SA_ilPT18_ili26rocblas_geam_ex_operation_,comdat
	.globl	_ZN12_GLOBAL__N_120geam_min_plus_kernelIf15HIP_vector_typeIfLj2EES2_Li8ELi32ELi64ELi128ELi4ELi4ELi64ELi64ELi4ELc84ELc84ELb1ELb1ELb0EfKPKfKPfEEviiiT16_PT17_ilSA_ilS8_SA_ilPT18_ili26rocblas_geam_ex_operation_ ; -- Begin function _ZN12_GLOBAL__N_120geam_min_plus_kernelIf15HIP_vector_typeIfLj2EES2_Li8ELi32ELi64ELi128ELi4ELi4ELi64ELi64ELi4ELc84ELc84ELb1ELb1ELb0EfKPKfKPfEEviiiT16_PT17_ilSA_ilS8_SA_ilPT18_ili26rocblas_geam_ex_operation_
	.p2align	8
	.type	_ZN12_GLOBAL__N_120geam_min_plus_kernelIf15HIP_vector_typeIfLj2EES2_Li8ELi32ELi64ELi128ELi4ELi4ELi64ELi64ELi4ELc84ELc84ELb1ELb1ELb0EfKPKfKPfEEviiiT16_PT17_ilSA_ilS8_SA_ilPT18_ili26rocblas_geam_ex_operation_,@function
_ZN12_GLOBAL__N_120geam_min_plus_kernelIf15HIP_vector_typeIfLj2EES2_Li8ELi32ELi64ELi128ELi4ELi4ELi64ELi64ELi4ELc84ELc84ELb1ELb1ELb0EfKPKfKPfEEviiiT16_PT17_ilSA_ilS8_SA_ilPT18_ili26rocblas_geam_ex_operation_: ; @_ZN12_GLOBAL__N_120geam_min_plus_kernelIf15HIP_vector_typeIfLj2EES2_Li8ELi32ELi64ELi128ELi4ELi4ELi64ELi64ELi4ELc84ELc84ELb1ELb1ELb0EfKPKfKPfEEviiiT16_PT17_ilSA_ilS8_SA_ilPT18_ili26rocblas_geam_ex_operation_
; %bb.0:
	s_load_dwordx4 s[20:23], s[0:1], 0x0
	s_load_dwordx4 s[4:7], s[0:1], 0x20
	s_mov_b32 s8, s3
	s_mov_b32 s9, 0
	s_waitcnt lgkmcnt(0)
	v_cmp_eq_f32_e64 s[10:11], s23, 0
	s_and_b64 vcc, exec, s[10:11]
	s_cbranch_vccnz .LBB49_3
; %bb.1:
	s_load_dwordx2 s[12:13], s[0:1], 0x10
	s_lshl_b64 s[14:15], s[8:9], 3
	s_waitcnt lgkmcnt(0)
	s_add_u32 s12, s12, s14
	s_addc_u32 s13, s13, s15
	s_load_dwordx2 s[12:13], s[12:13], 0x0
	s_lshl_b64 s[4:5], s[4:5], 2
	s_waitcnt lgkmcnt(0)
	s_add_u32 s14, s12, s4
	s_addc_u32 s15, s13, s5
	s_andn2_b64 vcc, exec, s[10:11]
	s_cbranch_vccnz .LBB49_4
.LBB49_2:
	s_mov_b32 s13, 0
	s_mov_b32 s12, s8
	s_mov_b64 s[24:25], 0
	s_mov_b64 s[10:11], 0
	s_cbranch_execz .LBB49_5
	s_branch .LBB49_6
.LBB49_3:
	s_mov_b64 s[14:15], 0
	s_andn2_b64 vcc, exec, s[10:11]
	s_cbranch_vccz .LBB49_2
.LBB49_4:
	s_mov_b64 s[12:13], s[8:9]
	s_mov_b64 s[24:25], 0
	;; [unrolled: 1-line block ×3, first 2 shown]
.LBB49_5:
	s_lshl_b64 s[8:9], s[8:9], 3
	s_add_u32 s6, s6, s8
	s_load_dwordx2 s[4:5], s[0:1], 0x38
	s_addc_u32 s7, s7, s9
	s_load_dwordx2 s[6:7], s[6:7], 0x0
	s_waitcnt lgkmcnt(0)
	s_lshl_b64 s[4:5], s[4:5], 2
	s_add_u32 s10, s6, s4
	s_addc_u32 s11, s7, s5
.LBB49_6:
	s_load_dword s28, s[0:1], 0x40
	s_load_dwordx4 s[4:7], s[0:1], 0x58
	s_waitcnt lgkmcnt(0)
	v_cmp_eq_f32_e64 s[16:17], s28, 0
	v_cmp_neq_f32_e64 s[8:9], s28, 0
	s_and_b64 vcc, exec, s[16:17]
	s_cbranch_vccnz .LBB49_8
; %bb.7:
	s_load_dwordx2 s[16:17], s[0:1], 0x48
	s_lshl_b64 s[18:19], s[12:13], 3
	s_waitcnt lgkmcnt(0)
	s_add_u32 s16, s16, s18
	s_addc_u32 s17, s17, s19
	s_load_dwordx2 s[16:17], s[16:17], 0x0
	s_lshl_b64 s[4:5], s[4:5], 2
	s_waitcnt lgkmcnt(0)
	s_add_u32 s24, s16, s4
	s_addc_u32 s25, s17, s5
.LBB49_8:
	s_lshl_b64 s[4:5], s[12:13], 3
	s_add_u32 s16, s6, s4
	s_addc_u32 s17, s7, s5
	s_add_i32 s3, s20, -1
	s_ashr_i32 s4, s3, 31
	s_lshr_b32 s4, s4, 26
	s_add_i32 s3, s3, s4
	s_ashr_i32 s3, s3, 6
	s_add_i32 s4, s3, 1
	v_cvt_f32_u32_e32 v1, s4
	s_not_b32 s3, s3
	v_and_b32_e32 v74, 0x3ff, v0
	v_bfe_u32 v75, v0, 10, 10
	v_rcp_iflag_f32_e32 v1, v1
	s_load_dword s27, s[0:1], 0x18
	v_lshl_add_u32 v2, v75, 3, v74
	v_lshrrev_b32_e32 v4, 2, v2
	v_mul_f32_e32 v1, 0x4f7ffffe, v1
	v_cvt_u32_f32_e32 v1, v1
	v_and_b32_e32 v76, 3, v0
	v_mov_b32_e32 v5, 0
	v_lshlrev_b32_e32 v0, 2, v76
	v_readfirstlane_b32 s5, v1
	s_mul_i32 s3, s3, s5
	s_mul_hi_u32 s3, s5, s3
	s_add_i32 s5, s5, s3
	s_mul_hi_u32 s3, s2, s5
	s_mul_i32 s5, s3, s4
	s_sub_i32 s5, s2, s5
	s_add_i32 s6, s3, 1
	s_sub_i32 s7, s5, s4
	s_cmp_ge_u32 s5, s4
	s_cselect_b32 s3, s6, s3
	s_cselect_b32 s5, s7, s5
	s_add_i32 s6, s3, 1
	s_cmp_ge_u32 s5, s4
	s_cselect_b32 s6, s6, s3
	s_mul_i32 s3, s6, s4
	s_sub_i32 s2, s2, s3
	s_lshl_b32 s18, s2, 6
	v_add_u32_e32 v70, s18, v4
	v_cmp_gt_i32_e64 s[2:3], s22, v76
	v_cmp_gt_i32_e64 s[4:5], s20, v70
	v_cmp_le_i32_e32 vcc, s20, v70
	s_and_b64 s[4:5], s[2:3], s[4:5]
	v_mov_b32_e32 v8, 0
	s_and_saveexec_b64 s[2:3], s[4:5]
	s_cbranch_execz .LBB49_10
; %bb.9:
	s_waitcnt lgkmcnt(0)
	v_mad_i64_i32 v[6:7], s[4:5], v70, s27, 0
	v_lshl_add_u64 v[6:7], v[6:7], 2, s[14:15]
	v_mov_b32_e32 v1, 0
	v_lshl_add_u64 v[6:7], v[6:7], 0, v[0:1]
	flat_load_dword v8, v[6:7]
.LBB49_10:
	s_or_b64 exec, exec, s[2:3]
	s_load_dword s23, s[0:1], 0x30
	v_and_b32_e32 v6, 63, v2
	v_lshrrev_b32_e32 v77, 6, v2
	s_lshl_b32 s19, s6, 7
	v_or_b32_e32 v68, s19, v6
	s_waitcnt lgkmcnt(0)
	v_mad_i64_i32 v[2:3], s[2:3], s23, v77, 0
	v_cmp_le_i32_e64 s[6:7], s22, v77
	v_cmp_le_i32_e64 s[2:3], s21, v68
	s_ashr_i32 s26, s23, 31
	v_lshl_add_u64 v[2:3], v[2:3], 2, s[10:11]
	s_nor_b64 s[12:13], s[2:3], s[6:7]
	v_ashrrev_i32_e32 v69, 31, v68
	s_and_saveexec_b64 s[4:5], s[12:13]
	s_cbranch_execz .LBB49_12
; %bb.11:
	v_lshl_add_u64 v[10:11], v[68:69], 2, v[2:3]
	flat_load_dword v5, v[10:11]
.LBB49_12:
	s_or_b64 exec, exec, s[4:5]
	v_or_b32_e32 v1, 64, v68
	v_cmp_le_i32_e64 s[4:5], s21, v1
	s_nor_b64 s[12:13], s[4:5], s[6:7]
	v_mov_b32_e32 v82, 0
	v_mov_b32_e32 v7, 0
	s_and_saveexec_b64 s[6:7], s[12:13]
	s_cbranch_execz .LBB49_14
; %bb.13:
	v_lshl_add_u64 v[2:3], v[68:69], 2, v[2:3]
	flat_load_dword v7, v[2:3] offset:256
.LBB49_14:
	s_or_b64 exec, exec, s[6:7]
	v_or_b32_e32 v1, 4, v76
	v_cmp_gt_i32_e64 s[6:7], s22, v1
	s_xor_b64 s[12:13], vcc, -1
	s_and_b64 s[30:31], s[6:7], s[12:13]
	s_and_saveexec_b64 s[6:7], s[30:31]
	s_cbranch_execz .LBB49_16
; %bb.15:
	v_mad_i64_i32 v[2:3], s[30:31], v70, s27, 0
	v_lshl_add_u64 v[2:3], v[2:3], 2, s[14:15]
	v_mov_b32_e32 v1, 0
	v_lshl_add_u64 v[2:3], v[2:3], 0, v[0:1]
	flat_load_dword v82, v[2:3] offset:16
.LBB49_16:
	s_or_b64 exec, exec, s[6:7]
	v_add_u32_e32 v1, 4, v77
	v_mad_u64_u32 v[2:3], s[6:7], s23, v1, 0
	v_mov_b32_e32 v10, v3
	v_mad_u64_u32 v[10:11], s[6:7], s26, v1, v[10:11]
	v_cmp_le_i32_e32 vcc, s22, v1
	v_mov_b32_e32 v3, v10
	v_lshl_add_u64 v[2:3], v[2:3], 2, s[10:11]
	s_nor_b64 s[30:31], s[2:3], vcc
	v_mov_b32_e32 v71, 0
	v_mov_b32_e32 v72, 0
	s_and_saveexec_b64 s[6:7], s[30:31]
	s_cbranch_execz .LBB49_18
; %bb.17:
	v_lshl_add_u64 v[10:11], v[68:69], 2, v[2:3]
	flat_load_dword v72, v[10:11]
.LBB49_18:
	s_or_b64 exec, exec, s[6:7]
	s_load_dwordx2 s[6:7], s[16:17], 0x0
	s_nor_b64 s[30:31], s[4:5], vcc
	s_and_saveexec_b64 s[16:17], s[30:31]
	s_cbranch_execz .LBB49_20
; %bb.19:
	v_lshl_add_u64 v[2:3], v[68:69], 2, v[2:3]
	flat_load_dword v71, v[2:3] offset:256
.LBB49_20:
	s_or_b64 exec, exec, s[16:17]
	v_lshl_or_b32 v73, v4, 4, v0
	v_lshlrev_b32_e32 v0, 4, v6
	v_lshl_add_u32 v78, v77, 2, v0
	v_mov_b32_e32 v0, 0x1000
	v_mov_b32_e32 v66, 0
	s_waitcnt vmcnt(0)
	ds_write_b32 v73, v8 offset:4096
	s_waitcnt lgkmcnt(0)
	ds_write2st64_b32 v78, v5, v7 offset1:4
	v_lshl_add_u32 v79, v74, 4, v0
	s_mov_b32 s29, 0
	s_mov_b64 s[16:17], -1
	v_mov_b32_e32 v67, v66
	v_mov_b32_e32 v64, v66
	;; [unrolled: 1-line block ×63, first 2 shown]
	v_add_u32_e32 v80, 0x1000, v73
	v_lshlrev_b32_e32 v81, 4, v75
	s_waitcnt lgkmcnt(0)
	s_barrier
.LBB49_21:                              ; =>This Inner Loop Header: Depth=1
	v_cndmask_b32_e64 v0, 0, 1, s[16:17]
	s_lshl_b32 s16, s29, 2
	v_cmp_ne_u32_e32 vcc, 1, v0
	v_add_u32_e32 v0, s16, v79
	ds_read2_b64 v[84:87], v0 offset1:16
	ds_read2_b64 v[88:91], v0 offset0:32 offset1:48
	ds_read2_b64 v[92:95], v0 offset0:64 offset1:80
	;; [unrolled: 1-line block ×3, first 2 shown]
	v_add_u32_e32 v0, s16, v81
	ds_read2st64_b64 v[100:103], v0 offset1:1
	ds_read2st64_b64 v[0:3], v0 offset0:2 offset1:3
	s_waitcnt lgkmcnt(5)
	v_max_f32_e32 v104, v85, v85
	v_max_f32_e32 v86, v86, v86
	;; [unrolled: 1-line block ×3, first 2 shown]
	s_waitcnt lgkmcnt(1)
	v_max_f32_e32 v83, v100, v100
	v_max_f32_e32 v100, v84, v84
	;; [unrolled: 1-line block ×3, first 2 shown]
	v_min_f32_e32 v84, v100, v83
	v_min_f32_e32 v85, v104, v101
	v_pk_add_f32 v[66:67], v[66:67], v[84:85]
	v_min_f32_e32 v84, v86, v83
	v_min_f32_e32 v85, v87, v101
	v_max_f32_e32 v88, v88, v88
	v_max_f32_e32 v89, v89, v89
	v_pk_add_f32 v[64:65], v[64:65], v[84:85]
	v_min_f32_e32 v84, v88, v83
	v_min_f32_e32 v85, v89, v101
	v_max_f32_e32 v90, v90, v90
	v_max_f32_e32 v91, v91, v91
	;; [unrolled: 5-line block ×5, first 2 shown]
	v_pk_add_f32 v[56:57], v[56:57], v[84:85]
	v_min_f32_e32 v84, v96, v83
	v_min_f32_e32 v85, v97, v101
	v_max_f32_e32 v98, v98, v98
	v_pk_add_f32 v[54:55], v[54:55], v[84:85]
	v_min_f32_e32 v84, v98, v83
	v_max_f32_e32 v83, v99, v99
	v_min_f32_e32 v85, v83, v101
	v_max_f32_e32 v99, v102, v102
	v_max_f32_e32 v101, v103, v103
	v_pk_add_f32 v[52:53], v[52:53], v[84:85]
	v_min_f32_e32 v84, v100, v99
	v_min_f32_e32 v85, v104, v101
	v_pk_add_f32 v[50:51], v[50:51], v[84:85]
	v_min_f32_e32 v84, v86, v99
	v_min_f32_e32 v85, v87, v101
	v_pk_add_f32 v[48:49], v[48:49], v[84:85]
	v_min_f32_e32 v84, v88, v99
	v_min_f32_e32 v85, v89, v101
	v_pk_add_f32 v[46:47], v[46:47], v[84:85]
	v_min_f32_e32 v84, v90, v99
	v_min_f32_e32 v85, v91, v101
	v_pk_add_f32 v[44:45], v[44:45], v[84:85]
	v_min_f32_e32 v84, v92, v99
	v_min_f32_e32 v85, v93, v101
	v_pk_add_f32 v[42:43], v[42:43], v[84:85]
	v_min_f32_e32 v84, v94, v99
	v_min_f32_e32 v85, v95, v101
	v_pk_add_f32 v[40:41], v[40:41], v[84:85]
	v_min_f32_e32 v84, v96, v99
	v_min_f32_e32 v85, v97, v101
	v_pk_add_f32 v[38:39], v[38:39], v[84:85]
	v_min_f32_e32 v84, v98, v99
	v_min_f32_e32 v85, v83, v101
	v_pk_add_f32 v[36:37], v[36:37], v[84:85]
	s_waitcnt lgkmcnt(0)
	v_max_f32_e32 v84, v0, v0
	v_max_f32_e32 v85, v1, v1
	v_min_f32_e32 v0, v100, v84
	v_min_f32_e32 v1, v104, v85
	v_pk_add_f32 v[34:35], v[34:35], v[0:1]
	v_min_f32_e32 v0, v86, v84
	v_min_f32_e32 v1, v87, v85
	v_pk_add_f32 v[32:33], v[32:33], v[0:1]
	;; [unrolled: 3-line block ×7, first 2 shown]
	v_min_f32_e32 v0, v98, v84
	v_min_f32_e32 v1, v83, v85
	v_max_f32_e32 v2, v2, v2
	v_max_f32_e32 v3, v3, v3
	v_pk_add_f32 v[20:21], v[20:21], v[0:1]
	v_min_f32_e32 v0, v100, v2
	v_min_f32_e32 v1, v104, v3
	v_pk_add_f32 v[18:19], v[18:19], v[0:1]
	v_min_f32_e32 v0, v86, v2
	v_min_f32_e32 v1, v87, v3
	;; [unrolled: 3-line block ×8, first 2 shown]
	v_pk_add_f32 v[4:5], v[4:5], v[0:1]
	s_mov_b64 s[16:17], 0
	s_mov_b32 s29, 2
	s_cbranch_vccz .LBB49_21
; %bb.22:
	s_cmp_lt_i32 s22, 9
	ds_write_b32 v73, v82 offset:5120
	ds_write2st64_b32 v78, v72, v71 offset0:8 offset1:12
	s_waitcnt lgkmcnt(0)
	s_barrier
	s_cbranch_scc1 .LBB49_41
; %bb.23:
	v_mad_i64_i32 v[0:1], s[30:31], v70, s27, 0
	v_lshl_add_u64 v[70:71], v[0:1], 2, s[14:15]
	v_mov_b32_e32 v0, 0x1400
	v_lshl_add_u32 v84, v74, 4, v0
	v_mov_b32_e32 v0, 0x800
	v_add_u32_e32 v82, 0x1400, v73
	v_add_u32_e32 v83, 0x800, v78
	s_add_i32 s16, s22, -8
	v_lshl_add_u32 v85, v75, 4, v0
	s_mov_b32 s17, 8
	s_mov_b32 s27, 0
	v_mov_b32_e32 v73, 0
.LBB49_24:                              ; =>This Loop Header: Depth=1
                                        ;     Child Loop BB49_31 Depth 2
                                        ;     Child Loop BB49_39 Depth 2
	v_or_b32_e32 v72, s17, v76
	v_cmp_gt_i32_e32 vcc, s22, v72
	s_and_b64 s[30:31], vcc, s[12:13]
	v_mov_b32_e32 v88, 0
	s_and_saveexec_b64 s[14:15], s[30:31]
	s_cbranch_execz .LBB49_26
; %bb.25:                               ;   in Loop: Header=BB49_24 Depth=1
	v_lshl_add_u64 v[0:1], v[72:73], 2, v[70:71]
	flat_load_dword v88, v[0:1]
.LBB49_26:                              ;   in Loop: Header=BB49_24 Depth=1
	s_or_b64 exec, exec, s[14:15]
	v_add_u32_e32 v3, s17, v77
	v_mad_u64_u32 v[0:1], s[14:15], v3, s23, 0
	v_mov_b32_e32 v2, v1
	v_cmp_le_i32_e32 vcc, s22, v3
	v_mad_u64_u32 v[2:3], s[14:15], v3, s26, v[2:3]
	v_mov_b32_e32 v1, v2
	v_lshl_add_u64 v[0:1], v[0:1], 2, s[10:11]
	s_nor_b64 s[30:31], s[2:3], vcc
	v_mov_b32_e32 v86, 0
	v_lshl_add_u64 v[0:1], v[68:69], 2, v[0:1]
	v_mov_b32_e32 v87, 0
	s_and_saveexec_b64 s[14:15], s[30:31]
	s_cbranch_execz .LBB49_28
; %bb.27:                               ;   in Loop: Header=BB49_24 Depth=1
	flat_load_dword v87, v[0:1]
.LBB49_28:                              ;   in Loop: Header=BB49_24 Depth=1
	s_or_b64 exec, exec, s[14:15]
	s_nor_b64 s[30:31], s[4:5], vcc
	s_and_saveexec_b64 s[14:15], s[30:31]
	s_cbranch_execz .LBB49_30
; %bb.29:                               ;   in Loop: Header=BB49_24 Depth=1
	flat_load_dword v86, v[0:1] offset:256
.LBB49_30:                              ;   in Loop: Header=BB49_24 Depth=1
	s_or_b64 exec, exec, s[14:15]
	s_mov_b32 s29, 0
	s_mov_b64 s[14:15], -1
.LBB49_31:                              ;   Parent Loop BB49_24 Depth=1
                                        ; =>  This Inner Loop Header: Depth=2
	v_cndmask_b32_e64 v0, 0, 1, s[14:15]
	s_lshl_b32 s14, s29, 2
	v_cmp_ne_u32_e32 vcc, 1, v0
	v_add_u32_e32 v0, s14, v84
	ds_read2_b64 v[90:93], v0 offset1:16
	ds_read2_b64 v[94:97], v0 offset0:32 offset1:48
	ds_read2_b64 v[98:101], v0 offset0:64 offset1:80
	;; [unrolled: 1-line block ×3, first 2 shown]
	v_add_u32_e32 v0, s14, v85
	ds_read2st64_b64 v[106:109], v0 offset1:1
	ds_read2st64_b64 v[0:3], v0 offset0:2 offset1:3
	s_waitcnt lgkmcnt(0)
	v_max_f32_e32 v110, v91, v91
	v_max_f32_e32 v92, v92, v92
	;; [unrolled: 1-line block ×6, first 2 shown]
	v_min_f32_e32 v90, v106, v89
	v_min_f32_e32 v91, v110, v107
	v_pk_add_f32 v[66:67], v[66:67], v[90:91]
	v_min_f32_e32 v90, v92, v89
	v_min_f32_e32 v91, v93, v107
	v_max_f32_e32 v94, v94, v94
	v_max_f32_e32 v95, v95, v95
	v_pk_add_f32 v[64:65], v[64:65], v[90:91]
	v_min_f32_e32 v90, v94, v89
	v_min_f32_e32 v91, v95, v107
	v_max_f32_e32 v96, v96, v96
	v_max_f32_e32 v97, v97, v97
	;; [unrolled: 5-line block ×5, first 2 shown]
	v_pk_add_f32 v[56:57], v[56:57], v[90:91]
	v_min_f32_e32 v90, v102, v89
	v_min_f32_e32 v91, v103, v107
	v_max_f32_e32 v104, v104, v104
	v_pk_add_f32 v[54:55], v[54:55], v[90:91]
	v_min_f32_e32 v90, v104, v89
	v_max_f32_e32 v89, v105, v105
	v_min_f32_e32 v91, v89, v107
	v_max_f32_e32 v105, v108, v108
	v_max_f32_e32 v107, v109, v109
	v_pk_add_f32 v[52:53], v[52:53], v[90:91]
	v_min_f32_e32 v90, v106, v105
	v_min_f32_e32 v91, v110, v107
	v_pk_add_f32 v[50:51], v[50:51], v[90:91]
	v_min_f32_e32 v90, v92, v105
	v_min_f32_e32 v91, v93, v107
	v_pk_add_f32 v[48:49], v[48:49], v[90:91]
	v_min_f32_e32 v90, v94, v105
	v_min_f32_e32 v91, v95, v107
	v_pk_add_f32 v[46:47], v[46:47], v[90:91]
	v_min_f32_e32 v90, v96, v105
	v_min_f32_e32 v91, v97, v107
	v_pk_add_f32 v[44:45], v[44:45], v[90:91]
	v_min_f32_e32 v90, v98, v105
	v_min_f32_e32 v91, v99, v107
	v_pk_add_f32 v[42:43], v[42:43], v[90:91]
	v_min_f32_e32 v90, v100, v105
	v_min_f32_e32 v91, v101, v107
	v_pk_add_f32 v[40:41], v[40:41], v[90:91]
	v_min_f32_e32 v90, v102, v105
	v_min_f32_e32 v91, v103, v107
	v_pk_add_f32 v[38:39], v[38:39], v[90:91]
	v_min_f32_e32 v90, v104, v105
	v_min_f32_e32 v91, v89, v107
	v_pk_add_f32 v[36:37], v[36:37], v[90:91]
	v_max_f32_e32 v90, v0, v0
	v_max_f32_e32 v91, v1, v1
	v_min_f32_e32 v0, v106, v90
	v_min_f32_e32 v1, v110, v91
	v_pk_add_f32 v[34:35], v[34:35], v[0:1]
	v_min_f32_e32 v0, v92, v90
	v_min_f32_e32 v1, v93, v91
	v_pk_add_f32 v[32:33], v[32:33], v[0:1]
	;; [unrolled: 3-line block ×7, first 2 shown]
	v_min_f32_e32 v0, v104, v90
	v_min_f32_e32 v1, v89, v91
	v_max_f32_e32 v2, v2, v2
	v_max_f32_e32 v3, v3, v3
	v_pk_add_f32 v[20:21], v[20:21], v[0:1]
	v_min_f32_e32 v0, v106, v2
	v_min_f32_e32 v1, v110, v3
	v_pk_add_f32 v[18:19], v[18:19], v[0:1]
	v_min_f32_e32 v0, v92, v2
	v_min_f32_e32 v1, v93, v3
	;; [unrolled: 3-line block ×8, first 2 shown]
	v_pk_add_f32 v[4:5], v[4:5], v[0:1]
	s_mov_b64 s[14:15], 0
	s_mov_b32 s29, 2
	s_cbranch_vccz .LBB49_31
; %bb.32:                               ;   in Loop: Header=BB49_24 Depth=1
	v_or_b32_e32 v0, 4, v72
	v_cmp_gt_i32_e32 vcc, s22, v0
	s_waitcnt vmcnt(0)
	ds_write_b32 v80, v88
	ds_write2st64_b32 v78, v87, v86 offset1:4
	s_and_b64 s[30:31], vcc, s[12:13]
	v_mov_b32_e32 v86, 0
	v_mov_b32_e32 v87, 0
	s_waitcnt lgkmcnt(0)
	s_barrier
	s_and_saveexec_b64 s[14:15], s[30:31]
	s_cbranch_execz .LBB49_34
; %bb.33:                               ;   in Loop: Header=BB49_24 Depth=1
	v_lshl_add_u64 v[0:1], v[72:73], 2, v[70:71]
	flat_load_dword v87, v[0:1] offset:16
.LBB49_34:                              ;   in Loop: Header=BB49_24 Depth=1
	s_or_b64 exec, exec, s[14:15]
	v_add3_u32 v3, v77, s17, 4
	v_mad_u64_u32 v[0:1], s[14:15], v3, s23, 0
	v_mov_b32_e32 v2, v1
	v_cmp_le_i32_e32 vcc, s22, v3
	v_mad_u64_u32 v[2:3], s[14:15], v3, s26, v[2:3]
	v_mov_b32_e32 v1, v2
	v_lshl_add_u64 v[0:1], v[0:1], 2, s[10:11]
	s_nor_b64 s[30:31], s[2:3], vcc
	v_lshl_add_u64 v[0:1], v[68:69], 2, v[0:1]
	s_and_saveexec_b64 s[14:15], s[30:31]
	s_cbranch_execz .LBB49_36
; %bb.35:                               ;   in Loop: Header=BB49_24 Depth=1
	flat_load_dword v86, v[0:1]
.LBB49_36:                              ;   in Loop: Header=BB49_24 Depth=1
	s_or_b64 exec, exec, s[14:15]
	s_nor_b64 s[30:31], s[4:5], vcc
	v_mov_b32_e32 v72, 0
	s_and_saveexec_b64 s[14:15], s[30:31]
	s_cbranch_execz .LBB49_38
; %bb.37:                               ;   in Loop: Header=BB49_24 Depth=1
	flat_load_dword v72, v[0:1] offset:256
.LBB49_38:                              ;   in Loop: Header=BB49_24 Depth=1
	s_or_b64 exec, exec, s[14:15]
	s_mov_b32 s29, 0
	s_mov_b64 s[14:15], -1
.LBB49_39:                              ;   Parent Loop BB49_24 Depth=1
                                        ; =>  This Inner Loop Header: Depth=2
	v_cndmask_b32_e64 v0, 0, 1, s[14:15]
	s_lshl_b32 s14, s29, 2
	v_cmp_ne_u32_e32 vcc, 1, v0
	v_add_u32_e32 v0, s14, v79
	ds_read2_b64 v[88:91], v0 offset1:16
	ds_read2_b64 v[92:95], v0 offset0:32 offset1:48
	ds_read2_b64 v[96:99], v0 offset0:64 offset1:80
	;; [unrolled: 1-line block ×3, first 2 shown]
	v_add_u32_e32 v0, s14, v81
	ds_read2st64_b64 v[104:107], v0 offset1:1
	ds_read2st64_b64 v[0:3], v0 offset0:2 offset1:3
	s_waitcnt lgkmcnt(0)
	v_max_f32_e32 v108, v88, v88
	v_max_f32_e32 v109, v89, v89
	;; [unrolled: 1-line block ×5, first 2 shown]
	v_min_f32_e32 v88, v108, v104
	v_min_f32_e32 v89, v109, v105
	v_max_f32_e32 v91, v91, v91
	v_pk_add_f32 v[66:67], v[66:67], v[88:89]
	v_min_f32_e32 v88, v90, v104
	v_min_f32_e32 v89, v91, v105
	v_max_f32_e32 v92, v92, v92
	v_max_f32_e32 v93, v93, v93
	v_pk_add_f32 v[64:65], v[64:65], v[88:89]
	v_min_f32_e32 v88, v92, v104
	v_min_f32_e32 v89, v93, v105
	v_max_f32_e32 v94, v94, v94
	;; [unrolled: 5-line block ×7, first 2 shown]
	v_max_f32_e32 v105, v107, v107
	v_pk_add_f32 v[52:53], v[52:53], v[88:89]
	v_min_f32_e32 v88, v108, v104
	v_min_f32_e32 v89, v109, v105
	v_pk_add_f32 v[50:51], v[50:51], v[88:89]
	v_min_f32_e32 v88, v90, v104
	v_min_f32_e32 v89, v91, v105
	v_pk_add_f32 v[48:49], v[48:49], v[88:89]
	v_min_f32_e32 v88, v92, v104
	v_min_f32_e32 v89, v93, v105
	v_pk_add_f32 v[46:47], v[46:47], v[88:89]
	v_min_f32_e32 v88, v94, v104
	v_min_f32_e32 v89, v95, v105
	v_pk_add_f32 v[44:45], v[44:45], v[88:89]
	v_min_f32_e32 v88, v96, v104
	v_min_f32_e32 v89, v97, v105
	v_pk_add_f32 v[42:43], v[42:43], v[88:89]
	v_min_f32_e32 v88, v98, v104
	v_min_f32_e32 v89, v99, v105
	v_pk_add_f32 v[40:41], v[40:41], v[88:89]
	v_min_f32_e32 v88, v100, v104
	v_min_f32_e32 v89, v101, v105
	v_pk_add_f32 v[38:39], v[38:39], v[88:89]
	v_min_f32_e32 v88, v102, v104
	v_min_f32_e32 v89, v103, v105
	v_pk_add_f32 v[36:37], v[36:37], v[88:89]
	v_max_f32_e32 v88, v0, v0
	v_max_f32_e32 v89, v1, v1
	v_min_f32_e32 v0, v108, v88
	v_min_f32_e32 v1, v109, v89
	v_pk_add_f32 v[34:35], v[34:35], v[0:1]
	v_min_f32_e32 v0, v90, v88
	v_min_f32_e32 v1, v91, v89
	v_pk_add_f32 v[32:33], v[32:33], v[0:1]
	;; [unrolled: 3-line block ×7, first 2 shown]
	v_min_f32_e32 v0, v102, v88
	v_min_f32_e32 v1, v103, v89
	v_max_f32_e32 v2, v2, v2
	v_max_f32_e32 v3, v3, v3
	v_pk_add_f32 v[20:21], v[20:21], v[0:1]
	v_min_f32_e32 v0, v108, v2
	v_min_f32_e32 v1, v109, v3
	v_pk_add_f32 v[18:19], v[18:19], v[0:1]
	v_min_f32_e32 v0, v90, v2
	v_min_f32_e32 v1, v91, v3
	;; [unrolled: 3-line block ×8, first 2 shown]
	v_pk_add_f32 v[4:5], v[4:5], v[0:1]
	s_mov_b64 s[14:15], 0
	s_mov_b32 s29, 2
	s_cbranch_vccz .LBB49_39
; %bb.40:                               ;   in Loop: Header=BB49_24 Depth=1
	s_add_i32 s17, s17, 8
	s_add_i32 s27, s27, 8
	s_cmp_ge_i32 s27, s16
	s_waitcnt vmcnt(0)
	ds_write_b32 v82, v87
	ds_write2st64_b32 v83, v86, v72 offset1:4
	s_waitcnt lgkmcnt(0)
	s_barrier
	s_cbranch_scc0 .LBB49_24
.LBB49_41:
	v_mov_b32_e32 v0, 0x1400
	v_lshl_add_u32 v68, v74, 4, v0
	v_mov_b32_e32 v0, 0x800
	v_lshl_add_u32 v69, v75, 4, v0
	s_mov_b32 s4, 0
	s_mov_b64 s[2:3], -1
.LBB49_42:                              ; =>This Inner Loop Header: Depth=1
	v_cndmask_b32_e64 v0, 0, 1, s[2:3]
	s_lshl_b32 s2, s4, 2
	v_cmp_ne_u32_e32 vcc, 1, v0
	v_add_u32_e32 v0, s2, v68
	ds_read2_b64 v[70:73], v0 offset1:16
	ds_read2_b64 v[76:79], v0 offset0:32 offset1:48
	ds_read2_b64 v[80:83], v0 offset0:64 offset1:80
	;; [unrolled: 1-line block ×3, first 2 shown]
	v_add_u32_e32 v0, s2, v69
	ds_read2st64_b64 v[88:91], v0 offset1:1
	ds_read2st64_b64 v[0:3], v0 offset0:2 offset1:3
	s_waitcnt lgkmcnt(5)
	v_max_f32_e32 v92, v70, v70
	v_max_f32_e32 v93, v71, v71
	;; [unrolled: 1-line block ×3, first 2 shown]
	s_waitcnt lgkmcnt(1)
	v_max_f32_e32 v88, v88, v88
	v_max_f32_e32 v89, v89, v89
	v_min_f32_e32 v70, v92, v88
	v_min_f32_e32 v71, v93, v89
	v_max_f32_e32 v73, v73, v73
	v_pk_add_f32 v[66:67], v[66:67], v[70:71]
	v_min_f32_e32 v70, v72, v88
	v_min_f32_e32 v71, v73, v89
	v_max_f32_e32 v76, v76, v76
	v_max_f32_e32 v77, v77, v77
	v_pk_add_f32 v[64:65], v[64:65], v[70:71]
	v_min_f32_e32 v70, v76, v88
	v_min_f32_e32 v71, v77, v89
	v_max_f32_e32 v78, v78, v78
	;; [unrolled: 5-line block ×7, first 2 shown]
	v_max_f32_e32 v89, v91, v91
	v_pk_add_f32 v[52:53], v[52:53], v[70:71]
	v_min_f32_e32 v70, v92, v88
	v_min_f32_e32 v71, v93, v89
	v_pk_add_f32 v[50:51], v[50:51], v[70:71]
	v_min_f32_e32 v70, v72, v88
	v_min_f32_e32 v71, v73, v89
	;; [unrolled: 3-line block ×8, first 2 shown]
	v_pk_add_f32 v[36:37], v[36:37], v[70:71]
	s_waitcnt lgkmcnt(0)
	v_max_f32_e32 v70, v0, v0
	v_max_f32_e32 v71, v1, v1
	v_min_f32_e32 v0, v92, v70
	v_min_f32_e32 v1, v93, v71
	v_pk_add_f32 v[34:35], v[34:35], v[0:1]
	v_min_f32_e32 v0, v72, v70
	v_min_f32_e32 v1, v73, v71
	v_pk_add_f32 v[32:33], v[32:33], v[0:1]
	;; [unrolled: 3-line block ×7, first 2 shown]
	v_min_f32_e32 v0, v86, v70
	v_min_f32_e32 v1, v87, v71
	v_max_f32_e32 v2, v2, v2
	v_max_f32_e32 v3, v3, v3
	v_pk_add_f32 v[20:21], v[20:21], v[0:1]
	v_min_f32_e32 v0, v92, v2
	v_min_f32_e32 v1, v93, v3
	v_pk_add_f32 v[18:19], v[18:19], v[0:1]
	v_min_f32_e32 v0, v72, v2
	v_min_f32_e32 v1, v73, v3
	;; [unrolled: 3-line block ×8, first 2 shown]
	v_pk_add_f32 v[4:5], v[4:5], v[0:1]
	s_mov_b64 s[2:3], 0
	s_mov_b32 s4, 2
	s_cbranch_vccz .LBB49_42
; %bb.43:
	s_load_dwordx2 s[2:3], s[0:1], 0x70
	s_load_dword s30, s[0:1], 0x50
	s_load_dword s29, s[0:1], 0x68
	v_add_u32_e32 v72, s19, v75
	v_add_u32_e32 v0, s18, v74
	s_waitcnt lgkmcnt(0)
	s_lshl_b64 s[0:1], s[2:3], 2
	s_add_u32 s22, s6, s0
	s_addc_u32 s23, s7, s1
	v_mad_i64_i32 v[2:3], s[0:1], v72, s30, 0
	v_lshl_add_u64 v[70:71], v[2:3], 2, s[24:25]
	v_mad_i64_i32 v[2:3], s[0:1], v72, s29, 0
	v_cmp_gt_i32_e64 s[18:19], s21, v72
	v_lshl_add_u64 v[68:69], v[2:3], 2, s[22:23]
	v_cmp_gt_i32_e64 s[2:3], s20, v0
	v_cndmask_b32_e64 v2, 0, 1, s[8:9]
	s_and_b64 s[6:7], s[2:3], s[18:19]
	v_ashrrev_i32_e32 v1, 31, v0
	v_cmp_ne_u32_e64 s[0:1], 1, v2
	s_and_saveexec_b64 s[4:5], s[6:7]
	s_cbranch_execz .LBB49_48
; %bb.44:
	s_and_b64 vcc, exec, s[0:1]
	s_cbranch_vccnz .LBB49_46
; %bb.45:
	v_lshl_add_u64 v[2:3], v[0:1], 2, v[70:71]
	flat_load_dword v2, v[2:3]
	s_waitcnt vmcnt(0) lgkmcnt(0)
	v_mul_f32_e32 v2, s28, v2
	s_branch .LBB49_47
.LBB49_46:
	v_mov_b32_e32 v2, 0
.LBB49_47:
	v_add_f32_e32 v3, v66, v67
	v_add_f32_e32 v66, v3, v2
	v_lshl_add_u64 v[2:3], v[0:1], 2, v[68:69]
	flat_store_dword v[2:3], v66
.LBB49_48:
	s_or_b64 exec, exec, s[4:5]
	v_add_u32_e32 v2, 8, v0
	v_cmp_gt_i32_e64 s[4:5], s20, v2
	s_and_b64 s[8:9], s[4:5], s[18:19]
	v_ashrrev_i32_e32 v3, 31, v2
	s_and_saveexec_b64 s[6:7], s[8:9]
	s_cbranch_execz .LBB49_53
; %bb.49:
	s_and_b64 vcc, exec, s[0:1]
	s_cbranch_vccnz .LBB49_51
; %bb.50:
	v_lshl_add_u64 v[66:67], v[2:3], 2, v[70:71]
	flat_load_dword v66, v[66:67]
	s_waitcnt vmcnt(0) lgkmcnt(0)
	v_mul_f32_e32 v66, s28, v66
	s_branch .LBB49_52
.LBB49_51:
	v_mov_b32_e32 v66, 0
.LBB49_52:
	v_add_f32_e32 v64, v64, v65
	v_add_f32_e32 v66, v64, v66
	v_lshl_add_u64 v[64:65], v[2:3], 2, v[68:69]
	flat_store_dword v[64:65], v66
.LBB49_53:
	s_or_b64 exec, exec, s[6:7]
	v_add_u32_e32 v64, 16, v0
	v_cmp_gt_i32_e64 s[6:7], s20, v64
	s_and_b64 s[10:11], s[6:7], s[18:19]
	v_ashrrev_i32_e32 v65, 31, v64
	;; [unrolled: 24-line block ×7, first 2 shown]
	s_and_saveexec_b64 s[18:19], s[26:27]
	s_cbranch_execz .LBB49_83
; %bb.79:
	s_and_b64 vcc, exec, s[0:1]
	s_cbranch_vccnz .LBB49_81
; %bb.80:
	v_lshl_add_u64 v[66:67], v[54:55], 2, v[70:71]
	flat_load_dword v66, v[66:67]
	s_waitcnt vmcnt(0) lgkmcnt(0)
	v_mul_f32_e32 v66, s28, v66
	s_branch .LBB49_82
.LBB49_81:
	v_mov_b32_e32 v66, 0
.LBB49_82:
	v_add_f32_e32 v52, v52, v53
	v_add_f32_e32 v66, v52, v66
	v_lshl_add_u64 v[52:53], v[54:55], 2, v[68:69]
	flat_store_dword v[52:53], v66
.LBB49_83:
	s_or_b64 exec, exec, s[18:19]
	v_add_u32_e32 v68, 32, v72
	v_mad_i64_i32 v[52:53], s[26:27], v68, s30, 0
	v_cmp_gt_i32_e64 s[18:19], s21, v68
	v_lshl_add_u64 v[66:67], v[52:53], 2, s[24:25]
	v_mad_i64_i32 v[52:53], s[26:27], v68, s29, 0
	v_lshl_add_u64 v[52:53], v[52:53], 2, s[22:23]
	s_and_b64 s[34:35], s[2:3], s[18:19]
	s_and_saveexec_b64 s[26:27], s[34:35]
	s_cbranch_execnz .LBB49_91
; %bb.84:
	s_or_b64 exec, exec, s[26:27]
	s_and_b64 s[34:35], s[4:5], s[18:19]
	s_and_saveexec_b64 s[26:27], s[34:35]
	s_cbranch_execnz .LBB49_95
.LBB49_85:
	s_or_b64 exec, exec, s[26:27]
	s_and_b64 s[34:35], s[6:7], s[18:19]
	s_and_saveexec_b64 s[26:27], s[34:35]
	s_cbranch_execnz .LBB49_99
.LBB49_86:
	s_or_b64 exec, exec, s[26:27]
	s_and_b64 s[34:35], s[8:9], s[18:19]
	s_and_saveexec_b64 s[26:27], s[34:35]
	s_cbranch_execnz .LBB49_103
.LBB49_87:
	s_or_b64 exec, exec, s[26:27]
	s_and_b64 s[34:35], s[10:11], s[18:19]
	s_and_saveexec_b64 s[26:27], s[34:35]
	s_cbranch_execnz .LBB49_107
.LBB49_88:
	s_or_b64 exec, exec, s[26:27]
	s_and_b64 s[34:35], s[12:13], s[18:19]
	s_and_saveexec_b64 s[26:27], s[34:35]
	s_cbranch_execnz .LBB49_111
.LBB49_89:
	s_or_b64 exec, exec, s[26:27]
	s_and_b64 s[34:35], s[14:15], s[18:19]
	s_and_saveexec_b64 s[26:27], s[34:35]
	s_cbranch_execnz .LBB49_115
.LBB49_90:
	s_or_b64 exec, exec, s[26:27]
	s_and_b64 s[26:27], s[16:17], s[18:19]
	s_and_saveexec_b64 s[18:19], s[26:27]
	s_cbranch_execnz .LBB49_119
	s_branch .LBB49_123
.LBB49_91:
	s_and_b64 vcc, exec, s[0:1]
	s_cbranch_vccnz .LBB49_93
; %bb.92:
	v_lshl_add_u64 v[68:69], v[0:1], 2, v[66:67]
	flat_load_dword v68, v[68:69]
	s_waitcnt vmcnt(0) lgkmcnt(0)
	v_mul_f32_e32 v68, s28, v68
	s_branch .LBB49_94
.LBB49_93:
	v_mov_b32_e32 v68, 0
.LBB49_94:
	v_add_f32_e32 v50, v50, v51
	v_add_f32_e32 v68, v50, v68
	v_lshl_add_u64 v[50:51], v[0:1], 2, v[52:53]
	flat_store_dword v[50:51], v68
	s_or_b64 exec, exec, s[26:27]
	s_and_b64 s[34:35], s[4:5], s[18:19]
	s_and_saveexec_b64 s[26:27], s[34:35]
	s_cbranch_execz .LBB49_85
.LBB49_95:
	s_and_b64 vcc, exec, s[0:1]
	s_cbranch_vccnz .LBB49_97
; %bb.96:
	v_lshl_add_u64 v[50:51], v[2:3], 2, v[66:67]
	flat_load_dword v50, v[50:51]
	s_waitcnt vmcnt(0) lgkmcnt(0)
	v_mul_f32_e32 v50, s28, v50
	s_branch .LBB49_98
.LBB49_97:
	v_mov_b32_e32 v50, 0
.LBB49_98:
	v_add_f32_e32 v48, v48, v49
	v_add_f32_e32 v50, v48, v50
	v_lshl_add_u64 v[48:49], v[2:3], 2, v[52:53]
	flat_store_dword v[48:49], v50
	s_or_b64 exec, exec, s[26:27]
	s_and_b64 s[34:35], s[6:7], s[18:19]
	s_and_saveexec_b64 s[26:27], s[34:35]
	s_cbranch_execz .LBB49_86
.LBB49_99:
	s_and_b64 vcc, exec, s[0:1]
	s_cbranch_vccnz .LBB49_101
; %bb.100:
	v_lshl_add_u64 v[48:49], v[64:65], 2, v[66:67]
	flat_load_dword v48, v[48:49]
	s_waitcnt vmcnt(0) lgkmcnt(0)
	v_mul_f32_e32 v48, s28, v48
	s_branch .LBB49_102
.LBB49_101:
	v_mov_b32_e32 v48, 0
.LBB49_102:
	v_add_f32_e32 v46, v46, v47
	v_add_f32_e32 v48, v46, v48
	v_lshl_add_u64 v[46:47], v[64:65], 2, v[52:53]
	flat_store_dword v[46:47], v48
	s_or_b64 exec, exec, s[26:27]
	s_and_b64 s[34:35], s[8:9], s[18:19]
	s_and_saveexec_b64 s[26:27], s[34:35]
	s_cbranch_execz .LBB49_87
.LBB49_103:
	s_and_b64 vcc, exec, s[0:1]
	s_cbranch_vccnz .LBB49_105
; %bb.104:
	v_lshl_add_u64 v[46:47], v[62:63], 2, v[66:67]
	flat_load_dword v46, v[46:47]
	s_waitcnt vmcnt(0) lgkmcnt(0)
	v_mul_f32_e32 v46, s28, v46
	s_branch .LBB49_106
.LBB49_105:
	v_mov_b32_e32 v46, 0
.LBB49_106:
	v_add_f32_e32 v44, v44, v45
	v_add_f32_e32 v46, v44, v46
	v_lshl_add_u64 v[44:45], v[62:63], 2, v[52:53]
	flat_store_dword v[44:45], v46
	s_or_b64 exec, exec, s[26:27]
	s_and_b64 s[34:35], s[10:11], s[18:19]
	s_and_saveexec_b64 s[26:27], s[34:35]
	s_cbranch_execz .LBB49_88
.LBB49_107:
	s_and_b64 vcc, exec, s[0:1]
	s_cbranch_vccnz .LBB49_109
; %bb.108:
	v_lshl_add_u64 v[44:45], v[60:61], 2, v[66:67]
	flat_load_dword v44, v[44:45]
	s_waitcnt vmcnt(0) lgkmcnt(0)
	v_mul_f32_e32 v44, s28, v44
	s_branch .LBB49_110
.LBB49_109:
	v_mov_b32_e32 v44, 0
.LBB49_110:
	v_add_f32_e32 v42, v42, v43
	v_add_f32_e32 v44, v42, v44
	v_lshl_add_u64 v[42:43], v[60:61], 2, v[52:53]
	flat_store_dword v[42:43], v44
	s_or_b64 exec, exec, s[26:27]
	s_and_b64 s[34:35], s[12:13], s[18:19]
	s_and_saveexec_b64 s[26:27], s[34:35]
	s_cbranch_execz .LBB49_89
.LBB49_111:
	s_and_b64 vcc, exec, s[0:1]
	s_cbranch_vccnz .LBB49_113
; %bb.112:
	v_lshl_add_u64 v[42:43], v[58:59], 2, v[66:67]
	flat_load_dword v42, v[42:43]
	s_waitcnt vmcnt(0) lgkmcnt(0)
	v_mul_f32_e32 v42, s28, v42
	s_branch .LBB49_114
.LBB49_113:
	v_mov_b32_e32 v42, 0
.LBB49_114:
	v_add_f32_e32 v40, v40, v41
	v_add_f32_e32 v42, v40, v42
	v_lshl_add_u64 v[40:41], v[58:59], 2, v[52:53]
	flat_store_dword v[40:41], v42
	s_or_b64 exec, exec, s[26:27]
	s_and_b64 s[34:35], s[14:15], s[18:19]
	s_and_saveexec_b64 s[26:27], s[34:35]
	s_cbranch_execz .LBB49_90
.LBB49_115:
	s_and_b64 vcc, exec, s[0:1]
	s_cbranch_vccnz .LBB49_117
; %bb.116:
	v_lshl_add_u64 v[40:41], v[56:57], 2, v[66:67]
	flat_load_dword v40, v[40:41]
	s_waitcnt vmcnt(0) lgkmcnt(0)
	v_mul_f32_e32 v40, s28, v40
	s_branch .LBB49_118
.LBB49_117:
	v_mov_b32_e32 v40, 0
.LBB49_118:
	v_add_f32_e32 v38, v38, v39
	v_add_f32_e32 v40, v38, v40
	v_lshl_add_u64 v[38:39], v[56:57], 2, v[52:53]
	flat_store_dword v[38:39], v40
	s_or_b64 exec, exec, s[26:27]
	s_and_b64 s[26:27], s[16:17], s[18:19]
	s_and_saveexec_b64 s[18:19], s[26:27]
	s_cbranch_execz .LBB49_123
.LBB49_119:
	s_and_b64 vcc, exec, s[0:1]
	s_cbranch_vccnz .LBB49_121
; %bb.120:
	v_lshl_add_u64 v[38:39], v[54:55], 2, v[66:67]
	flat_load_dword v38, v[38:39]
	s_waitcnt vmcnt(0) lgkmcnt(0)
	v_mul_f32_e32 v38, s28, v38
	s_branch .LBB49_122
.LBB49_121:
	v_mov_b32_e32 v38, 0
.LBB49_122:
	v_add_f32_e32 v36, v36, v37
	v_add_f32_e32 v38, v36, v38
	v_lshl_add_u64 v[36:37], v[54:55], 2, v[52:53]
	flat_store_dword v[36:37], v38
.LBB49_123:
	s_or_b64 exec, exec, s[18:19]
	v_add_u32_e32 v40, 64, v72
	v_mad_i64_i32 v[36:37], s[26:27], v40, s30, 0
	v_cmp_gt_i32_e64 s[18:19], s21, v40
	v_lshl_add_u64 v[38:39], v[36:37], 2, s[24:25]
	v_mad_i64_i32 v[36:37], s[26:27], v40, s29, 0
	v_lshl_add_u64 v[36:37], v[36:37], 2, s[22:23]
	s_and_b64 s[34:35], s[2:3], s[18:19]
	s_and_saveexec_b64 s[26:27], s[34:35]
	s_cbranch_execnz .LBB49_131
; %bb.124:
	s_or_b64 exec, exec, s[26:27]
	s_and_b64 s[34:35], s[4:5], s[18:19]
	s_and_saveexec_b64 s[26:27], s[34:35]
	s_cbranch_execnz .LBB49_135
.LBB49_125:
	s_or_b64 exec, exec, s[26:27]
	s_and_b64 s[34:35], s[6:7], s[18:19]
	s_and_saveexec_b64 s[26:27], s[34:35]
	s_cbranch_execnz .LBB49_139
.LBB49_126:
	s_or_b64 exec, exec, s[26:27]
	s_and_b64 s[34:35], s[8:9], s[18:19]
	s_and_saveexec_b64 s[26:27], s[34:35]
	s_cbranch_execnz .LBB49_143
.LBB49_127:
	s_or_b64 exec, exec, s[26:27]
	s_and_b64 s[34:35], s[10:11], s[18:19]
	s_and_saveexec_b64 s[26:27], s[34:35]
	s_cbranch_execnz .LBB49_147
.LBB49_128:
	s_or_b64 exec, exec, s[26:27]
	s_and_b64 s[34:35], s[12:13], s[18:19]
	s_and_saveexec_b64 s[26:27], s[34:35]
	s_cbranch_execnz .LBB49_151
.LBB49_129:
	s_or_b64 exec, exec, s[26:27]
	s_and_b64 s[34:35], s[14:15], s[18:19]
	s_and_saveexec_b64 s[26:27], s[34:35]
	s_cbranch_execnz .LBB49_155
.LBB49_130:
	s_or_b64 exec, exec, s[26:27]
	s_and_b64 s[26:27], s[16:17], s[18:19]
	s_and_saveexec_b64 s[18:19], s[26:27]
	s_cbranch_execnz .LBB49_159
	s_branch .LBB49_163
.LBB49_131:
	s_and_b64 vcc, exec, s[0:1]
	s_cbranch_vccnz .LBB49_133
; %bb.132:
	v_lshl_add_u64 v[40:41], v[0:1], 2, v[38:39]
	flat_load_dword v40, v[40:41]
	s_waitcnt vmcnt(0) lgkmcnt(0)
	v_mul_f32_e32 v40, s28, v40
	s_branch .LBB49_134
.LBB49_133:
	v_mov_b32_e32 v40, 0
.LBB49_134:
	v_add_f32_e32 v34, v34, v35
	v_add_f32_e32 v40, v34, v40
	v_lshl_add_u64 v[34:35], v[0:1], 2, v[36:37]
	flat_store_dword v[34:35], v40
	s_or_b64 exec, exec, s[26:27]
	s_and_b64 s[34:35], s[4:5], s[18:19]
	s_and_saveexec_b64 s[26:27], s[34:35]
	s_cbranch_execz .LBB49_125
.LBB49_135:
	s_and_b64 vcc, exec, s[0:1]
	s_cbranch_vccnz .LBB49_137
; %bb.136:
	v_lshl_add_u64 v[34:35], v[2:3], 2, v[38:39]
	flat_load_dword v34, v[34:35]
	s_waitcnt vmcnt(0) lgkmcnt(0)
	v_mul_f32_e32 v34, s28, v34
	s_branch .LBB49_138
.LBB49_137:
	v_mov_b32_e32 v34, 0
.LBB49_138:
	v_add_f32_e32 v32, v32, v33
	v_add_f32_e32 v34, v32, v34
	v_lshl_add_u64 v[32:33], v[2:3], 2, v[36:37]
	flat_store_dword v[32:33], v34
	s_or_b64 exec, exec, s[26:27]
	s_and_b64 s[34:35], s[6:7], s[18:19]
	s_and_saveexec_b64 s[26:27], s[34:35]
	s_cbranch_execz .LBB49_126
.LBB49_139:
	s_and_b64 vcc, exec, s[0:1]
	s_cbranch_vccnz .LBB49_141
; %bb.140:
	v_lshl_add_u64 v[32:33], v[64:65], 2, v[38:39]
	flat_load_dword v32, v[32:33]
	s_waitcnt vmcnt(0) lgkmcnt(0)
	v_mul_f32_e32 v32, s28, v32
	s_branch .LBB49_142
.LBB49_141:
	v_mov_b32_e32 v32, 0
.LBB49_142:
	v_add_f32_e32 v30, v30, v31
	v_add_f32_e32 v32, v30, v32
	v_lshl_add_u64 v[30:31], v[64:65], 2, v[36:37]
	flat_store_dword v[30:31], v32
	s_or_b64 exec, exec, s[26:27]
	s_and_b64 s[34:35], s[8:9], s[18:19]
	s_and_saveexec_b64 s[26:27], s[34:35]
	s_cbranch_execz .LBB49_127
.LBB49_143:
	s_and_b64 vcc, exec, s[0:1]
	s_cbranch_vccnz .LBB49_145
; %bb.144:
	v_lshl_add_u64 v[30:31], v[62:63], 2, v[38:39]
	flat_load_dword v30, v[30:31]
	s_waitcnt vmcnt(0) lgkmcnt(0)
	v_mul_f32_e32 v30, s28, v30
	s_branch .LBB49_146
.LBB49_145:
	v_mov_b32_e32 v30, 0
.LBB49_146:
	v_add_f32_e32 v28, v28, v29
	v_add_f32_e32 v30, v28, v30
	v_lshl_add_u64 v[28:29], v[62:63], 2, v[36:37]
	flat_store_dword v[28:29], v30
	s_or_b64 exec, exec, s[26:27]
	s_and_b64 s[34:35], s[10:11], s[18:19]
	s_and_saveexec_b64 s[26:27], s[34:35]
	s_cbranch_execz .LBB49_128
.LBB49_147:
	s_and_b64 vcc, exec, s[0:1]
	s_cbranch_vccnz .LBB49_149
; %bb.148:
	v_lshl_add_u64 v[28:29], v[60:61], 2, v[38:39]
	flat_load_dword v28, v[28:29]
	s_waitcnt vmcnt(0) lgkmcnt(0)
	v_mul_f32_e32 v28, s28, v28
	s_branch .LBB49_150
.LBB49_149:
	v_mov_b32_e32 v28, 0
.LBB49_150:
	v_add_f32_e32 v26, v26, v27
	v_add_f32_e32 v28, v26, v28
	v_lshl_add_u64 v[26:27], v[60:61], 2, v[36:37]
	flat_store_dword v[26:27], v28
	s_or_b64 exec, exec, s[26:27]
	s_and_b64 s[34:35], s[12:13], s[18:19]
	s_and_saveexec_b64 s[26:27], s[34:35]
	s_cbranch_execz .LBB49_129
.LBB49_151:
	s_and_b64 vcc, exec, s[0:1]
	s_cbranch_vccnz .LBB49_153
; %bb.152:
	v_lshl_add_u64 v[26:27], v[58:59], 2, v[38:39]
	flat_load_dword v26, v[26:27]
	s_waitcnt vmcnt(0) lgkmcnt(0)
	v_mul_f32_e32 v26, s28, v26
	s_branch .LBB49_154
.LBB49_153:
	v_mov_b32_e32 v26, 0
.LBB49_154:
	v_add_f32_e32 v24, v24, v25
	v_add_f32_e32 v26, v24, v26
	v_lshl_add_u64 v[24:25], v[58:59], 2, v[36:37]
	flat_store_dword v[24:25], v26
	s_or_b64 exec, exec, s[26:27]
	s_and_b64 s[34:35], s[14:15], s[18:19]
	s_and_saveexec_b64 s[26:27], s[34:35]
	s_cbranch_execz .LBB49_130
.LBB49_155:
	s_and_b64 vcc, exec, s[0:1]
	s_cbranch_vccnz .LBB49_157
; %bb.156:
	v_lshl_add_u64 v[24:25], v[56:57], 2, v[38:39]
	flat_load_dword v24, v[24:25]
	s_waitcnt vmcnt(0) lgkmcnt(0)
	v_mul_f32_e32 v24, s28, v24
	s_branch .LBB49_158
.LBB49_157:
	v_mov_b32_e32 v24, 0
.LBB49_158:
	v_add_f32_e32 v22, v22, v23
	v_add_f32_e32 v24, v22, v24
	v_lshl_add_u64 v[22:23], v[56:57], 2, v[36:37]
	flat_store_dword v[22:23], v24
	s_or_b64 exec, exec, s[26:27]
	s_and_b64 s[26:27], s[16:17], s[18:19]
	s_and_saveexec_b64 s[18:19], s[26:27]
	s_cbranch_execz .LBB49_163
.LBB49_159:
	s_and_b64 vcc, exec, s[0:1]
	s_cbranch_vccnz .LBB49_161
; %bb.160:
	v_lshl_add_u64 v[22:23], v[54:55], 2, v[38:39]
	flat_load_dword v22, v[22:23]
	s_waitcnt vmcnt(0) lgkmcnt(0)
	v_mul_f32_e32 v22, s28, v22
	s_branch .LBB49_162
.LBB49_161:
	v_mov_b32_e32 v22, 0
.LBB49_162:
	v_add_f32_e32 v20, v20, v21
	v_add_f32_e32 v22, v20, v22
	v_lshl_add_u64 v[20:21], v[54:55], 2, v[36:37]
	flat_store_dword v[20:21], v22
.LBB49_163:
	s_or_b64 exec, exec, s[18:19]
	v_add_u32_e32 v24, 0x60, v72
	v_cmp_gt_i32_e64 s[18:19], s21, v24
	v_mad_i64_i32 v[20:21], s[20:21], v24, s30, 0
	v_lshl_add_u64 v[22:23], v[20:21], 2, s[24:25]
	v_mad_i64_i32 v[20:21], s[20:21], v24, s29, 0
	v_lshl_add_u64 v[20:21], v[20:21], 2, s[22:23]
	s_and_b64 s[20:21], s[2:3], s[18:19]
	s_and_saveexec_b64 s[2:3], s[20:21]
	s_cbranch_execnz .LBB49_172
; %bb.164:
	s_or_b64 exec, exec, s[2:3]
	s_and_b64 s[4:5], s[4:5], s[18:19]
	s_and_saveexec_b64 s[2:3], s[4:5]
	s_cbranch_execnz .LBB49_176
.LBB49_165:
	s_or_b64 exec, exec, s[2:3]
	s_and_b64 s[4:5], s[6:7], s[18:19]
	s_and_saveexec_b64 s[2:3], s[4:5]
	s_cbranch_execnz .LBB49_180
.LBB49_166:
	s_or_b64 exec, exec, s[2:3]
	s_and_b64 s[4:5], s[8:9], s[18:19]
	s_and_saveexec_b64 s[2:3], s[4:5]
	s_cbranch_execnz .LBB49_184
.LBB49_167:
	s_or_b64 exec, exec, s[2:3]
	s_and_b64 s[4:5], s[10:11], s[18:19]
	s_and_saveexec_b64 s[2:3], s[4:5]
	s_cbranch_execnz .LBB49_188
.LBB49_168:
	s_or_b64 exec, exec, s[2:3]
	s_and_b64 s[4:5], s[12:13], s[18:19]
	s_and_saveexec_b64 s[2:3], s[4:5]
	s_cbranch_execnz .LBB49_192
.LBB49_169:
	s_or_b64 exec, exec, s[2:3]
	s_and_b64 s[4:5], s[14:15], s[18:19]
	s_and_saveexec_b64 s[2:3], s[4:5]
	s_cbranch_execnz .LBB49_196
.LBB49_170:
	s_or_b64 exec, exec, s[2:3]
	s_and_b64 s[2:3], s[16:17], s[18:19]
	s_and_saveexec_b64 s[4:5], s[2:3]
	s_cbranch_execnz .LBB49_200
.LBB49_171:
	s_endpgm
.LBB49_172:
	s_and_b64 vcc, exec, s[0:1]
	s_cbranch_vccnz .LBB49_174
; %bb.173:
	v_lshl_add_u64 v[24:25], v[0:1], 2, v[22:23]
	flat_load_dword v24, v[24:25]
	s_waitcnt vmcnt(0) lgkmcnt(0)
	v_mul_f32_e32 v24, s28, v24
	s_branch .LBB49_175
.LBB49_174:
	v_mov_b32_e32 v24, 0
.LBB49_175:
	v_add_f32_e32 v18, v18, v19
	v_add_f32_e32 v18, v18, v24
	v_lshl_add_u64 v[0:1], v[0:1], 2, v[20:21]
	flat_store_dword v[0:1], v18
	s_or_b64 exec, exec, s[2:3]
	s_and_b64 s[4:5], s[4:5], s[18:19]
	s_and_saveexec_b64 s[2:3], s[4:5]
	s_cbranch_execz .LBB49_165
.LBB49_176:
	s_and_b64 vcc, exec, s[0:1]
	s_cbranch_vccnz .LBB49_178
; %bb.177:
	v_lshl_add_u64 v[0:1], v[2:3], 2, v[22:23]
	flat_load_dword v0, v[0:1]
	s_waitcnt vmcnt(0) lgkmcnt(0)
	v_mul_f32_e32 v0, s28, v0
	s_branch .LBB49_179
.LBB49_178:
	v_mov_b32_e32 v0, 0
.LBB49_179:
	v_add_f32_e32 v1, v16, v17
	v_add_f32_e32 v16, v1, v0
	v_lshl_add_u64 v[0:1], v[2:3], 2, v[20:21]
	flat_store_dword v[0:1], v16
	s_or_b64 exec, exec, s[2:3]
	s_and_b64 s[4:5], s[6:7], s[18:19]
	s_and_saveexec_b64 s[2:3], s[4:5]
	s_cbranch_execz .LBB49_166
.LBB49_180:
	s_and_b64 vcc, exec, s[0:1]
	s_cbranch_vccnz .LBB49_182
; %bb.181:
	v_lshl_add_u64 v[0:1], v[64:65], 2, v[22:23]
	flat_load_dword v0, v[0:1]
	s_waitcnt vmcnt(0) lgkmcnt(0)
	v_mul_f32_e32 v0, s28, v0
	s_branch .LBB49_183
.LBB49_182:
	v_mov_b32_e32 v0, 0
.LBB49_183:
	v_add_f32_e32 v1, v14, v15
	v_add_f32_e32 v2, v1, v0
	v_lshl_add_u64 v[0:1], v[64:65], 2, v[20:21]
	flat_store_dword v[0:1], v2
	s_or_b64 exec, exec, s[2:3]
	s_and_b64 s[4:5], s[8:9], s[18:19]
	s_and_saveexec_b64 s[2:3], s[4:5]
	s_cbranch_execz .LBB49_167
.LBB49_184:
	s_and_b64 vcc, exec, s[0:1]
	s_cbranch_vccnz .LBB49_186
; %bb.185:
	v_lshl_add_u64 v[0:1], v[62:63], 2, v[22:23]
	flat_load_dword v0, v[0:1]
	s_waitcnt vmcnt(0) lgkmcnt(0)
	v_mul_f32_e32 v0, s28, v0
	s_branch .LBB49_187
.LBB49_186:
	v_mov_b32_e32 v0, 0
.LBB49_187:
	v_add_f32_e32 v1, v12, v13
	v_add_f32_e32 v2, v1, v0
	v_lshl_add_u64 v[0:1], v[62:63], 2, v[20:21]
	flat_store_dword v[0:1], v2
	s_or_b64 exec, exec, s[2:3]
	s_and_b64 s[4:5], s[10:11], s[18:19]
	s_and_saveexec_b64 s[2:3], s[4:5]
	s_cbranch_execz .LBB49_168
.LBB49_188:
	s_and_b64 vcc, exec, s[0:1]
	s_cbranch_vccnz .LBB49_190
; %bb.189:
	v_lshl_add_u64 v[0:1], v[60:61], 2, v[22:23]
	flat_load_dword v0, v[0:1]
	s_waitcnt vmcnt(0) lgkmcnt(0)
	v_mul_f32_e32 v0, s28, v0
	s_branch .LBB49_191
.LBB49_190:
	v_mov_b32_e32 v0, 0
.LBB49_191:
	v_add_f32_e32 v1, v10, v11
	v_add_f32_e32 v2, v1, v0
	v_lshl_add_u64 v[0:1], v[60:61], 2, v[20:21]
	flat_store_dword v[0:1], v2
	s_or_b64 exec, exec, s[2:3]
	s_and_b64 s[4:5], s[12:13], s[18:19]
	s_and_saveexec_b64 s[2:3], s[4:5]
	s_cbranch_execz .LBB49_169
.LBB49_192:
	s_and_b64 vcc, exec, s[0:1]
	s_cbranch_vccnz .LBB49_194
; %bb.193:
	v_lshl_add_u64 v[0:1], v[58:59], 2, v[22:23]
	flat_load_dword v0, v[0:1]
	s_waitcnt vmcnt(0) lgkmcnt(0)
	v_mul_f32_e32 v0, s28, v0
	s_branch .LBB49_195
.LBB49_194:
	v_mov_b32_e32 v0, 0
.LBB49_195:
	v_add_f32_e32 v1, v8, v9
	v_add_f32_e32 v2, v1, v0
	v_lshl_add_u64 v[0:1], v[58:59], 2, v[20:21]
	flat_store_dword v[0:1], v2
	s_or_b64 exec, exec, s[2:3]
	s_and_b64 s[4:5], s[14:15], s[18:19]
	s_and_saveexec_b64 s[2:3], s[4:5]
	s_cbranch_execz .LBB49_170
.LBB49_196:
	s_and_b64 vcc, exec, s[0:1]
	s_cbranch_vccnz .LBB49_198
; %bb.197:
	v_lshl_add_u64 v[0:1], v[56:57], 2, v[22:23]
	flat_load_dword v0, v[0:1]
	s_waitcnt vmcnt(0) lgkmcnt(0)
	v_mul_f32_e32 v0, s28, v0
	s_branch .LBB49_199
.LBB49_198:
	v_mov_b32_e32 v0, 0
.LBB49_199:
	v_add_f32_e32 v1, v6, v7
	v_add_f32_e32 v2, v1, v0
	v_lshl_add_u64 v[0:1], v[56:57], 2, v[20:21]
	flat_store_dword v[0:1], v2
	s_or_b64 exec, exec, s[2:3]
	s_and_b64 s[2:3], s[16:17], s[18:19]
	s_and_saveexec_b64 s[4:5], s[2:3]
	s_cbranch_execz .LBB49_171
.LBB49_200:
	s_and_b64 vcc, exec, s[0:1]
	s_cbranch_vccnz .LBB49_202
; %bb.201:
	v_lshl_add_u64 v[0:1], v[54:55], 2, v[22:23]
	flat_load_dword v0, v[0:1]
	s_waitcnt vmcnt(0) lgkmcnt(0)
	v_mul_f32_e32 v0, s28, v0
	s_branch .LBB49_203
.LBB49_202:
	v_mov_b32_e32 v0, 0
.LBB49_203:
	v_add_f32_e32 v1, v4, v5
	v_add_f32_e32 v2, v1, v0
	v_lshl_add_u64 v[0:1], v[54:55], 2, v[20:21]
	flat_store_dword v[0:1], v2
	s_endpgm
	.section	.rodata,"a",@progbits
	.p2align	6, 0x0
	.amdhsa_kernel _ZN12_GLOBAL__N_120geam_min_plus_kernelIf15HIP_vector_typeIfLj2EES2_Li8ELi32ELi64ELi128ELi4ELi4ELi64ELi64ELi4ELc84ELc84ELb1ELb1ELb0EfKPKfKPfEEviiiT16_PT17_ilSA_ilS8_SA_ilPT18_ili26rocblas_geam_ex_operation_
		.amdhsa_group_segment_fixed_size 6144
		.amdhsa_private_segment_fixed_size 0
		.amdhsa_kernarg_size 128
		.amdhsa_user_sgpr_count 2
		.amdhsa_user_sgpr_dispatch_ptr 0
		.amdhsa_user_sgpr_queue_ptr 0
		.amdhsa_user_sgpr_kernarg_segment_ptr 1
		.amdhsa_user_sgpr_dispatch_id 0
		.amdhsa_user_sgpr_kernarg_preload_length 0
		.amdhsa_user_sgpr_kernarg_preload_offset 0
		.amdhsa_user_sgpr_private_segment_size 0
		.amdhsa_uses_dynamic_stack 0
		.amdhsa_enable_private_segment 0
		.amdhsa_system_sgpr_workgroup_id_x 1
		.amdhsa_system_sgpr_workgroup_id_y 0
		.amdhsa_system_sgpr_workgroup_id_z 1
		.amdhsa_system_sgpr_workgroup_info 0
		.amdhsa_system_vgpr_workitem_id 1
		.amdhsa_next_free_vgpr 111
		.amdhsa_next_free_sgpr 36
		.amdhsa_accum_offset 112
		.amdhsa_reserve_vcc 1
		.amdhsa_float_round_mode_32 0
		.amdhsa_float_round_mode_16_64 0
		.amdhsa_float_denorm_mode_32 3
		.amdhsa_float_denorm_mode_16_64 3
		.amdhsa_dx10_clamp 1
		.amdhsa_ieee_mode 1
		.amdhsa_fp16_overflow 0
		.amdhsa_tg_split 0
		.amdhsa_exception_fp_ieee_invalid_op 0
		.amdhsa_exception_fp_denorm_src 0
		.amdhsa_exception_fp_ieee_div_zero 0
		.amdhsa_exception_fp_ieee_overflow 0
		.amdhsa_exception_fp_ieee_underflow 0
		.amdhsa_exception_fp_ieee_inexact 0
		.amdhsa_exception_int_div_zero 0
	.end_amdhsa_kernel
	.section	.text._ZN12_GLOBAL__N_120geam_min_plus_kernelIf15HIP_vector_typeIfLj2EES2_Li8ELi32ELi64ELi128ELi4ELi4ELi64ELi64ELi4ELc84ELc84ELb1ELb1ELb0EfKPKfKPfEEviiiT16_PT17_ilSA_ilS8_SA_ilPT18_ili26rocblas_geam_ex_operation_,"axG",@progbits,_ZN12_GLOBAL__N_120geam_min_plus_kernelIf15HIP_vector_typeIfLj2EES2_Li8ELi32ELi64ELi128ELi4ELi4ELi64ELi64ELi4ELc84ELc84ELb1ELb1ELb0EfKPKfKPfEEviiiT16_PT17_ilSA_ilS8_SA_ilPT18_ili26rocblas_geam_ex_operation_,comdat
.Lfunc_end49:
	.size	_ZN12_GLOBAL__N_120geam_min_plus_kernelIf15HIP_vector_typeIfLj2EES2_Li8ELi32ELi64ELi128ELi4ELi4ELi64ELi64ELi4ELc84ELc84ELb1ELb1ELb0EfKPKfKPfEEviiiT16_PT17_ilSA_ilS8_SA_ilPT18_ili26rocblas_geam_ex_operation_, .Lfunc_end49-_ZN12_GLOBAL__N_120geam_min_plus_kernelIf15HIP_vector_typeIfLj2EES2_Li8ELi32ELi64ELi128ELi4ELi4ELi64ELi64ELi4ELc84ELc84ELb1ELb1ELb0EfKPKfKPfEEviiiT16_PT17_ilSA_ilS8_SA_ilPT18_ili26rocblas_geam_ex_operation_
                                        ; -- End function
	.set _ZN12_GLOBAL__N_120geam_min_plus_kernelIf15HIP_vector_typeIfLj2EES2_Li8ELi32ELi64ELi128ELi4ELi4ELi64ELi64ELi4ELc84ELc84ELb1ELb1ELb0EfKPKfKPfEEviiiT16_PT17_ilSA_ilS8_SA_ilPT18_ili26rocblas_geam_ex_operation_.num_vgpr, 111
	.set _ZN12_GLOBAL__N_120geam_min_plus_kernelIf15HIP_vector_typeIfLj2EES2_Li8ELi32ELi64ELi128ELi4ELi4ELi64ELi64ELi4ELc84ELc84ELb1ELb1ELb0EfKPKfKPfEEviiiT16_PT17_ilSA_ilS8_SA_ilPT18_ili26rocblas_geam_ex_operation_.num_agpr, 0
	.set _ZN12_GLOBAL__N_120geam_min_plus_kernelIf15HIP_vector_typeIfLj2EES2_Li8ELi32ELi64ELi128ELi4ELi4ELi64ELi64ELi4ELc84ELc84ELb1ELb1ELb0EfKPKfKPfEEviiiT16_PT17_ilSA_ilS8_SA_ilPT18_ili26rocblas_geam_ex_operation_.numbered_sgpr, 36
	.set _ZN12_GLOBAL__N_120geam_min_plus_kernelIf15HIP_vector_typeIfLj2EES2_Li8ELi32ELi64ELi128ELi4ELi4ELi64ELi64ELi4ELc84ELc84ELb1ELb1ELb0EfKPKfKPfEEviiiT16_PT17_ilSA_ilS8_SA_ilPT18_ili26rocblas_geam_ex_operation_.num_named_barrier, 0
	.set _ZN12_GLOBAL__N_120geam_min_plus_kernelIf15HIP_vector_typeIfLj2EES2_Li8ELi32ELi64ELi128ELi4ELi4ELi64ELi64ELi4ELc84ELc84ELb1ELb1ELb0EfKPKfKPfEEviiiT16_PT17_ilSA_ilS8_SA_ilPT18_ili26rocblas_geam_ex_operation_.private_seg_size, 0
	.set _ZN12_GLOBAL__N_120geam_min_plus_kernelIf15HIP_vector_typeIfLj2EES2_Li8ELi32ELi64ELi128ELi4ELi4ELi64ELi64ELi4ELc84ELc84ELb1ELb1ELb0EfKPKfKPfEEviiiT16_PT17_ilSA_ilS8_SA_ilPT18_ili26rocblas_geam_ex_operation_.uses_vcc, 1
	.set _ZN12_GLOBAL__N_120geam_min_plus_kernelIf15HIP_vector_typeIfLj2EES2_Li8ELi32ELi64ELi128ELi4ELi4ELi64ELi64ELi4ELc84ELc84ELb1ELb1ELb0EfKPKfKPfEEviiiT16_PT17_ilSA_ilS8_SA_ilPT18_ili26rocblas_geam_ex_operation_.uses_flat_scratch, 0
	.set _ZN12_GLOBAL__N_120geam_min_plus_kernelIf15HIP_vector_typeIfLj2EES2_Li8ELi32ELi64ELi128ELi4ELi4ELi64ELi64ELi4ELc84ELc84ELb1ELb1ELb0EfKPKfKPfEEviiiT16_PT17_ilSA_ilS8_SA_ilPT18_ili26rocblas_geam_ex_operation_.has_dyn_sized_stack, 0
	.set _ZN12_GLOBAL__N_120geam_min_plus_kernelIf15HIP_vector_typeIfLj2EES2_Li8ELi32ELi64ELi128ELi4ELi4ELi64ELi64ELi4ELc84ELc84ELb1ELb1ELb0EfKPKfKPfEEviiiT16_PT17_ilSA_ilS8_SA_ilPT18_ili26rocblas_geam_ex_operation_.has_recursion, 0
	.set _ZN12_GLOBAL__N_120geam_min_plus_kernelIf15HIP_vector_typeIfLj2EES2_Li8ELi32ELi64ELi128ELi4ELi4ELi64ELi64ELi4ELc84ELc84ELb1ELb1ELb0EfKPKfKPfEEviiiT16_PT17_ilSA_ilS8_SA_ilPT18_ili26rocblas_geam_ex_operation_.has_indirect_call, 0
	.section	.AMDGPU.csdata,"",@progbits
; Kernel info:
; codeLenInByte = 7844
; TotalNumSgprs: 42
; NumVgprs: 111
; NumAgprs: 0
; TotalNumVgprs: 111
; ScratchSize: 0
; MemoryBound: 0
; FloatMode: 240
; IeeeMode: 1
; LDSByteSize: 6144 bytes/workgroup (compile time only)
; SGPRBlocks: 5
; VGPRBlocks: 13
; NumSGPRsForWavesPerEU: 42
; NumVGPRsForWavesPerEU: 111
; AccumOffset: 112
; Occupancy: 4
; WaveLimiterHint : 1
; COMPUTE_PGM_RSRC2:SCRATCH_EN: 0
; COMPUTE_PGM_RSRC2:USER_SGPR: 2
; COMPUTE_PGM_RSRC2:TRAP_HANDLER: 0
; COMPUTE_PGM_RSRC2:TGID_X_EN: 1
; COMPUTE_PGM_RSRC2:TGID_Y_EN: 0
; COMPUTE_PGM_RSRC2:TGID_Z_EN: 1
; COMPUTE_PGM_RSRC2:TIDIG_COMP_CNT: 1
; COMPUTE_PGM_RSRC3_GFX90A:ACCUM_OFFSET: 27
; COMPUTE_PGM_RSRC3_GFX90A:TG_SPLIT: 0
	.section	.text._ZN12_GLOBAL__N_120geam_min_plus_kernelIf15HIP_vector_typeIfLj2EES2_Li8ELi32ELi64ELi128ELi4ELi4ELi64ELi64ELi4ELc84ELc84ELb0ELb1ELb0EfKPKfKPfEEviiiT16_PT17_ilSA_ilS8_SA_ilPT18_ili26rocblas_geam_ex_operation_,"axG",@progbits,_ZN12_GLOBAL__N_120geam_min_plus_kernelIf15HIP_vector_typeIfLj2EES2_Li8ELi32ELi64ELi128ELi4ELi4ELi64ELi64ELi4ELc84ELc84ELb0ELb1ELb0EfKPKfKPfEEviiiT16_PT17_ilSA_ilS8_SA_ilPT18_ili26rocblas_geam_ex_operation_,comdat
	.globl	_ZN12_GLOBAL__N_120geam_min_plus_kernelIf15HIP_vector_typeIfLj2EES2_Li8ELi32ELi64ELi128ELi4ELi4ELi64ELi64ELi4ELc84ELc84ELb0ELb1ELb0EfKPKfKPfEEviiiT16_PT17_ilSA_ilS8_SA_ilPT18_ili26rocblas_geam_ex_operation_ ; -- Begin function _ZN12_GLOBAL__N_120geam_min_plus_kernelIf15HIP_vector_typeIfLj2EES2_Li8ELi32ELi64ELi128ELi4ELi4ELi64ELi64ELi4ELc84ELc84ELb0ELb1ELb0EfKPKfKPfEEviiiT16_PT17_ilSA_ilS8_SA_ilPT18_ili26rocblas_geam_ex_operation_
	.p2align	8
	.type	_ZN12_GLOBAL__N_120geam_min_plus_kernelIf15HIP_vector_typeIfLj2EES2_Li8ELi32ELi64ELi128ELi4ELi4ELi64ELi64ELi4ELc84ELc84ELb0ELb1ELb0EfKPKfKPfEEviiiT16_PT17_ilSA_ilS8_SA_ilPT18_ili26rocblas_geam_ex_operation_,@function
_ZN12_GLOBAL__N_120geam_min_plus_kernelIf15HIP_vector_typeIfLj2EES2_Li8ELi32ELi64ELi128ELi4ELi4ELi64ELi64ELi4ELc84ELc84ELb0ELb1ELb0EfKPKfKPfEEviiiT16_PT17_ilSA_ilS8_SA_ilPT18_ili26rocblas_geam_ex_operation_: ; @_ZN12_GLOBAL__N_120geam_min_plus_kernelIf15HIP_vector_typeIfLj2EES2_Li8ELi32ELi64ELi128ELi4ELi4ELi64ELi64ELi4ELc84ELc84ELb0ELb1ELb0EfKPKfKPfEEviiiT16_PT17_ilSA_ilS8_SA_ilPT18_ili26rocblas_geam_ex_operation_
; %bb.0:
	s_load_dwordx4 s[20:23], s[0:1], 0x0
	s_load_dwordx4 s[4:7], s[0:1], 0x20
	s_mov_b32 s8, s3
	s_mov_b32 s9, 0
	s_waitcnt lgkmcnt(0)
	v_cmp_eq_f32_e64 s[10:11], s23, 0
	v_cmp_neq_f32_e64 s[12:13], s23, 0
	s_and_b64 vcc, exec, s[10:11]
	s_cbranch_vccnz .LBB50_3
; %bb.1:
	s_load_dwordx2 s[14:15], s[0:1], 0x10
	s_lshl_b64 s[16:17], s[8:9], 3
	s_waitcnt lgkmcnt(0)
	s_add_u32 s14, s14, s16
	s_addc_u32 s15, s15, s17
	s_load_dwordx2 s[14:15], s[14:15], 0x0
	s_lshl_b64 s[4:5], s[4:5], 2
	s_waitcnt lgkmcnt(0)
	s_add_u32 s18, s14, s4
	s_addc_u32 s19, s15, s5
	s_andn2_b64 vcc, exec, s[10:11]
	s_cbranch_vccnz .LBB50_4
.LBB50_2:
	s_mov_b32 s11, 0
	s_mov_b32 s10, s8
	s_mov_b64 s[24:25], 0
	s_mov_b64 s[14:15], 0
	s_cbranch_execz .LBB50_5
	s_branch .LBB50_6
.LBB50_3:
	s_mov_b64 s[18:19], 0
	s_andn2_b64 vcc, exec, s[10:11]
	s_cbranch_vccz .LBB50_2
.LBB50_4:
	s_mov_b64 s[10:11], s[8:9]
	s_mov_b64 s[24:25], 0
	;; [unrolled: 1-line block ×3, first 2 shown]
.LBB50_5:
	s_lshl_b64 s[8:9], s[8:9], 3
	s_add_u32 s6, s6, s8
	s_load_dwordx2 s[4:5], s[0:1], 0x38
	s_addc_u32 s7, s7, s9
	s_load_dwordx2 s[6:7], s[6:7], 0x0
	s_waitcnt lgkmcnt(0)
	s_lshl_b64 s[4:5], s[4:5], 2
	s_add_u32 s14, s6, s4
	s_addc_u32 s15, s7, s5
.LBB50_6:
	s_load_dword s28, s[0:1], 0x40
	s_load_dwordx4 s[4:7], s[0:1], 0x58
	s_waitcnt lgkmcnt(0)
	v_cmp_eq_f32_e64 s[16:17], s28, 0
	v_cmp_neq_f32_e64 s[8:9], s28, 0
	s_and_b64 vcc, exec, s[16:17]
	s_cbranch_vccnz .LBB50_8
; %bb.7:
	s_load_dwordx2 s[16:17], s[0:1], 0x48
	s_lshl_b64 s[24:25], s[10:11], 3
	s_waitcnt lgkmcnt(0)
	s_add_u32 s16, s16, s24
	s_addc_u32 s17, s17, s25
	s_load_dwordx2 s[16:17], s[16:17], 0x0
	s_lshl_b64 s[4:5], s[4:5], 2
	s_waitcnt lgkmcnt(0)
	s_add_u32 s24, s16, s4
	s_addc_u32 s25, s17, s5
.LBB50_8:
	s_lshl_b64 s[4:5], s[10:11], 3
	s_add_u32 s10, s6, s4
	s_addc_u32 s11, s7, s5
	s_add_i32 s3, s20, -1
	s_ashr_i32 s4, s3, 31
	s_lshr_b32 s4, s4, 26
	s_add_i32 s3, s3, s4
	s_ashr_i32 s3, s3, 6
	s_add_i32 s4, s3, 1
	v_cvt_f32_u32_e32 v1, s4
	s_not_b32 s3, s3
	v_and_b32_e32 v74, 0x3ff, v0
	v_bfe_u32 v75, v0, 10, 10
	v_rcp_iflag_f32_e32 v1, v1
	v_lshl_add_u32 v2, v75, 3, v74
	s_load_dword s34, s[0:1], 0x18
	v_lshrrev_b32_e32 v4, 2, v2
	v_mul_f32_e32 v1, 0x4f7ffffe, v1
	v_cvt_u32_f32_e32 v1, v1
	v_and_b32_e32 v76, 3, v0
	v_cmp_gt_i32_e32 vcc, s22, v76
	v_mov_b32_e32 v5, 0
	v_readfirstlane_b32 s5, v1
	s_mul_i32 s3, s3, s5
	s_mul_hi_u32 s3, s5, s3
	s_add_i32 s5, s5, s3
	s_mul_hi_u32 s3, s2, s5
	s_mul_i32 s5, s3, s4
	s_sub_i32 s5, s2, s5
	s_add_i32 s6, s3, 1
	s_sub_i32 s7, s5, s4
	s_cmp_ge_u32 s5, s4
	s_cselect_b32 s3, s6, s3
	s_cselect_b32 s5, s7, s5
	s_add_i32 s6, s3, 1
	s_cmp_ge_u32 s5, s4
	s_cselect_b32 s6, s6, s3
	s_mul_i32 s3, s6, s4
	s_sub_i32 s2, s2, s3
	s_lshl_b32 s29, s2, 6
	v_add_u32_e32 v70, s29, v4
	v_cmp_gt_i32_e64 s[2:3], s20, v70
	s_and_b64 s[4:5], vcc, s[2:3]
	s_and_b64 s[16:17], s[12:13], s[4:5]
	v_lshlrev_b32_e32 v0, 2, v76
	v_mov_b32_e32 v6, 0
	s_and_saveexec_b64 s[4:5], s[16:17]
	s_cbranch_execz .LBB50_10
; %bb.9:
	s_waitcnt lgkmcnt(0)
	v_mad_i64_i32 v[6:7], s[16:17], v70, s34, 0
	v_lshl_add_u64 v[6:7], v[6:7], 2, s[18:19]
	v_mov_b32_e32 v1, 0
	v_lshl_add_u64 v[6:7], v[6:7], 0, v[0:1]
	flat_load_dword v1, v[6:7]
	s_waitcnt vmcnt(0) lgkmcnt(0)
	v_mul_f32_e32 v6, s23, v1
.LBB50_10:
	s_or_b64 exec, exec, s[4:5]
	s_load_dword s31, s[0:1], 0x30
	v_lshrrev_b32_e32 v77, 6, v2
	s_add_i32 s33, s22, -1
	v_and_b32_e32 v7, 63, v2
	s_lshl_b32 s30, s6, 7
	v_min_i32_e32 v1, s33, v77
	v_or_b32_e32 v68, s30, v7
	s_waitcnt lgkmcnt(0)
	v_mad_i64_i32 v[2:3], s[4:5], s31, v1, 0
	v_cmp_le_i32_e32 vcc, s22, v77
	v_cmp_le_i32_e64 s[4:5], s21, v68
	s_or_b64 s[6:7], s[4:5], vcc
	s_xor_b64 s[16:17], s[12:13], -1
	v_lshl_add_u64 v[2:3], v[2:3], 2, s[14:15]
	s_nor_b64 s[26:27], s[6:7], s[16:17]
	v_ashrrev_i32_e32 v69, 31, v68
	s_and_saveexec_b64 s[6:7], s[26:27]
	s_cbranch_execz .LBB50_12
; %bb.11:
	v_lshl_add_u64 v[8:9], v[68:69], 2, v[2:3]
	flat_load_dword v1, v[8:9]
	s_waitcnt vmcnt(0) lgkmcnt(0)
	v_mul_f32_e32 v5, s23, v1
.LBB50_12:
	s_or_b64 exec, exec, s[6:7]
	v_or_b32_e32 v1, 64, v68
	v_cmp_le_i32_e64 s[6:7], s21, v1
	s_or_b64 s[26:27], s[6:7], vcc
	s_nor_b64 s[36:37], s[26:27], s[16:17]
	v_mov_b32_e32 v71, 0
	v_mov_b32_e32 v8, 0
	s_and_saveexec_b64 s[26:27], s[36:37]
	s_cbranch_execz .LBB50_14
; %bb.13:
	v_lshl_add_u64 v[2:3], v[68:69], 2, v[2:3]
	flat_load_dword v1, v[2:3] offset:256
	s_waitcnt vmcnt(0) lgkmcnt(0)
	v_mul_f32_e32 v8, s23, v1
.LBB50_14:
	s_or_b64 exec, exec, s[26:27]
	v_or_b32_e32 v1, 4, v76
	v_cmp_gt_i32_e32 vcc, s22, v1
	s_and_b64 s[26:27], vcc, s[2:3]
	s_and_b64 s[36:37], s[12:13], s[26:27]
	s_and_saveexec_b64 s[26:27], s[36:37]
	s_cbranch_execz .LBB50_16
; %bb.15:
	v_mad_i64_i32 v[2:3], s[36:37], v70, s34, 0
	v_lshl_add_u64 v[2:3], v[2:3], 2, s[18:19]
	v_mov_b32_e32 v1, 0
	v_lshl_add_u64 v[2:3], v[2:3], 0, v[0:1]
	flat_load_dword v1, v[2:3] offset:16
	s_waitcnt vmcnt(0) lgkmcnt(0)
	v_mul_f32_e32 v71, s23, v1
.LBB50_16:
	s_or_b64 exec, exec, s[26:27]
	v_add_u32_e32 v1, 4, v77
	v_cmp_le_i32_e32 vcc, s22, v1
	v_min_i32_e32 v1, s33, v1
	v_mad_i64_i32 v[2:3], s[26:27], s31, v1, 0
	s_or_b64 s[26:27], s[4:5], vcc
	v_lshl_add_u64 v[2:3], v[2:3], 2, s[14:15]
	s_nor_b64 s[36:37], s[26:27], s[16:17]
	v_mov_b32_e32 v72, 0
	v_mov_b32_e32 v73, 0
	s_and_saveexec_b64 s[26:27], s[36:37]
	s_cbranch_execz .LBB50_18
; %bb.17:
	v_lshl_add_u64 v[10:11], v[68:69], 2, v[2:3]
	flat_load_dword v1, v[10:11]
	s_waitcnt vmcnt(0) lgkmcnt(0)
	v_mul_f32_e32 v73, s23, v1
.LBB50_18:
	s_or_b64 exec, exec, s[26:27]
	s_load_dwordx2 s[10:11], s[10:11], 0x0
	s_or_b64 s[26:27], s[6:7], vcc
	s_nor_b64 s[36:37], s[26:27], s[16:17]
	s_and_saveexec_b64 s[26:27], s[36:37]
	s_cbranch_execz .LBB50_20
; %bb.19:
	v_lshl_add_u64 v[2:3], v[68:69], 2, v[2:3]
	flat_load_dword v1, v[2:3] offset:256
	s_waitcnt vmcnt(0) lgkmcnt(0)
	v_mul_f32_e32 v72, s23, v1
.LBB50_20:
	s_or_b64 exec, exec, s[26:27]
	v_lshl_or_b32 v82, v4, 4, v0
	v_lshlrev_b32_e32 v0, 4, v7
	v_lshl_add_u32 v78, v77, 2, v0
	v_mov_b32_e32 v0, 0x1000
	v_mov_b32_e32 v66, 0
	ds_write_b32 v82, v6 offset:4096
	ds_write2st64_b32 v78, v5, v8 offset1:4
	v_lshl_add_u32 v79, v74, 4, v0
	s_mov_b32 s35, 0
	s_mov_b64 s[26:27], -1
	v_mov_b32_e32 v67, v66
	v_mov_b32_e32 v64, v66
	;; [unrolled: 1-line block ×63, first 2 shown]
	v_add_u32_e32 v80, 0x1000, v82
	v_lshlrev_b32_e32 v81, 4, v75
	s_waitcnt lgkmcnt(0)
	s_barrier
.LBB50_21:                              ; =>This Inner Loop Header: Depth=1
	v_cndmask_b32_e64 v0, 0, 1, s[26:27]
	s_lshl_b32 s26, s35, 2
	v_cmp_ne_u32_e32 vcc, 1, v0
	v_add_u32_e32 v0, s26, v79
	ds_read2_b64 v[84:87], v0 offset1:16
	ds_read2_b64 v[88:91], v0 offset0:32 offset1:48
	ds_read2_b64 v[92:95], v0 offset0:64 offset1:80
	;; [unrolled: 1-line block ×3, first 2 shown]
	v_add_u32_e32 v0, s26, v81
	ds_read2st64_b64 v[100:103], v0 offset1:1
	ds_read2st64_b64 v[0:3], v0 offset0:2 offset1:3
	s_waitcnt lgkmcnt(5)
	v_max_f32_e32 v104, v85, v85
	v_max_f32_e32 v86, v86, v86
	;; [unrolled: 1-line block ×3, first 2 shown]
	s_waitcnt lgkmcnt(1)
	v_max_f32_e32 v83, v100, v100
	v_max_f32_e32 v100, v84, v84
	;; [unrolled: 1-line block ×3, first 2 shown]
	v_min_f32_e32 v84, v100, v83
	v_min_f32_e32 v85, v104, v101
	v_pk_add_f32 v[66:67], v[66:67], v[84:85]
	v_min_f32_e32 v84, v86, v83
	v_min_f32_e32 v85, v87, v101
	v_max_f32_e32 v88, v88, v88
	v_max_f32_e32 v89, v89, v89
	v_pk_add_f32 v[64:65], v[64:65], v[84:85]
	v_min_f32_e32 v84, v88, v83
	v_min_f32_e32 v85, v89, v101
	v_max_f32_e32 v90, v90, v90
	v_max_f32_e32 v91, v91, v91
	;; [unrolled: 5-line block ×5, first 2 shown]
	v_pk_add_f32 v[56:57], v[56:57], v[84:85]
	v_min_f32_e32 v84, v96, v83
	v_min_f32_e32 v85, v97, v101
	v_max_f32_e32 v98, v98, v98
	v_pk_add_f32 v[54:55], v[54:55], v[84:85]
	v_min_f32_e32 v84, v98, v83
	v_max_f32_e32 v83, v99, v99
	v_min_f32_e32 v85, v83, v101
	v_max_f32_e32 v99, v102, v102
	v_max_f32_e32 v101, v103, v103
	v_pk_add_f32 v[52:53], v[52:53], v[84:85]
	v_min_f32_e32 v84, v100, v99
	v_min_f32_e32 v85, v104, v101
	v_pk_add_f32 v[50:51], v[50:51], v[84:85]
	v_min_f32_e32 v84, v86, v99
	v_min_f32_e32 v85, v87, v101
	;; [unrolled: 3-line block ×8, first 2 shown]
	v_pk_add_f32 v[36:37], v[36:37], v[84:85]
	s_waitcnt lgkmcnt(0)
	v_max_f32_e32 v84, v0, v0
	v_max_f32_e32 v85, v1, v1
	v_min_f32_e32 v0, v100, v84
	v_min_f32_e32 v1, v104, v85
	v_pk_add_f32 v[34:35], v[34:35], v[0:1]
	v_min_f32_e32 v0, v86, v84
	v_min_f32_e32 v1, v87, v85
	v_pk_add_f32 v[32:33], v[32:33], v[0:1]
	;; [unrolled: 3-line block ×7, first 2 shown]
	v_min_f32_e32 v0, v98, v84
	v_min_f32_e32 v1, v83, v85
	v_max_f32_e32 v2, v2, v2
	v_max_f32_e32 v3, v3, v3
	v_pk_add_f32 v[20:21], v[20:21], v[0:1]
	v_min_f32_e32 v0, v100, v2
	v_min_f32_e32 v1, v104, v3
	v_pk_add_f32 v[18:19], v[18:19], v[0:1]
	v_min_f32_e32 v0, v86, v2
	v_min_f32_e32 v1, v87, v3
	;; [unrolled: 3-line block ×8, first 2 shown]
	v_pk_add_f32 v[4:5], v[4:5], v[0:1]
	s_mov_b64 s[26:27], 0
	s_mov_b32 s35, 2
	s_cbranch_vccz .LBB50_21
; %bb.22:
	s_cmp_lt_i32 s22, 9
	ds_write_b32 v82, v71 offset:5120
	ds_write2st64_b32 v78, v73, v72 offset0:8 offset1:12
	s_waitcnt lgkmcnt(0)
	s_barrier
	s_cbranch_scc1 .LBB50_41
; %bb.23:
	v_mad_i64_i32 v[0:1], s[34:35], v70, s34, 0
	v_lshl_add_u64 v[70:71], v[0:1], 2, s[18:19]
	v_mov_b32_e32 v0, 0x1400
	v_lshl_add_u32 v84, v74, 4, v0
	v_mov_b32_e32 v0, 0x800
	v_add_u32_e32 v82, 0x1400, v82
	v_add_u32_e32 v83, 0x800, v78
	s_add_i32 s26, s22, -8
	v_lshl_add_u32 v85, v75, 4, v0
	s_mov_b32 s27, 8
	s_mov_b32 s34, 0
	v_mov_b32_e32 v73, 0
.LBB50_24:                              ; =>This Loop Header: Depth=1
                                        ;     Child Loop BB50_31 Depth 2
                                        ;     Child Loop BB50_39 Depth 2
	v_or_b32_e32 v72, s27, v76
	v_cmp_gt_i32_e32 vcc, s22, v72
	s_and_b64 s[18:19], vcc, s[2:3]
	s_and_b64 s[36:37], s[12:13], s[18:19]
	v_mov_b32_e32 v86, 0
	s_and_saveexec_b64 s[18:19], s[36:37]
	s_cbranch_execz .LBB50_26
; %bb.25:                               ;   in Loop: Header=BB50_24 Depth=1
	v_lshl_add_u64 v[0:1], v[72:73], 2, v[70:71]
	flat_load_dword v0, v[0:1]
	s_waitcnt vmcnt(0) lgkmcnt(0)
	v_mul_f32_e32 v86, s23, v0
.LBB50_26:                              ;   in Loop: Header=BB50_24 Depth=1
	s_or_b64 exec, exec, s[18:19]
	v_add_u32_e32 v0, s27, v77
	v_cmp_le_i32_e32 vcc, s22, v0
	v_min_i32_e32 v0, s33, v0
	v_mad_i64_i32 v[0:1], s[18:19], v0, s31, 0
	v_lshl_add_u64 v[0:1], v[0:1], 2, s[14:15]
	s_or_b64 s[18:19], s[4:5], vcc
	s_nor_b64 s[36:37], s[18:19], s[16:17]
	v_mov_b32_e32 v87, 0
	v_lshl_add_u64 v[0:1], v[68:69], 2, v[0:1]
	v_mov_b32_e32 v88, 0
	s_and_saveexec_b64 s[18:19], s[36:37]
	s_cbranch_execz .LBB50_28
; %bb.27:                               ;   in Loop: Header=BB50_24 Depth=1
	flat_load_dword v2, v[0:1]
	s_waitcnt vmcnt(0) lgkmcnt(0)
	v_mul_f32_e32 v88, s23, v2
.LBB50_28:                              ;   in Loop: Header=BB50_24 Depth=1
	s_or_b64 exec, exec, s[18:19]
	s_or_b64 s[18:19], s[6:7], vcc
	s_nor_b64 s[36:37], s[18:19], s[16:17]
	s_and_saveexec_b64 s[18:19], s[36:37]
	s_cbranch_execz .LBB50_30
; %bb.29:                               ;   in Loop: Header=BB50_24 Depth=1
	flat_load_dword v0, v[0:1] offset:256
	s_waitcnt vmcnt(0) lgkmcnt(0)
	v_mul_f32_e32 v87, s23, v0
.LBB50_30:                              ;   in Loop: Header=BB50_24 Depth=1
	s_or_b64 exec, exec, s[18:19]
	s_mov_b32 s35, 0
	s_mov_b64 s[18:19], -1
.LBB50_31:                              ;   Parent Loop BB50_24 Depth=1
                                        ; =>  This Inner Loop Header: Depth=2
	v_cndmask_b32_e64 v0, 0, 1, s[18:19]
	s_lshl_b32 s18, s35, 2
	v_cmp_ne_u32_e32 vcc, 1, v0
	v_add_u32_e32 v0, s18, v84
	ds_read2_b64 v[90:93], v0 offset1:16
	ds_read2_b64 v[94:97], v0 offset0:32 offset1:48
	ds_read2_b64 v[98:101], v0 offset0:64 offset1:80
	;; [unrolled: 1-line block ×3, first 2 shown]
	v_add_u32_e32 v0, s18, v85
	ds_read2st64_b64 v[106:109], v0 offset1:1
	ds_read2st64_b64 v[0:3], v0 offset0:2 offset1:3
	s_waitcnt lgkmcnt(5)
	v_max_f32_e32 v110, v91, v91
	v_max_f32_e32 v92, v92, v92
	;; [unrolled: 1-line block ×3, first 2 shown]
	s_waitcnt lgkmcnt(1)
	v_max_f32_e32 v89, v106, v106
	v_max_f32_e32 v106, v90, v90
	;; [unrolled: 1-line block ×3, first 2 shown]
	v_min_f32_e32 v90, v106, v89
	v_min_f32_e32 v91, v110, v107
	v_pk_add_f32 v[66:67], v[66:67], v[90:91]
	v_min_f32_e32 v90, v92, v89
	v_min_f32_e32 v91, v93, v107
	v_max_f32_e32 v94, v94, v94
	v_max_f32_e32 v95, v95, v95
	v_pk_add_f32 v[64:65], v[64:65], v[90:91]
	v_min_f32_e32 v90, v94, v89
	v_min_f32_e32 v91, v95, v107
	v_max_f32_e32 v96, v96, v96
	v_max_f32_e32 v97, v97, v97
	;; [unrolled: 5-line block ×5, first 2 shown]
	v_pk_add_f32 v[56:57], v[56:57], v[90:91]
	v_min_f32_e32 v90, v102, v89
	v_min_f32_e32 v91, v103, v107
	v_max_f32_e32 v104, v104, v104
	v_pk_add_f32 v[54:55], v[54:55], v[90:91]
	v_min_f32_e32 v90, v104, v89
	v_max_f32_e32 v89, v105, v105
	v_min_f32_e32 v91, v89, v107
	v_max_f32_e32 v105, v108, v108
	v_max_f32_e32 v107, v109, v109
	v_pk_add_f32 v[52:53], v[52:53], v[90:91]
	v_min_f32_e32 v90, v106, v105
	v_min_f32_e32 v91, v110, v107
	v_pk_add_f32 v[50:51], v[50:51], v[90:91]
	v_min_f32_e32 v90, v92, v105
	v_min_f32_e32 v91, v93, v107
	;; [unrolled: 3-line block ×8, first 2 shown]
	v_pk_add_f32 v[36:37], v[36:37], v[90:91]
	s_waitcnt lgkmcnt(0)
	v_max_f32_e32 v90, v0, v0
	v_max_f32_e32 v91, v1, v1
	v_min_f32_e32 v0, v106, v90
	v_min_f32_e32 v1, v110, v91
	v_pk_add_f32 v[34:35], v[34:35], v[0:1]
	v_min_f32_e32 v0, v92, v90
	v_min_f32_e32 v1, v93, v91
	v_pk_add_f32 v[32:33], v[32:33], v[0:1]
	;; [unrolled: 3-line block ×7, first 2 shown]
	v_min_f32_e32 v0, v104, v90
	v_min_f32_e32 v1, v89, v91
	v_max_f32_e32 v2, v2, v2
	v_max_f32_e32 v3, v3, v3
	v_pk_add_f32 v[20:21], v[20:21], v[0:1]
	v_min_f32_e32 v0, v106, v2
	v_min_f32_e32 v1, v110, v3
	v_pk_add_f32 v[18:19], v[18:19], v[0:1]
	v_min_f32_e32 v0, v92, v2
	v_min_f32_e32 v1, v93, v3
	;; [unrolled: 3-line block ×8, first 2 shown]
	v_pk_add_f32 v[4:5], v[4:5], v[0:1]
	s_mov_b64 s[18:19], 0
	s_mov_b32 s35, 2
	s_cbranch_vccz .LBB50_31
; %bb.32:                               ;   in Loop: Header=BB50_24 Depth=1
	v_or_b32_e32 v0, 4, v72
	v_cmp_gt_i32_e32 vcc, s22, v0
	s_and_b64 s[18:19], vcc, s[2:3]
	ds_write_b32 v80, v86
	ds_write2st64_b32 v78, v88, v87 offset1:4
	s_and_b64 s[36:37], s[12:13], s[18:19]
	v_mov_b32_e32 v86, 0
	v_mov_b32_e32 v87, 0
	s_waitcnt lgkmcnt(0)
	s_barrier
	s_and_saveexec_b64 s[18:19], s[36:37]
	s_cbranch_execz .LBB50_34
; %bb.33:                               ;   in Loop: Header=BB50_24 Depth=1
	v_lshl_add_u64 v[0:1], v[72:73], 2, v[70:71]
	flat_load_dword v0, v[0:1] offset:16
	s_waitcnt vmcnt(0) lgkmcnt(0)
	v_mul_f32_e32 v87, s23, v0
.LBB50_34:                              ;   in Loop: Header=BB50_24 Depth=1
	s_or_b64 exec, exec, s[18:19]
	v_add3_u32 v0, v77, s27, 4
	v_cmp_le_i32_e32 vcc, s22, v0
	v_min_i32_e32 v0, s33, v0
	v_mad_i64_i32 v[0:1], s[18:19], v0, s31, 0
	v_lshl_add_u64 v[0:1], v[0:1], 2, s[14:15]
	s_or_b64 s[18:19], s[4:5], vcc
	s_nor_b64 s[36:37], s[18:19], s[16:17]
	v_lshl_add_u64 v[0:1], v[68:69], 2, v[0:1]
	s_and_saveexec_b64 s[18:19], s[36:37]
	s_cbranch_execz .LBB50_36
; %bb.35:                               ;   in Loop: Header=BB50_24 Depth=1
	flat_load_dword v2, v[0:1]
	s_waitcnt vmcnt(0) lgkmcnt(0)
	v_mul_f32_e32 v86, s23, v2
.LBB50_36:                              ;   in Loop: Header=BB50_24 Depth=1
	s_or_b64 exec, exec, s[18:19]
	s_or_b64 s[18:19], s[6:7], vcc
	s_nor_b64 s[36:37], s[18:19], s[16:17]
	v_mov_b32_e32 v72, 0
	s_and_saveexec_b64 s[18:19], s[36:37]
	s_cbranch_execz .LBB50_38
; %bb.37:                               ;   in Loop: Header=BB50_24 Depth=1
	flat_load_dword v0, v[0:1] offset:256
	s_waitcnt vmcnt(0) lgkmcnt(0)
	v_mul_f32_e32 v72, s23, v0
.LBB50_38:                              ;   in Loop: Header=BB50_24 Depth=1
	s_or_b64 exec, exec, s[18:19]
	s_mov_b32 s35, 0
	s_mov_b64 s[18:19], -1
.LBB50_39:                              ;   Parent Loop BB50_24 Depth=1
                                        ; =>  This Inner Loop Header: Depth=2
	v_cndmask_b32_e64 v0, 0, 1, s[18:19]
	s_lshl_b32 s18, s35, 2
	v_cmp_ne_u32_e32 vcc, 1, v0
	v_add_u32_e32 v0, s18, v79
	ds_read2_b64 v[88:91], v0 offset1:16
	ds_read2_b64 v[92:95], v0 offset0:32 offset1:48
	ds_read2_b64 v[96:99], v0 offset0:64 offset1:80
	;; [unrolled: 1-line block ×3, first 2 shown]
	v_add_u32_e32 v0, s18, v81
	ds_read2st64_b64 v[104:107], v0 offset1:1
	ds_read2st64_b64 v[0:3], v0 offset0:2 offset1:3
	s_waitcnt lgkmcnt(5)
	v_max_f32_e32 v108, v88, v88
	v_max_f32_e32 v109, v89, v89
	;; [unrolled: 1-line block ×3, first 2 shown]
	s_waitcnt lgkmcnt(1)
	v_max_f32_e32 v104, v104, v104
	v_max_f32_e32 v105, v105, v105
	v_min_f32_e32 v88, v108, v104
	v_min_f32_e32 v89, v109, v105
	v_max_f32_e32 v91, v91, v91
	v_pk_add_f32 v[66:67], v[66:67], v[88:89]
	v_min_f32_e32 v88, v90, v104
	v_min_f32_e32 v89, v91, v105
	v_max_f32_e32 v92, v92, v92
	v_max_f32_e32 v93, v93, v93
	v_pk_add_f32 v[64:65], v[64:65], v[88:89]
	v_min_f32_e32 v88, v92, v104
	v_min_f32_e32 v89, v93, v105
	v_max_f32_e32 v94, v94, v94
	;; [unrolled: 5-line block ×7, first 2 shown]
	v_max_f32_e32 v105, v107, v107
	v_pk_add_f32 v[52:53], v[52:53], v[88:89]
	v_min_f32_e32 v88, v108, v104
	v_min_f32_e32 v89, v109, v105
	v_pk_add_f32 v[50:51], v[50:51], v[88:89]
	v_min_f32_e32 v88, v90, v104
	v_min_f32_e32 v89, v91, v105
	;; [unrolled: 3-line block ×8, first 2 shown]
	v_pk_add_f32 v[36:37], v[36:37], v[88:89]
	s_waitcnt lgkmcnt(0)
	v_max_f32_e32 v88, v0, v0
	v_max_f32_e32 v89, v1, v1
	v_min_f32_e32 v0, v108, v88
	v_min_f32_e32 v1, v109, v89
	v_pk_add_f32 v[34:35], v[34:35], v[0:1]
	v_min_f32_e32 v0, v90, v88
	v_min_f32_e32 v1, v91, v89
	v_pk_add_f32 v[32:33], v[32:33], v[0:1]
	;; [unrolled: 3-line block ×7, first 2 shown]
	v_min_f32_e32 v0, v102, v88
	v_min_f32_e32 v1, v103, v89
	v_max_f32_e32 v2, v2, v2
	v_max_f32_e32 v3, v3, v3
	v_pk_add_f32 v[20:21], v[20:21], v[0:1]
	v_min_f32_e32 v0, v108, v2
	v_min_f32_e32 v1, v109, v3
	v_pk_add_f32 v[18:19], v[18:19], v[0:1]
	v_min_f32_e32 v0, v90, v2
	v_min_f32_e32 v1, v91, v3
	;; [unrolled: 3-line block ×8, first 2 shown]
	v_pk_add_f32 v[4:5], v[4:5], v[0:1]
	s_mov_b64 s[18:19], 0
	s_mov_b32 s35, 2
	s_cbranch_vccz .LBB50_39
; %bb.40:                               ;   in Loop: Header=BB50_24 Depth=1
	s_add_i32 s27, s27, 8
	s_add_i32 s34, s34, 8
	s_cmp_ge_i32 s34, s26
	ds_write_b32 v82, v87
	ds_write2st64_b32 v83, v86, v72 offset1:4
	s_waitcnt lgkmcnt(0)
	s_barrier
	s_cbranch_scc0 .LBB50_24
.LBB50_41:
	v_mov_b32_e32 v0, 0x1400
	v_lshl_add_u32 v68, v74, 4, v0
	v_mov_b32_e32 v0, 0x800
	v_lshl_add_u32 v69, v75, 4, v0
	s_mov_b32 s4, 0
	s_mov_b64 s[2:3], -1
.LBB50_42:                              ; =>This Inner Loop Header: Depth=1
	v_cndmask_b32_e64 v0, 0, 1, s[2:3]
	s_lshl_b32 s2, s4, 2
	v_cmp_ne_u32_e32 vcc, 1, v0
	v_add_u32_e32 v0, s2, v68
	ds_read2_b64 v[70:73], v0 offset1:16
	ds_read2_b64 v[76:79], v0 offset0:32 offset1:48
	ds_read2_b64 v[80:83], v0 offset0:64 offset1:80
	;; [unrolled: 1-line block ×3, first 2 shown]
	v_add_u32_e32 v0, s2, v69
	ds_read2st64_b64 v[88:91], v0 offset1:1
	ds_read2st64_b64 v[0:3], v0 offset0:2 offset1:3
	s_waitcnt lgkmcnt(5)
	v_max_f32_e32 v92, v70, v70
	v_max_f32_e32 v93, v71, v71
	;; [unrolled: 1-line block ×3, first 2 shown]
	s_waitcnt lgkmcnt(1)
	v_max_f32_e32 v88, v88, v88
	v_max_f32_e32 v89, v89, v89
	v_min_f32_e32 v70, v92, v88
	v_min_f32_e32 v71, v93, v89
	v_max_f32_e32 v73, v73, v73
	v_pk_add_f32 v[66:67], v[66:67], v[70:71]
	v_min_f32_e32 v70, v72, v88
	v_min_f32_e32 v71, v73, v89
	v_max_f32_e32 v76, v76, v76
	v_max_f32_e32 v77, v77, v77
	v_pk_add_f32 v[64:65], v[64:65], v[70:71]
	v_min_f32_e32 v70, v76, v88
	v_min_f32_e32 v71, v77, v89
	v_max_f32_e32 v78, v78, v78
	;; [unrolled: 5-line block ×7, first 2 shown]
	v_max_f32_e32 v89, v91, v91
	v_pk_add_f32 v[52:53], v[52:53], v[70:71]
	v_min_f32_e32 v70, v92, v88
	v_min_f32_e32 v71, v93, v89
	v_pk_add_f32 v[50:51], v[50:51], v[70:71]
	v_min_f32_e32 v70, v72, v88
	v_min_f32_e32 v71, v73, v89
	;; [unrolled: 3-line block ×8, first 2 shown]
	v_pk_add_f32 v[36:37], v[36:37], v[70:71]
	s_waitcnt lgkmcnt(0)
	v_max_f32_e32 v70, v0, v0
	v_max_f32_e32 v71, v1, v1
	v_min_f32_e32 v0, v92, v70
	v_min_f32_e32 v1, v93, v71
	v_pk_add_f32 v[34:35], v[34:35], v[0:1]
	v_min_f32_e32 v0, v72, v70
	v_min_f32_e32 v1, v73, v71
	v_pk_add_f32 v[32:33], v[32:33], v[0:1]
	;; [unrolled: 3-line block ×7, first 2 shown]
	v_min_f32_e32 v0, v86, v70
	v_min_f32_e32 v1, v87, v71
	v_max_f32_e32 v2, v2, v2
	v_max_f32_e32 v3, v3, v3
	v_pk_add_f32 v[20:21], v[20:21], v[0:1]
	v_min_f32_e32 v0, v92, v2
	v_min_f32_e32 v1, v93, v3
	v_pk_add_f32 v[18:19], v[18:19], v[0:1]
	v_min_f32_e32 v0, v72, v2
	v_min_f32_e32 v1, v73, v3
	;; [unrolled: 3-line block ×8, first 2 shown]
	v_pk_add_f32 v[4:5], v[4:5], v[0:1]
	s_mov_b64 s[2:3], 0
	s_mov_b32 s4, 2
	s_cbranch_vccz .LBB50_42
; %bb.43:
	s_load_dwordx2 s[2:3], s[0:1], 0x70
	s_load_dword s33, s[0:1], 0x50
	s_load_dword s31, s[0:1], 0x68
	v_add_u32_e32 v72, s30, v75
	v_add_u32_e32 v0, s29, v74
	s_waitcnt lgkmcnt(0)
	s_lshl_b64 s[0:1], s[2:3], 2
	s_add_u32 s22, s10, s0
	s_addc_u32 s23, s11, s1
	v_mad_i64_i32 v[2:3], s[0:1], v72, s33, 0
	v_lshl_add_u64 v[70:71], v[2:3], 2, s[24:25]
	v_mad_i64_i32 v[2:3], s[0:1], v72, s31, 0
	v_cmp_gt_i32_e64 s[18:19], s21, v72
	v_lshl_add_u64 v[68:69], v[2:3], 2, s[22:23]
	v_cmp_gt_i32_e64 s[2:3], s20, v0
	v_cndmask_b32_e64 v2, 0, 1, s[8:9]
	s_and_b64 s[6:7], s[2:3], s[18:19]
	v_ashrrev_i32_e32 v1, 31, v0
	v_cmp_ne_u32_e64 s[0:1], 1, v2
	s_and_saveexec_b64 s[4:5], s[6:7]
	s_cbranch_execz .LBB50_48
; %bb.44:
	s_and_b64 vcc, exec, s[0:1]
	s_cbranch_vccnz .LBB50_46
; %bb.45:
	v_lshl_add_u64 v[2:3], v[0:1], 2, v[70:71]
	flat_load_dword v2, v[2:3]
	s_waitcnt vmcnt(0) lgkmcnt(0)
	v_mul_f32_e32 v2, s28, v2
	s_branch .LBB50_47
.LBB50_46:
	v_mov_b32_e32 v2, 0
.LBB50_47:
	v_add_f32_e32 v3, v66, v67
	v_add_f32_e32 v66, v3, v2
	v_lshl_add_u64 v[2:3], v[0:1], 2, v[68:69]
	flat_store_dword v[2:3], v66
.LBB50_48:
	s_or_b64 exec, exec, s[4:5]
	v_add_u32_e32 v2, 8, v0
	v_cmp_gt_i32_e64 s[4:5], s20, v2
	s_and_b64 s[8:9], s[4:5], s[18:19]
	v_ashrrev_i32_e32 v3, 31, v2
	s_and_saveexec_b64 s[6:7], s[8:9]
	s_cbranch_execz .LBB50_53
; %bb.49:
	s_and_b64 vcc, exec, s[0:1]
	s_cbranch_vccnz .LBB50_51
; %bb.50:
	v_lshl_add_u64 v[66:67], v[2:3], 2, v[70:71]
	flat_load_dword v66, v[66:67]
	s_waitcnt vmcnt(0) lgkmcnt(0)
	v_mul_f32_e32 v66, s28, v66
	s_branch .LBB50_52
.LBB50_51:
	v_mov_b32_e32 v66, 0
.LBB50_52:
	v_add_f32_e32 v64, v64, v65
	v_add_f32_e32 v66, v64, v66
	v_lshl_add_u64 v[64:65], v[2:3], 2, v[68:69]
	flat_store_dword v[64:65], v66
.LBB50_53:
	s_or_b64 exec, exec, s[6:7]
	v_add_u32_e32 v64, 16, v0
	v_cmp_gt_i32_e64 s[6:7], s20, v64
	s_and_b64 s[10:11], s[6:7], s[18:19]
	v_ashrrev_i32_e32 v65, 31, v64
	;; [unrolled: 24-line block ×7, first 2 shown]
	s_and_saveexec_b64 s[18:19], s[26:27]
	s_cbranch_execz .LBB50_83
; %bb.79:
	s_and_b64 vcc, exec, s[0:1]
	s_cbranch_vccnz .LBB50_81
; %bb.80:
	v_lshl_add_u64 v[66:67], v[54:55], 2, v[70:71]
	flat_load_dword v66, v[66:67]
	s_waitcnt vmcnt(0) lgkmcnt(0)
	v_mul_f32_e32 v66, s28, v66
	s_branch .LBB50_82
.LBB50_81:
	v_mov_b32_e32 v66, 0
.LBB50_82:
	v_add_f32_e32 v52, v52, v53
	v_add_f32_e32 v66, v52, v66
	v_lshl_add_u64 v[52:53], v[54:55], 2, v[68:69]
	flat_store_dword v[52:53], v66
.LBB50_83:
	s_or_b64 exec, exec, s[18:19]
	v_add_u32_e32 v68, 32, v72
	v_mad_i64_i32 v[52:53], s[26:27], v68, s33, 0
	v_cmp_gt_i32_e64 s[18:19], s21, v68
	v_lshl_add_u64 v[66:67], v[52:53], 2, s[24:25]
	v_mad_i64_i32 v[52:53], s[26:27], v68, s31, 0
	v_lshl_add_u64 v[52:53], v[52:53], 2, s[22:23]
	s_and_b64 s[34:35], s[2:3], s[18:19]
	s_and_saveexec_b64 s[26:27], s[34:35]
	s_cbranch_execnz .LBB50_91
; %bb.84:
	s_or_b64 exec, exec, s[26:27]
	s_and_b64 s[34:35], s[4:5], s[18:19]
	s_and_saveexec_b64 s[26:27], s[34:35]
	s_cbranch_execnz .LBB50_95
.LBB50_85:
	s_or_b64 exec, exec, s[26:27]
	s_and_b64 s[34:35], s[6:7], s[18:19]
	s_and_saveexec_b64 s[26:27], s[34:35]
	s_cbranch_execnz .LBB50_99
.LBB50_86:
	s_or_b64 exec, exec, s[26:27]
	s_and_b64 s[34:35], s[8:9], s[18:19]
	s_and_saveexec_b64 s[26:27], s[34:35]
	s_cbranch_execnz .LBB50_103
.LBB50_87:
	s_or_b64 exec, exec, s[26:27]
	s_and_b64 s[34:35], s[10:11], s[18:19]
	s_and_saveexec_b64 s[26:27], s[34:35]
	s_cbranch_execnz .LBB50_107
.LBB50_88:
	s_or_b64 exec, exec, s[26:27]
	s_and_b64 s[34:35], s[12:13], s[18:19]
	s_and_saveexec_b64 s[26:27], s[34:35]
	s_cbranch_execnz .LBB50_111
.LBB50_89:
	s_or_b64 exec, exec, s[26:27]
	s_and_b64 s[34:35], s[14:15], s[18:19]
	s_and_saveexec_b64 s[26:27], s[34:35]
	s_cbranch_execnz .LBB50_115
.LBB50_90:
	s_or_b64 exec, exec, s[26:27]
	s_and_b64 s[26:27], s[16:17], s[18:19]
	s_and_saveexec_b64 s[18:19], s[26:27]
	s_cbranch_execnz .LBB50_119
	s_branch .LBB50_123
.LBB50_91:
	s_and_b64 vcc, exec, s[0:1]
	s_cbranch_vccnz .LBB50_93
; %bb.92:
	v_lshl_add_u64 v[68:69], v[0:1], 2, v[66:67]
	flat_load_dword v68, v[68:69]
	s_waitcnt vmcnt(0) lgkmcnt(0)
	v_mul_f32_e32 v68, s28, v68
	s_branch .LBB50_94
.LBB50_93:
	v_mov_b32_e32 v68, 0
.LBB50_94:
	v_add_f32_e32 v50, v50, v51
	v_add_f32_e32 v68, v50, v68
	v_lshl_add_u64 v[50:51], v[0:1], 2, v[52:53]
	flat_store_dword v[50:51], v68
	s_or_b64 exec, exec, s[26:27]
	s_and_b64 s[34:35], s[4:5], s[18:19]
	s_and_saveexec_b64 s[26:27], s[34:35]
	s_cbranch_execz .LBB50_85
.LBB50_95:
	s_and_b64 vcc, exec, s[0:1]
	s_cbranch_vccnz .LBB50_97
; %bb.96:
	v_lshl_add_u64 v[50:51], v[2:3], 2, v[66:67]
	flat_load_dword v50, v[50:51]
	s_waitcnt vmcnt(0) lgkmcnt(0)
	v_mul_f32_e32 v50, s28, v50
	s_branch .LBB50_98
.LBB50_97:
	v_mov_b32_e32 v50, 0
.LBB50_98:
	v_add_f32_e32 v48, v48, v49
	v_add_f32_e32 v50, v48, v50
	v_lshl_add_u64 v[48:49], v[2:3], 2, v[52:53]
	flat_store_dword v[48:49], v50
	s_or_b64 exec, exec, s[26:27]
	s_and_b64 s[34:35], s[6:7], s[18:19]
	s_and_saveexec_b64 s[26:27], s[34:35]
	s_cbranch_execz .LBB50_86
.LBB50_99:
	s_and_b64 vcc, exec, s[0:1]
	s_cbranch_vccnz .LBB50_101
; %bb.100:
	v_lshl_add_u64 v[48:49], v[64:65], 2, v[66:67]
	flat_load_dword v48, v[48:49]
	s_waitcnt vmcnt(0) lgkmcnt(0)
	v_mul_f32_e32 v48, s28, v48
	s_branch .LBB50_102
.LBB50_101:
	v_mov_b32_e32 v48, 0
.LBB50_102:
	v_add_f32_e32 v46, v46, v47
	v_add_f32_e32 v48, v46, v48
	v_lshl_add_u64 v[46:47], v[64:65], 2, v[52:53]
	flat_store_dword v[46:47], v48
	s_or_b64 exec, exec, s[26:27]
	s_and_b64 s[34:35], s[8:9], s[18:19]
	s_and_saveexec_b64 s[26:27], s[34:35]
	s_cbranch_execz .LBB50_87
.LBB50_103:
	s_and_b64 vcc, exec, s[0:1]
	s_cbranch_vccnz .LBB50_105
; %bb.104:
	v_lshl_add_u64 v[46:47], v[62:63], 2, v[66:67]
	flat_load_dword v46, v[46:47]
	s_waitcnt vmcnt(0) lgkmcnt(0)
	v_mul_f32_e32 v46, s28, v46
	s_branch .LBB50_106
.LBB50_105:
	v_mov_b32_e32 v46, 0
.LBB50_106:
	v_add_f32_e32 v44, v44, v45
	v_add_f32_e32 v46, v44, v46
	v_lshl_add_u64 v[44:45], v[62:63], 2, v[52:53]
	flat_store_dword v[44:45], v46
	s_or_b64 exec, exec, s[26:27]
	s_and_b64 s[34:35], s[10:11], s[18:19]
	s_and_saveexec_b64 s[26:27], s[34:35]
	s_cbranch_execz .LBB50_88
.LBB50_107:
	s_and_b64 vcc, exec, s[0:1]
	s_cbranch_vccnz .LBB50_109
; %bb.108:
	v_lshl_add_u64 v[44:45], v[60:61], 2, v[66:67]
	flat_load_dword v44, v[44:45]
	s_waitcnt vmcnt(0) lgkmcnt(0)
	v_mul_f32_e32 v44, s28, v44
	s_branch .LBB50_110
.LBB50_109:
	v_mov_b32_e32 v44, 0
.LBB50_110:
	v_add_f32_e32 v42, v42, v43
	v_add_f32_e32 v44, v42, v44
	v_lshl_add_u64 v[42:43], v[60:61], 2, v[52:53]
	flat_store_dword v[42:43], v44
	s_or_b64 exec, exec, s[26:27]
	s_and_b64 s[34:35], s[12:13], s[18:19]
	s_and_saveexec_b64 s[26:27], s[34:35]
	s_cbranch_execz .LBB50_89
.LBB50_111:
	s_and_b64 vcc, exec, s[0:1]
	s_cbranch_vccnz .LBB50_113
; %bb.112:
	v_lshl_add_u64 v[42:43], v[58:59], 2, v[66:67]
	flat_load_dword v42, v[42:43]
	s_waitcnt vmcnt(0) lgkmcnt(0)
	v_mul_f32_e32 v42, s28, v42
	s_branch .LBB50_114
.LBB50_113:
	v_mov_b32_e32 v42, 0
.LBB50_114:
	v_add_f32_e32 v40, v40, v41
	v_add_f32_e32 v42, v40, v42
	v_lshl_add_u64 v[40:41], v[58:59], 2, v[52:53]
	flat_store_dword v[40:41], v42
	s_or_b64 exec, exec, s[26:27]
	s_and_b64 s[34:35], s[14:15], s[18:19]
	s_and_saveexec_b64 s[26:27], s[34:35]
	s_cbranch_execz .LBB50_90
.LBB50_115:
	s_and_b64 vcc, exec, s[0:1]
	s_cbranch_vccnz .LBB50_117
; %bb.116:
	v_lshl_add_u64 v[40:41], v[56:57], 2, v[66:67]
	flat_load_dword v40, v[40:41]
	s_waitcnt vmcnt(0) lgkmcnt(0)
	v_mul_f32_e32 v40, s28, v40
	s_branch .LBB50_118
.LBB50_117:
	v_mov_b32_e32 v40, 0
.LBB50_118:
	v_add_f32_e32 v38, v38, v39
	v_add_f32_e32 v40, v38, v40
	v_lshl_add_u64 v[38:39], v[56:57], 2, v[52:53]
	flat_store_dword v[38:39], v40
	s_or_b64 exec, exec, s[26:27]
	s_and_b64 s[26:27], s[16:17], s[18:19]
	s_and_saveexec_b64 s[18:19], s[26:27]
	s_cbranch_execz .LBB50_123
.LBB50_119:
	s_and_b64 vcc, exec, s[0:1]
	s_cbranch_vccnz .LBB50_121
; %bb.120:
	v_lshl_add_u64 v[38:39], v[54:55], 2, v[66:67]
	flat_load_dword v38, v[38:39]
	s_waitcnt vmcnt(0) lgkmcnt(0)
	v_mul_f32_e32 v38, s28, v38
	s_branch .LBB50_122
.LBB50_121:
	v_mov_b32_e32 v38, 0
.LBB50_122:
	v_add_f32_e32 v36, v36, v37
	v_add_f32_e32 v38, v36, v38
	v_lshl_add_u64 v[36:37], v[54:55], 2, v[52:53]
	flat_store_dword v[36:37], v38
.LBB50_123:
	s_or_b64 exec, exec, s[18:19]
	v_add_u32_e32 v40, 64, v72
	v_mad_i64_i32 v[36:37], s[26:27], v40, s33, 0
	v_cmp_gt_i32_e64 s[18:19], s21, v40
	v_lshl_add_u64 v[38:39], v[36:37], 2, s[24:25]
	v_mad_i64_i32 v[36:37], s[26:27], v40, s31, 0
	v_lshl_add_u64 v[36:37], v[36:37], 2, s[22:23]
	s_and_b64 s[34:35], s[2:3], s[18:19]
	s_and_saveexec_b64 s[26:27], s[34:35]
	s_cbranch_execnz .LBB50_131
; %bb.124:
	s_or_b64 exec, exec, s[26:27]
	s_and_b64 s[34:35], s[4:5], s[18:19]
	s_and_saveexec_b64 s[26:27], s[34:35]
	s_cbranch_execnz .LBB50_135
.LBB50_125:
	s_or_b64 exec, exec, s[26:27]
	s_and_b64 s[34:35], s[6:7], s[18:19]
	s_and_saveexec_b64 s[26:27], s[34:35]
	s_cbranch_execnz .LBB50_139
.LBB50_126:
	s_or_b64 exec, exec, s[26:27]
	s_and_b64 s[34:35], s[8:9], s[18:19]
	s_and_saveexec_b64 s[26:27], s[34:35]
	s_cbranch_execnz .LBB50_143
.LBB50_127:
	s_or_b64 exec, exec, s[26:27]
	s_and_b64 s[34:35], s[10:11], s[18:19]
	s_and_saveexec_b64 s[26:27], s[34:35]
	s_cbranch_execnz .LBB50_147
.LBB50_128:
	s_or_b64 exec, exec, s[26:27]
	s_and_b64 s[34:35], s[12:13], s[18:19]
	s_and_saveexec_b64 s[26:27], s[34:35]
	s_cbranch_execnz .LBB50_151
.LBB50_129:
	s_or_b64 exec, exec, s[26:27]
	s_and_b64 s[34:35], s[14:15], s[18:19]
	s_and_saveexec_b64 s[26:27], s[34:35]
	s_cbranch_execnz .LBB50_155
.LBB50_130:
	s_or_b64 exec, exec, s[26:27]
	s_and_b64 s[26:27], s[16:17], s[18:19]
	s_and_saveexec_b64 s[18:19], s[26:27]
	s_cbranch_execnz .LBB50_159
	s_branch .LBB50_163
.LBB50_131:
	s_and_b64 vcc, exec, s[0:1]
	s_cbranch_vccnz .LBB50_133
; %bb.132:
	v_lshl_add_u64 v[40:41], v[0:1], 2, v[38:39]
	flat_load_dword v40, v[40:41]
	s_waitcnt vmcnt(0) lgkmcnt(0)
	v_mul_f32_e32 v40, s28, v40
	s_branch .LBB50_134
.LBB50_133:
	v_mov_b32_e32 v40, 0
.LBB50_134:
	v_add_f32_e32 v34, v34, v35
	v_add_f32_e32 v40, v34, v40
	v_lshl_add_u64 v[34:35], v[0:1], 2, v[36:37]
	flat_store_dword v[34:35], v40
	s_or_b64 exec, exec, s[26:27]
	s_and_b64 s[34:35], s[4:5], s[18:19]
	s_and_saveexec_b64 s[26:27], s[34:35]
	s_cbranch_execz .LBB50_125
.LBB50_135:
	s_and_b64 vcc, exec, s[0:1]
	s_cbranch_vccnz .LBB50_137
; %bb.136:
	v_lshl_add_u64 v[34:35], v[2:3], 2, v[38:39]
	flat_load_dword v34, v[34:35]
	s_waitcnt vmcnt(0) lgkmcnt(0)
	v_mul_f32_e32 v34, s28, v34
	s_branch .LBB50_138
.LBB50_137:
	v_mov_b32_e32 v34, 0
.LBB50_138:
	v_add_f32_e32 v32, v32, v33
	v_add_f32_e32 v34, v32, v34
	v_lshl_add_u64 v[32:33], v[2:3], 2, v[36:37]
	flat_store_dword v[32:33], v34
	s_or_b64 exec, exec, s[26:27]
	s_and_b64 s[34:35], s[6:7], s[18:19]
	s_and_saveexec_b64 s[26:27], s[34:35]
	s_cbranch_execz .LBB50_126
.LBB50_139:
	s_and_b64 vcc, exec, s[0:1]
	s_cbranch_vccnz .LBB50_141
; %bb.140:
	v_lshl_add_u64 v[32:33], v[64:65], 2, v[38:39]
	flat_load_dword v32, v[32:33]
	s_waitcnt vmcnt(0) lgkmcnt(0)
	v_mul_f32_e32 v32, s28, v32
	s_branch .LBB50_142
.LBB50_141:
	v_mov_b32_e32 v32, 0
.LBB50_142:
	v_add_f32_e32 v30, v30, v31
	v_add_f32_e32 v32, v30, v32
	v_lshl_add_u64 v[30:31], v[64:65], 2, v[36:37]
	flat_store_dword v[30:31], v32
	s_or_b64 exec, exec, s[26:27]
	s_and_b64 s[34:35], s[8:9], s[18:19]
	s_and_saveexec_b64 s[26:27], s[34:35]
	s_cbranch_execz .LBB50_127
.LBB50_143:
	s_and_b64 vcc, exec, s[0:1]
	s_cbranch_vccnz .LBB50_145
; %bb.144:
	v_lshl_add_u64 v[30:31], v[62:63], 2, v[38:39]
	flat_load_dword v30, v[30:31]
	s_waitcnt vmcnt(0) lgkmcnt(0)
	v_mul_f32_e32 v30, s28, v30
	s_branch .LBB50_146
.LBB50_145:
	v_mov_b32_e32 v30, 0
.LBB50_146:
	v_add_f32_e32 v28, v28, v29
	v_add_f32_e32 v30, v28, v30
	v_lshl_add_u64 v[28:29], v[62:63], 2, v[36:37]
	flat_store_dword v[28:29], v30
	s_or_b64 exec, exec, s[26:27]
	s_and_b64 s[34:35], s[10:11], s[18:19]
	s_and_saveexec_b64 s[26:27], s[34:35]
	s_cbranch_execz .LBB50_128
.LBB50_147:
	s_and_b64 vcc, exec, s[0:1]
	s_cbranch_vccnz .LBB50_149
; %bb.148:
	v_lshl_add_u64 v[28:29], v[60:61], 2, v[38:39]
	flat_load_dword v28, v[28:29]
	s_waitcnt vmcnt(0) lgkmcnt(0)
	v_mul_f32_e32 v28, s28, v28
	s_branch .LBB50_150
.LBB50_149:
	v_mov_b32_e32 v28, 0
.LBB50_150:
	v_add_f32_e32 v26, v26, v27
	v_add_f32_e32 v28, v26, v28
	v_lshl_add_u64 v[26:27], v[60:61], 2, v[36:37]
	flat_store_dword v[26:27], v28
	s_or_b64 exec, exec, s[26:27]
	s_and_b64 s[34:35], s[12:13], s[18:19]
	s_and_saveexec_b64 s[26:27], s[34:35]
	s_cbranch_execz .LBB50_129
.LBB50_151:
	s_and_b64 vcc, exec, s[0:1]
	s_cbranch_vccnz .LBB50_153
; %bb.152:
	v_lshl_add_u64 v[26:27], v[58:59], 2, v[38:39]
	flat_load_dword v26, v[26:27]
	s_waitcnt vmcnt(0) lgkmcnt(0)
	v_mul_f32_e32 v26, s28, v26
	s_branch .LBB50_154
.LBB50_153:
	v_mov_b32_e32 v26, 0
.LBB50_154:
	v_add_f32_e32 v24, v24, v25
	v_add_f32_e32 v26, v24, v26
	v_lshl_add_u64 v[24:25], v[58:59], 2, v[36:37]
	flat_store_dword v[24:25], v26
	s_or_b64 exec, exec, s[26:27]
	s_and_b64 s[34:35], s[14:15], s[18:19]
	s_and_saveexec_b64 s[26:27], s[34:35]
	s_cbranch_execz .LBB50_130
.LBB50_155:
	s_and_b64 vcc, exec, s[0:1]
	s_cbranch_vccnz .LBB50_157
; %bb.156:
	v_lshl_add_u64 v[24:25], v[56:57], 2, v[38:39]
	flat_load_dword v24, v[24:25]
	s_waitcnt vmcnt(0) lgkmcnt(0)
	v_mul_f32_e32 v24, s28, v24
	s_branch .LBB50_158
.LBB50_157:
	v_mov_b32_e32 v24, 0
.LBB50_158:
	v_add_f32_e32 v22, v22, v23
	v_add_f32_e32 v24, v22, v24
	v_lshl_add_u64 v[22:23], v[56:57], 2, v[36:37]
	flat_store_dword v[22:23], v24
	s_or_b64 exec, exec, s[26:27]
	s_and_b64 s[26:27], s[16:17], s[18:19]
	s_and_saveexec_b64 s[18:19], s[26:27]
	s_cbranch_execz .LBB50_163
.LBB50_159:
	s_and_b64 vcc, exec, s[0:1]
	s_cbranch_vccnz .LBB50_161
; %bb.160:
	v_lshl_add_u64 v[22:23], v[54:55], 2, v[38:39]
	flat_load_dword v22, v[22:23]
	s_waitcnt vmcnt(0) lgkmcnt(0)
	v_mul_f32_e32 v22, s28, v22
	s_branch .LBB50_162
.LBB50_161:
	v_mov_b32_e32 v22, 0
.LBB50_162:
	v_add_f32_e32 v20, v20, v21
	v_add_f32_e32 v22, v20, v22
	v_lshl_add_u64 v[20:21], v[54:55], 2, v[36:37]
	flat_store_dword v[20:21], v22
.LBB50_163:
	s_or_b64 exec, exec, s[18:19]
	v_add_u32_e32 v24, 0x60, v72
	v_cmp_gt_i32_e64 s[18:19], s21, v24
	v_mad_i64_i32 v[20:21], s[20:21], v24, s33, 0
	v_lshl_add_u64 v[22:23], v[20:21], 2, s[24:25]
	v_mad_i64_i32 v[20:21], s[20:21], v24, s31, 0
	v_lshl_add_u64 v[20:21], v[20:21], 2, s[22:23]
	s_and_b64 s[20:21], s[2:3], s[18:19]
	s_and_saveexec_b64 s[2:3], s[20:21]
	s_cbranch_execnz .LBB50_172
; %bb.164:
	s_or_b64 exec, exec, s[2:3]
	s_and_b64 s[4:5], s[4:5], s[18:19]
	s_and_saveexec_b64 s[2:3], s[4:5]
	s_cbranch_execnz .LBB50_176
.LBB50_165:
	s_or_b64 exec, exec, s[2:3]
	s_and_b64 s[4:5], s[6:7], s[18:19]
	s_and_saveexec_b64 s[2:3], s[4:5]
	s_cbranch_execnz .LBB50_180
.LBB50_166:
	s_or_b64 exec, exec, s[2:3]
	s_and_b64 s[4:5], s[8:9], s[18:19]
	s_and_saveexec_b64 s[2:3], s[4:5]
	s_cbranch_execnz .LBB50_184
.LBB50_167:
	s_or_b64 exec, exec, s[2:3]
	s_and_b64 s[4:5], s[10:11], s[18:19]
	s_and_saveexec_b64 s[2:3], s[4:5]
	s_cbranch_execnz .LBB50_188
.LBB50_168:
	s_or_b64 exec, exec, s[2:3]
	s_and_b64 s[4:5], s[12:13], s[18:19]
	s_and_saveexec_b64 s[2:3], s[4:5]
	s_cbranch_execnz .LBB50_192
.LBB50_169:
	s_or_b64 exec, exec, s[2:3]
	s_and_b64 s[4:5], s[14:15], s[18:19]
	s_and_saveexec_b64 s[2:3], s[4:5]
	s_cbranch_execnz .LBB50_196
.LBB50_170:
	s_or_b64 exec, exec, s[2:3]
	s_and_b64 s[2:3], s[16:17], s[18:19]
	s_and_saveexec_b64 s[4:5], s[2:3]
	s_cbranch_execnz .LBB50_200
.LBB50_171:
	s_endpgm
.LBB50_172:
	s_and_b64 vcc, exec, s[0:1]
	s_cbranch_vccnz .LBB50_174
; %bb.173:
	v_lshl_add_u64 v[24:25], v[0:1], 2, v[22:23]
	flat_load_dword v24, v[24:25]
	s_waitcnt vmcnt(0) lgkmcnt(0)
	v_mul_f32_e32 v24, s28, v24
	s_branch .LBB50_175
.LBB50_174:
	v_mov_b32_e32 v24, 0
.LBB50_175:
	v_add_f32_e32 v18, v18, v19
	v_add_f32_e32 v18, v18, v24
	v_lshl_add_u64 v[0:1], v[0:1], 2, v[20:21]
	flat_store_dword v[0:1], v18
	s_or_b64 exec, exec, s[2:3]
	s_and_b64 s[4:5], s[4:5], s[18:19]
	s_and_saveexec_b64 s[2:3], s[4:5]
	s_cbranch_execz .LBB50_165
.LBB50_176:
	s_and_b64 vcc, exec, s[0:1]
	s_cbranch_vccnz .LBB50_178
; %bb.177:
	v_lshl_add_u64 v[0:1], v[2:3], 2, v[22:23]
	flat_load_dword v0, v[0:1]
	s_waitcnt vmcnt(0) lgkmcnt(0)
	v_mul_f32_e32 v0, s28, v0
	s_branch .LBB50_179
.LBB50_178:
	v_mov_b32_e32 v0, 0
.LBB50_179:
	v_add_f32_e32 v1, v16, v17
	v_add_f32_e32 v16, v1, v0
	v_lshl_add_u64 v[0:1], v[2:3], 2, v[20:21]
	flat_store_dword v[0:1], v16
	s_or_b64 exec, exec, s[2:3]
	s_and_b64 s[4:5], s[6:7], s[18:19]
	s_and_saveexec_b64 s[2:3], s[4:5]
	s_cbranch_execz .LBB50_166
.LBB50_180:
	s_and_b64 vcc, exec, s[0:1]
	s_cbranch_vccnz .LBB50_182
; %bb.181:
	v_lshl_add_u64 v[0:1], v[64:65], 2, v[22:23]
	flat_load_dword v0, v[0:1]
	s_waitcnt vmcnt(0) lgkmcnt(0)
	v_mul_f32_e32 v0, s28, v0
	s_branch .LBB50_183
.LBB50_182:
	v_mov_b32_e32 v0, 0
.LBB50_183:
	v_add_f32_e32 v1, v14, v15
	v_add_f32_e32 v2, v1, v0
	v_lshl_add_u64 v[0:1], v[64:65], 2, v[20:21]
	flat_store_dword v[0:1], v2
	s_or_b64 exec, exec, s[2:3]
	s_and_b64 s[4:5], s[8:9], s[18:19]
	s_and_saveexec_b64 s[2:3], s[4:5]
	s_cbranch_execz .LBB50_167
.LBB50_184:
	s_and_b64 vcc, exec, s[0:1]
	s_cbranch_vccnz .LBB50_186
; %bb.185:
	v_lshl_add_u64 v[0:1], v[62:63], 2, v[22:23]
	flat_load_dword v0, v[0:1]
	s_waitcnt vmcnt(0) lgkmcnt(0)
	v_mul_f32_e32 v0, s28, v0
	s_branch .LBB50_187
.LBB50_186:
	v_mov_b32_e32 v0, 0
.LBB50_187:
	v_add_f32_e32 v1, v12, v13
	v_add_f32_e32 v2, v1, v0
	v_lshl_add_u64 v[0:1], v[62:63], 2, v[20:21]
	flat_store_dword v[0:1], v2
	s_or_b64 exec, exec, s[2:3]
	s_and_b64 s[4:5], s[10:11], s[18:19]
	s_and_saveexec_b64 s[2:3], s[4:5]
	s_cbranch_execz .LBB50_168
.LBB50_188:
	s_and_b64 vcc, exec, s[0:1]
	s_cbranch_vccnz .LBB50_190
; %bb.189:
	v_lshl_add_u64 v[0:1], v[60:61], 2, v[22:23]
	flat_load_dword v0, v[0:1]
	s_waitcnt vmcnt(0) lgkmcnt(0)
	v_mul_f32_e32 v0, s28, v0
	s_branch .LBB50_191
.LBB50_190:
	v_mov_b32_e32 v0, 0
.LBB50_191:
	v_add_f32_e32 v1, v10, v11
	v_add_f32_e32 v2, v1, v0
	v_lshl_add_u64 v[0:1], v[60:61], 2, v[20:21]
	flat_store_dword v[0:1], v2
	s_or_b64 exec, exec, s[2:3]
	s_and_b64 s[4:5], s[12:13], s[18:19]
	s_and_saveexec_b64 s[2:3], s[4:5]
	s_cbranch_execz .LBB50_169
.LBB50_192:
	s_and_b64 vcc, exec, s[0:1]
	s_cbranch_vccnz .LBB50_194
; %bb.193:
	v_lshl_add_u64 v[0:1], v[58:59], 2, v[22:23]
	flat_load_dword v0, v[0:1]
	s_waitcnt vmcnt(0) lgkmcnt(0)
	v_mul_f32_e32 v0, s28, v0
	s_branch .LBB50_195
.LBB50_194:
	v_mov_b32_e32 v0, 0
.LBB50_195:
	v_add_f32_e32 v1, v8, v9
	v_add_f32_e32 v2, v1, v0
	v_lshl_add_u64 v[0:1], v[58:59], 2, v[20:21]
	flat_store_dword v[0:1], v2
	s_or_b64 exec, exec, s[2:3]
	s_and_b64 s[4:5], s[14:15], s[18:19]
	s_and_saveexec_b64 s[2:3], s[4:5]
	s_cbranch_execz .LBB50_170
.LBB50_196:
	s_and_b64 vcc, exec, s[0:1]
	s_cbranch_vccnz .LBB50_198
; %bb.197:
	v_lshl_add_u64 v[0:1], v[56:57], 2, v[22:23]
	flat_load_dword v0, v[0:1]
	s_waitcnt vmcnt(0) lgkmcnt(0)
	v_mul_f32_e32 v0, s28, v0
	s_branch .LBB50_199
.LBB50_198:
	v_mov_b32_e32 v0, 0
.LBB50_199:
	v_add_f32_e32 v1, v6, v7
	v_add_f32_e32 v2, v1, v0
	v_lshl_add_u64 v[0:1], v[56:57], 2, v[20:21]
	flat_store_dword v[0:1], v2
	s_or_b64 exec, exec, s[2:3]
	s_and_b64 s[2:3], s[16:17], s[18:19]
	s_and_saveexec_b64 s[4:5], s[2:3]
	s_cbranch_execz .LBB50_171
.LBB50_200:
	s_and_b64 vcc, exec, s[0:1]
	s_cbranch_vccnz .LBB50_202
; %bb.201:
	v_lshl_add_u64 v[0:1], v[54:55], 2, v[22:23]
	flat_load_dword v0, v[0:1]
	s_waitcnt vmcnt(0) lgkmcnt(0)
	v_mul_f32_e32 v0, s28, v0
	s_branch .LBB50_203
.LBB50_202:
	v_mov_b32_e32 v0, 0
.LBB50_203:
	v_add_f32_e32 v1, v4, v5
	v_add_f32_e32 v2, v1, v0
	v_lshl_add_u64 v[0:1], v[54:55], 2, v[20:21]
	flat_store_dword v[0:1], v2
	s_endpgm
	.section	.rodata,"a",@progbits
	.p2align	6, 0x0
	.amdhsa_kernel _ZN12_GLOBAL__N_120geam_min_plus_kernelIf15HIP_vector_typeIfLj2EES2_Li8ELi32ELi64ELi128ELi4ELi4ELi64ELi64ELi4ELc84ELc84ELb0ELb1ELb0EfKPKfKPfEEviiiT16_PT17_ilSA_ilS8_SA_ilPT18_ili26rocblas_geam_ex_operation_
		.amdhsa_group_segment_fixed_size 6144
		.amdhsa_private_segment_fixed_size 0
		.amdhsa_kernarg_size 128
		.amdhsa_user_sgpr_count 2
		.amdhsa_user_sgpr_dispatch_ptr 0
		.amdhsa_user_sgpr_queue_ptr 0
		.amdhsa_user_sgpr_kernarg_segment_ptr 1
		.amdhsa_user_sgpr_dispatch_id 0
		.amdhsa_user_sgpr_kernarg_preload_length 0
		.amdhsa_user_sgpr_kernarg_preload_offset 0
		.amdhsa_user_sgpr_private_segment_size 0
		.amdhsa_uses_dynamic_stack 0
		.amdhsa_enable_private_segment 0
		.amdhsa_system_sgpr_workgroup_id_x 1
		.amdhsa_system_sgpr_workgroup_id_y 0
		.amdhsa_system_sgpr_workgroup_id_z 1
		.amdhsa_system_sgpr_workgroup_info 0
		.amdhsa_system_vgpr_workitem_id 1
		.amdhsa_next_free_vgpr 111
		.amdhsa_next_free_sgpr 38
		.amdhsa_accum_offset 112
		.amdhsa_reserve_vcc 1
		.amdhsa_float_round_mode_32 0
		.amdhsa_float_round_mode_16_64 0
		.amdhsa_float_denorm_mode_32 3
		.amdhsa_float_denorm_mode_16_64 3
		.amdhsa_dx10_clamp 1
		.amdhsa_ieee_mode 1
		.amdhsa_fp16_overflow 0
		.amdhsa_tg_split 0
		.amdhsa_exception_fp_ieee_invalid_op 0
		.amdhsa_exception_fp_denorm_src 0
		.amdhsa_exception_fp_ieee_div_zero 0
		.amdhsa_exception_fp_ieee_overflow 0
		.amdhsa_exception_fp_ieee_underflow 0
		.amdhsa_exception_fp_ieee_inexact 0
		.amdhsa_exception_int_div_zero 0
	.end_amdhsa_kernel
	.section	.text._ZN12_GLOBAL__N_120geam_min_plus_kernelIf15HIP_vector_typeIfLj2EES2_Li8ELi32ELi64ELi128ELi4ELi4ELi64ELi64ELi4ELc84ELc84ELb0ELb1ELb0EfKPKfKPfEEviiiT16_PT17_ilSA_ilS8_SA_ilPT18_ili26rocblas_geam_ex_operation_,"axG",@progbits,_ZN12_GLOBAL__N_120geam_min_plus_kernelIf15HIP_vector_typeIfLj2EES2_Li8ELi32ELi64ELi128ELi4ELi4ELi64ELi64ELi4ELc84ELc84ELb0ELb1ELb0EfKPKfKPfEEviiiT16_PT17_ilSA_ilS8_SA_ilPT18_ili26rocblas_geam_ex_operation_,comdat
.Lfunc_end50:
	.size	_ZN12_GLOBAL__N_120geam_min_plus_kernelIf15HIP_vector_typeIfLj2EES2_Li8ELi32ELi64ELi128ELi4ELi4ELi64ELi64ELi4ELc84ELc84ELb0ELb1ELb0EfKPKfKPfEEviiiT16_PT17_ilSA_ilS8_SA_ilPT18_ili26rocblas_geam_ex_operation_, .Lfunc_end50-_ZN12_GLOBAL__N_120geam_min_plus_kernelIf15HIP_vector_typeIfLj2EES2_Li8ELi32ELi64ELi128ELi4ELi4ELi64ELi64ELi4ELc84ELc84ELb0ELb1ELb0EfKPKfKPfEEviiiT16_PT17_ilSA_ilS8_SA_ilPT18_ili26rocblas_geam_ex_operation_
                                        ; -- End function
	.set _ZN12_GLOBAL__N_120geam_min_plus_kernelIf15HIP_vector_typeIfLj2EES2_Li8ELi32ELi64ELi128ELi4ELi4ELi64ELi64ELi4ELc84ELc84ELb0ELb1ELb0EfKPKfKPfEEviiiT16_PT17_ilSA_ilS8_SA_ilPT18_ili26rocblas_geam_ex_operation_.num_vgpr, 111
	.set _ZN12_GLOBAL__N_120geam_min_plus_kernelIf15HIP_vector_typeIfLj2EES2_Li8ELi32ELi64ELi128ELi4ELi4ELi64ELi64ELi4ELc84ELc84ELb0ELb1ELb0EfKPKfKPfEEviiiT16_PT17_ilSA_ilS8_SA_ilPT18_ili26rocblas_geam_ex_operation_.num_agpr, 0
	.set _ZN12_GLOBAL__N_120geam_min_plus_kernelIf15HIP_vector_typeIfLj2EES2_Li8ELi32ELi64ELi128ELi4ELi4ELi64ELi64ELi4ELc84ELc84ELb0ELb1ELb0EfKPKfKPfEEviiiT16_PT17_ilSA_ilS8_SA_ilPT18_ili26rocblas_geam_ex_operation_.numbered_sgpr, 38
	.set _ZN12_GLOBAL__N_120geam_min_plus_kernelIf15HIP_vector_typeIfLj2EES2_Li8ELi32ELi64ELi128ELi4ELi4ELi64ELi64ELi4ELc84ELc84ELb0ELb1ELb0EfKPKfKPfEEviiiT16_PT17_ilSA_ilS8_SA_ilPT18_ili26rocblas_geam_ex_operation_.num_named_barrier, 0
	.set _ZN12_GLOBAL__N_120geam_min_plus_kernelIf15HIP_vector_typeIfLj2EES2_Li8ELi32ELi64ELi128ELi4ELi4ELi64ELi64ELi4ELc84ELc84ELb0ELb1ELb0EfKPKfKPfEEviiiT16_PT17_ilSA_ilS8_SA_ilPT18_ili26rocblas_geam_ex_operation_.private_seg_size, 0
	.set _ZN12_GLOBAL__N_120geam_min_plus_kernelIf15HIP_vector_typeIfLj2EES2_Li8ELi32ELi64ELi128ELi4ELi4ELi64ELi64ELi4ELc84ELc84ELb0ELb1ELb0EfKPKfKPfEEviiiT16_PT17_ilSA_ilS8_SA_ilPT18_ili26rocblas_geam_ex_operation_.uses_vcc, 1
	.set _ZN12_GLOBAL__N_120geam_min_plus_kernelIf15HIP_vector_typeIfLj2EES2_Li8ELi32ELi64ELi128ELi4ELi4ELi64ELi64ELi4ELc84ELc84ELb0ELb1ELb0EfKPKfKPfEEviiiT16_PT17_ilSA_ilS8_SA_ilPT18_ili26rocblas_geam_ex_operation_.uses_flat_scratch, 0
	.set _ZN12_GLOBAL__N_120geam_min_plus_kernelIf15HIP_vector_typeIfLj2EES2_Li8ELi32ELi64ELi128ELi4ELi4ELi64ELi64ELi4ELc84ELc84ELb0ELb1ELb0EfKPKfKPfEEviiiT16_PT17_ilSA_ilS8_SA_ilPT18_ili26rocblas_geam_ex_operation_.has_dyn_sized_stack, 0
	.set _ZN12_GLOBAL__N_120geam_min_plus_kernelIf15HIP_vector_typeIfLj2EES2_Li8ELi32ELi64ELi128ELi4ELi4ELi64ELi64ELi4ELc84ELc84ELb0ELb1ELb0EfKPKfKPfEEviiiT16_PT17_ilSA_ilS8_SA_ilPT18_ili26rocblas_geam_ex_operation_.has_recursion, 0
	.set _ZN12_GLOBAL__N_120geam_min_plus_kernelIf15HIP_vector_typeIfLj2EES2_Li8ELi32ELi64ELi128ELi4ELi4ELi64ELi64ELi4ELc84ELc84ELb0ELb1ELb0EfKPKfKPfEEviiiT16_PT17_ilSA_ilS8_SA_ilPT18_ili26rocblas_geam_ex_operation_.has_indirect_call, 0
	.section	.AMDGPU.csdata,"",@progbits
; Kernel info:
; codeLenInByte = 7948
; TotalNumSgprs: 44
; NumVgprs: 111
; NumAgprs: 0
; TotalNumVgprs: 111
; ScratchSize: 0
; MemoryBound: 0
; FloatMode: 240
; IeeeMode: 1
; LDSByteSize: 6144 bytes/workgroup (compile time only)
; SGPRBlocks: 5
; VGPRBlocks: 13
; NumSGPRsForWavesPerEU: 44
; NumVGPRsForWavesPerEU: 111
; AccumOffset: 112
; Occupancy: 4
; WaveLimiterHint : 1
; COMPUTE_PGM_RSRC2:SCRATCH_EN: 0
; COMPUTE_PGM_RSRC2:USER_SGPR: 2
; COMPUTE_PGM_RSRC2:TRAP_HANDLER: 0
; COMPUTE_PGM_RSRC2:TGID_X_EN: 1
; COMPUTE_PGM_RSRC2:TGID_Y_EN: 0
; COMPUTE_PGM_RSRC2:TGID_Z_EN: 1
; COMPUTE_PGM_RSRC2:TIDIG_COMP_CNT: 1
; COMPUTE_PGM_RSRC3_GFX90A:ACCUM_OFFSET: 27
; COMPUTE_PGM_RSRC3_GFX90A:TG_SPLIT: 0
	.section	.text._ZN12_GLOBAL__N_120geam_ex_scale_kernelILi32ELi32EffPKfPfEEviiT2_T3_lilT4_lil,"axG",@progbits,_ZN12_GLOBAL__N_120geam_ex_scale_kernelILi32ELi32EffPKfPfEEviiT2_T3_lilT4_lil,comdat
	.globl	_ZN12_GLOBAL__N_120geam_ex_scale_kernelILi32ELi32EffPKfPfEEviiT2_T3_lilT4_lil ; -- Begin function _ZN12_GLOBAL__N_120geam_ex_scale_kernelILi32ELi32EffPKfPfEEviiT2_T3_lilT4_lil
	.p2align	8
	.type	_ZN12_GLOBAL__N_120geam_ex_scale_kernelILi32ELi32EffPKfPfEEviiT2_T3_lilT4_lil,@function
_ZN12_GLOBAL__N_120geam_ex_scale_kernelILi32ELi32EffPKfPfEEviiT2_T3_lilT4_lil: ; @_ZN12_GLOBAL__N_120geam_ex_scale_kernelILi32ELi32EffPKfPfEEviiT2_T3_lilT4_lil
; %bb.0:
	s_load_dwordx4 s[8:11], s[0:1], 0x0
	s_load_dwordx4 s[4:7], s[0:1], 0x28
	s_load_dwordx2 s[12:13], s[0:1], 0x38
	s_waitcnt lgkmcnt(0)
	v_cmp_eq_f32_e64 s[16:17], s10, 0
	s_and_b64 vcc, exec, s[16:17]
	s_cbranch_vccnz .LBB51_2
; %bb.1:
	s_load_dwordx4 s[20:23], s[0:1], 0x10
	s_mul_i32 s5, s5, s3
	s_mul_hi_u32 s11, s4, s3
	s_add_i32 s5, s11, s5
	s_mul_i32 s4, s4, s3
	s_lshl_b64 s[4:5], s[4:5], 2
	s_waitcnt lgkmcnt(0)
	s_add_u32 s11, s20, s4
	s_addc_u32 s15, s21, s5
	s_lshl_b64 s[4:5], s[22:23], 2
	s_add_u32 s14, s11, s4
	s_addc_u32 s15, s15, s5
	s_branch .LBB51_3
.LBB51_2:
	s_mov_b64 s[14:15], 0
.LBB51_3:
	s_add_i32 s4, s8, -1
	s_ashr_i32 s5, s4, 31
	s_lshr_b32 s5, s5, 27
	s_add_i32 s4, s4, s5
	s_ashr_i32 s4, s4, 5
	s_add_i32 s5, s4, 1
	v_cvt_f32_u32_e32 v1, s5
	s_not_b32 s4, s4
	v_and_b32_e32 v2, 0x3ff, v0
	v_bfe_u32 v0, v0, 10, 10
	v_rcp_iflag_f32_e32 v1, v1
	s_nop 0
	v_mul_f32_e32 v1, 0x4f7ffffe, v1
	v_cvt_u32_f32_e32 v1, v1
	s_nop 0
	v_readfirstlane_b32 s11, v1
	s_mul_i32 s4, s4, s11
	s_mul_hi_u32 s4, s11, s4
	s_add_i32 s11, s11, s4
	s_mul_hi_u32 s4, s2, s11
	s_mul_i32 s11, s4, s5
	s_sub_i32 s11, s2, s11
	s_add_i32 s18, s4, 1
	s_sub_i32 s19, s11, s5
	s_cmp_ge_u32 s11, s5
	s_cselect_b32 s4, s18, s4
	s_cselect_b32 s11, s19, s11
	s_add_i32 s18, s4, 1
	s_cmp_ge_u32 s11, s5
	s_cselect_b32 s4, s18, s4
	s_mul_i32 s5, s4, s5
	s_sub_i32 s2, s2, s5
	v_lshl_add_u32 v4, s4, 5, v0
	v_lshl_add_u32 v0, s2, 5, v2
	v_cmp_gt_u32_e32 vcc, s8, v0
	v_cmp_gt_u32_e64 s[4:5], s9, v4
	s_and_b64 s[4:5], vcc, s[4:5]
	s_and_saveexec_b64 s[8:9], s[4:5]
	s_cbranch_execz .LBB51_9
; %bb.4:
	s_andn2_b64 vcc, exec, s[16:17]
	v_mov_b32_e32 v1, 0
	s_cbranch_vccnz .LBB51_6
; %bb.5:
	v_mov_b32_e32 v3, 0
	v_mov_b32_e32 v2, v0
	s_cbranch_execz .LBB51_7
	s_branch .LBB51_8
.LBB51_6:
	v_mov_b64_e32 v[2:3], v[0:1]
.LBB51_7:
	s_load_dword s2, s[0:1], 0x20
	s_waitcnt lgkmcnt(0)
	v_mad_u64_u32 v[6:7], s[4:5], v4, s2, 0
	s_ashr_i32 s8, s2, 31
	v_mov_b32_e32 v8, v7
	v_mad_u64_u32 v[8:9], s[4:5], v4, s8, v[8:9]
	v_mov_b32_e32 v7, v8
	v_lshl_add_u64 v[6:7], v[6:7], 2, s[14:15]
	v_lshl_add_u64 v[0:1], v[0:1], 2, v[6:7]
	global_load_dword v0, v[0:1], off
	s_waitcnt vmcnt(0)
	v_mul_f32_e32 v1, s10, v0
.LBB51_8:
	s_load_dwordx2 s[4:5], s[0:1], 0x48
	s_load_dword s2, s[0:1], 0x40
	s_waitcnt lgkmcnt(0)
	s_mul_i32 s1, s5, s3
	s_mul_hi_u32 s5, s4, s3
	s_mul_i32 s0, s4, s3
	s_add_i32 s1, s5, s1
	s_lshl_b64 s[0:1], s[0:1], 2
	s_add_u32 s3, s6, s0
	s_addc_u32 s4, s7, s1
	s_lshl_b64 s[0:1], s[12:13], 2
	s_add_u32 s0, s3, s0
	s_addc_u32 s1, s4, s1
	s_ashr_i32 s4, s2, 31
	v_mad_u64_u32 v[6:7], s[2:3], v4, s2, 0
	v_mov_b32_e32 v0, v7
	v_mad_u64_u32 v[4:5], s[2:3], v4, s4, v[0:1]
	v_mov_b32_e32 v7, v4
	v_lshl_add_u64 v[4:5], v[6:7], 2, s[0:1]
	v_lshl_add_u64 v[2:3], v[2:3], 2, v[4:5]
	global_store_dword v[2:3], v1, off
.LBB51_9:
	s_endpgm
	.section	.rodata,"a",@progbits
	.p2align	6, 0x0
	.amdhsa_kernel _ZN12_GLOBAL__N_120geam_ex_scale_kernelILi32ELi32EffPKfPfEEviiT2_T3_lilT4_lil
		.amdhsa_group_segment_fixed_size 0
		.amdhsa_private_segment_fixed_size 0
		.amdhsa_kernarg_size 80
		.amdhsa_user_sgpr_count 2
		.amdhsa_user_sgpr_dispatch_ptr 0
		.amdhsa_user_sgpr_queue_ptr 0
		.amdhsa_user_sgpr_kernarg_segment_ptr 1
		.amdhsa_user_sgpr_dispatch_id 0
		.amdhsa_user_sgpr_kernarg_preload_length 0
		.amdhsa_user_sgpr_kernarg_preload_offset 0
		.amdhsa_user_sgpr_private_segment_size 0
		.amdhsa_uses_dynamic_stack 0
		.amdhsa_enable_private_segment 0
		.amdhsa_system_sgpr_workgroup_id_x 1
		.amdhsa_system_sgpr_workgroup_id_y 0
		.amdhsa_system_sgpr_workgroup_id_z 1
		.amdhsa_system_sgpr_workgroup_info 0
		.amdhsa_system_vgpr_workitem_id 1
		.amdhsa_next_free_vgpr 10
		.amdhsa_next_free_sgpr 24
		.amdhsa_accum_offset 12
		.amdhsa_reserve_vcc 1
		.amdhsa_float_round_mode_32 0
		.amdhsa_float_round_mode_16_64 0
		.amdhsa_float_denorm_mode_32 3
		.amdhsa_float_denorm_mode_16_64 3
		.amdhsa_dx10_clamp 1
		.amdhsa_ieee_mode 1
		.amdhsa_fp16_overflow 0
		.amdhsa_tg_split 0
		.amdhsa_exception_fp_ieee_invalid_op 0
		.amdhsa_exception_fp_denorm_src 0
		.amdhsa_exception_fp_ieee_div_zero 0
		.amdhsa_exception_fp_ieee_overflow 0
		.amdhsa_exception_fp_ieee_underflow 0
		.amdhsa_exception_fp_ieee_inexact 0
		.amdhsa_exception_int_div_zero 0
	.end_amdhsa_kernel
	.section	.text._ZN12_GLOBAL__N_120geam_ex_scale_kernelILi32ELi32EffPKfPfEEviiT2_T3_lilT4_lil,"axG",@progbits,_ZN12_GLOBAL__N_120geam_ex_scale_kernelILi32ELi32EffPKfPfEEviiT2_T3_lilT4_lil,comdat
.Lfunc_end51:
	.size	_ZN12_GLOBAL__N_120geam_ex_scale_kernelILi32ELi32EffPKfPfEEviiT2_T3_lilT4_lil, .Lfunc_end51-_ZN12_GLOBAL__N_120geam_ex_scale_kernelILi32ELi32EffPKfPfEEviiT2_T3_lilT4_lil
                                        ; -- End function
	.set _ZN12_GLOBAL__N_120geam_ex_scale_kernelILi32ELi32EffPKfPfEEviiT2_T3_lilT4_lil.num_vgpr, 10
	.set _ZN12_GLOBAL__N_120geam_ex_scale_kernelILi32ELi32EffPKfPfEEviiT2_T3_lilT4_lil.num_agpr, 0
	.set _ZN12_GLOBAL__N_120geam_ex_scale_kernelILi32ELi32EffPKfPfEEviiT2_T3_lilT4_lil.numbered_sgpr, 24
	.set _ZN12_GLOBAL__N_120geam_ex_scale_kernelILi32ELi32EffPKfPfEEviiT2_T3_lilT4_lil.num_named_barrier, 0
	.set _ZN12_GLOBAL__N_120geam_ex_scale_kernelILi32ELi32EffPKfPfEEviiT2_T3_lilT4_lil.private_seg_size, 0
	.set _ZN12_GLOBAL__N_120geam_ex_scale_kernelILi32ELi32EffPKfPfEEviiT2_T3_lilT4_lil.uses_vcc, 1
	.set _ZN12_GLOBAL__N_120geam_ex_scale_kernelILi32ELi32EffPKfPfEEviiT2_T3_lilT4_lil.uses_flat_scratch, 0
	.set _ZN12_GLOBAL__N_120geam_ex_scale_kernelILi32ELi32EffPKfPfEEviiT2_T3_lilT4_lil.has_dyn_sized_stack, 0
	.set _ZN12_GLOBAL__N_120geam_ex_scale_kernelILi32ELi32EffPKfPfEEviiT2_T3_lilT4_lil.has_recursion, 0
	.set _ZN12_GLOBAL__N_120geam_ex_scale_kernelILi32ELi32EffPKfPfEEviiT2_T3_lilT4_lil.has_indirect_call, 0
	.section	.AMDGPU.csdata,"",@progbits
; Kernel info:
; codeLenInByte = 504
; TotalNumSgprs: 30
; NumVgprs: 10
; NumAgprs: 0
; TotalNumVgprs: 10
; ScratchSize: 0
; MemoryBound: 0
; FloatMode: 240
; IeeeMode: 1
; LDSByteSize: 0 bytes/workgroup (compile time only)
; SGPRBlocks: 3
; VGPRBlocks: 1
; NumSGPRsForWavesPerEU: 30
; NumVGPRsForWavesPerEU: 10
; AccumOffset: 12
; Occupancy: 8
; WaveLimiterHint : 0
; COMPUTE_PGM_RSRC2:SCRATCH_EN: 0
; COMPUTE_PGM_RSRC2:USER_SGPR: 2
; COMPUTE_PGM_RSRC2:TRAP_HANDLER: 0
; COMPUTE_PGM_RSRC2:TGID_X_EN: 1
; COMPUTE_PGM_RSRC2:TGID_Y_EN: 0
; COMPUTE_PGM_RSRC2:TGID_Z_EN: 1
; COMPUTE_PGM_RSRC2:TIDIG_COMP_CNT: 1
; COMPUTE_PGM_RSRC3_GFX90A:ACCUM_OFFSET: 2
; COMPUTE_PGM_RSRC3_GFX90A:TG_SPLIT: 0
	.section	.text._ZN12_GLOBAL__N_120geam_ex_scale_kernelILi32ELi32EfPKfS2_PfEEviiT2_T3_lilT4_lil,"axG",@progbits,_ZN12_GLOBAL__N_120geam_ex_scale_kernelILi32ELi32EfPKfS2_PfEEviiT2_T3_lilT4_lil,comdat
	.globl	_ZN12_GLOBAL__N_120geam_ex_scale_kernelILi32ELi32EfPKfS2_PfEEviiT2_T3_lilT4_lil ; -- Begin function _ZN12_GLOBAL__N_120geam_ex_scale_kernelILi32ELi32EfPKfS2_PfEEviiT2_T3_lilT4_lil
	.p2align	8
	.type	_ZN12_GLOBAL__N_120geam_ex_scale_kernelILi32ELi32EfPKfS2_PfEEviiT2_T3_lilT4_lil,@function
_ZN12_GLOBAL__N_120geam_ex_scale_kernelILi32ELi32EfPKfS2_PfEEviiT2_T3_lilT4_lil: ; @_ZN12_GLOBAL__N_120geam_ex_scale_kernelILi32ELi32EfPKfS2_PfEEviiT2_T3_lilT4_lil
; %bb.0:
	s_load_dwordx4 s[8:11], s[0:1], 0x8
	s_load_dwordx4 s[4:7], s[0:1], 0x28
	s_waitcnt lgkmcnt(0)
	s_load_dword s16, s[8:9], 0x0
	s_load_dwordx2 s[12:13], s[0:1], 0x38
	s_waitcnt lgkmcnt(0)
	v_cmp_eq_f32_e64 s[14:15], s16, 0
	s_and_b64 vcc, exec, s[14:15]
	s_cbranch_vccnz .LBB52_2
; %bb.1:
	s_load_dwordx2 s[8:9], s[0:1], 0x18
	s_mul_i32 s5, s5, s3
	s_mul_hi_u32 s17, s4, s3
	s_add_i32 s5, s17, s5
	s_mul_i32 s4, s4, s3
	s_lshl_b64 s[4:5], s[4:5], 2
	s_add_u32 s10, s10, s4
	s_addc_u32 s11, s11, s5
	s_waitcnt lgkmcnt(0)
	s_lshl_b64 s[4:5], s[8:9], 2
	s_add_u32 s8, s10, s4
	s_addc_u32 s9, s11, s5
	s_branch .LBB52_3
.LBB52_2:
	s_mov_b64 s[8:9], 0
.LBB52_3:
	s_load_dwordx2 s[4:5], s[0:1], 0x0
	v_and_b32_e32 v2, 0x3ff, v0
	v_bfe_u32 v0, v0, 10, 10
	s_waitcnt lgkmcnt(0)
	s_add_i32 s10, s4, -1
	s_ashr_i32 s11, s10, 31
	s_lshr_b32 s11, s11, 27
	s_add_i32 s10, s10, s11
	s_ashr_i32 s10, s10, 5
	s_add_i32 s11, s10, 1
	v_cvt_f32_u32_e32 v1, s11
	s_not_b32 s10, s10
	v_rcp_iflag_f32_e32 v1, v1
	s_nop 0
	v_mul_f32_e32 v1, 0x4f7ffffe, v1
	v_cvt_u32_f32_e32 v1, v1
	s_nop 0
	v_readfirstlane_b32 s17, v1
	s_mul_i32 s10, s10, s17
	s_mul_hi_u32 s10, s17, s10
	s_add_i32 s17, s17, s10
	s_mul_hi_u32 s10, s2, s17
	s_mul_i32 s17, s10, s11
	s_sub_i32 s17, s2, s17
	s_add_i32 s18, s10, 1
	s_sub_i32 s19, s17, s11
	s_cmp_ge_u32 s17, s11
	s_cselect_b32 s10, s18, s10
	s_cselect_b32 s17, s19, s17
	s_add_i32 s18, s10, 1
	s_cmp_ge_u32 s17, s11
	s_cselect_b32 s10, s18, s10
	s_mul_i32 s11, s10, s11
	s_sub_i32 s2, s2, s11
	v_lshl_add_u32 v4, s10, 5, v0
	v_lshl_add_u32 v0, s2, 5, v2
	v_cmp_gt_u32_e32 vcc, s4, v0
	v_cmp_gt_u32_e64 s[4:5], s5, v4
	s_and_b64 s[4:5], vcc, s[4:5]
	s_and_saveexec_b64 s[10:11], s[4:5]
	s_cbranch_execz .LBB52_9
; %bb.4:
	s_andn2_b64 vcc, exec, s[14:15]
	v_mov_b32_e32 v1, 0
	s_cbranch_vccnz .LBB52_6
; %bb.5:
	v_mov_b32_e32 v3, 0
	v_mov_b32_e32 v2, v0
	s_cbranch_execz .LBB52_7
	s_branch .LBB52_8
.LBB52_6:
	v_mov_b64_e32 v[2:3], v[0:1]
.LBB52_7:
	s_load_dword s2, s[0:1], 0x20
	s_waitcnt lgkmcnt(0)
	v_mad_u64_u32 v[6:7], s[4:5], v4, s2, 0
	s_ashr_i32 s10, s2, 31
	v_mov_b32_e32 v8, v7
	v_mad_u64_u32 v[8:9], s[4:5], v4, s10, v[8:9]
	v_mov_b32_e32 v7, v8
	v_lshl_add_u64 v[6:7], v[6:7], 2, s[8:9]
	v_lshl_add_u64 v[0:1], v[0:1], 2, v[6:7]
	global_load_dword v0, v[0:1], off
	s_waitcnt vmcnt(0)
	v_mul_f32_e32 v1, s16, v0
.LBB52_8:
	s_load_dwordx2 s[4:5], s[0:1], 0x48
	s_load_dword s2, s[0:1], 0x40
	s_waitcnt lgkmcnt(0)
	s_mul_i32 s1, s5, s3
	s_mul_hi_u32 s5, s4, s3
	s_mul_i32 s0, s4, s3
	s_add_i32 s1, s5, s1
	s_lshl_b64 s[0:1], s[0:1], 2
	s_add_u32 s3, s6, s0
	s_addc_u32 s4, s7, s1
	s_lshl_b64 s[0:1], s[12:13], 2
	s_add_u32 s0, s3, s0
	s_addc_u32 s1, s4, s1
	s_ashr_i32 s4, s2, 31
	v_mad_u64_u32 v[6:7], s[2:3], v4, s2, 0
	v_mov_b32_e32 v0, v7
	v_mad_u64_u32 v[4:5], s[2:3], v4, s4, v[0:1]
	v_mov_b32_e32 v7, v4
	v_lshl_add_u64 v[4:5], v[6:7], 2, s[0:1]
	v_lshl_add_u64 v[2:3], v[2:3], 2, v[4:5]
	global_store_dword v[2:3], v1, off
.LBB52_9:
	s_endpgm
	.section	.rodata,"a",@progbits
	.p2align	6, 0x0
	.amdhsa_kernel _ZN12_GLOBAL__N_120geam_ex_scale_kernelILi32ELi32EfPKfS2_PfEEviiT2_T3_lilT4_lil
		.amdhsa_group_segment_fixed_size 0
		.amdhsa_private_segment_fixed_size 0
		.amdhsa_kernarg_size 80
		.amdhsa_user_sgpr_count 2
		.amdhsa_user_sgpr_dispatch_ptr 0
		.amdhsa_user_sgpr_queue_ptr 0
		.amdhsa_user_sgpr_kernarg_segment_ptr 1
		.amdhsa_user_sgpr_dispatch_id 0
		.amdhsa_user_sgpr_kernarg_preload_length 0
		.amdhsa_user_sgpr_kernarg_preload_offset 0
		.amdhsa_user_sgpr_private_segment_size 0
		.amdhsa_uses_dynamic_stack 0
		.amdhsa_enable_private_segment 0
		.amdhsa_system_sgpr_workgroup_id_x 1
		.amdhsa_system_sgpr_workgroup_id_y 0
		.amdhsa_system_sgpr_workgroup_id_z 1
		.amdhsa_system_sgpr_workgroup_info 0
		.amdhsa_system_vgpr_workitem_id 1
		.amdhsa_next_free_vgpr 10
		.amdhsa_next_free_sgpr 20
		.amdhsa_accum_offset 12
		.amdhsa_reserve_vcc 1
		.amdhsa_float_round_mode_32 0
		.amdhsa_float_round_mode_16_64 0
		.amdhsa_float_denorm_mode_32 3
		.amdhsa_float_denorm_mode_16_64 3
		.amdhsa_dx10_clamp 1
		.amdhsa_ieee_mode 1
		.amdhsa_fp16_overflow 0
		.amdhsa_tg_split 0
		.amdhsa_exception_fp_ieee_invalid_op 0
		.amdhsa_exception_fp_denorm_src 0
		.amdhsa_exception_fp_ieee_div_zero 0
		.amdhsa_exception_fp_ieee_overflow 0
		.amdhsa_exception_fp_ieee_underflow 0
		.amdhsa_exception_fp_ieee_inexact 0
		.amdhsa_exception_int_div_zero 0
	.end_amdhsa_kernel
	.section	.text._ZN12_GLOBAL__N_120geam_ex_scale_kernelILi32ELi32EfPKfS2_PfEEviiT2_T3_lilT4_lil,"axG",@progbits,_ZN12_GLOBAL__N_120geam_ex_scale_kernelILi32ELi32EfPKfS2_PfEEviiT2_T3_lilT4_lil,comdat
.Lfunc_end52:
	.size	_ZN12_GLOBAL__N_120geam_ex_scale_kernelILi32ELi32EfPKfS2_PfEEviiT2_T3_lilT4_lil, .Lfunc_end52-_ZN12_GLOBAL__N_120geam_ex_scale_kernelILi32ELi32EfPKfS2_PfEEviiT2_T3_lilT4_lil
                                        ; -- End function
	.set _ZN12_GLOBAL__N_120geam_ex_scale_kernelILi32ELi32EfPKfS2_PfEEviiT2_T3_lilT4_lil.num_vgpr, 10
	.set _ZN12_GLOBAL__N_120geam_ex_scale_kernelILi32ELi32EfPKfS2_PfEEviiT2_T3_lilT4_lil.num_agpr, 0
	.set _ZN12_GLOBAL__N_120geam_ex_scale_kernelILi32ELi32EfPKfS2_PfEEviiT2_T3_lilT4_lil.numbered_sgpr, 20
	.set _ZN12_GLOBAL__N_120geam_ex_scale_kernelILi32ELi32EfPKfS2_PfEEviiT2_T3_lilT4_lil.num_named_barrier, 0
	.set _ZN12_GLOBAL__N_120geam_ex_scale_kernelILi32ELi32EfPKfS2_PfEEviiT2_T3_lilT4_lil.private_seg_size, 0
	.set _ZN12_GLOBAL__N_120geam_ex_scale_kernelILi32ELi32EfPKfS2_PfEEviiT2_T3_lilT4_lil.uses_vcc, 1
	.set _ZN12_GLOBAL__N_120geam_ex_scale_kernelILi32ELi32EfPKfS2_PfEEviiT2_T3_lilT4_lil.uses_flat_scratch, 0
	.set _ZN12_GLOBAL__N_120geam_ex_scale_kernelILi32ELi32EfPKfS2_PfEEviiT2_T3_lilT4_lil.has_dyn_sized_stack, 0
	.set _ZN12_GLOBAL__N_120geam_ex_scale_kernelILi32ELi32EfPKfS2_PfEEviiT2_T3_lilT4_lil.has_recursion, 0
	.set _ZN12_GLOBAL__N_120geam_ex_scale_kernelILi32ELi32EfPKfS2_PfEEviiT2_T3_lilT4_lil.has_indirect_call, 0
	.section	.AMDGPU.csdata,"",@progbits
; Kernel info:
; codeLenInByte = 528
; TotalNumSgprs: 26
; NumVgprs: 10
; NumAgprs: 0
; TotalNumVgprs: 10
; ScratchSize: 0
; MemoryBound: 0
; FloatMode: 240
; IeeeMode: 1
; LDSByteSize: 0 bytes/workgroup (compile time only)
; SGPRBlocks: 3
; VGPRBlocks: 1
; NumSGPRsForWavesPerEU: 26
; NumVGPRsForWavesPerEU: 10
; AccumOffset: 12
; Occupancy: 8
; WaveLimiterHint : 0
; COMPUTE_PGM_RSRC2:SCRATCH_EN: 0
; COMPUTE_PGM_RSRC2:USER_SGPR: 2
; COMPUTE_PGM_RSRC2:TRAP_HANDLER: 0
; COMPUTE_PGM_RSRC2:TGID_X_EN: 1
; COMPUTE_PGM_RSRC2:TGID_Y_EN: 0
; COMPUTE_PGM_RSRC2:TGID_Z_EN: 1
; COMPUTE_PGM_RSRC2:TIDIG_COMP_CNT: 1
; COMPUTE_PGM_RSRC3_GFX90A:ACCUM_OFFSET: 2
; COMPUTE_PGM_RSRC3_GFX90A:TG_SPLIT: 0
	.section	.text._ZN12_GLOBAL__N_120geam_ex_round_kernelILi32ELi32EffPKfPfEEviiT2_T3_lilT4_lil,"axG",@progbits,_ZN12_GLOBAL__N_120geam_ex_round_kernelILi32ELi32EffPKfPfEEviiT2_T3_lilT4_lil,comdat
	.globl	_ZN12_GLOBAL__N_120geam_ex_round_kernelILi32ELi32EffPKfPfEEviiT2_T3_lilT4_lil ; -- Begin function _ZN12_GLOBAL__N_120geam_ex_round_kernelILi32ELi32EffPKfPfEEviiT2_T3_lilT4_lil
	.p2align	8
	.type	_ZN12_GLOBAL__N_120geam_ex_round_kernelILi32ELi32EffPKfPfEEviiT2_T3_lilT4_lil,@function
_ZN12_GLOBAL__N_120geam_ex_round_kernelILi32ELi32EffPKfPfEEviiT2_T3_lilT4_lil: ; @_ZN12_GLOBAL__N_120geam_ex_round_kernelILi32ELi32EffPKfPfEEviiT2_T3_lilT4_lil
; %bb.0:
	s_load_dwordx4 s[8:11], s[0:1], 0x0
	s_load_dwordx4 s[4:7], s[0:1], 0x28
	s_load_dwordx2 s[12:13], s[0:1], 0x38
	s_waitcnt lgkmcnt(0)
	v_cmp_eq_f32_e64 s[16:17], s10, 0
	s_and_b64 vcc, exec, s[16:17]
	s_cbranch_vccnz .LBB53_2
; %bb.1:
	s_load_dwordx4 s[20:23], s[0:1], 0x10
	s_mul_i32 s5, s5, s3
	s_mul_hi_u32 s11, s4, s3
	s_add_i32 s5, s11, s5
	s_mul_i32 s4, s4, s3
	s_lshl_b64 s[4:5], s[4:5], 2
	s_waitcnt lgkmcnt(0)
	s_add_u32 s11, s20, s4
	s_addc_u32 s15, s21, s5
	s_lshl_b64 s[4:5], s[22:23], 2
	s_add_u32 s14, s11, s4
	s_addc_u32 s15, s15, s5
	s_branch .LBB53_3
.LBB53_2:
	s_mov_b64 s[14:15], 0
.LBB53_3:
	s_add_i32 s4, s8, -1
	s_ashr_i32 s5, s4, 31
	s_lshr_b32 s5, s5, 27
	s_add_i32 s4, s4, s5
	s_ashr_i32 s4, s4, 5
	s_add_i32 s5, s4, 1
	v_cvt_f32_u32_e32 v1, s5
	s_not_b32 s4, s4
	v_and_b32_e32 v3, 0x3ff, v0
	v_bfe_u32 v0, v0, 10, 10
	v_rcp_iflag_f32_e32 v1, v1
	s_nop 0
	v_mul_f32_e32 v1, 0x4f7ffffe, v1
	v_cvt_u32_f32_e32 v1, v1
	s_nop 0
	v_readfirstlane_b32 s11, v1
	s_mul_i32 s4, s4, s11
	s_mul_hi_u32 s4, s11, s4
	s_add_i32 s11, s11, s4
	s_mul_hi_u32 s4, s2, s11
	s_mul_i32 s11, s4, s5
	s_sub_i32 s11, s2, s11
	s_add_i32 s18, s4, 1
	s_sub_i32 s19, s11, s5
	s_cmp_ge_u32 s11, s5
	s_cselect_b32 s4, s18, s4
	s_cselect_b32 s11, s19, s11
	s_add_i32 s18, s4, 1
	s_cmp_ge_u32 s11, s5
	s_cselect_b32 s4, s18, s4
	s_mul_i32 s5, s4, s5
	s_sub_i32 s2, s2, s5
	v_lshl_add_u32 v2, s4, 5, v0
	v_lshl_add_u32 v0, s2, 5, v3
	v_cmp_gt_u32_e32 vcc, s8, v0
	v_cmp_gt_u32_e64 s[4:5], s9, v2
	s_and_b64 s[4:5], vcc, s[4:5]
	s_and_saveexec_b64 s[8:9], s[4:5]
	s_cbranch_execz .LBB53_9
; %bb.4:
	s_andn2_b64 vcc, exec, s[16:17]
	v_mov_b32_e32 v1, 0
	s_cbranch_vccnz .LBB53_6
; %bb.5:
	v_mov_b32_e32 v5, 0
	v_mov_b32_e32 v4, v0
	s_cbranch_execz .LBB53_7
	s_branch .LBB53_8
.LBB53_6:
	v_mov_b64_e32 v[4:5], v[0:1]
.LBB53_7:
	s_load_dword s2, s[0:1], 0x20
	s_waitcnt lgkmcnt(0)
	v_mad_u64_u32 v[6:7], s[4:5], v2, s2, 0
	s_ashr_i32 s8, s2, 31
	v_mov_b32_e32 v8, v7
	v_mad_u64_u32 v[8:9], s[4:5], v2, s8, v[8:9]
	v_mov_b32_e32 v7, v8
	v_lshl_add_u64 v[6:7], v[6:7], 2, s[14:15]
	v_lshl_add_u64 v[0:1], v[0:1], 2, v[6:7]
	global_load_dword v0, v[0:1], off
	s_waitcnt vmcnt(0)
	v_mul_f32_e32 v1, s10, v0
.LBB53_8:
	s_load_dwordx2 s[4:5], s[0:1], 0x48
	s_load_dword s2, s[0:1], 0x40
	v_cmp_nlt_f32_e32 vcc, 0, v1
	s_waitcnt lgkmcnt(0)
	s_mul_i32 s1, s5, s3
	s_mul_hi_u32 s5, s4, s3
	s_mul_i32 s0, s4, s3
	s_add_i32 s1, s5, s1
	s_lshl_b64 s[0:1], s[0:1], 2
	s_add_u32 s3, s6, s0
	s_addc_u32 s4, s7, s1
	s_lshl_b64 s[0:1], s[12:13], 2
	s_add_u32 s0, s3, s0
	s_addc_u32 s1, s4, s1
	s_ashr_i32 s4, s2, 31
	v_mad_u64_u32 v[6:7], s[2:3], v2, s2, 0
	v_mov_b32_e32 v0, v7
	v_mad_u64_u32 v[2:3], s[2:3], v2, s4, v[0:1]
	v_mov_b32_e32 v7, v2
	v_lshl_add_u64 v[2:3], v[6:7], 2, s[0:1]
	v_lshl_add_u64 v[2:3], v[4:5], 2, v[2:3]
	v_cndmask_b32_e32 v0, 0, v1, vcc
	global_store_dword v[2:3], v0, off
.LBB53_9:
	s_endpgm
	.section	.rodata,"a",@progbits
	.p2align	6, 0x0
	.amdhsa_kernel _ZN12_GLOBAL__N_120geam_ex_round_kernelILi32ELi32EffPKfPfEEviiT2_T3_lilT4_lil
		.amdhsa_group_segment_fixed_size 0
		.amdhsa_private_segment_fixed_size 0
		.amdhsa_kernarg_size 80
		.amdhsa_user_sgpr_count 2
		.amdhsa_user_sgpr_dispatch_ptr 0
		.amdhsa_user_sgpr_queue_ptr 0
		.amdhsa_user_sgpr_kernarg_segment_ptr 1
		.amdhsa_user_sgpr_dispatch_id 0
		.amdhsa_user_sgpr_kernarg_preload_length 0
		.amdhsa_user_sgpr_kernarg_preload_offset 0
		.amdhsa_user_sgpr_private_segment_size 0
		.amdhsa_uses_dynamic_stack 0
		.amdhsa_enable_private_segment 0
		.amdhsa_system_sgpr_workgroup_id_x 1
		.amdhsa_system_sgpr_workgroup_id_y 0
		.amdhsa_system_sgpr_workgroup_id_z 1
		.amdhsa_system_sgpr_workgroup_info 0
		.amdhsa_system_vgpr_workitem_id 1
		.amdhsa_next_free_vgpr 10
		.amdhsa_next_free_sgpr 24
		.amdhsa_accum_offset 12
		.amdhsa_reserve_vcc 1
		.amdhsa_float_round_mode_32 0
		.amdhsa_float_round_mode_16_64 0
		.amdhsa_float_denorm_mode_32 3
		.amdhsa_float_denorm_mode_16_64 3
		.amdhsa_dx10_clamp 1
		.amdhsa_ieee_mode 1
		.amdhsa_fp16_overflow 0
		.amdhsa_tg_split 0
		.amdhsa_exception_fp_ieee_invalid_op 0
		.amdhsa_exception_fp_denorm_src 0
		.amdhsa_exception_fp_ieee_div_zero 0
		.amdhsa_exception_fp_ieee_overflow 0
		.amdhsa_exception_fp_ieee_underflow 0
		.amdhsa_exception_fp_ieee_inexact 0
		.amdhsa_exception_int_div_zero 0
	.end_amdhsa_kernel
	.section	.text._ZN12_GLOBAL__N_120geam_ex_round_kernelILi32ELi32EffPKfPfEEviiT2_T3_lilT4_lil,"axG",@progbits,_ZN12_GLOBAL__N_120geam_ex_round_kernelILi32ELi32EffPKfPfEEviiT2_T3_lilT4_lil,comdat
.Lfunc_end53:
	.size	_ZN12_GLOBAL__N_120geam_ex_round_kernelILi32ELi32EffPKfPfEEviiT2_T3_lilT4_lil, .Lfunc_end53-_ZN12_GLOBAL__N_120geam_ex_round_kernelILi32ELi32EffPKfPfEEviiT2_T3_lilT4_lil
                                        ; -- End function
	.set _ZN12_GLOBAL__N_120geam_ex_round_kernelILi32ELi32EffPKfPfEEviiT2_T3_lilT4_lil.num_vgpr, 10
	.set _ZN12_GLOBAL__N_120geam_ex_round_kernelILi32ELi32EffPKfPfEEviiT2_T3_lilT4_lil.num_agpr, 0
	.set _ZN12_GLOBAL__N_120geam_ex_round_kernelILi32ELi32EffPKfPfEEviiT2_T3_lilT4_lil.numbered_sgpr, 24
	.set _ZN12_GLOBAL__N_120geam_ex_round_kernelILi32ELi32EffPKfPfEEviiT2_T3_lilT4_lil.num_named_barrier, 0
	.set _ZN12_GLOBAL__N_120geam_ex_round_kernelILi32ELi32EffPKfPfEEviiT2_T3_lilT4_lil.private_seg_size, 0
	.set _ZN12_GLOBAL__N_120geam_ex_round_kernelILi32ELi32EffPKfPfEEviiT2_T3_lilT4_lil.uses_vcc, 1
	.set _ZN12_GLOBAL__N_120geam_ex_round_kernelILi32ELi32EffPKfPfEEviiT2_T3_lilT4_lil.uses_flat_scratch, 0
	.set _ZN12_GLOBAL__N_120geam_ex_round_kernelILi32ELi32EffPKfPfEEviiT2_T3_lilT4_lil.has_dyn_sized_stack, 0
	.set _ZN12_GLOBAL__N_120geam_ex_round_kernelILi32ELi32EffPKfPfEEviiT2_T3_lilT4_lil.has_recursion, 0
	.set _ZN12_GLOBAL__N_120geam_ex_round_kernelILi32ELi32EffPKfPfEEviiT2_T3_lilT4_lil.has_indirect_call, 0
	.section	.AMDGPU.csdata,"",@progbits
; Kernel info:
; codeLenInByte = 512
; TotalNumSgprs: 30
; NumVgprs: 10
; NumAgprs: 0
; TotalNumVgprs: 10
; ScratchSize: 0
; MemoryBound: 0
; FloatMode: 240
; IeeeMode: 1
; LDSByteSize: 0 bytes/workgroup (compile time only)
; SGPRBlocks: 3
; VGPRBlocks: 1
; NumSGPRsForWavesPerEU: 30
; NumVGPRsForWavesPerEU: 10
; AccumOffset: 12
; Occupancy: 8
; WaveLimiterHint : 0
; COMPUTE_PGM_RSRC2:SCRATCH_EN: 0
; COMPUTE_PGM_RSRC2:USER_SGPR: 2
; COMPUTE_PGM_RSRC2:TRAP_HANDLER: 0
; COMPUTE_PGM_RSRC2:TGID_X_EN: 1
; COMPUTE_PGM_RSRC2:TGID_Y_EN: 0
; COMPUTE_PGM_RSRC2:TGID_Z_EN: 1
; COMPUTE_PGM_RSRC2:TIDIG_COMP_CNT: 1
; COMPUTE_PGM_RSRC3_GFX90A:ACCUM_OFFSET: 2
; COMPUTE_PGM_RSRC3_GFX90A:TG_SPLIT: 0
	.section	.text._ZN12_GLOBAL__N_120geam_min_plus_kernelIf15HIP_vector_typeIfLj2EEfLi32ELi8ELi256ELi64ELi4ELi64ELi4ELi4ELi64ELc78ELc78ELb0ELb0ELb1EPKfS3_fEEviiiT16_PT17_ilS7_ilS5_S7_ilPT18_ili26rocblas_geam_ex_operation_,"axG",@progbits,_ZN12_GLOBAL__N_120geam_min_plus_kernelIf15HIP_vector_typeIfLj2EEfLi32ELi8ELi256ELi64ELi4ELi64ELi4ELi4ELi64ELc78ELc78ELb0ELb0ELb1EPKfS3_fEEviiiT16_PT17_ilS7_ilS5_S7_ilPT18_ili26rocblas_geam_ex_operation_,comdat
	.globl	_ZN12_GLOBAL__N_120geam_min_plus_kernelIf15HIP_vector_typeIfLj2EEfLi32ELi8ELi256ELi64ELi4ELi64ELi4ELi4ELi64ELc78ELc78ELb0ELb0ELb1EPKfS3_fEEviiiT16_PT17_ilS7_ilS5_S7_ilPT18_ili26rocblas_geam_ex_operation_ ; -- Begin function _ZN12_GLOBAL__N_120geam_min_plus_kernelIf15HIP_vector_typeIfLj2EEfLi32ELi8ELi256ELi64ELi4ELi64ELi4ELi4ELi64ELc78ELc78ELb0ELb0ELb1EPKfS3_fEEviiiT16_PT17_ilS7_ilS5_S7_ilPT18_ili26rocblas_geam_ex_operation_
	.p2align	8
	.type	_ZN12_GLOBAL__N_120geam_min_plus_kernelIf15HIP_vector_typeIfLj2EEfLi32ELi8ELi256ELi64ELi4ELi64ELi4ELi4ELi64ELc78ELc78ELb0ELb0ELb1EPKfS3_fEEviiiT16_PT17_ilS7_ilS5_S7_ilPT18_ili26rocblas_geam_ex_operation_,@function
_ZN12_GLOBAL__N_120geam_min_plus_kernelIf15HIP_vector_typeIfLj2EEfLi32ELi8ELi256ELi64ELi4ELi64ELi4ELi4ELi64ELc78ELc78ELb0ELb0ELb1EPKfS3_fEEviiiT16_PT17_ilS7_ilS5_S7_ilPT18_ili26rocblas_geam_ex_operation_: ; @_ZN12_GLOBAL__N_120geam_min_plus_kernelIf15HIP_vector_typeIfLj2EEfLi32ELi8ELi256ELi64ELi4ELi64ELi4ELi4ELi64ELc78ELc78ELb0ELb0ELb1EPKfS3_fEEviiiT16_PT17_ilS7_ilS5_S7_ilPT18_ili26rocblas_geam_ex_operation_
; %bb.0:
	s_load_dwordx4 s[4:7], s[0:1], 0x10
	s_load_dwordx4 s[8:11], s[0:1], 0x28
	;; [unrolled: 1-line block ×3, first 2 shown]
	s_mov_b32 s16, s3
	s_mov_b32 s17, 0
	s_lshl_b64 s[18:19], s[16:17], 2
	s_waitcnt lgkmcnt(0)
	s_add_u32 s4, s4, s18
	s_addc_u32 s5, s5, s19
	s_load_dword s26, s[4:5], 0x0
	s_load_dwordx2 s[22:23], s[0:1], 0x50
	s_add_u32 s14, s14, s18
	s_addc_u32 s15, s15, s19
	s_mov_b64 s[20:21], 0
	s_waitcnt lgkmcnt(0)
	v_cmp_eq_f32_e64 s[4:5], s26, 0
	s_and_b64 s[4:5], exec, s[4:5]
	v_cmp_neq_f32_e64 s[24:25], s26, 0
	s_mov_b64 s[18:19], 0
	s_mov_b64 vcc, s[4:5]
	s_cbranch_vccnz .LBB54_2
; %bb.1:
	s_mul_i32 s3, s9, s16
	s_mul_hi_u32 s9, s8, s16
	s_add_i32 s9, s9, s3
	s_mul_i32 s8, s8, s16
	s_lshl_b64 s[8:9], s[8:9], 2
	s_add_u32 s18, s6, s8
	s_addc_u32 s19, s7, s9
.LBB54_2:
	s_load_dword s17, s[14:15], 0x0
	v_cndmask_b32_e64 v1, 0, 1, s[24:25]
	v_cmp_ne_u32_e64 s[6:7], 1, v1
	s_andn2_b64 vcc, exec, s[24:25]
	s_cbranch_vccnz .LBB54_4
; %bb.3:
	s_mul_i32 s3, s13, s16
	s_mul_hi_u32 s8, s12, s16
	s_add_i32 s9, s8, s3
	s_mul_i32 s8, s12, s16
	s_lshl_b64 s[8:9], s[8:9], 2
	s_add_u32 s20, s10, s8
	s_addc_u32 s21, s11, s9
.LBB54_4:
	s_load_dwordx4 s[12:15], s[0:1], 0x60
	s_waitcnt lgkmcnt(0)
	v_cmp_eq_f32_e64 s[8:9], s17, 0
	s_and_b64 s[8:9], exec, s[8:9]
	s_mov_b64 vcc, s[8:9]
	s_cbranch_vccnz .LBB54_6
; %bb.5:
	s_mul_i32 s3, s13, s16
	s_mul_hi_u32 s10, s12, s16
	s_add_i32 s11, s10, s3
	s_mul_i32 s10, s12, s16
	s_lshl_b64 s[10:11], s[10:11], 2
	s_add_u32 s10, s22, s10
	s_addc_u32 s11, s23, s11
	s_branch .LBB54_7
.LBB54_6:
	s_mov_b64 s[10:11], 0
.LBB54_7:
	s_load_dword s3, s[0:1], 0x0
	s_load_dword s12, s[0:1], 0x20
	v_and_b32_e32 v78, 0x3ff, v0
	v_bfe_u32 v79, v0, 10, 10
	v_lshl_add_u32 v2, v79, 5, v78
	s_waitcnt lgkmcnt(0)
	s_add_i32 s3, s3, -1
	s_ashr_i32 s13, s3, 31
	s_lshr_b32 s13, s13, 24
	s_add_i32 s3, s3, s13
	s_ashr_i32 s3, s3, 8
	s_add_i32 s13, s3, 1
	v_cvt_f32_u32_e32 v1, s13
	v_lshrrev_b32_e32 v46, 6, v2
	s_not_b32 s3, s3
	v_and_b32_e32 v47, 63, v2
	v_rcp_iflag_f32_e32 v0, v1
	v_mov_b32_e32 v3, 0
	v_mul_f32_e32 v0, 0x4f7ffffe, v0
	v_cvt_u32_f32_e32 v4, v0
	v_mad_i64_i32 v[0:1], s[22:23], s12, v46, 0
	v_lshl_add_u64 v[0:1], v[0:1], 2, s[18:19]
	v_readfirstlane_b32 s22, v4
	s_mul_i32 s3, s3, s22
	s_mul_hi_u32 s3, s22, s3
	s_add_i32 s22, s22, s3
	s_mul_hi_u32 s3, s2, s22
	s_mul_i32 s22, s3, s13
	s_sub_i32 s22, s2, s22
	s_add_i32 s23, s3, 1
	s_sub_i32 s24, s22, s13
	s_cmp_ge_u32 s22, s13
	s_cselect_b32 s3, s23, s3
	s_cselect_b32 s22, s24, s22
	s_add_i32 s23, s3, 1
	s_cmp_ge_u32 s22, s13
	s_cselect_b32 s25, s23, s3
	s_mul_i32 s3, s25, s13
	s_sub_i32 s13, s2, s3
	s_lshl_b32 s24, s13, 8
	v_or_b32_e32 v8, s24, v47
	s_and_b64 vcc, exec, s[6:7]
	v_ashrrev_i32_e32 v9, 31, v8
	v_mov_b32_e32 v4, 0
	s_cbranch_vccnz .LBB54_9
; %bb.8:
	v_lshl_add_u64 v[4:5], v[8:9], 2, v[0:1]
	global_load_dword v3, v[4:5], off
	global_load_dword v6, v[4:5], off offset:256
	s_waitcnt vmcnt(1)
	v_mul_f32_e32 v4, s26, v3
	s_waitcnt vmcnt(0)
	v_mul_f32_e32 v3, s26, v6
.LBB54_9:
	s_ashr_i32 s13, s12, 31
	s_mov_b64 vcc, s[4:5]
	s_cbranch_vccz .LBB54_11
; %bb.10:
	s_mov_b32 s22, 0
	v_mov_b32_e32 v6, s22
	v_mov_b32_e32 v5, 0
	;; [unrolled: 1-line block ×3, first 2 shown]
	s_cbranch_execz .LBB54_12
	s_branch .LBB54_13
.LBB54_11:
                                        ; implicit-def: $vgpr6
	v_mov_b32_e32 v5, 0
	v_mov_b32_e32 v7, 0
.LBB54_12:
	v_lshl_add_u64 v[0:1], v[8:9], 2, v[0:1]
	global_load_dword v6, v[0:1], off offset:512
	global_load_dword v7, v[0:1], off offset:768
	s_waitcnt vmcnt(1)
	v_mul_f32_e32 v6, s26, v6
	s_waitcnt vmcnt(0)
	v_mul_f32_e32 v7, s26, v7
.LBB54_13:
	s_load_dword s27, s[0:1], 0x38
	v_and_b32_e32 v0, 3, v78
	v_lshrrev_b32_e32 v12, 2, v2
	s_lshl_b32 s25, s25, 6
	s_and_b64 vcc, exec, s[6:7]
	v_add_u32_e32 v48, s25, v12
	v_lshlrev_b32_e32 v44, 2, v0
	s_cbranch_vccnz .LBB54_15
; %bb.14:
	s_waitcnt lgkmcnt(0)
	v_mad_i64_i32 v[0:1], s[22:23], v48, s27, 0
	v_lshl_add_u64 v[0:1], v[0:1], 2, s[20:21]
	v_mov_b32_e32 v45, 0
	v_lshl_add_u64 v[0:1], v[0:1], 0, v[44:45]
	global_load_dword v0, v[0:1], off
	s_waitcnt vmcnt(0)
	v_mul_f32_e32 v5, s26, v0
.LBB54_15:
	v_add_u32_e32 v0, 4, v46
	v_mad_i64_i32 v[0:1], s[22:23], s12, v0, 0
	v_lshl_add_u64 v[10:11], v[0:1], 2, s[18:19]
	v_mov_b32_e32 v1, 0
	s_and_b64 vcc, exec, s[6:7]
	v_mov_b32_e32 v0, 0
	s_cbranch_vccnz .LBB54_17
; %bb.16:
	v_lshl_add_u64 v[0:1], v[8:9], 2, v[10:11]
	global_load_dword v2, v[0:1], off
	global_load_dword v13, v[0:1], off offset:256
	s_waitcnt vmcnt(1)
	v_mul_f32_e32 v0, s26, v2
	s_waitcnt vmcnt(0)
	v_mul_f32_e32 v1, s26, v13
.LBB54_17:
	s_mov_b64 vcc, s[4:5]
	s_cbranch_vccz .LBB54_19
; %bb.18:
	s_mov_b32 s22, 0
	v_mov_b32_e32 v2, s22
	v_mov_b32_e32 v45, 0
	;; [unrolled: 1-line block ×3, first 2 shown]
	s_cbranch_execz .LBB54_20
	s_branch .LBB54_21
.LBB54_19:
                                        ; implicit-def: $vgpr2
	v_mov_b32_e32 v45, 0
	v_mov_b32_e32 v49, 0
.LBB54_20:
	v_lshl_add_u64 v[8:9], v[8:9], 2, v[10:11]
	global_load_dword v2, v[8:9], off offset:512
	global_load_dword v10, v[8:9], off offset:768
	s_waitcnt vmcnt(1)
	v_mul_f32_e32 v2, s26, v2
	s_waitcnt vmcnt(0)
	v_mul_f32_e32 v49, s26, v10
.LBB54_21:
	s_and_b64 vcc, exec, s[6:7]
	s_cbranch_vccnz .LBB54_23
; %bb.22:
	s_waitcnt lgkmcnt(0)
	v_mad_i64_i32 v[8:9], s[22:23], v48, s27, 0
	v_lshl_add_u64 v[8:9], v[8:9], 2, s[20:21]
	v_mov_b32_e32 v45, 0
	v_lshl_add_u64 v[8:9], v[8:9], 0, v[44:45]
	global_load_dword v8, v[8:9], off offset:16
	s_waitcnt vmcnt(0)
	v_mul_f32_e32 v45, s26, v8
.LBB54_23:
	v_lshlrev_b32_e32 v8, 4, v47
	v_lshl_add_u32 v82, v46, 2, v8
	ds_write2st64_b32 v82, v4, v3 offset1:4
	ds_write2st64_b32 v82, v6, v7 offset0:8 offset1:12
	v_lshl_or_b32 v3, v12, 4, v44
	v_lshlrev_b32_e32 v81, 4, v78
	ds_write_b32 v3, v5 offset:8192
	s_waitcnt lgkmcnt(0)
	s_barrier
	v_lshlrev_b32_e32 v80, 4, v79
	ds_read_b128 v[32:35], v81
	ds_read_b128 v[28:31], v81 offset:512
	ds_read_b128 v[24:27], v81 offset:1024
	;; [unrolled: 1-line block ×12, first 2 shown]
	s_waitcnt lgkmcnt(4)
	v_pk_add_f32 v[62:63], v[32:33], v[50:51]
	s_mov_b32 s23, 0x7f7fffff
	v_min3_f32 v66, v62, v63, s23
	v_pk_add_f32 v[62:63], v[28:29], v[50:51]
	s_load_dword s22, s[0:1], 0x8
	v_min3_f32 v67, v62, v63, s23
	v_pk_add_f32 v[62:63], v[24:25], v[50:51]
	s_waitcnt lgkmcnt(0)
	s_cmp_lt_i32 s22, 9
	v_min3_f32 v68, v62, v63, s23
	v_pk_add_f32 v[62:63], v[20:21], v[50:51]
	s_nop 0
	v_min3_f32 v69, v62, v63, s23
	v_pk_add_f32 v[62:63], v[16:17], v[50:51]
	s_nop 0
	;; [unrolled: 3-line block ×3, first 2 shown]
	v_min3_f32 v71, v62, v63, s23
	v_pk_add_f32 v[62:63], v[8:9], v[50:51]
	v_pk_add_f32 v[50:51], v[4:5], v[50:51]
	v_min3_f32 v72, v62, v63, s23
	v_min3_f32 v73, v50, v51, s23
	v_pk_add_f32 v[50:51], v[32:33], v[54:55]
	ds_read_b128 v[62:65], v80 offset:8832
	v_min3_f32 v74, v50, v51, s23
	v_pk_add_f32 v[50:51], v[28:29], v[54:55]
	s_nop 0
	v_min3_f32 v75, v50, v51, s23
	v_pk_add_f32 v[50:51], v[24:25], v[54:55]
	s_nop 0
	;; [unrolled: 3-line block ×21, first 2 shown]
	v_min3_f32 v102, v50, v51, s23
	v_pk_add_f32 v[50:51], v[8:9], v[40:41]
	v_pk_add_f32 v[40:41], v[4:5], v[40:41]
	v_min3_f32 v50, v50, v51, s23
	v_min3_f32 v51, v40, v41, s23
	v_pk_add_f32 v[40:41], v[32:33], v[36:37]
	s_nop 0
	v_min3_f32 v103, v40, v41, s23
	v_pk_add_f32 v[40:41], v[28:29], v[36:37]
	s_nop 0
	;; [unrolled: 3-line block ×6, first 2 shown]
	v_min3_f32 v108, v40, v41, s23
	v_pk_add_f32 v[40:41], v[8:9], v[36:37]
	v_pk_add_f32 v[36:37], v[4:5], v[36:37]
	v_min3_f32 v109, v40, v41, s23
	v_pk_add_f32 v[40:41], v[34:35], v[52:53]
	s_nop 0
	v_min3_f32 v88, v40, v41, v66
	v_pk_add_f32 v[40:41], v[30:31], v[52:53]
	v_min3_f32 v66, v36, v37, s23
	s_waitcnt lgkmcnt(0)
	v_pk_add_f32 v[36:37], v[32:33], v[62:63]
	v_min3_f32 v149, v40, v41, v67
	v_min3_f32 v67, v36, v37, s23
	v_pk_add_f32 v[36:37], v[6:7], v[56:57]
	v_pk_add_f32 v[40:41], v[26:27], v[52:53]
	v_min3_f32 v140, v36, v37, v54
	v_pk_add_f32 v[36:37], v[34:35], v[60:61]
	v_min3_f32 v87, v40, v41, v68
	v_min3_f32 v139, v36, v37, v55
	v_pk_add_f32 v[36:37], v[30:31], v[60:61]
	v_pk_add_f32 v[40:41], v[22:23], v[52:53]
	v_min3_f32 v138, v36, v37, v92
	;; [unrolled: 6-line block ×5, first 2 shown]
	v_pk_add_f32 v[36:37], v[16:17], v[62:63]
	v_min3_f32 v84, v40, v41, v72
	v_pk_add_f32 v[40:41], v[6:7], v[52:53]
	v_min3_f32 v55, v36, v37, s23
	;; [unrolled: 2-line block ×25, first 2 shown]
	ds_read_b128 v[40:43], v80 offset:8960
	ds_read_b128 v[50:53], v80 offset:9088
	v_min3_f32 v121, v36, v37, v105
	v_pk_add_f32 v[36:37], v[22:23], v[38:39]
	ds_write2st64_b32 v82, v0, v1 offset0:16 offset1:20
	ds_write2st64_b32 v82, v2, v49 offset0:24 offset1:28
	ds_write_b32 v3, v45 offset:9216
	v_min3_f32 v120, v36, v37, v106
	v_pk_add_f32 v[36:37], v[18:19], v[38:39]
	s_waitcnt lgkmcnt(0)
	v_min3_f32 v119, v36, v37, v107
	v_pk_add_f32 v[36:37], v[14:15], v[38:39]
	s_barrier
	v_min3_f32 v116, v36, v37, v108
	v_pk_add_f32 v[36:37], v[10:11], v[38:39]
	s_nop 0
	v_min3_f32 v115, v36, v37, v109
	v_pk_add_f32 v[36:37], v[4:5], v[62:63]
	s_nop 0
	v_min3_f32 v58, v36, v37, s23
	v_pk_add_f32 v[36:37], v[32:33], v[40:41]
	v_pk_add_f32 v[32:33], v[32:33], v[50:51]
	v_min3_f32 v59, v36, v37, s23
	v_pk_add_f32 v[36:37], v[6:7], v[38:39]
	v_pk_add_f32 v[38:39], v[28:29], v[40:41]
	v_min3_f32 v118, v36, v37, v66
	v_pk_add_f32 v[36:37], v[34:35], v[64:65]
	v_min3_f32 v62, v38, v39, s23
	v_min3_f32 v117, v36, v37, v67
	v_pk_add_f32 v[36:37], v[30:31], v[64:65]
	v_pk_add_f32 v[38:39], v[24:25], v[40:41]
	v_min3_f32 v114, v36, v37, v56
	v_pk_add_f32 v[36:37], v[26:27], v[64:65]
	v_min3_f32 v63, v38, v39, s23
	;; [unrolled: 6-line block ×4, first 2 shown]
	v_min3_f32 v109, v36, v37, v61
	v_pk_add_f32 v[36:37], v[20:21], v[40:41]
	v_pk_add_f32 v[24:25], v[24:25], v[50:51]
	v_min3_f32 v54, v36, v37, s23
	v_pk_add_f32 v[36:37], v[16:17], v[40:41]
	v_pk_add_f32 v[8:9], v[8:9], v[50:51]
	v_min3_f32 v55, v36, v37, s23
	v_pk_add_f32 v[36:37], v[6:7], v[64:65]
	v_min3_f32 v24, v24, v25, s23
	v_min3_f32 v108, v36, v37, v58
	v_pk_add_f32 v[36:37], v[34:35], v[42:43]
	v_pk_add_f32 v[20:21], v[20:21], v[50:51]
	v_min3_f32 v107, v36, v37, v59
	v_pk_add_f32 v[36:37], v[30:31], v[42:43]
	v_min3_f32 v8, v8, v9, s23
	v_min3_f32 v106, v36, v37, v62
	v_pk_add_f32 v[36:37], v[26:27], v[42:43]
	v_min3_f32 v20, v20, v21, s23
	v_min3_f32 v105, v36, v37, v63
	v_pk_add_f32 v[36:37], v[22:23], v[42:43]
	v_pk_add_f32 v[16:17], v[16:17], v[50:51]
	v_min3_f32 v104, v36, v37, v54
	v_pk_add_f32 v[36:37], v[18:19], v[42:43]
	v_min3_f32 v21, v16, v17, s23
	v_min3_f32 v103, v36, v37, v55
	v_pk_add_f32 v[36:37], v[14:15], v[42:43]
	v_pk_add_f32 v[12:13], v[12:13], v[50:51]
	;; [unrolled: 6-line block ×3, first 2 shown]
	v_min3_f32 v38, v36, v37, s23
	v_min3_f32 v9, v4, v5, s23
	v_pk_add_f32 v[4:5], v[26:27], v[52:53]
	v_pk_add_f32 v[36:37], v[6:7], v[42:43]
	v_min3_f32 v98, v4, v5, v24
	v_pk_add_f32 v[4:5], v[22:23], v[52:53]
	v_pk_add_f32 v[28:29], v[28:29], v[50:51]
	v_min3_f32 v96, v4, v5, v20
	v_pk_add_f32 v[4:5], v[18:19], v[52:53]
	v_min3_f32 v99, v36, v37, v38
	v_min3_f32 v95, v4, v5, v21
	v_pk_add_f32 v[4:5], v[14:15], v[52:53]
	v_min3_f32 v36, v32, v33, s23
	v_min3_f32 v94, v4, v5, v12
	v_pk_add_f32 v[4:5], v[10:11], v[52:53]
	v_pk_add_f32 v[32:33], v[34:35], v[52:53]
	v_min3_f32 v28, v28, v29, s23
	v_pk_add_f32 v[16:17], v[30:31], v[52:53]
	v_min3_f32 v93, v4, v5, v8
	;; [unrolled: 2-line block ×3, first 2 shown]
	v_min3_f32 v97, v16, v17, v28
	v_min3_f32 v92, v4, v5, v9
	s_cbranch_scc1 .LBB54_46
; %bb.24:
	v_mov_b32_e32 v0, 0x1000
	v_lshl_add_u32 v151, v78, 4, v0
	v_mov_b32_e32 v0, 0x2400
	v_lshl_add_u32 v152, v79, 4, v0
	v_mad_i64_i32 v[0:1], s[28:29], s27, v48, 0
	v_mov_b32_e32 v45, 0
	v_lshl_add_u64 v[0:1], v[0:1], 2, v[44:45]
	v_lshl_add_u64 v[0:1], s[20:21], 0, v[0:1]
	;; [unrolled: 1-line block ×3, first 2 shown]
	v_lshl_or_b32 v0, s2, 8, v47
	s_lshl_b32 s2, s3, 8
	v_subrev_u32_e32 v0, s2, v0
	v_ashrrev_i32_e32 v1, 31, v0
	v_lshlrev_b64 v[70:71], 2, v[0:1]
	v_add_u32_e32 v0, 12, v46
	v_mad_i64_i32 v[0:1], s[2:3], v0, s12, 0
	v_lshl_add_u64 v[72:73], v[0:1], 2, s[18:19]
	v_add_u32_e32 v0, 8, v46
	s_lshl_b64 s[2:3], s[12:13], 5
	v_mad_i64_i32 v[0:1], s[12:13], v0, s12, 0
	v_add_u32_e32 v89, 0x2000, v3
	v_add_u32_e32 v90, 0x2000, v80
	;; [unrolled: 1-line block ×4, first 2 shown]
	s_add_i32 s22, s22, -8
	v_lshl_add_u64 v[74:75], v[0:1], 2, s[18:19]
	s_mov_b32 s18, 0
	s_mov_b32 s19, 0
	s_branch .LBB54_26
.LBB54_25:                              ;   in Loop: Header=BB54_26 Depth=1
	v_pk_add_f32 v[76:77], v[32:33], v[64:65]
	s_add_i32 s19, s19, 8
	v_min3_f32 v88, v76, v77, v88
	v_pk_add_f32 v[76:77], v[28:29], v[64:65]
	v_lshl_add_u64 v[68:69], v[68:69], 0, 32
	v_min3_f32 v149, v76, v77, v149
	v_pk_add_f32 v[76:77], v[24:25], v[64:65]
	v_lshl_add_u64 v[72:73], v[72:73], 0, s[2:3]
	v_min3_f32 v87, v76, v77, v87
	v_pk_add_f32 v[76:77], v[20:21], v[64:65]
	s_cmp_ge_i32 s19, s22
	v_min3_f32 v86, v76, v77, v86
	v_pk_add_f32 v[76:77], v[16:17], v[64:65]
	v_lshl_add_u64 v[74:75], v[74:75], 0, s[2:3]
	v_min3_f32 v83, v76, v77, v83
	v_pk_add_f32 v[76:77], v[12:13], v[64:65]
	s_nop 0
	v_min3_f32 v85, v76, v77, v85
	v_pk_add_f32 v[76:77], v[8:9], v[64:65]
	v_pk_add_f32 v[64:65], v[4:5], v[64:65]
	v_min3_f32 v76, v76, v77, v84
	v_min3_f32 v77, v64, v65, v148
	v_pk_add_f32 v[64:65], v[32:33], v[60:61]
	s_nop 0
	v_min3_f32 v84, v64, v65, v147
	v_pk_add_f32 v[64:65], v[28:29], v[60:61]
	s_nop 0
	v_min3_f32 v146, v64, v65, v146
	v_pk_add_f32 v[64:65], v[24:25], v[60:61]
	s_nop 0
	v_min3_f32 v145, v64, v65, v145
	v_pk_add_f32 v[64:65], v[20:21], v[60:61]
	s_nop 0
	v_min3_f32 v144, v64, v65, v144
	v_pk_add_f32 v[64:65], v[16:17], v[60:61]
	s_nop 0
	v_min3_f32 v143, v64, v65, v143
	v_pk_add_f32 v[64:65], v[12:13], v[60:61]
	s_nop 0
	v_min3_f32 v142, v64, v65, v142
	v_pk_add_f32 v[64:65], v[8:9], v[60:61]
	v_pk_add_f32 v[60:61], v[4:5], v[60:61]
	v_min3_f32 v64, v64, v65, v141
	v_min3_f32 v65, v60, v61, v140
	v_pk_add_f32 v[60:61], v[32:33], v[56:57]
	s_nop 0
	v_min3_f32 v139, v60, v61, v139
	v_pk_add_f32 v[60:61], v[28:29], v[56:57]
	s_nop 0
	v_min3_f32 v138, v60, v61, v138
	v_pk_add_f32 v[60:61], v[24:25], v[56:57]
	s_nop 0
	v_min3_f32 v137, v60, v61, v137
	v_pk_add_f32 v[60:61], v[20:21], v[56:57]
	s_nop 0
	v_min3_f32 v136, v60, v61, v136
	v_pk_add_f32 v[60:61], v[16:17], v[56:57]
	s_nop 0
	;; [unrolled: 22-line block ×5, first 2 shown]
	v_min3_f32 v111, v48, v49, v111
	v_pk_add_f32 v[48:49], v[12:13], v[44:45]
	s_nop 0
	v_min3_f32 v110, v48, v49, v110
	v_pk_add_f32 v[48:49], v[8:9], v[44:45]
	v_pk_add_f32 v[44:45], v[4:5], v[44:45]
	v_min3_f32 v48, v48, v49, v109
	v_min3_f32 v49, v44, v45, v108
	v_pk_add_f32 v[44:45], v[32:33], v[40:41]
	v_pk_add_f32 v[32:33], v[32:33], v[36:37]
	v_min3_f32 v107, v44, v45, v107
	v_pk_add_f32 v[44:45], v[28:29], v[40:41]
	v_pk_add_f32 v[28:29], v[28:29], v[36:37]
	v_min3_f32 v106, v44, v45, v106
	v_pk_add_f32 v[44:45], v[24:25], v[40:41]
	v_min3_f32 v28, v28, v29, v97
	v_min3_f32 v105, v44, v45, v105
	v_pk_add_f32 v[44:45], v[20:21], v[40:41]
	v_pk_add_f32 v[20:21], v[20:21], v[36:37]
	v_min3_f32 v104, v44, v45, v104
	v_pk_add_f32 v[44:45], v[16:17], v[40:41]
	v_pk_add_f32 v[16:17], v[16:17], v[36:37]
	;; [unrolled: 3-line block ×4, first 2 shown]
	v_pk_add_f32 v[8:9], v[8:9], v[36:37]
	v_pk_add_f32 v[4:5], v[4:5], v[36:37]
	v_min3_f32 v8, v8, v9, v93
	v_min3_f32 v9, v4, v5, v92
	v_pk_add_f32 v[4:5], v[34:35], v[66:67]
	v_min3_f32 v12, v12, v13, v94
	v_min3_f32 v88, v4, v5, v88
	;; [unrolled: 3-line block ×4, first 2 shown]
	v_pk_add_f32 v[4:5], v[22:23], v[66:67]
	v_pk_add_f32 v[24:25], v[24:25], v[36:37]
	v_min3_f32 v86, v4, v5, v86
	v_pk_add_f32 v[4:5], v[18:19], v[66:67]
	v_min3_f32 v24, v24, v25, v98
	v_min3_f32 v83, v4, v5, v83
	v_pk_add_f32 v[4:5], v[14:15], v[66:67]
	v_min3_f32 v40, v40, v41, v99
	;; [unrolled: 3-line block ×4, first 2 shown]
	v_min3_f32 v94, v4, v5, v77
	v_pk_add_f32 v[4:5], v[34:35], v[62:63]
	s_nop 0
	v_min3_f32 v84, v4, v5, v84
	v_pk_add_f32 v[4:5], v[30:31], v[62:63]
	s_nop 0
	;; [unrolled: 3-line block ×56, first 2 shown]
	v_min3_f32 v149, v4, v5, v9
	ds_read_b128 v[4:7], v81
	ds_read_b128 v[8:11], v81 offset:512
	ds_read_b128 v[12:15], v81 offset:1024
	;; [unrolled: 1-line block ×7, first 2 shown]
	ds_read_b128 v[40:43], v90
	ds_read_b128 v[44:47], v90 offset:128
	ds_read_b128 v[48:51], v90 offset:256
	;; [unrolled: 1-line block ×7, first 2 shown]
	s_waitcnt lgkmcnt(7)
	v_pk_add_f32 v[76:77], v[4:5], v[40:41]
	ds_write2st64_b32 v91, v0, v1 offset1:4
	ds_write2st64_b32 v91, v2, v153 offset0:8 offset1:12
	ds_write_b32 v150, v3
	v_min3_f32 v88, v76, v77, v88
	v_pk_add_f32 v[76:77], v[8:9], v[40:41]
	s_waitcnt lgkmcnt(0)
	v_min3_f32 v92, v76, v77, v92
	v_pk_add_f32 v[76:77], v[12:13], v[40:41]
	s_barrier
	v_min3_f32 v87, v76, v77, v87
	v_pk_add_f32 v[76:77], v[16:17], v[40:41]
	s_nop 0
	v_min3_f32 v86, v76, v77, v86
	v_pk_add_f32 v[76:77], v[20:21], v[40:41]
	s_nop 0
	;; [unrolled: 3-line block ×3, first 2 shown]
	v_min3_f32 v85, v76, v77, v85
	v_pk_add_f32 v[76:77], v[28:29], v[40:41]
	v_pk_add_f32 v[40:41], v[32:33], v[40:41]
	v_min3_f32 v76, v76, v77, v93
	v_min3_f32 v77, v40, v41, v94
	v_pk_add_f32 v[40:41], v[4:5], v[44:45]
	s_nop 0
	v_min3_f32 v93, v40, v41, v84
	v_pk_add_f32 v[40:41], v[8:9], v[44:45]
	s_nop 0
	v_min3_f32 v94, v40, v41, v95
	v_pk_add_f32 v[40:41], v[12:13], v[44:45]
	s_nop 0
	v_min3_f32 v95, v40, v41, v96
	v_pk_add_f32 v[40:41], v[16:17], v[44:45]
	s_nop 0
	v_min3_f32 v96, v40, v41, v97
	v_pk_add_f32 v[40:41], v[20:21], v[44:45]
	s_nop 0
	v_min3_f32 v97, v40, v41, v98
	v_pk_add_f32 v[40:41], v[24:25], v[44:45]
	s_nop 0
	v_min3_f32 v98, v40, v41, v99
	v_pk_add_f32 v[40:41], v[28:29], v[44:45]
	s_nop 0
	v_min3_f32 v99, v40, v41, v100
	v_pk_add_f32 v[40:41], v[32:33], v[44:45]
	s_nop 0
	v_min3_f32 v44, v40, v41, v101
	v_pk_add_f32 v[40:41], v[4:5], v[48:49]
	s_nop 0
	v_min3_f32 v45, v40, v41, v108
	v_pk_add_f32 v[40:41], v[8:9], v[48:49]
	s_nop 0
	v_min3_f32 v100, v40, v41, v109
	v_pk_add_f32 v[40:41], v[12:13], v[48:49]
	s_nop 0
	v_min3_f32 v101, v40, v41, v117
	v_pk_add_f32 v[40:41], v[16:17], v[48:49]
	s_nop 0
	v_min3_f32 v108, v40, v41, v118
	v_pk_add_f32 v[40:41], v[20:21], v[48:49]
	s_nop 0
	v_min3_f32 v109, v40, v41, v124
	v_pk_add_f32 v[40:41], v[24:25], v[48:49]
	s_nop 0
	v_min3_f32 v117, v40, v41, v125
	v_pk_add_f32 v[40:41], v[28:29], v[48:49]
	s_nop 0
	v_min3_f32 v118, v40, v41, v132
	v_pk_add_f32 v[40:41], v[32:33], v[48:49]
	s_nop 0
	v_min3_f32 v48, v40, v41, v133
	v_pk_add_f32 v[40:41], v[4:5], v[52:53]
	s_nop 0
	v_min3_f32 v49, v40, v41, v131
	v_pk_add_f32 v[40:41], v[8:9], v[52:53]
	s_nop 0
	v_min3_f32 v124, v40, v41, v130
	v_pk_add_f32 v[40:41], v[12:13], v[52:53]
	s_nop 0
	v_min3_f32 v125, v40, v41, v129
	v_pk_add_f32 v[40:41], v[16:17], v[52:53]
	s_nop 0
	v_min3_f32 v128, v40, v41, v128
	v_pk_add_f32 v[40:41], v[20:21], v[52:53]
	s_nop 0
	v_min3_f32 v127, v40, v41, v127
	v_pk_add_f32 v[40:41], v[24:25], v[52:53]
	s_nop 0
	v_min3_f32 v126, v40, v41, v126
	v_pk_add_f32 v[40:41], v[28:29], v[52:53]
	s_nop 0
	v_min3_f32 v154, v40, v41, v134
	v_pk_add_f32 v[40:41], v[32:33], v[52:53]
	s_nop 0
	v_min3_f32 v52, v40, v41, v135
	v_pk_add_f32 v[40:41], v[4:5], v[56:57]
	s_nop 0
	v_min3_f32 v53, v40, v41, v123
	v_pk_add_f32 v[40:41], v[8:9], v[56:57]
	s_nop 0
	v_min3_f32 v122, v40, v41, v122
	v_pk_add_f32 v[40:41], v[12:13], v[56:57]
	s_nop 0
	v_min3_f32 v121, v40, v41, v121
	v_pk_add_f32 v[40:41], v[16:17], v[56:57]
	s_nop 0
	v_min3_f32 v120, v40, v41, v120
	v_pk_add_f32 v[40:41], v[20:21], v[56:57]
	s_nop 0
	v_min3_f32 v119, v40, v41, v119
	v_pk_add_f32 v[40:41], v[24:25], v[56:57]
	s_nop 0
	v_min3_f32 v116, v40, v41, v116
	v_pk_add_f32 v[40:41], v[28:29], v[56:57]
	s_nop 0
	v_min3_f32 v155, v40, v41, v136
	v_pk_add_f32 v[40:41], v[32:33], v[56:57]
	s_nop 0
	v_min3_f32 v56, v40, v41, v137
	v_pk_add_f32 v[40:41], v[4:5], v[60:61]
	s_nop 0
	v_min3_f32 v57, v40, v41, v115
	v_pk_add_f32 v[40:41], v[8:9], v[60:61]
	s_nop 0
	v_min3_f32 v114, v40, v41, v114
	v_pk_add_f32 v[40:41], v[12:13], v[60:61]
	s_nop 0
	v_min3_f32 v113, v40, v41, v113
	v_pk_add_f32 v[40:41], v[16:17], v[60:61]
	s_nop 0
	v_min3_f32 v112, v40, v41, v112
	v_pk_add_f32 v[40:41], v[20:21], v[60:61]
	s_nop 0
	v_min3_f32 v111, v40, v41, v111
	v_pk_add_f32 v[40:41], v[24:25], v[60:61]
	s_nop 0
	v_min3_f32 v110, v40, v41, v110
	v_pk_add_f32 v[40:41], v[28:29], v[60:61]
	s_nop 0
	v_min3_f32 v156, v40, v41, v138
	v_pk_add_f32 v[40:41], v[32:33], v[60:61]
	s_nop 0
	v_min3_f32 v60, v40, v41, v139
	v_pk_add_f32 v[40:41], v[4:5], v[64:65]
	v_pk_add_f32 v[4:5], v[4:5], v[36:37]
	v_min3_f32 v61, v40, v41, v107
	v_pk_add_f32 v[40:41], v[8:9], v[64:65]
	s_nop 0
	v_min3_f32 v106, v40, v41, v106
	v_pk_add_f32 v[40:41], v[12:13], v[64:65]
	s_nop 0
	;; [unrolled: 3-line block ×7, first 2 shown]
	v_min3_f32 v40, v40, v41, v141
	v_min3_f32 v41, v4, v5, v142
	v_pk_add_f32 v[4:5], v[8:9], v[36:37]
	s_nop 0
	v_min3_f32 v8, v4, v5, v143
	v_pk_add_f32 v[4:5], v[12:13], v[36:37]
	s_nop 0
	;; [unrolled: 3-line block ×71, first 2 shown]
	v_min3_f32 v92, v4, v5, v20
	s_cbranch_scc1 .LBB54_46
.LBB54_26:                              ; =>This Inner Loop Header: Depth=1
	s_mov_b64 s[12:13], -1
	s_mov_b64 vcc, s[4:5]
                                        ; implicit-def: $vgpr0_vgpr1_vgpr2_vgpr3
	s_cbranch_vccnz .LBB54_37
; %bb.27:                               ;   in Loop: Header=BB54_26 Depth=1
	v_mov_b32_e32 v1, 0
	s_andn2_b64 vcc, exec, s[12:13]
	v_lshl_add_u64 v[4:5], v[74:75], 0, v[70:71]
	s_cbranch_vccz .LBB54_38
.LBB54_28:                              ;   in Loop: Header=BB54_26 Depth=1
	s_mov_b64 s[12:13], -1
	s_mov_b64 vcc, s[4:5]
                                        ; implicit-def: $vgpr2
	s_cbranch_vccnz .LBB54_39
.LBB54_29:                              ;   in Loop: Header=BB54_26 Depth=1
	v_mov_b32_e32 v3, 0
	s_andn2_b64 vcc, exec, s[12:13]
	v_mov_b32_e32 v76, 0
	s_cbranch_vccz .LBB54_40
.LBB54_30:                              ;   in Loop: Header=BB54_26 Depth=1
	s_and_b64 vcc, exec, s[6:7]
	s_cbranch_vccnz .LBB54_32
.LBB54_31:                              ;   in Loop: Header=BB54_26 Depth=1
	global_load_dword v3, v[68:69], off
	s_waitcnt vmcnt(0)
	v_mul_f32_e32 v3, s26, v3
.LBB54_32:                              ;   in Loop: Header=BB54_26 Depth=1
	ds_read_b128 v[32:35], v151
	ds_read_b128 v[28:31], v151 offset:512
	ds_read_b128 v[24:27], v151 offset:1024
	;; [unrolled: 1-line block ×7, first 2 shown]
	ds_read_b128 v[64:67], v152
	ds_read_b128 v[60:63], v152 offset:128
	ds_read_b128 v[56:59], v152 offset:256
	;; [unrolled: 1-line block ×7, first 2 shown]
	s_mov_b64 s[12:13], -1
	s_mov_b64 vcc, s[4:5]
	ds_write2st64_b32 v82, v0, v1 offset1:4
	ds_write2st64_b32 v82, v2, v76 offset0:8 offset1:12
	ds_write_b32 v89, v3
	s_waitcnt lgkmcnt(0)
	s_barrier
                                        ; implicit-def: $vgpr0_vgpr1_vgpr2_vgpr3
	s_cbranch_vccnz .LBB54_41
; %bb.33:                               ;   in Loop: Header=BB54_26 Depth=1
	v_mov_b32_e32 v1, 0
	s_andn2_b64 vcc, exec, s[12:13]
	v_lshl_add_u64 v[76:77], v[72:73], 0, v[70:71]
	s_cbranch_vccz .LBB54_42
.LBB54_34:                              ;   in Loop: Header=BB54_26 Depth=1
	s_mov_b64 s[12:13], -1
	s_mov_b64 vcc, s[4:5]
                                        ; implicit-def: $vgpr2
	s_cbranch_vccnz .LBB54_43
.LBB54_35:                              ;   in Loop: Header=BB54_26 Depth=1
	v_mov_b32_e32 v3, 0
	s_andn2_b64 vcc, exec, s[12:13]
	v_mov_b32_e32 v153, 0
	s_cbranch_vccz .LBB54_44
.LBB54_36:                              ;   in Loop: Header=BB54_26 Depth=1
	s_and_b64 vcc, exec, s[6:7]
	s_cbranch_vccz .LBB54_45
	s_branch .LBB54_25
.LBB54_37:                              ;   in Loop: Header=BB54_26 Depth=1
	v_mov_b32_e32 v0, s18
	v_mov_b32_e32 v1, 0
	v_lshl_add_u64 v[4:5], v[74:75], 0, v[70:71]
	s_cbranch_execnz .LBB54_28
.LBB54_38:                              ;   in Loop: Header=BB54_26 Depth=1
	global_load_dword v0, v[4:5], off
	global_load_dword v1, v[4:5], off offset:256
	s_waitcnt vmcnt(1)
	v_mul_f32_e32 v0, s26, v0
	s_waitcnt vmcnt(0)
	v_mul_f32_e32 v1, s26, v1
	s_mov_b64 s[12:13], -1
	s_mov_b64 vcc, s[4:5]
                                        ; implicit-def: $vgpr2
	s_cbranch_vccz .LBB54_29
.LBB54_39:                              ;   in Loop: Header=BB54_26 Depth=1
	v_mov_b32_e32 v2, s18
	v_mov_b32_e32 v3, 0
	;; [unrolled: 1-line block ×3, first 2 shown]
	s_cbranch_execnz .LBB54_30
.LBB54_40:                              ;   in Loop: Header=BB54_26 Depth=1
	global_load_dword v2, v[4:5], off offset:512
	global_load_dword v6, v[4:5], off offset:768
	s_waitcnt vmcnt(1)
	v_mul_f32_e32 v2, s26, v2
	s_waitcnt vmcnt(0)
	v_mul_f32_e32 v76, s26, v6
	s_and_b64 vcc, exec, s[6:7]
	s_cbranch_vccz .LBB54_31
	s_branch .LBB54_32
.LBB54_41:                              ;   in Loop: Header=BB54_26 Depth=1
	v_mov_b32_e32 v0, s18
	v_mov_b32_e32 v1, 0
	v_lshl_add_u64 v[76:77], v[72:73], 0, v[70:71]
	s_cbranch_execnz .LBB54_34
.LBB54_42:                              ;   in Loop: Header=BB54_26 Depth=1
	global_load_dword v0, v[76:77], off
	global_load_dword v1, v[76:77], off offset:256
	s_waitcnt vmcnt(1)
	v_mul_f32_e32 v0, s26, v0
	s_waitcnt vmcnt(0)
	v_mul_f32_e32 v1, s26, v1
	s_mov_b64 s[12:13], -1
	s_mov_b64 vcc, s[4:5]
                                        ; implicit-def: $vgpr2
	s_cbranch_vccz .LBB54_35
.LBB54_43:                              ;   in Loop: Header=BB54_26 Depth=1
	v_mov_b32_e32 v2, s18
	v_mov_b32_e32 v3, 0
	;; [unrolled: 1-line block ×3, first 2 shown]
	s_cbranch_execnz .LBB54_36
.LBB54_44:                              ;   in Loop: Header=BB54_26 Depth=1
	global_load_dword v2, v[76:77], off offset:512
	s_nop 0
	global_load_dword v76, v[76:77], off offset:768
	s_waitcnt vmcnt(1)
	v_mul_f32_e32 v2, s26, v2
	s_waitcnt vmcnt(0)
	v_mul_f32_e32 v153, s26, v76
	s_and_b64 vcc, exec, s[6:7]
	s_cbranch_vccnz .LBB54_25
.LBB54_45:                              ;   in Loop: Header=BB54_26 Depth=1
	global_load_dword v3, v[68:69], off offset:16
	s_waitcnt vmcnt(0)
	v_mul_f32_e32 v3, s26, v3
	s_branch .LBB54_25
.LBB54_46:
	s_load_dwordx2 s[2:3], s[0:1], 0x78
	s_load_dword s4, s[0:1], 0x58
	s_load_dword s5, s[0:1], 0x70
	ds_read_b128 v[32:35], v81 offset:4096
	ds_read_b128 v[60:63], v80 offset:9216
	s_waitcnt lgkmcnt(0)
	s_mul_i32 s0, s3, s16
	s_mul_hi_u32 s1, s2, s16
	s_add_i32 s1, s1, s0
	s_mul_i32 s0, s2, s16
	s_lshl_b64 s[0:1], s[0:1], 2
	v_pk_add_f32 v[0:1], v[32:33], v[60:61]
	s_add_u32 s0, s14, s0
	v_min3_f32 v2, v0, v1, v88
	v_pk_add_f32 v[0:1], v[34:35], v[62:63]
	v_add_u32_e32 v150, s25, v79
	s_addc_u32 s1, s15, s1
	v_min3_f32 v2, v0, v1, v2
	v_add_u32_e32 v68, s24, v78
	v_mad_i64_i32 v[0:1], s[2:3], v150, s5, 0
	v_add_u32_e32 v64, 32, v68
	v_lshl_add_u64 v[88:89], v[0:1], 2, s[0:1]
	v_mad_i64_i32 v[0:1], s[2:3], v150, s4, 0
	v_ashrrev_i32_e32 v69, 31, v68
	v_ashrrev_i32_e32 v65, 31, v64
	s_mov_b64 s[2:3], -1
	v_max_f32_e32 v2, v2, v2
	s_mov_b64 vcc, s[8:9]
	s_cbranch_vccz .LBB54_48
; %bb.47:
	v_min_f32_e32 v3, 0, v2
	v_lshl_add_u64 v[4:5], v[68:69], 2, v[88:89]
	global_store_dword v[4:5], v3, off
	s_mov_b64 s[2:3], 0
.LBB54_48:
	ds_read_b128 v[28:31], v81 offset:4608
	ds_read_b128 v[24:27], v81 offset:5120
	v_lshl_add_u64 v[90:91], v[0:1], 2, s[10:11]
	v_mov_b32_e32 v70, 0
	s_andn2_b64 vcc, exec, s[2:3]
	v_lshlrev_b64 v[72:73], 2, v[68:69]
	s_cbranch_vccnz .LBB54_50
; %bb.49:
	v_lshl_add_u64 v[0:1], v[90:91], 0, v[72:73]
	global_load_dword v3, v[0:1], off
	v_lshl_add_u64 v[0:1], v[88:89], 0, v[72:73]
	s_waitcnt vmcnt(0)
	v_mul_f32_e32 v3, s17, v3
	v_min_f32_e32 v2, v3, v2
	global_store_dword v[0:1], v2, off
	v_lshl_add_u64 v[0:1], v[64:65], 2, v[90:91]
	global_load_dword v0, v[0:1], off
	s_waitcnt vmcnt(0)
	v_mul_f32_e32 v70, s17, v0
.LBB54_50:
	ds_read_b128 v[20:23], v81 offset:5632
	ds_read_b128 v[16:19], v81 offset:6144
	ds_read_b128 v[12:15], v81 offset:6656
	ds_read_b128 v[8:11], v81 offset:7168
	ds_read_b128 v[0:3], v81 offset:7680
	ds_read_b128 v[56:59], v80 offset:9344
	ds_read_b128 v[52:55], v80 offset:9472
	ds_read_b128 v[48:51], v80 offset:9600
	ds_read_b128 v[44:47], v80 offset:9728
	ds_read_b128 v[40:43], v80 offset:9856
	ds_read_b128 v[36:39], v80 offset:9984
	ds_read_b128 v[4:7], v80 offset:10112
	s_waitcnt lgkmcnt(13)
	v_pk_add_f32 v[66:67], v[28:29], v[60:61]
	v_add_u32_e32 v76, 64, v68
	v_min3_f32 v71, v66, v67, v149
	s_waitcnt lgkmcnt(12)
	v_pk_add_f32 v[66:67], v[24:25], v[60:61]
	v_ashrrev_i32_e32 v77, 31, v76
	v_min3_f32 v74, v66, v67, v87
	v_pk_add_f32 v[66:67], v[30:31], v[62:63]
	s_mov_b64 s[2:3], -1
	v_min_f32_e32 v75, v66, v67
	v_pk_add_f32 v[66:67], v[26:27], v[62:63]
	v_min3_f32 v75, v70, v75, v71
	v_min3_f32 v74, v66, v67, v74
	v_add_u32_e32 v66, 0x60, v68
	v_lshl_add_u64 v[70:71], v[64:65], 2, v[88:89]
	v_ashrrev_i32_e32 v67, 31, v66
	global_store_dword v[70:71], v75, off
	v_max_f32_e32 v70, v74, v74
	s_mov_b64 vcc, s[8:9]
	s_cbranch_vccz .LBB54_52
; %bb.51:
	v_min_f32_e32 v71, 0, v70
	v_lshl_add_u64 v[74:75], v[76:77], 2, v[88:89]
	global_store_dword v[74:75], v71, off
	s_mov_b64 s[2:3], 0
.LBB54_52:
	v_mov_b32_e32 v74, 0
	s_andn2_b64 vcc, exec, s[2:3]
	v_lshlrev_b64 v[80:81], 2, v[76:77]
	s_cbranch_vccnz .LBB54_54
; %bb.53:
	v_lshl_add_u64 v[74:75], v[90:91], 0, v[80:81]
	global_load_dword v71, v[74:75], off
	v_lshl_add_u64 v[74:75], v[88:89], 0, v[80:81]
	s_waitcnt vmcnt(0)
	v_mul_f32_e32 v71, s17, v71
	v_min_f32_e32 v70, v71, v70
	global_store_dword v[74:75], v70, off
	v_lshl_add_u64 v[70:71], v[66:67], 2, v[90:91]
	global_load_dword v70, v[70:71], off
	s_waitcnt vmcnt(0)
	v_mul_f32_e32 v74, s17, v70
.LBB54_54:
	s_waitcnt lgkmcnt(11)
	v_pk_add_f32 v[70:71], v[20:21], v[60:61]
	s_mov_b64 s[2:3], -1
	v_min3_f32 v75, v70, v71, v86
	s_waitcnt lgkmcnt(10)
	v_pk_add_f32 v[70:71], v[16:17], v[60:61]
	s_mov_b64 vcc, s[8:9]
	v_min3_f32 v78, v70, v71, v83
	v_pk_add_f32 v[70:71], v[22:23], v[62:63]
	s_nop 0
	v_min_f32_e32 v82, v70, v71
	v_pk_add_f32 v[70:71], v[18:19], v[62:63]
	v_min3_f32 v82, v74, v82, v75
	v_min3_f32 v83, v70, v71, v78
	v_add_u32_e32 v78, 0x80, v68
	v_add_u32_e32 v70, 0xa0, v68
	v_lshl_add_u64 v[74:75], v[66:67], 2, v[88:89]
	v_ashrrev_i32_e32 v79, 31, v78
	v_ashrrev_i32_e32 v71, 31, v70
	global_store_dword v[74:75], v82, off
	v_max_f32_e32 v74, v83, v83
	s_cbranch_vccz .LBB54_56
; %bb.55:
	v_min_f32_e32 v75, 0, v74
	v_lshl_add_u64 v[82:83], v[78:79], 2, v[88:89]
	global_store_dword v[82:83], v75, off
	s_mov_b64 s[2:3], 0
.LBB54_56:
	v_mov_b32_e32 v86, 0
	s_andn2_b64 vcc, exec, s[2:3]
	v_lshlrev_b64 v[82:83], 2, v[78:79]
	s_cbranch_vccnz .LBB54_58
; %bb.57:
	v_lshl_add_u64 v[86:87], v[90:91], 0, v[82:83]
	global_load_dword v75, v[86:87], off
	v_lshl_add_u64 v[86:87], v[88:89], 0, v[82:83]
	s_waitcnt vmcnt(0)
	v_mul_f32_e32 v75, s17, v75
	v_min_f32_e32 v74, v75, v74
	global_store_dword v[86:87], v74, off
	v_lshl_add_u64 v[74:75], v[70:71], 2, v[90:91]
	global_load_dword v74, v[74:75], off
	s_waitcnt vmcnt(0)
	v_mul_f32_e32 v86, s17, v74
.LBB54_58:
	s_waitcnt lgkmcnt(9)
	v_pk_add_f32 v[74:75], v[12:13], v[60:61]
	s_mov_b64 s[2:3], -1
	v_min3_f32 v87, v74, v75, v85
	s_waitcnt lgkmcnt(8)
	v_pk_add_f32 v[74:75], v[8:9], v[60:61]
	s_mov_b64 vcc, s[8:9]
	v_min3_f32 v84, v74, v75, v84
	v_pk_add_f32 v[74:75], v[14:15], v[62:63]
	s_nop 0
	v_min_f32_e32 v149, v74, v75
	v_pk_add_f32 v[74:75], v[10:11], v[62:63]
	v_min3_f32 v149, v86, v149, v87
	v_min3_f32 v151, v74, v75, v84
	v_add_u32_e32 v84, 0xc0, v68
	v_add_u32_e32 v74, 0xe0, v68
	v_lshl_add_u64 v[86:87], v[70:71], 2, v[88:89]
	v_ashrrev_i32_e32 v85, 31, v84
	v_ashrrev_i32_e32 v75, 31, v74
	global_store_dword v[86:87], v149, off
	v_max_f32_e32 v149, v151, v151
	s_cbranch_vccz .LBB54_60
; %bb.59:
	v_min_f32_e32 v151, 0, v149
	v_lshl_add_u64 v[86:87], v[84:85], 2, v[88:89]
	global_store_dword v[86:87], v151, off
	s_mov_b64 s[2:3], 0
.LBB54_60:
	v_mov_b32_e32 v151, 0
	s_andn2_b64 vcc, exec, s[2:3]
	v_lshlrev_b64 v[86:87], 2, v[84:85]
	s_cbranch_vccnz .LBB54_62
; %bb.61:
	v_lshl_add_u64 v[152:153], v[90:91], 0, v[86:87]
	global_load_dword v151, v[152:153], off
	v_lshl_add_u64 v[152:153], v[88:89], 0, v[86:87]
	v_lshl_add_u64 v[90:91], v[74:75], 2, v[90:91]
	s_waitcnt vmcnt(0)
	v_mul_f32_e32 v151, s17, v151
	v_min_f32_e32 v149, v151, v149
	global_store_dword v[152:153], v149, off
	global_load_dword v90, v[90:91], off
	s_waitcnt vmcnt(0)
	v_mul_f32_e32 v151, s17, v90
.LBB54_62:
	s_waitcnt lgkmcnt(7)
	v_pk_add_f32 v[60:61], v[0:1], v[60:61]
	s_mov_b64 vcc, s[8:9]
	v_min3_f32 v90, v60, v61, v148
	s_waitcnt lgkmcnt(6)
	v_pk_add_f32 v[60:61], v[32:33], v[56:57]
	s_nop 0
	v_min3_f32 v91, v60, v61, v147
	v_pk_add_f32 v[60:61], v[2:3], v[62:63]
	s_nop 0
	v_min_f32_e32 v62, v60, v61
	v_pk_add_f32 v[60:61], v[34:35], v[58:59]
	v_min3_f32 v62, v151, v62, v90
	v_min3_f32 v91, v60, v61, v91
	v_lshl_add_u64 v[60:61], v[74:75], 2, v[88:89]
	global_store_dword v[60:61], v62, off
	v_add_u32_e32 v62, 8, v150
	v_mad_i64_i32 v[60:61], s[2:3], v62, s5, 0
	v_mad_i64_i32 v[62:63], s[2:3], v62, s4, 0
	v_lshl_add_u64 v[60:61], v[60:61], 2, s[0:1]
	s_mov_b64 s[2:3], -1
	v_max_f32_e32 v88, v91, v91
	s_cbranch_vccz .LBB54_64
; %bb.63:
	v_min_f32_e32 v89, 0, v88
	v_lshl_add_u64 v[90:91], v[68:69], 2, v[60:61]
	global_store_dword v[90:91], v89, off
	s_mov_b64 s[2:3], 0
.LBB54_64:
	v_lshl_add_u64 v[62:63], v[62:63], 2, s[10:11]
	s_andn2_b64 vcc, exec, s[2:3]
	v_mov_b32_e32 v89, 0
	s_cbranch_vccnz .LBB54_66
; %bb.65:
	v_lshl_add_u64 v[90:91], v[62:63], 0, v[72:73]
	global_load_dword v89, v[90:91], off
	v_lshl_add_u64 v[90:91], v[60:61], 0, v[72:73]
	s_waitcnt vmcnt(0)
	v_mul_f32_e32 v89, s17, v89
	v_min_f32_e32 v88, v89, v88
	global_store_dword v[90:91], v88, off
	v_lshl_add_u64 v[88:89], v[64:65], 2, v[62:63]
	global_load_dword v88, v[88:89], off
	s_waitcnt vmcnt(0)
	v_mul_f32_e32 v89, s17, v88
.LBB54_66:
	v_pk_add_f32 v[90:91], v[28:29], v[56:57]
	s_mov_b64 s[2:3], -1
	v_min3_f32 v88, v90, v91, v146
	v_pk_add_f32 v[90:91], v[24:25], v[56:57]
	s_mov_b64 vcc, s[8:9]
	v_min3_f32 v145, v90, v91, v145
	v_pk_add_f32 v[90:91], v[30:31], v[58:59]
	s_nop 0
	v_min_f32_e32 v146, v90, v91
	v_pk_add_f32 v[90:91], v[26:27], v[58:59]
	s_nop 0
	v_min3_f32 v90, v90, v91, v145
	v_min3_f32 v91, v89, v146, v88
	v_lshl_add_u64 v[88:89], v[64:65], 2, v[60:61]
	global_store_dword v[88:89], v91, off
	v_max_f32_e32 v88, v90, v90
	s_cbranch_vccz .LBB54_68
; %bb.67:
	v_min_f32_e32 v89, 0, v88
	v_lshl_add_u64 v[90:91], v[76:77], 2, v[60:61]
	global_store_dword v[90:91], v89, off
	s_mov_b64 s[2:3], 0
.LBB54_68:
	s_andn2_b64 vcc, exec, s[2:3]
	v_mov_b32_e32 v89, 0
	s_cbranch_vccnz .LBB54_70
; %bb.69:
	v_lshl_add_u64 v[90:91], v[62:63], 0, v[80:81]
	global_load_dword v89, v[90:91], off
	v_lshl_add_u64 v[90:91], v[60:61], 0, v[80:81]
	s_waitcnt vmcnt(0)
	v_mul_f32_e32 v89, s17, v89
	v_min_f32_e32 v88, v89, v88
	global_store_dword v[90:91], v88, off
	v_lshl_add_u64 v[88:89], v[66:67], 2, v[62:63]
	global_load_dword v88, v[88:89], off
	s_waitcnt vmcnt(0)
	v_mul_f32_e32 v89, s17, v88
.LBB54_70:
	v_pk_add_f32 v[90:91], v[20:21], v[56:57]
	s_mov_b64 s[2:3], -1
	v_min3_f32 v88, v90, v91, v144
	v_pk_add_f32 v[90:91], v[16:17], v[56:57]
	s_mov_b64 vcc, s[8:9]
	v_min3_f32 v143, v90, v91, v143
	v_pk_add_f32 v[90:91], v[22:23], v[58:59]
	s_nop 0
	v_min_f32_e32 v144, v90, v91
	v_pk_add_f32 v[90:91], v[18:19], v[58:59]
	s_nop 0
	v_min3_f32 v90, v90, v91, v143
	v_min3_f32 v91, v89, v144, v88
	v_lshl_add_u64 v[88:89], v[66:67], 2, v[60:61]
	global_store_dword v[88:89], v91, off
	v_max_f32_e32 v88, v90, v90
	s_cbranch_vccz .LBB54_72
; %bb.71:
	v_min_f32_e32 v89, 0, v88
	v_lshl_add_u64 v[90:91], v[78:79], 2, v[60:61]
	global_store_dword v[90:91], v89, off
	s_mov_b64 s[2:3], 0
.LBB54_72:
	s_andn2_b64 vcc, exec, s[2:3]
	v_mov_b32_e32 v89, 0
	s_cbranch_vccnz .LBB54_74
; %bb.73:
	v_lshl_add_u64 v[90:91], v[62:63], 0, v[82:83]
	global_load_dword v89, v[90:91], off
	v_lshl_add_u64 v[90:91], v[60:61], 0, v[82:83]
	s_waitcnt vmcnt(0)
	v_mul_f32_e32 v89, s17, v89
	v_min_f32_e32 v88, v89, v88
	global_store_dword v[90:91], v88, off
	v_lshl_add_u64 v[88:89], v[70:71], 2, v[62:63]
	global_load_dword v88, v[88:89], off
	s_waitcnt vmcnt(0)
	v_mul_f32_e32 v89, s17, v88
.LBB54_74:
	v_pk_add_f32 v[90:91], v[12:13], v[56:57]
	s_mov_b64 s[2:3], -1
	v_min3_f32 v88, v90, v91, v142
	v_pk_add_f32 v[90:91], v[8:9], v[56:57]
	s_mov_b64 vcc, s[8:9]
	v_min3_f32 v141, v90, v91, v141
	v_pk_add_f32 v[90:91], v[14:15], v[58:59]
	s_nop 0
	v_min_f32_e32 v142, v90, v91
	v_pk_add_f32 v[90:91], v[10:11], v[58:59]
	s_nop 0
	v_min3_f32 v90, v90, v91, v141
	v_min3_f32 v91, v89, v142, v88
	v_lshl_add_u64 v[88:89], v[70:71], 2, v[60:61]
	global_store_dword v[88:89], v91, off
	v_max_f32_e32 v88, v90, v90
	s_cbranch_vccz .LBB54_76
; %bb.75:
	v_min_f32_e32 v89, 0, v88
	v_lshl_add_u64 v[90:91], v[84:85], 2, v[60:61]
	global_store_dword v[90:91], v89, off
	s_mov_b64 s[2:3], 0
.LBB54_76:
	s_andn2_b64 vcc, exec, s[2:3]
	v_mov_b32_e32 v89, 0
	s_cbranch_vccnz .LBB54_78
; %bb.77:
	v_lshl_add_u64 v[90:91], v[62:63], 0, v[86:87]
	global_load_dword v89, v[90:91], off
	v_lshl_add_u64 v[90:91], v[60:61], 0, v[86:87]
	v_lshl_add_u64 v[62:63], v[74:75], 2, v[62:63]
	s_waitcnt vmcnt(0)
	v_mul_f32_e32 v89, s17, v89
	v_min_f32_e32 v88, v89, v88
	global_store_dword v[90:91], v88, off
	global_load_dword v62, v[62:63], off
	s_waitcnt vmcnt(0)
	v_mul_f32_e32 v89, s17, v62
.LBB54_78:
	v_pk_add_f32 v[56:57], v[0:1], v[56:57]
	s_mov_b64 vcc, s[8:9]
	v_min3_f32 v62, v56, v57, v140
	s_waitcnt lgkmcnt(5)
	v_pk_add_f32 v[56:57], v[32:33], v[52:53]
	s_nop 0
	v_min3_f32 v63, v56, v57, v139
	v_pk_add_f32 v[56:57], v[2:3], v[58:59]
	s_nop 0
	v_min_f32_e32 v58, v56, v57
	v_pk_add_f32 v[56:57], v[34:35], v[54:55]
	v_min3_f32 v58, v89, v58, v62
	v_min3_f32 v63, v56, v57, v63
	v_lshl_add_u64 v[56:57], v[74:75], 2, v[60:61]
	global_store_dword v[56:57], v58, off
	v_add_u32_e32 v58, 16, v150
	v_mad_i64_i32 v[56:57], s[2:3], v58, s5, 0
	v_mad_i64_i32 v[58:59], s[2:3], v58, s4, 0
	v_lshl_add_u64 v[56:57], v[56:57], 2, s[0:1]
	s_mov_b64 s[2:3], -1
	v_max_f32_e32 v60, v63, v63
	s_cbranch_vccz .LBB54_80
; %bb.79:
	v_min_f32_e32 v61, 0, v60
	v_lshl_add_u64 v[62:63], v[68:69], 2, v[56:57]
	global_store_dword v[62:63], v61, off
	s_mov_b64 s[2:3], 0
.LBB54_80:
	v_lshl_add_u64 v[58:59], v[58:59], 2, s[10:11]
	s_andn2_b64 vcc, exec, s[2:3]
	v_mov_b32_e32 v61, 0
	s_cbranch_vccnz .LBB54_82
; %bb.81:
	v_lshl_add_u64 v[62:63], v[58:59], 0, v[72:73]
	global_load_dword v61, v[62:63], off
	v_lshl_add_u64 v[62:63], v[56:57], 0, v[72:73]
	s_waitcnt vmcnt(0)
	v_mul_f32_e32 v61, s17, v61
	v_min_f32_e32 v60, v61, v60
	global_store_dword v[62:63], v60, off
	v_lshl_add_u64 v[60:61], v[64:65], 2, v[58:59]
	global_load_dword v60, v[60:61], off
	s_waitcnt vmcnt(0)
	v_mul_f32_e32 v61, s17, v60
.LBB54_82:
	v_pk_add_f32 v[62:63], v[28:29], v[52:53]
	s_mov_b64 s[2:3], -1
	v_min3_f32 v60, v62, v63, v138
	v_pk_add_f32 v[62:63], v[24:25], v[52:53]
	s_mov_b64 vcc, s[8:9]
	v_min3_f32 v88, v62, v63, v137
	v_pk_add_f32 v[62:63], v[30:31], v[54:55]
	s_nop 0
	v_min_f32_e32 v89, v62, v63
	v_pk_add_f32 v[62:63], v[26:27], v[54:55]
	s_nop 0
	v_min3_f32 v62, v62, v63, v88
	v_min3_f32 v63, v61, v89, v60
	v_lshl_add_u64 v[60:61], v[64:65], 2, v[56:57]
	global_store_dword v[60:61], v63, off
	v_max_f32_e32 v60, v62, v62
	s_cbranch_vccz .LBB54_84
; %bb.83:
	v_min_f32_e32 v61, 0, v60
	v_lshl_add_u64 v[62:63], v[76:77], 2, v[56:57]
	global_store_dword v[62:63], v61, off
	s_mov_b64 s[2:3], 0
.LBB54_84:
	s_andn2_b64 vcc, exec, s[2:3]
	v_mov_b32_e32 v61, 0
	s_cbranch_vccnz .LBB54_86
; %bb.85:
	v_lshl_add_u64 v[62:63], v[58:59], 0, v[80:81]
	global_load_dword v61, v[62:63], off
	v_lshl_add_u64 v[62:63], v[56:57], 0, v[80:81]
	s_waitcnt vmcnt(0)
	v_mul_f32_e32 v61, s17, v61
	v_min_f32_e32 v60, v61, v60
	global_store_dword v[62:63], v60, off
	v_lshl_add_u64 v[60:61], v[66:67], 2, v[58:59]
	global_load_dword v60, v[60:61], off
	s_waitcnt vmcnt(0)
	v_mul_f32_e32 v61, s17, v60
.LBB54_86:
	v_pk_add_f32 v[62:63], v[20:21], v[52:53]
	s_mov_b64 s[2:3], -1
	v_min3_f32 v60, v62, v63, v136
	v_pk_add_f32 v[62:63], v[16:17], v[52:53]
	s_mov_b64 vcc, s[8:9]
	v_min3_f32 v88, v62, v63, v135
	v_pk_add_f32 v[62:63], v[22:23], v[54:55]
	s_nop 0
	v_min_f32_e32 v89, v62, v63
	v_pk_add_f32 v[62:63], v[18:19], v[54:55]
	s_nop 0
	v_min3_f32 v62, v62, v63, v88
	v_min3_f32 v63, v61, v89, v60
	v_lshl_add_u64 v[60:61], v[66:67], 2, v[56:57]
	global_store_dword v[60:61], v63, off
	v_max_f32_e32 v60, v62, v62
	s_cbranch_vccz .LBB54_88
; %bb.87:
	v_min_f32_e32 v61, 0, v60
	v_lshl_add_u64 v[62:63], v[78:79], 2, v[56:57]
	global_store_dword v[62:63], v61, off
	s_mov_b64 s[2:3], 0
.LBB54_88:
	;; [unrolled: 39-line block ×3, first 2 shown]
	s_andn2_b64 vcc, exec, s[2:3]
	v_mov_b32_e32 v61, 0
	s_cbranch_vccnz .LBB54_94
; %bb.93:
	v_lshl_add_u64 v[62:63], v[58:59], 0, v[86:87]
	global_load_dword v61, v[62:63], off
	v_lshl_add_u64 v[62:63], v[56:57], 0, v[86:87]
	v_lshl_add_u64 v[58:59], v[74:75], 2, v[58:59]
	s_waitcnt vmcnt(0)
	v_mul_f32_e32 v61, s17, v61
	v_min_f32_e32 v60, v61, v60
	global_store_dword v[62:63], v60, off
	global_load_dword v58, v[58:59], off
	s_waitcnt vmcnt(0)
	v_mul_f32_e32 v61, s17, v58
.LBB54_94:
	v_pk_add_f32 v[52:53], v[0:1], v[52:53]
	s_mov_b64 vcc, s[8:9]
	v_min3_f32 v58, v52, v53, v132
	s_waitcnt lgkmcnt(4)
	v_pk_add_f32 v[52:53], v[32:33], v[48:49]
	s_nop 0
	v_min3_f32 v59, v52, v53, v131
	v_pk_add_f32 v[52:53], v[2:3], v[54:55]
	s_nop 0
	v_min_f32_e32 v54, v52, v53
	v_pk_add_f32 v[52:53], v[34:35], v[50:51]
	v_min3_f32 v54, v61, v54, v58
	v_min3_f32 v59, v52, v53, v59
	v_lshl_add_u64 v[52:53], v[74:75], 2, v[56:57]
	global_store_dword v[52:53], v54, off
	v_add_u32_e32 v54, 24, v150
	v_mad_i64_i32 v[52:53], s[2:3], v54, s5, 0
	v_mad_i64_i32 v[54:55], s[2:3], v54, s4, 0
	v_lshl_add_u64 v[52:53], v[52:53], 2, s[0:1]
	s_mov_b64 s[2:3], -1
	v_max_f32_e32 v56, v59, v59
	s_cbranch_vccz .LBB54_96
; %bb.95:
	v_min_f32_e32 v57, 0, v56
	v_lshl_add_u64 v[58:59], v[68:69], 2, v[52:53]
	global_store_dword v[58:59], v57, off
	s_mov_b64 s[2:3], 0
.LBB54_96:
	v_lshl_add_u64 v[54:55], v[54:55], 2, s[10:11]
	s_andn2_b64 vcc, exec, s[2:3]
	v_mov_b32_e32 v57, 0
	s_cbranch_vccnz .LBB54_98
; %bb.97:
	v_lshl_add_u64 v[58:59], v[54:55], 0, v[72:73]
	global_load_dword v57, v[58:59], off
	v_lshl_add_u64 v[58:59], v[52:53], 0, v[72:73]
	s_waitcnt vmcnt(0)
	v_mul_f32_e32 v57, s17, v57
	v_min_f32_e32 v56, v57, v56
	global_store_dword v[58:59], v56, off
	v_lshl_add_u64 v[56:57], v[64:65], 2, v[54:55]
	global_load_dword v56, v[56:57], off
	s_waitcnt vmcnt(0)
	v_mul_f32_e32 v57, s17, v56
.LBB54_98:
	v_pk_add_f32 v[58:59], v[28:29], v[48:49]
	s_mov_b64 s[2:3], -1
	v_min3_f32 v56, v58, v59, v130
	v_pk_add_f32 v[58:59], v[24:25], v[48:49]
	s_mov_b64 vcc, s[8:9]
	v_min3_f32 v60, v58, v59, v129
	v_pk_add_f32 v[58:59], v[30:31], v[50:51]
	s_nop 0
	v_min_f32_e32 v61, v58, v59
	v_pk_add_f32 v[58:59], v[26:27], v[50:51]
	s_nop 0
	v_min3_f32 v58, v58, v59, v60
	v_min3_f32 v59, v57, v61, v56
	v_lshl_add_u64 v[56:57], v[64:65], 2, v[52:53]
	global_store_dword v[56:57], v59, off
	v_max_f32_e32 v56, v58, v58
	s_cbranch_vccz .LBB54_100
; %bb.99:
	v_min_f32_e32 v57, 0, v56
	v_lshl_add_u64 v[58:59], v[76:77], 2, v[52:53]
	global_store_dword v[58:59], v57, off
	s_mov_b64 s[2:3], 0
.LBB54_100:
	s_andn2_b64 vcc, exec, s[2:3]
	v_mov_b32_e32 v57, 0
	s_cbranch_vccnz .LBB54_102
; %bb.101:
	v_lshl_add_u64 v[58:59], v[54:55], 0, v[80:81]
	global_load_dword v57, v[58:59], off
	v_lshl_add_u64 v[58:59], v[52:53], 0, v[80:81]
	s_waitcnt vmcnt(0)
	v_mul_f32_e32 v57, s17, v57
	v_min_f32_e32 v56, v57, v56
	global_store_dword v[58:59], v56, off
	v_lshl_add_u64 v[56:57], v[66:67], 2, v[54:55]
	global_load_dword v56, v[56:57], off
	s_waitcnt vmcnt(0)
	v_mul_f32_e32 v57, s17, v56
.LBB54_102:
	v_pk_add_f32 v[58:59], v[20:21], v[48:49]
	s_mov_b64 s[2:3], -1
	v_min3_f32 v56, v58, v59, v128
	v_pk_add_f32 v[58:59], v[16:17], v[48:49]
	s_mov_b64 vcc, s[8:9]
	v_min3_f32 v60, v58, v59, v127
	v_pk_add_f32 v[58:59], v[22:23], v[50:51]
	s_nop 0
	v_min_f32_e32 v61, v58, v59
	v_pk_add_f32 v[58:59], v[18:19], v[50:51]
	s_nop 0
	v_min3_f32 v58, v58, v59, v60
	v_min3_f32 v59, v57, v61, v56
	v_lshl_add_u64 v[56:57], v[66:67], 2, v[52:53]
	global_store_dword v[56:57], v59, off
	v_max_f32_e32 v56, v58, v58
	s_cbranch_vccz .LBB54_104
; %bb.103:
	v_min_f32_e32 v57, 0, v56
	v_lshl_add_u64 v[58:59], v[78:79], 2, v[52:53]
	global_store_dword v[58:59], v57, off
	s_mov_b64 s[2:3], 0
.LBB54_104:
	;; [unrolled: 39-line block ×3, first 2 shown]
	s_andn2_b64 vcc, exec, s[2:3]
	v_mov_b32_e32 v57, 0
	s_cbranch_vccnz .LBB54_110
; %bb.109:
	v_lshl_add_u64 v[58:59], v[54:55], 0, v[86:87]
	global_load_dword v57, v[58:59], off
	v_lshl_add_u64 v[58:59], v[52:53], 0, v[86:87]
	v_lshl_add_u64 v[54:55], v[74:75], 2, v[54:55]
	s_waitcnt vmcnt(0)
	v_mul_f32_e32 v57, s17, v57
	v_min_f32_e32 v56, v57, v56
	global_store_dword v[58:59], v56, off
	global_load_dword v54, v[54:55], off
	s_waitcnt vmcnt(0)
	v_mul_f32_e32 v57, s17, v54
.LBB54_110:
	v_pk_add_f32 v[48:49], v[0:1], v[48:49]
	s_mov_b64 vcc, s[8:9]
	v_min3_f32 v54, v48, v49, v124
	s_waitcnt lgkmcnt(3)
	v_pk_add_f32 v[48:49], v[32:33], v[44:45]
	s_nop 0
	v_min3_f32 v55, v48, v49, v123
	v_pk_add_f32 v[48:49], v[2:3], v[50:51]
	s_nop 0
	v_min_f32_e32 v50, v48, v49
	v_pk_add_f32 v[48:49], v[34:35], v[46:47]
	v_min3_f32 v50, v57, v50, v54
	v_min3_f32 v55, v48, v49, v55
	v_lshl_add_u64 v[48:49], v[74:75], 2, v[52:53]
	global_store_dword v[48:49], v50, off
	v_add_u32_e32 v50, 32, v150
	v_mad_i64_i32 v[48:49], s[2:3], v50, s5, 0
	v_mad_i64_i32 v[50:51], s[2:3], v50, s4, 0
	v_lshl_add_u64 v[48:49], v[48:49], 2, s[0:1]
	s_mov_b64 s[2:3], -1
	v_max_f32_e32 v52, v55, v55
	s_cbranch_vccz .LBB54_112
; %bb.111:
	v_min_f32_e32 v53, 0, v52
	v_lshl_add_u64 v[54:55], v[68:69], 2, v[48:49]
	global_store_dword v[54:55], v53, off
	s_mov_b64 s[2:3], 0
.LBB54_112:
	v_lshl_add_u64 v[50:51], v[50:51], 2, s[10:11]
	s_andn2_b64 vcc, exec, s[2:3]
	v_mov_b32_e32 v53, 0
	s_cbranch_vccnz .LBB54_114
; %bb.113:
	v_lshl_add_u64 v[54:55], v[50:51], 0, v[72:73]
	global_load_dword v53, v[54:55], off
	v_lshl_add_u64 v[54:55], v[48:49], 0, v[72:73]
	s_waitcnt vmcnt(0)
	v_mul_f32_e32 v53, s17, v53
	v_min_f32_e32 v52, v53, v52
	global_store_dword v[54:55], v52, off
	v_lshl_add_u64 v[52:53], v[64:65], 2, v[50:51]
	global_load_dword v52, v[52:53], off
	s_waitcnt vmcnt(0)
	v_mul_f32_e32 v53, s17, v52
.LBB54_114:
	v_pk_add_f32 v[54:55], v[28:29], v[44:45]
	s_mov_b64 s[2:3], -1
	v_min3_f32 v52, v54, v55, v122
	v_pk_add_f32 v[54:55], v[24:25], v[44:45]
	s_mov_b64 vcc, s[8:9]
	v_min3_f32 v56, v54, v55, v121
	v_pk_add_f32 v[54:55], v[30:31], v[46:47]
	s_nop 0
	v_min_f32_e32 v57, v54, v55
	v_pk_add_f32 v[54:55], v[26:27], v[46:47]
	s_nop 0
	v_min3_f32 v54, v54, v55, v56
	v_min3_f32 v55, v53, v57, v52
	v_lshl_add_u64 v[52:53], v[64:65], 2, v[48:49]
	global_store_dword v[52:53], v55, off
	v_max_f32_e32 v52, v54, v54
	s_cbranch_vccz .LBB54_116
; %bb.115:
	v_min_f32_e32 v53, 0, v52
	v_lshl_add_u64 v[54:55], v[76:77], 2, v[48:49]
	global_store_dword v[54:55], v53, off
	s_mov_b64 s[2:3], 0
.LBB54_116:
	s_andn2_b64 vcc, exec, s[2:3]
	v_mov_b32_e32 v53, 0
	s_cbranch_vccnz .LBB54_118
; %bb.117:
	v_lshl_add_u64 v[54:55], v[50:51], 0, v[80:81]
	global_load_dword v53, v[54:55], off
	v_lshl_add_u64 v[54:55], v[48:49], 0, v[80:81]
	s_waitcnt vmcnt(0)
	v_mul_f32_e32 v53, s17, v53
	v_min_f32_e32 v52, v53, v52
	global_store_dword v[54:55], v52, off
	v_lshl_add_u64 v[52:53], v[66:67], 2, v[50:51]
	global_load_dword v52, v[52:53], off
	s_waitcnt vmcnt(0)
	v_mul_f32_e32 v53, s17, v52
.LBB54_118:
	v_pk_add_f32 v[54:55], v[20:21], v[44:45]
	s_mov_b64 s[2:3], -1
	v_min3_f32 v52, v54, v55, v120
	v_pk_add_f32 v[54:55], v[16:17], v[44:45]
	s_mov_b64 vcc, s[8:9]
	v_min3_f32 v56, v54, v55, v119
	v_pk_add_f32 v[54:55], v[22:23], v[46:47]
	s_nop 0
	v_min_f32_e32 v57, v54, v55
	v_pk_add_f32 v[54:55], v[18:19], v[46:47]
	s_nop 0
	v_min3_f32 v54, v54, v55, v56
	v_min3_f32 v55, v53, v57, v52
	v_lshl_add_u64 v[52:53], v[66:67], 2, v[48:49]
	global_store_dword v[52:53], v55, off
	v_max_f32_e32 v52, v54, v54
	s_cbranch_vccz .LBB54_120
; %bb.119:
	v_min_f32_e32 v53, 0, v52
	v_lshl_add_u64 v[54:55], v[78:79], 2, v[48:49]
	global_store_dword v[54:55], v53, off
	s_mov_b64 s[2:3], 0
.LBB54_120:
	s_andn2_b64 vcc, exec, s[2:3]
	v_mov_b32_e32 v53, 0
	s_cbranch_vccnz .LBB54_122
; %bb.121:
	v_lshl_add_u64 v[54:55], v[50:51], 0, v[82:83]
	global_load_dword v53, v[54:55], off
	v_lshl_add_u64 v[54:55], v[48:49], 0, v[82:83]
	s_waitcnt vmcnt(0)
	v_mul_f32_e32 v53, s17, v53
	v_min_f32_e32 v52, v53, v52
	global_store_dword v[54:55], v52, off
	v_lshl_add_u64 v[52:53], v[70:71], 2, v[50:51]
	global_load_dword v52, v[52:53], off
	s_waitcnt vmcnt(0)
	v_mul_f32_e32 v53, s17, v52
.LBB54_122:
	v_pk_add_f32 v[54:55], v[12:13], v[44:45]
	s_mov_b64 s[2:3], -1
	v_min3_f32 v52, v54, v55, v116
	v_pk_add_f32 v[54:55], v[8:9], v[44:45]
	s_mov_b64 vcc, s[8:9]
	v_min3_f32 v56, v54, v55, v115
	v_pk_add_f32 v[54:55], v[14:15], v[46:47]
	s_nop 0
	v_min_f32_e32 v57, v54, v55
	v_pk_add_f32 v[54:55], v[10:11], v[46:47]
	s_nop 0
	v_min3_f32 v54, v54, v55, v56
	v_min3_f32 v55, v53, v57, v52
	v_lshl_add_u64 v[52:53], v[70:71], 2, v[48:49]
	global_store_dword v[52:53], v55, off
	v_max_f32_e32 v52, v54, v54
	s_cbranch_vccz .LBB54_124
; %bb.123:
	v_min_f32_e32 v53, 0, v52
	v_lshl_add_u64 v[54:55], v[84:85], 2, v[48:49]
	global_store_dword v[54:55], v53, off
	s_mov_b64 s[2:3], 0
.LBB54_124:
	s_andn2_b64 vcc, exec, s[2:3]
	v_mov_b32_e32 v53, 0
	s_cbranch_vccnz .LBB54_126
; %bb.125:
	v_lshl_add_u64 v[54:55], v[50:51], 0, v[86:87]
	global_load_dword v53, v[54:55], off
	v_lshl_add_u64 v[54:55], v[48:49], 0, v[86:87]
	v_lshl_add_u64 v[50:51], v[74:75], 2, v[50:51]
	s_waitcnt vmcnt(0)
	v_mul_f32_e32 v53, s17, v53
	v_min_f32_e32 v52, v53, v52
	global_store_dword v[54:55], v52, off
	global_load_dword v50, v[50:51], off
	s_waitcnt vmcnt(0)
	v_mul_f32_e32 v53, s17, v50
.LBB54_126:
	v_pk_add_f32 v[44:45], v[0:1], v[44:45]
	s_mov_b64 vcc, s[8:9]
	v_min3_f32 v50, v44, v45, v118
	s_waitcnt lgkmcnt(2)
	v_pk_add_f32 v[44:45], v[32:33], v[40:41]
	s_nop 0
	v_min3_f32 v51, v44, v45, v117
	v_pk_add_f32 v[44:45], v[2:3], v[46:47]
	s_nop 0
	v_min_f32_e32 v46, v44, v45
	v_pk_add_f32 v[44:45], v[34:35], v[42:43]
	v_min3_f32 v46, v53, v46, v50
	v_min3_f32 v51, v44, v45, v51
	v_lshl_add_u64 v[44:45], v[74:75], 2, v[48:49]
	global_store_dword v[44:45], v46, off
	v_add_u32_e32 v46, 40, v150
	v_mad_i64_i32 v[44:45], s[2:3], v46, s5, 0
	v_mad_i64_i32 v[46:47], s[2:3], v46, s4, 0
	v_lshl_add_u64 v[44:45], v[44:45], 2, s[0:1]
	s_mov_b64 s[2:3], -1
	v_max_f32_e32 v48, v51, v51
	s_cbranch_vccz .LBB54_128
; %bb.127:
	v_min_f32_e32 v49, 0, v48
	v_lshl_add_u64 v[50:51], v[68:69], 2, v[44:45]
	global_store_dword v[50:51], v49, off
	s_mov_b64 s[2:3], 0
.LBB54_128:
	v_lshl_add_u64 v[46:47], v[46:47], 2, s[10:11]
	s_andn2_b64 vcc, exec, s[2:3]
	v_mov_b32_e32 v49, 0
	s_cbranch_vccnz .LBB54_130
; %bb.129:
	v_lshl_add_u64 v[50:51], v[46:47], 0, v[72:73]
	global_load_dword v49, v[50:51], off
	v_lshl_add_u64 v[50:51], v[44:45], 0, v[72:73]
	s_waitcnt vmcnt(0)
	v_mul_f32_e32 v49, s17, v49
	v_min_f32_e32 v48, v49, v48
	global_store_dword v[50:51], v48, off
	v_lshl_add_u64 v[48:49], v[64:65], 2, v[46:47]
	global_load_dword v48, v[48:49], off
	s_waitcnt vmcnt(0)
	v_mul_f32_e32 v49, s17, v48
.LBB54_130:
	v_pk_add_f32 v[50:51], v[28:29], v[40:41]
	s_mov_b64 s[2:3], -1
	v_min3_f32 v48, v50, v51, v114
	v_pk_add_f32 v[50:51], v[24:25], v[40:41]
	s_mov_b64 vcc, s[8:9]
	v_min3_f32 v52, v50, v51, v113
	v_pk_add_f32 v[50:51], v[30:31], v[42:43]
	s_nop 0
	v_min_f32_e32 v53, v50, v51
	v_pk_add_f32 v[50:51], v[26:27], v[42:43]
	s_nop 0
	v_min3_f32 v50, v50, v51, v52
	v_min3_f32 v51, v49, v53, v48
	v_lshl_add_u64 v[48:49], v[64:65], 2, v[44:45]
	global_store_dword v[48:49], v51, off
	v_max_f32_e32 v48, v50, v50
	s_cbranch_vccz .LBB54_132
; %bb.131:
	v_min_f32_e32 v49, 0, v48
	v_lshl_add_u64 v[50:51], v[76:77], 2, v[44:45]
	global_store_dword v[50:51], v49, off
	s_mov_b64 s[2:3], 0
.LBB54_132:
	s_andn2_b64 vcc, exec, s[2:3]
	v_mov_b32_e32 v49, 0
	s_cbranch_vccnz .LBB54_134
; %bb.133:
	v_lshl_add_u64 v[50:51], v[46:47], 0, v[80:81]
	global_load_dword v49, v[50:51], off
	v_lshl_add_u64 v[50:51], v[44:45], 0, v[80:81]
	s_waitcnt vmcnt(0)
	v_mul_f32_e32 v49, s17, v49
	v_min_f32_e32 v48, v49, v48
	global_store_dword v[50:51], v48, off
	v_lshl_add_u64 v[48:49], v[66:67], 2, v[46:47]
	global_load_dword v48, v[48:49], off
	s_waitcnt vmcnt(0)
	v_mul_f32_e32 v49, s17, v48
.LBB54_134:
	v_pk_add_f32 v[50:51], v[20:21], v[40:41]
	s_mov_b64 s[2:3], -1
	v_min3_f32 v48, v50, v51, v112
	v_pk_add_f32 v[50:51], v[16:17], v[40:41]
	s_mov_b64 vcc, s[8:9]
	v_min3_f32 v52, v50, v51, v111
	v_pk_add_f32 v[50:51], v[22:23], v[42:43]
	s_nop 0
	v_min_f32_e32 v53, v50, v51
	v_pk_add_f32 v[50:51], v[18:19], v[42:43]
	s_nop 0
	v_min3_f32 v50, v50, v51, v52
	v_min3_f32 v51, v49, v53, v48
	v_lshl_add_u64 v[48:49], v[66:67], 2, v[44:45]
	global_store_dword v[48:49], v51, off
	v_max_f32_e32 v48, v50, v50
	s_cbranch_vccz .LBB54_136
; %bb.135:
	v_min_f32_e32 v49, 0, v48
	v_lshl_add_u64 v[50:51], v[78:79], 2, v[44:45]
	global_store_dword v[50:51], v49, off
	s_mov_b64 s[2:3], 0
.LBB54_136:
	;; [unrolled: 39-line block ×3, first 2 shown]
	s_andn2_b64 vcc, exec, s[2:3]
	v_mov_b32_e32 v49, 0
	s_cbranch_vccnz .LBB54_142
; %bb.141:
	v_lshl_add_u64 v[50:51], v[46:47], 0, v[86:87]
	global_load_dword v49, v[50:51], off
	v_lshl_add_u64 v[50:51], v[44:45], 0, v[86:87]
	v_lshl_add_u64 v[46:47], v[74:75], 2, v[46:47]
	s_waitcnt vmcnt(0)
	v_mul_f32_e32 v49, s17, v49
	v_min_f32_e32 v48, v49, v48
	global_store_dword v[50:51], v48, off
	global_load_dword v46, v[46:47], off
	s_waitcnt vmcnt(0)
	v_mul_f32_e32 v49, s17, v46
.LBB54_142:
	v_pk_add_f32 v[40:41], v[0:1], v[40:41]
	s_mov_b64 vcc, s[8:9]
	v_min3_f32 v46, v40, v41, v108
	s_waitcnt lgkmcnt(1)
	v_pk_add_f32 v[40:41], v[32:33], v[36:37]
	s_nop 0
	v_min3_f32 v47, v40, v41, v107
	v_pk_add_f32 v[40:41], v[2:3], v[42:43]
	s_nop 0
	v_min_f32_e32 v42, v40, v41
	v_pk_add_f32 v[40:41], v[34:35], v[38:39]
	v_min3_f32 v42, v49, v42, v46
	v_min3_f32 v47, v40, v41, v47
	v_lshl_add_u64 v[40:41], v[74:75], 2, v[44:45]
	global_store_dword v[40:41], v42, off
	v_add_u32_e32 v42, 48, v150
	v_mad_i64_i32 v[40:41], s[2:3], v42, s5, 0
	v_mad_i64_i32 v[42:43], s[2:3], v42, s4, 0
	v_lshl_add_u64 v[40:41], v[40:41], 2, s[0:1]
	s_mov_b64 s[2:3], -1
	v_max_f32_e32 v44, v47, v47
	s_cbranch_vccz .LBB54_144
; %bb.143:
	v_min_f32_e32 v45, 0, v44
	v_lshl_add_u64 v[46:47], v[68:69], 2, v[40:41]
	global_store_dword v[46:47], v45, off
	s_mov_b64 s[2:3], 0
.LBB54_144:
	v_lshl_add_u64 v[42:43], v[42:43], 2, s[10:11]
	s_andn2_b64 vcc, exec, s[2:3]
	v_mov_b32_e32 v45, 0
	s_cbranch_vccnz .LBB54_146
; %bb.145:
	v_lshl_add_u64 v[46:47], v[42:43], 0, v[72:73]
	global_load_dword v45, v[46:47], off
	v_lshl_add_u64 v[46:47], v[40:41], 0, v[72:73]
	s_waitcnt vmcnt(0)
	v_mul_f32_e32 v45, s17, v45
	v_min_f32_e32 v44, v45, v44
	global_store_dword v[46:47], v44, off
	v_lshl_add_u64 v[44:45], v[64:65], 2, v[42:43]
	global_load_dword v44, v[44:45], off
	s_waitcnt vmcnt(0)
	v_mul_f32_e32 v45, s17, v44
.LBB54_146:
	v_pk_add_f32 v[46:47], v[28:29], v[36:37]
	s_mov_b64 s[2:3], -1
	v_min3_f32 v44, v46, v47, v106
	v_pk_add_f32 v[46:47], v[24:25], v[36:37]
	s_mov_b64 vcc, s[8:9]
	v_min3_f32 v48, v46, v47, v105
	v_pk_add_f32 v[46:47], v[30:31], v[38:39]
	s_nop 0
	v_min_f32_e32 v49, v46, v47
	v_pk_add_f32 v[46:47], v[26:27], v[38:39]
	s_nop 0
	v_min3_f32 v46, v46, v47, v48
	v_min3_f32 v47, v45, v49, v44
	v_lshl_add_u64 v[44:45], v[64:65], 2, v[40:41]
	global_store_dword v[44:45], v47, off
	v_max_f32_e32 v44, v46, v46
	s_cbranch_vccz .LBB54_148
; %bb.147:
	v_min_f32_e32 v45, 0, v44
	v_lshl_add_u64 v[46:47], v[76:77], 2, v[40:41]
	global_store_dword v[46:47], v45, off
	s_mov_b64 s[2:3], 0
.LBB54_148:
	s_andn2_b64 vcc, exec, s[2:3]
	v_mov_b32_e32 v45, 0
	s_cbranch_vccnz .LBB54_150
; %bb.149:
	v_lshl_add_u64 v[46:47], v[42:43], 0, v[80:81]
	global_load_dword v45, v[46:47], off
	v_lshl_add_u64 v[46:47], v[40:41], 0, v[80:81]
	s_waitcnt vmcnt(0)
	v_mul_f32_e32 v45, s17, v45
	v_min_f32_e32 v44, v45, v44
	global_store_dword v[46:47], v44, off
	v_lshl_add_u64 v[44:45], v[66:67], 2, v[42:43]
	global_load_dword v44, v[44:45], off
	s_waitcnt vmcnt(0)
	v_mul_f32_e32 v45, s17, v44
.LBB54_150:
	v_pk_add_f32 v[46:47], v[20:21], v[36:37]
	s_mov_b64 s[2:3], -1
	v_min3_f32 v44, v46, v47, v104
	v_pk_add_f32 v[46:47], v[16:17], v[36:37]
	s_mov_b64 vcc, s[8:9]
	v_min3_f32 v48, v46, v47, v103
	v_pk_add_f32 v[46:47], v[22:23], v[38:39]
	s_nop 0
	v_min_f32_e32 v49, v46, v47
	v_pk_add_f32 v[46:47], v[18:19], v[38:39]
	s_nop 0
	v_min3_f32 v46, v46, v47, v48
	v_min3_f32 v47, v45, v49, v44
	v_lshl_add_u64 v[44:45], v[66:67], 2, v[40:41]
	global_store_dword v[44:45], v47, off
	v_max_f32_e32 v44, v46, v46
	s_cbranch_vccz .LBB54_152
; %bb.151:
	v_min_f32_e32 v45, 0, v44
	v_lshl_add_u64 v[46:47], v[78:79], 2, v[40:41]
	global_store_dword v[46:47], v45, off
	s_mov_b64 s[2:3], 0
.LBB54_152:
	;; [unrolled: 39-line block ×3, first 2 shown]
	s_andn2_b64 vcc, exec, s[2:3]
	v_mov_b32_e32 v45, 0
	s_cbranch_vccnz .LBB54_158
; %bb.157:
	v_lshl_add_u64 v[46:47], v[42:43], 0, v[86:87]
	global_load_dword v45, v[46:47], off
	v_lshl_add_u64 v[46:47], v[40:41], 0, v[86:87]
	v_lshl_add_u64 v[42:43], v[74:75], 2, v[42:43]
	s_waitcnt vmcnt(0)
	v_mul_f32_e32 v45, s17, v45
	v_min_f32_e32 v44, v45, v44
	global_store_dword v[46:47], v44, off
	global_load_dword v42, v[42:43], off
	s_waitcnt vmcnt(0)
	v_mul_f32_e32 v45, s17, v42
.LBB54_158:
	v_pk_add_f32 v[36:37], v[0:1], v[36:37]
	s_waitcnt lgkmcnt(0)
	v_pk_add_f32 v[32:33], v[32:33], v[4:5]
	v_min3_f32 v36, v36, v37, v99
	v_min3_f32 v37, v32, v33, v100
	v_pk_add_f32 v[32:33], v[2:3], v[38:39]
	s_mov_b64 vcc, s[8:9]
	v_min_f32_e32 v38, v32, v33
	v_pk_add_f32 v[32:33], v[34:35], v[6:7]
	v_min3_f32 v34, v45, v38, v36
	v_min3_f32 v37, v32, v33, v37
	v_lshl_add_u64 v[32:33], v[74:75], 2, v[40:41]
	global_store_dword v[32:33], v34, off
	v_add_u32_e32 v34, 56, v150
	v_mad_i64_i32 v[32:33], s[2:3], v34, s5, 0
	v_lshl_add_u64 v[32:33], v[32:33], 2, s[0:1]
	v_mad_i64_i32 v[34:35], s[0:1], v34, s4, 0
	s_mov_b64 s[0:1], -1
	v_max_f32_e32 v36, v37, v37
	s_cbranch_vccz .LBB54_160
; %bb.159:
	v_min_f32_e32 v37, 0, v36
	v_lshl_add_u64 v[38:39], v[68:69], 2, v[32:33]
	global_store_dword v[38:39], v37, off
	s_mov_b64 s[0:1], 0
.LBB54_160:
	v_lshl_add_u64 v[34:35], v[34:35], 2, s[10:11]
	s_andn2_b64 vcc, exec, s[0:1]
	v_mov_b32_e32 v37, 0
	s_cbranch_vccnz .LBB54_162
; %bb.161:
	v_lshl_add_u64 v[38:39], v[34:35], 0, v[72:73]
	global_load_dword v37, v[38:39], off
	v_lshl_add_u64 v[38:39], v[32:33], 0, v[72:73]
	s_waitcnt vmcnt(0)
	v_mul_f32_e32 v37, s17, v37
	v_min_f32_e32 v36, v37, v36
	global_store_dword v[38:39], v36, off
	v_lshl_add_u64 v[36:37], v[64:65], 2, v[34:35]
	global_load_dword v36, v[36:37], off
	s_waitcnt vmcnt(0)
	v_mul_f32_e32 v37, s17, v36
.LBB54_162:
	v_pk_add_f32 v[28:29], v[28:29], v[4:5]
	v_pk_add_f32 v[24:25], v[24:25], v[4:5]
	v_min3_f32 v28, v28, v29, v97
	v_min3_f32 v29, v24, v25, v98
	v_pk_add_f32 v[24:25], v[30:31], v[6:7]
	s_mov_b64 s[0:1], -1
	v_min_f32_e32 v30, v24, v25
	v_pk_add_f32 v[24:25], v[26:27], v[6:7]
	v_min3_f32 v27, v37, v30, v28
	v_min3_f32 v26, v24, v25, v29
	v_lshl_add_u64 v[24:25], v[64:65], 2, v[32:33]
	global_store_dword v[24:25], v27, off
	v_max_f32_e32 v24, v26, v26
	s_mov_b64 vcc, s[8:9]
	s_cbranch_vccz .LBB54_164
; %bb.163:
	v_min_f32_e32 v25, 0, v24
	v_lshl_add_u64 v[26:27], v[76:77], 2, v[32:33]
	global_store_dword v[26:27], v25, off
	s_mov_b64 s[0:1], 0
.LBB54_164:
	s_andn2_b64 vcc, exec, s[0:1]
	v_mov_b32_e32 v25, 0
	s_cbranch_vccnz .LBB54_166
; %bb.165:
	v_lshl_add_u64 v[26:27], v[34:35], 0, v[80:81]
	global_load_dword v25, v[26:27], off
	v_lshl_add_u64 v[26:27], v[32:33], 0, v[80:81]
	s_waitcnt vmcnt(0)
	v_mul_f32_e32 v25, s17, v25
	v_min_f32_e32 v24, v25, v24
	global_store_dword v[26:27], v24, off
	v_lshl_add_u64 v[24:25], v[66:67], 2, v[34:35]
	global_load_dword v24, v[24:25], off
	s_waitcnt vmcnt(0)
	v_mul_f32_e32 v25, s17, v24
.LBB54_166:
	v_pk_add_f32 v[20:21], v[20:21], v[4:5]
	v_pk_add_f32 v[16:17], v[16:17], v[4:5]
	v_min3_f32 v20, v20, v21, v96
	v_min3_f32 v21, v16, v17, v95
	v_pk_add_f32 v[16:17], v[22:23], v[6:7]
	s_mov_b64 s[0:1], -1
	v_min_f32_e32 v22, v16, v17
	v_pk_add_f32 v[16:17], v[18:19], v[6:7]
	v_min3_f32 v19, v25, v22, v20
	v_min3_f32 v18, v16, v17, v21
	v_lshl_add_u64 v[16:17], v[66:67], 2, v[32:33]
	global_store_dword v[16:17], v19, off
	v_max_f32_e32 v16, v18, v18
	s_mov_b64 vcc, s[8:9]
	s_cbranch_vccz .LBB54_168
; %bb.167:
	v_min_f32_e32 v17, 0, v16
	v_lshl_add_u64 v[18:19], v[78:79], 2, v[32:33]
	global_store_dword v[18:19], v17, off
	s_mov_b64 s[0:1], 0
.LBB54_168:
	;; [unrolled: 37-line block ×3, first 2 shown]
	s_andn2_b64 vcc, exec, s[0:1]
	v_mov_b32_e32 v9, 0
	s_cbranch_vccnz .LBB54_174
; %bb.173:
	v_lshl_add_u64 v[10:11], v[34:35], 0, v[86:87]
	global_load_dword v9, v[10:11], off
	v_lshl_add_u64 v[10:11], v[32:33], 0, v[86:87]
	s_waitcnt vmcnt(0)
	v_mul_f32_e32 v9, s17, v9
	v_min_f32_e32 v8, v9, v8
	global_store_dword v[10:11], v8, off
	v_lshl_add_u64 v[8:9], v[74:75], 2, v[34:35]
	global_load_dword v8, v[8:9], off
	s_waitcnt vmcnt(0)
	v_mul_f32_e32 v9, s17, v8
.LBB54_174:
	v_pk_add_f32 v[2:3], v[2:3], v[6:7]
	v_pk_add_f32 v[0:1], v[0:1], v[4:5]
	v_min_f32_e32 v2, v2, v3
	v_min3_f32 v0, v0, v1, v92
	v_min3_f32 v2, v9, v2, v0
	v_lshl_add_u64 v[0:1], v[74:75], 2, v[32:33]
	global_store_dword v[0:1], v2, off
	s_endpgm
	.section	.rodata,"a",@progbits
	.p2align	6, 0x0
	.amdhsa_kernel _ZN12_GLOBAL__N_120geam_min_plus_kernelIf15HIP_vector_typeIfLj2EEfLi32ELi8ELi256ELi64ELi4ELi64ELi4ELi4ELi64ELc78ELc78ELb0ELb0ELb1EPKfS3_fEEviiiT16_PT17_ilS7_ilS5_S7_ilPT18_ili26rocblas_geam_ex_operation_
		.amdhsa_group_segment_fixed_size 10240
		.amdhsa_private_segment_fixed_size 0
		.amdhsa_kernarg_size 136
		.amdhsa_user_sgpr_count 2
		.amdhsa_user_sgpr_dispatch_ptr 0
		.amdhsa_user_sgpr_queue_ptr 0
		.amdhsa_user_sgpr_kernarg_segment_ptr 1
		.amdhsa_user_sgpr_dispatch_id 0
		.amdhsa_user_sgpr_kernarg_preload_length 0
		.amdhsa_user_sgpr_kernarg_preload_offset 0
		.amdhsa_user_sgpr_private_segment_size 0
		.amdhsa_uses_dynamic_stack 0
		.amdhsa_enable_private_segment 0
		.amdhsa_system_sgpr_workgroup_id_x 1
		.amdhsa_system_sgpr_workgroup_id_y 0
		.amdhsa_system_sgpr_workgroup_id_z 1
		.amdhsa_system_sgpr_workgroup_info 0
		.amdhsa_system_vgpr_workitem_id 1
		.amdhsa_next_free_vgpr 158
		.amdhsa_next_free_sgpr 30
		.amdhsa_accum_offset 160
		.amdhsa_reserve_vcc 1
		.amdhsa_float_round_mode_32 0
		.amdhsa_float_round_mode_16_64 0
		.amdhsa_float_denorm_mode_32 3
		.amdhsa_float_denorm_mode_16_64 3
		.amdhsa_dx10_clamp 1
		.amdhsa_ieee_mode 1
		.amdhsa_fp16_overflow 0
		.amdhsa_tg_split 0
		.amdhsa_exception_fp_ieee_invalid_op 0
		.amdhsa_exception_fp_denorm_src 0
		.amdhsa_exception_fp_ieee_div_zero 0
		.amdhsa_exception_fp_ieee_overflow 0
		.amdhsa_exception_fp_ieee_underflow 0
		.amdhsa_exception_fp_ieee_inexact 0
		.amdhsa_exception_int_div_zero 0
	.end_amdhsa_kernel
	.section	.text._ZN12_GLOBAL__N_120geam_min_plus_kernelIf15HIP_vector_typeIfLj2EEfLi32ELi8ELi256ELi64ELi4ELi64ELi4ELi4ELi64ELc78ELc78ELb0ELb0ELb1EPKfS3_fEEviiiT16_PT17_ilS7_ilS5_S7_ilPT18_ili26rocblas_geam_ex_operation_,"axG",@progbits,_ZN12_GLOBAL__N_120geam_min_plus_kernelIf15HIP_vector_typeIfLj2EEfLi32ELi8ELi256ELi64ELi4ELi64ELi4ELi4ELi64ELc78ELc78ELb0ELb0ELb1EPKfS3_fEEviiiT16_PT17_ilS7_ilS5_S7_ilPT18_ili26rocblas_geam_ex_operation_,comdat
.Lfunc_end54:
	.size	_ZN12_GLOBAL__N_120geam_min_plus_kernelIf15HIP_vector_typeIfLj2EEfLi32ELi8ELi256ELi64ELi4ELi64ELi4ELi4ELi64ELc78ELc78ELb0ELb0ELb1EPKfS3_fEEviiiT16_PT17_ilS7_ilS5_S7_ilPT18_ili26rocblas_geam_ex_operation_, .Lfunc_end54-_ZN12_GLOBAL__N_120geam_min_plus_kernelIf15HIP_vector_typeIfLj2EEfLi32ELi8ELi256ELi64ELi4ELi64ELi4ELi4ELi64ELc78ELc78ELb0ELb0ELb1EPKfS3_fEEviiiT16_PT17_ilS7_ilS5_S7_ilPT18_ili26rocblas_geam_ex_operation_
                                        ; -- End function
	.set _ZN12_GLOBAL__N_120geam_min_plus_kernelIf15HIP_vector_typeIfLj2EEfLi32ELi8ELi256ELi64ELi4ELi64ELi4ELi4ELi64ELc78ELc78ELb0ELb0ELb1EPKfS3_fEEviiiT16_PT17_ilS7_ilS5_S7_ilPT18_ili26rocblas_geam_ex_operation_.num_vgpr, 158
	.set _ZN12_GLOBAL__N_120geam_min_plus_kernelIf15HIP_vector_typeIfLj2EEfLi32ELi8ELi256ELi64ELi4ELi64ELi4ELi4ELi64ELc78ELc78ELb0ELb0ELb1EPKfS3_fEEviiiT16_PT17_ilS7_ilS5_S7_ilPT18_ili26rocblas_geam_ex_operation_.num_agpr, 0
	.set _ZN12_GLOBAL__N_120geam_min_plus_kernelIf15HIP_vector_typeIfLj2EEfLi32ELi8ELi256ELi64ELi4ELi64ELi4ELi4ELi64ELc78ELc78ELb0ELb0ELb1EPKfS3_fEEviiiT16_PT17_ilS7_ilS5_S7_ilPT18_ili26rocblas_geam_ex_operation_.numbered_sgpr, 30
	.set _ZN12_GLOBAL__N_120geam_min_plus_kernelIf15HIP_vector_typeIfLj2EEfLi32ELi8ELi256ELi64ELi4ELi64ELi4ELi4ELi64ELc78ELc78ELb0ELb0ELb1EPKfS3_fEEviiiT16_PT17_ilS7_ilS5_S7_ilPT18_ili26rocblas_geam_ex_operation_.num_named_barrier, 0
	.set _ZN12_GLOBAL__N_120geam_min_plus_kernelIf15HIP_vector_typeIfLj2EEfLi32ELi8ELi256ELi64ELi4ELi64ELi4ELi4ELi64ELc78ELc78ELb0ELb0ELb1EPKfS3_fEEviiiT16_PT17_ilS7_ilS5_S7_ilPT18_ili26rocblas_geam_ex_operation_.private_seg_size, 0
	.set _ZN12_GLOBAL__N_120geam_min_plus_kernelIf15HIP_vector_typeIfLj2EEfLi32ELi8ELi256ELi64ELi4ELi64ELi4ELi4ELi64ELc78ELc78ELb0ELb0ELb1EPKfS3_fEEviiiT16_PT17_ilS7_ilS5_S7_ilPT18_ili26rocblas_geam_ex_operation_.uses_vcc, 1
	.set _ZN12_GLOBAL__N_120geam_min_plus_kernelIf15HIP_vector_typeIfLj2EEfLi32ELi8ELi256ELi64ELi4ELi64ELi4ELi4ELi64ELc78ELc78ELb0ELb0ELb1EPKfS3_fEEviiiT16_PT17_ilS7_ilS5_S7_ilPT18_ili26rocblas_geam_ex_operation_.uses_flat_scratch, 0
	.set _ZN12_GLOBAL__N_120geam_min_plus_kernelIf15HIP_vector_typeIfLj2EEfLi32ELi8ELi256ELi64ELi4ELi64ELi4ELi4ELi64ELc78ELc78ELb0ELb0ELb1EPKfS3_fEEviiiT16_PT17_ilS7_ilS5_S7_ilPT18_ili26rocblas_geam_ex_operation_.has_dyn_sized_stack, 0
	.set _ZN12_GLOBAL__N_120geam_min_plus_kernelIf15HIP_vector_typeIfLj2EEfLi32ELi8ELi256ELi64ELi4ELi64ELi4ELi4ELi64ELc78ELc78ELb0ELb0ELb1EPKfS3_fEEviiiT16_PT17_ilS7_ilS5_S7_ilPT18_ili26rocblas_geam_ex_operation_.has_recursion, 0
	.set _ZN12_GLOBAL__N_120geam_min_plus_kernelIf15HIP_vector_typeIfLj2EEfLi32ELi8ELi256ELi64ELi4ELi64ELi4ELi4ELi64ELc78ELc78ELb0ELb0ELb1EPKfS3_fEEviiiT16_PT17_ilS7_ilS5_S7_ilPT18_ili26rocblas_geam_ex_operation_.has_indirect_call, 0
	.section	.AMDGPU.csdata,"",@progbits
; Kernel info:
; codeLenInByte = 16612
; TotalNumSgprs: 36
; NumVgprs: 158
; NumAgprs: 0
; TotalNumVgprs: 158
; ScratchSize: 0
; MemoryBound: 0
; FloatMode: 240
; IeeeMode: 1
; LDSByteSize: 10240 bytes/workgroup (compile time only)
; SGPRBlocks: 4
; VGPRBlocks: 19
; NumSGPRsForWavesPerEU: 36
; NumVGPRsForWavesPerEU: 158
; AccumOffset: 160
; Occupancy: 3
; WaveLimiterHint : 1
; COMPUTE_PGM_RSRC2:SCRATCH_EN: 0
; COMPUTE_PGM_RSRC2:USER_SGPR: 2
; COMPUTE_PGM_RSRC2:TRAP_HANDLER: 0
; COMPUTE_PGM_RSRC2:TGID_X_EN: 1
; COMPUTE_PGM_RSRC2:TGID_Y_EN: 0
; COMPUTE_PGM_RSRC2:TGID_Z_EN: 1
; COMPUTE_PGM_RSRC2:TIDIG_COMP_CNT: 1
; COMPUTE_PGM_RSRC3_GFX90A:ACCUM_OFFSET: 39
; COMPUTE_PGM_RSRC3_GFX90A:TG_SPLIT: 0
	.section	.text._ZN12_GLOBAL__N_120geam_min_plus_kernelIf15HIP_vector_typeIfLj2EEfLi32ELi8ELi256ELi64ELi4ELi64ELi4ELi4ELi64ELc78ELc78ELb1ELb0ELb1EfKffEEviiiT16_PT17_ilS6_ilS4_S6_ilPT18_ili26rocblas_geam_ex_operation_,"axG",@progbits,_ZN12_GLOBAL__N_120geam_min_plus_kernelIf15HIP_vector_typeIfLj2EEfLi32ELi8ELi256ELi64ELi4ELi64ELi4ELi4ELi64ELc78ELc78ELb1ELb0ELb1EfKffEEviiiT16_PT17_ilS6_ilS4_S6_ilPT18_ili26rocblas_geam_ex_operation_,comdat
	.globl	_ZN12_GLOBAL__N_120geam_min_plus_kernelIf15HIP_vector_typeIfLj2EEfLi32ELi8ELi256ELi64ELi4ELi64ELi4ELi4ELi64ELc78ELc78ELb1ELb0ELb1EfKffEEviiiT16_PT17_ilS6_ilS4_S6_ilPT18_ili26rocblas_geam_ex_operation_ ; -- Begin function _ZN12_GLOBAL__N_120geam_min_plus_kernelIf15HIP_vector_typeIfLj2EEfLi32ELi8ELi256ELi64ELi4ELi64ELi4ELi4ELi64ELc78ELc78ELb1ELb0ELb1EfKffEEviiiT16_PT17_ilS6_ilS4_S6_ilPT18_ili26rocblas_geam_ex_operation_
	.p2align	8
	.type	_ZN12_GLOBAL__N_120geam_min_plus_kernelIf15HIP_vector_typeIfLj2EEfLi32ELi8ELi256ELi64ELi4ELi64ELi4ELi4ELi64ELc78ELc78ELb1ELb0ELb1EfKffEEviiiT16_PT17_ilS6_ilS4_S6_ilPT18_ili26rocblas_geam_ex_operation_,@function
_ZN12_GLOBAL__N_120geam_min_plus_kernelIf15HIP_vector_typeIfLj2EEfLi32ELi8ELi256ELi64ELi4ELi64ELi4ELi4ELi64ELc78ELc78ELb1ELb0ELb1EfKffEEviiiT16_PT17_ilS6_ilS4_S6_ilPT18_ili26rocblas_geam_ex_operation_: ; @_ZN12_GLOBAL__N_120geam_min_plus_kernelIf15HIP_vector_typeIfLj2EEfLi32ELi8ELi256ELi64ELi4ELi64ELi4ELi4ELi64ELc78ELc78ELb1ELb0ELb1EfKffEEviiiT16_PT17_ilS6_ilS4_S6_ilPT18_ili26rocblas_geam_ex_operation_
; %bb.0:
	s_load_dwordx2 s[16:17], s[0:1], 0x8
	s_load_dwordx4 s[4:7], s[0:1], 0x20
	s_waitcnt lgkmcnt(0)
	v_cmp_eq_f32_e64 s[8:9], s17, 0
	s_and_b64 vcc, exec, s[8:9]
	s_cbranch_vccnz .LBB55_139
; %bb.1:
	s_load_dwordx2 s[10:11], s[0:1], 0x10
	s_mul_i32 s5, s5, s3
	s_mul_hi_u32 s12, s4, s3
	s_add_i32 s5, s12, s5
	s_mul_i32 s4, s4, s3
	s_lshl_b64 s[4:5], s[4:5], 2
	s_waitcnt lgkmcnt(0)
	s_add_u32 s14, s10, s4
	s_addc_u32 s15, s11, s5
	s_andn2_b64 vcc, exec, s[8:9]
	s_mov_b64 s[4:5], -1
	s_cbranch_vccnz .LBB55_3
.LBB55_2:
	s_mov_b64 s[4:5], 0
.LBB55_3:
	s_mov_b64 s[12:13], 0
	s_andn2_b64 vcc, exec, s[4:5]
	s_mov_b64 s[18:19], 0
	s_cbranch_vccnz .LBB55_5
; %bb.4:
	s_load_dwordx2 s[4:5], s[0:1], 0x38
	s_waitcnt lgkmcnt(0)
	s_mul_i32 s5, s5, s3
	s_mul_hi_u32 s8, s4, s3
	s_add_i32 s5, s8, s5
	s_mul_i32 s4, s4, s3
	s_lshl_b64 s[4:5], s[4:5], 2
	s_add_u32 s18, s6, s4
	s_addc_u32 s19, s7, s5
.LBB55_5:
	s_load_dword s17, s[0:1], 0x40
	s_load_dwordx4 s[8:11], s[0:1], 0x58
	s_waitcnt lgkmcnt(0)
	v_cmp_eq_f32_e64 s[4:5], s17, 0
	s_and_b64 s[4:5], exec, s[4:5]
	s_mov_b64 vcc, s[4:5]
	s_cbranch_vccnz .LBB55_7
; %bb.6:
	s_load_dwordx2 s[6:7], s[0:1], 0x48
	s_mul_i32 s9, s9, s3
	s_mul_hi_u32 s12, s8, s3
	s_add_i32 s9, s12, s9
	s_mul_i32 s8, s8, s3
	s_lshl_b64 s[8:9], s[8:9], 2
	s_waitcnt lgkmcnt(0)
	s_add_u32 s12, s6, s8
	s_addc_u32 s13, s7, s9
.LBB55_7:
	s_load_dword s6, s[0:1], 0x0
	s_load_dword s8, s[0:1], 0x18
	;; [unrolled: 1-line block ×3, first 2 shown]
	v_and_b32_e32 v72, 0x3ff, v0
	v_bfe_u32 v73, v0, 10, 10
	s_waitcnt lgkmcnt(0)
	s_add_i32 s6, s6, -1
	s_ashr_i32 s7, s6, 31
	s_lshr_b32 s7, s7, 24
	s_add_i32 s6, s6, s7
	s_ashr_i32 s6, s6, 8
	s_add_i32 s7, s6, 1
	v_cvt_f32_u32_e32 v1, s7
	s_not_b32 s6, s6
	v_lshl_add_u32 v2, v73, 5, v72
	v_and_b32_e32 v6, 63, v2
	v_rcp_iflag_f32_e32 v1, v1
	v_lshrrev_b32_e32 v60, 6, v2
	v_lshrrev_b32_e32 v7, 2, v2
	v_lshlrev_b32_e32 v0, 2, v0
	v_mul_f32_e32 v1, 0x4f7ffffe, v1
	v_cvt_u32_f32_e32 v1, v1
	v_and_b32_e32 v58, 12, v0
	v_mov_b32_e32 v59, 0
	v_lshlrev_b32_e32 v75, 4, v72
	v_readfirstlane_b32 s20, v1
	s_mul_i32 s6, s6, s20
	s_mul_hi_u32 s6, s20, s6
	s_add_i32 s20, s20, s6
	s_mul_hi_u32 s6, s2, s20
	s_mul_i32 s20, s6, s7
	s_sub_i32 s20, s2, s20
	s_add_i32 s21, s6, 1
	s_sub_i32 s22, s20, s7
	s_cmp_ge_u32 s20, s7
	s_cselect_b32 s6, s21, s6
	s_cselect_b32 s20, s22, s20
	s_add_i32 s21, s6, 1
	s_cmp_ge_u32 s20, s7
	s_cselect_b32 s6, s21, s6
	s_mul_i32 s7, s6, s7
	s_sub_i32 s2, s2, s7
	s_lshl_b32 s2, s2, 8
	s_lshl_b32 s20, s6, 6
	v_or_b32_e32 v2, s2, v6
	v_mad_i64_i32 v[4:5], s[6:7], s8, v60, 0
	v_ashrrev_i32_e32 v3, 31, v2
	v_add_u32_e32 v1, s20, v7
	v_lshl_add_u64 v[4:5], v[4:5], 2, s[14:15]
	v_lshlrev_b64 v[64:65], 2, v[2:3]
	v_mad_i64_i32 v[56:57], s[6:7], v1, s9, 0
	v_lshl_add_u64 v[2:3], v[4:5], 0, v[64:65]
	v_lshl_add_u64 v[4:5], v[56:57], 2, s[18:19]
	;; [unrolled: 1-line block ×3, first 2 shown]
	global_load_dword v4, v[0:1], off
	global_load_dword v5, v[2:3], off
	global_load_dword v8, v[2:3], off offset:256
	global_load_dword v9, v[2:3], off offset:512
	;; [unrolled: 1-line block ×3, first 2 shown]
	v_add_u32_e32 v2, 4, v60
	v_lshlrev_b32_e32 v3, 4, v6
	v_lshl_add_u32 v76, v60, 2, v3
	v_mad_i64_i32 v[2:3], s[22:23], s8, v2, 0
	v_lshl_add_u64 v[2:3], v[2:3], 2, s[14:15]
	v_lshl_or_b32 v58, v7, 4, v58
	global_load_dword v61, v[0:1], off offset:16
	v_lshl_add_u64 v[0:1], v[2:3], 0, v[64:65]
	v_lshlrev_b32_e32 v74, 4, v73
	global_load_dword v62, v[0:1], off
	global_load_dword v63, v[0:1], off offset:256
	global_load_dword v66, v[0:1], off offset:512
	;; [unrolled: 1-line block ×3, first 2 shown]
	s_mov_b32 s6, 0x7f7fffff
	s_cmp_lt_i32 s16, 9
	s_waitcnt vmcnt(9)
	ds_write_b32 v58, v4 offset:8192
	s_waitcnt vmcnt(7)
	ds_write2st64_b32 v76, v5, v8 offset1:4
	s_waitcnt vmcnt(5)
	ds_write2st64_b32 v76, v9, v10 offset0:8 offset1:12
	s_waitcnt lgkmcnt(0)
	s_barrier
	ds_read_b128 v[28:31], v75
	ds_read_b128 v[24:27], v75 offset:512
	ds_read_b128 v[20:23], v75 offset:1024
	;; [unrolled: 1-line block ×13, first 2 shown]
	s_waitcnt lgkmcnt(5)
	v_pk_add_f32 v[68:69], v[28:29], v[52:53]
	v_pk_add_f32 v[70:71], v[24:25], v[52:53]
	;; [unrolled: 1-line block ×3, first 2 shown]
	s_waitcnt lgkmcnt(4)
	v_pk_add_f32 v[88:89], v[28:29], v[48:49]
	v_pk_add_f32 v[90:91], v[24:25], v[48:49]
	;; [unrolled: 1-line block ×9, first 2 shown]
	v_min3_f32 v68, v68, v69, s6
	v_min3_f32 v69, v70, v71, s6
	;; [unrolled: 1-line block ×5, first 2 shown]
	s_waitcnt lgkmcnt(3)
	v_pk_add_f32 v[48:49], v[20:21], v[44:45]
	v_pk_add_f32 v[78:79], v[20:21], v[52:53]
	;; [unrolled: 1-line block ×5, first 2 shown]
	v_min3_f32 v77, v82, v83, s6
	v_min3_f32 v82, v94, v95, s6
	;; [unrolled: 1-line block ×3, first 2 shown]
	v_pk_add_f32 v[48:49], v[16:17], v[44:45]
	v_min3_f32 v52, v52, v53, s6
	v_min3_f32 v53, v88, v89, s6
	;; [unrolled: 1-line block ×4, first 2 shown]
	v_pk_add_f32 v[48:49], v[12:13], v[44:45]
	v_pk_add_f32 v[102:103], v[28:29], v[44:45]
	v_min3_f32 v97, v48, v49, s6
	v_pk_add_f32 v[48:49], v[8:9], v[44:45]
	v_pk_add_f32 v[104:105], v[24:25], v[44:45]
	v_min3_f32 v80, v90, v91, s6
	v_min3_f32 v90, v98, v99, s6
	;; [unrolled: 1-line block ×3, first 2 shown]
	v_pk_add_f32 v[48:49], v[4:5], v[44:45]
	v_pk_add_f32 v[44:45], v[0:1], v[44:45]
	v_min3_f32 v91, v100, v101, s6
	v_min3_f32 v99, v44, v45, s6
	s_waitcnt lgkmcnt(2)
	v_pk_add_f32 v[44:45], v[28:29], v[40:41]
	v_min3_f32 v93, v102, v103, s6
	v_min3_f32 v100, v44, v45, s6
	v_pk_add_f32 v[44:45], v[24:25], v[40:41]
	v_min3_f32 v94, v104, v105, s6
	v_min3_f32 v101, v44, v45, s6
	;; [unrolled: 3-line block ×6, first 2 shown]
	v_pk_add_f32 v[44:45], v[4:5], v[40:41]
	v_pk_add_f32 v[40:41], v[0:1], v[40:41]
	v_min3_f32 v106, v44, v45, s6
	v_min3_f32 v107, v40, v41, s6
	s_waitcnt lgkmcnt(1)
	v_pk_add_f32 v[40:41], v[28:29], v[36:37]
	s_nop 0
	v_min3_f32 v108, v40, v41, s6
	v_pk_add_f32 v[40:41], v[24:25], v[36:37]
	s_nop 0
	v_min3_f32 v109, v40, v41, s6
	;; [unrolled: 3-line block ×6, first 2 shown]
	v_pk_add_f32 v[40:41], v[4:5], v[36:37]
	v_pk_add_f32 v[36:37], v[0:1], v[36:37]
	v_min3_f32 v114, v40, v41, s6
	v_min3_f32 v115, v36, v37, s6
	s_waitcnt lgkmcnt(0)
	v_pk_add_f32 v[36:37], v[28:29], v[32:33]
	v_pk_add_f32 v[40:41], v[16:17], v[32:33]
	v_min3_f32 v116, v36, v37, s6
	v_pk_add_f32 v[36:37], v[30:31], v[54:55]
	s_nop 0
	v_min3_f32 v88, v36, v37, v68
	v_pk_add_f32 v[36:37], v[26:27], v[54:55]
	s_nop 0
	v_min3_f32 v87, v36, v37, v69
	v_pk_add_f32 v[36:37], v[22:23], v[54:55]
	s_nop 0
	v_min3_f32 v149, v36, v37, v70
	v_pk_add_f32 v[36:37], v[18:19], v[54:55]
	s_nop 0
	v_min3_f32 v83, v36, v37, v71
	v_pk_add_f32 v[36:37], v[14:15], v[54:55]
	s_nop 0
	v_min3_f32 v86, v36, v37, v77
	v_pk_add_f32 v[36:37], v[10:11], v[54:55]
	s_nop 0
	v_min3_f32 v85, v36, v37, v78
	v_pk_add_f32 v[36:37], v[6:7], v[54:55]
	s_nop 0
	v_min3_f32 v84, v36, v37, v79
	v_pk_add_f32 v[36:37], v[24:25], v[32:33]
	s_nop 0
	v_min3_f32 v68, v36, v37, s6
	v_pk_add_f32 v[36:37], v[20:21], v[32:33]
	s_nop 0
	v_min3_f32 v69, v36, v37, s6
	v_pk_add_f32 v[36:37], v[2:3], v[54:55]
	v_min3_f32 v54, v40, v41, s6
	v_min3_f32 v147, v36, v37, v52
	v_pk_add_f32 v[36:37], v[30:31], v[50:51]
	v_pk_add_f32 v[40:41], v[12:13], v[32:33]
	v_min3_f32 v148, v36, v37, v53
	v_pk_add_f32 v[36:37], v[26:27], v[50:51]
	v_min3_f32 v40, v40, v41, s6
	v_min3_f32 v145, v36, v37, v80
	v_pk_add_f32 v[36:37], v[22:23], v[50:51]
	s_nop 0
	v_min3_f32 v146, v36, v37, v81
	v_pk_add_f32 v[36:37], v[18:19], v[50:51]
	s_nop 0
	;; [unrolled: 3-line block ×6, first 2 shown]
	v_min3_f32 v41, v36, v37, s6
	v_pk_add_f32 v[36:37], v[4:5], v[32:33]
	v_pk_add_f32 v[32:33], v[0:1], v[32:33]
	v_min3_f32 v52, v36, v37, s6
	v_pk_add_f32 v[36:37], v[2:3], v[50:51]
	v_min3_f32 v53, v32, v33, s6
	v_min3_f32 v138, v36, v37, v92
	v_pk_add_f32 v[36:37], v[30:31], v[46:47]
	s_nop 0
	v_min3_f32 v141, v36, v37, v93
	v_pk_add_f32 v[36:37], v[26:27], v[46:47]
	s_nop 0
	;; [unrolled: 3-line block ×7, first 2 shown]
	v_min3_f32 v128, v36, v37, v48
	ds_read_b128 v[48:51], v74 offset:8960
	v_pk_add_f32 v[36:37], v[2:3], v[46:47]
	ds_read_b128 v[44:47], v74 offset:9088
	v_min3_f32 v135, v36, v37, v99
	s_waitcnt vmcnt(2)
	ds_write2st64_b32 v76, v62, v63 offset0:16 offset1:20
	s_waitcnt vmcnt(0)
	ds_write2st64_b32 v76, v66, v67 offset0:24 offset1:28
	ds_write_b32 v58, v61 offset:9216
	s_waitcnt lgkmcnt(4)
	v_pk_add_f32 v[32:33], v[28:29], v[48:49]
	v_pk_add_f32 v[36:37], v[16:17], v[48:49]
	v_min3_f32 v55, v32, v33, s6
	v_pk_add_f32 v[32:33], v[30:31], v[42:43]
	s_waitcnt lgkmcnt(3)
	v_pk_add_f32 v[28:29], v[28:29], v[44:45]
	v_min3_f32 v139, v32, v33, v100
	v_pk_add_f32 v[32:33], v[26:27], v[42:43]
	v_pk_add_f32 v[16:17], v[16:17], v[44:45]
	v_min3_f32 v133, v32, v33, v101
	v_pk_add_f32 v[32:33], v[22:23], v[42:43]
	v_min3_f32 v16, v16, v17, s6
	v_min3_f32 v134, v32, v33, v102
	v_pk_add_f32 v[32:33], v[18:19], v[42:43]
	s_waitcnt lgkmcnt(0)
	v_min3_f32 v129, v32, v33, v103
	v_pk_add_f32 v[32:33], v[14:15], v[42:43]
	s_barrier
	v_min3_f32 v130, v32, v33, v104
	v_pk_add_f32 v[32:33], v[10:11], v[42:43]
	s_nop 0
	v_min3_f32 v125, v32, v33, v105
	v_pk_add_f32 v[32:33], v[6:7], v[42:43]
	s_nop 0
	v_min3_f32 v126, v32, v33, v106
	v_pk_add_f32 v[32:33], v[24:25], v[48:49]
	v_pk_add_f32 v[24:25], v[24:25], v[44:45]
	v_min3_f32 v70, v32, v33, s6
	v_pk_add_f32 v[32:33], v[20:21], v[48:49]
	v_min3_f32 v24, v24, v25, s6
	v_min3_f32 v71, v32, v33, s6
	v_pk_add_f32 v[32:33], v[2:3], v[42:43]
	v_min3_f32 v42, v36, v37, s6
	v_min3_f32 v123, v32, v33, v107
	v_pk_add_f32 v[32:33], v[30:31], v[38:39]
	v_pk_add_f32 v[36:37], v[12:13], v[48:49]
	v_min3_f32 v124, v32, v33, v108
	v_pk_add_f32 v[32:33], v[26:27], v[38:39]
	v_min3_f32 v36, v36, v37, s6
	v_min3_f32 v121, v32, v33, v109
	v_pk_add_f32 v[32:33], v[22:23], v[38:39]
	v_pk_add_f32 v[12:13], v[12:13], v[44:45]
	v_min3_f32 v122, v32, v33, v110
	v_pk_add_f32 v[32:33], v[18:19], v[38:39]
	v_pk_add_f32 v[20:21], v[20:21], v[44:45]
	v_min3_f32 v119, v32, v33, v111
	v_pk_add_f32 v[32:33], v[14:15], v[38:39]
	v_min3_f32 v12, v12, v13, s6
	v_min3_f32 v120, v32, v33, v112
	v_pk_add_f32 v[32:33], v[10:11], v[38:39]
	v_min3_f32 v25, v20, v21, s6
	v_min3_f32 v117, v32, v33, v113
	v_pk_add_f32 v[32:33], v[6:7], v[38:39]
	v_pk_add_f32 v[20:21], v[2:3], v[50:51]
	v_min3_f32 v118, v32, v33, v114
	v_pk_add_f32 v[32:33], v[8:9], v[48:49]
	v_pk_add_f32 v[8:9], v[8:9], v[44:45]
	v_min3_f32 v37, v32, v33, s6
	v_pk_add_f32 v[32:33], v[4:5], v[48:49]
	v_min3_f32 v8, v8, v9, s6
	v_min3_f32 v43, v32, v33, s6
	v_pk_add_f32 v[32:33], v[2:3], v[38:39]
	v_pk_add_f32 v[4:5], v[4:5], v[44:45]
	v_min3_f32 v115, v32, v33, v115
	v_pk_add_f32 v[32:33], v[30:31], v[34:35]
	v_min3_f32 v9, v4, v5, s6
	v_min3_f32 v116, v32, v33, v116
	v_pk_add_f32 v[32:33], v[26:27], v[34:35]
	v_pk_add_f32 v[4:5], v[30:31], v[46:47]
	v_min3_f32 v113, v32, v33, v68
	v_pk_add_f32 v[32:33], v[22:23], v[34:35]
	s_nop 0
	v_min3_f32 v114, v32, v33, v69
	v_pk_add_f32 v[32:33], v[18:19], v[34:35]
	s_nop 0
	;; [unrolled: 3-line block ×5, first 2 shown]
	v_min3_f32 v109, v32, v33, v52
	v_pk_add_f32 v[32:33], v[2:3], v[34:35]
	v_pk_add_f32 v[34:35], v[0:1], v[48:49]
	v_pk_add_f32 v[0:1], v[0:1], v[44:45]
	v_min3_f32 v34, v34, v35, s6
	v_min3_f32 v35, v28, v29, s6
	v_pk_add_f32 v[28:29], v[30:31], v[50:51]
	v_min3_f32 v13, v0, v1, s6
	v_pk_add_f32 v[0:1], v[26:27], v[46:47]
	;; [unrolled: 2-line block ×14, first 2 shown]
	v_min3_f32 v107, v32, v33, v53
	v_min3_f32 v102, v28, v29, v43
	;; [unrolled: 1-line block ×5, first 2 shown]
	s_cbranch_scc1 .LBB55_10
; %bb.8:
	v_mov_b32_e32 v0, 0x1000
	v_lshl_add_u32 v81, v72, 4, v0
	v_mov_b32_e32 v0, 0x2400
	v_lshl_add_u32 v82, v73, 4, v0
	v_and_b32_e32 v0, 3, v72
	v_add_u32_e32 v77, 0x2000, v58
	v_add_u32_e32 v80, 0x2400, v58
	v_lshlrev_b32_e32 v58, 2, v0
	v_lshl_add_u64 v[0:1], v[56:57], 2, v[58:59]
	v_lshl_add_u64 v[0:1], s[18:19], 0, v[0:1]
	;; [unrolled: 1-line block ×3, first 2 shown]
	v_add_u32_e32 v0, 12, v60
	v_mad_i64_i32 v[0:1], s[6:7], v0, s8, 0
	s_ashr_i32 s9, s8, 31
	v_lshl_add_u64 v[68:69], v[0:1], 2, s[14:15]
	v_add_u32_e32 v0, 8, v60
	s_lshl_b64 s[6:7], s[8:9], 5
	v_mad_i64_i32 v[0:1], s[8:9], v0, s8, 0
	v_add_u32_e32 v78, 0x2000, v74
	v_add_u32_e32 v79, 0x1000, v76
	s_add_i32 s16, s16, -8
	v_lshl_add_u64 v[70:71], v[0:1], 2, s[14:15]
	s_mov_b32 s8, 0
.LBB55_9:                               ; =>This Inner Loop Header: Depth=1
	v_lshl_add_u64 v[0:1], v[70:71], 0, v[64:65]
	global_load_dword v91, v[0:1], off
	global_load_dword v151, v[0:1], off offset:256
	global_load_dword v90, v[0:1], off offset:512
	;; [unrolled: 1-line block ×3, first 2 shown]
	global_load_dword v89, v[66:67], off
	ds_read_b128 v[32:35], v81
	ds_read_b128 v[24:27], v81 offset:512
	ds_read_b128 v[20:23], v81 offset:1024
	;; [unrolled: 1-line block ×7, first 2 shown]
	ds_read_b128 v[60:63], v82
	ds_read_b128 v[56:59], v82 offset:128
	ds_read_b128 v[52:55], v82 offset:256
	;; [unrolled: 1-line block ×7, first 2 shown]
	s_waitcnt lgkmcnt(7)
	v_pk_add_f32 v[152:153], v[32:33], v[60:61]
	s_add_i32 s8, s8, 8
	v_min3_f32 v154, v152, v153, v88
	v_pk_add_f32 v[152:153], v[24:25], v[60:61]
	v_lshl_add_u64 v[70:71], v[70:71], 0, s[6:7]
	v_min3_f32 v155, v152, v153, v87
	v_pk_add_f32 v[152:153], v[20:21], v[60:61]
	s_cmp_ge_i32 s8, s16
	v_min3_f32 v149, v152, v153, v149
	v_pk_add_f32 v[152:153], v[16:17], v[60:61]
	s_waitcnt vmcnt(3)
	ds_write2st64_b32 v76, v91, v151 offset1:4
	s_waitcnt vmcnt(1)
	ds_write2st64_b32 v76, v90, v150 offset0:8 offset1:12
	s_waitcnt vmcnt(0)
	ds_write_b32 v77, v89
	v_min3_f32 v156, v152, v153, v83
	v_pk_add_f32 v[152:153], v[12:13], v[60:61]
	s_waitcnt lgkmcnt(0)
	v_min3_f32 v152, v152, v153, v86
	v_pk_add_f32 v[86:87], v[8:9], v[60:61]
	s_barrier
	v_min3_f32 v153, v86, v87, v85
	v_pk_add_f32 v[86:87], v[4:5], v[60:61]
	v_pk_add_f32 v[60:61], v[0:1], v[60:61]
	v_min3_f32 v157, v86, v87, v84
	v_min3_f32 v147, v60, v61, v147
	v_pk_add_f32 v[60:61], v[32:33], v[56:57]
	s_nop 0
	v_min3_f32 v148, v60, v61, v148
	v_pk_add_f32 v[60:61], v[24:25], v[56:57]
	s_nop 0
	v_min3_f32 v158, v60, v61, v145
	v_pk_add_f32 v[60:61], v[20:21], v[56:57]
	s_nop 0
	v_min3_f32 v159, v60, v61, v146
	v_pk_add_f32 v[60:61], v[16:17], v[56:57]
	s_nop 0
	v_min3_f32 v160, v60, v61, v143
	v_pk_add_f32 v[60:61], v[12:13], v[56:57]
	s_nop 0
	v_min3_f32 v161, v60, v61, v144
	v_pk_add_f32 v[60:61], v[8:9], v[56:57]
	s_nop 0
	v_min3_f32 v162, v60, v61, v140
	v_pk_add_f32 v[60:61], v[4:5], v[56:57]
	v_pk_add_f32 v[56:57], v[0:1], v[56:57]
	v_min3_f32 v146, v60, v61, v142
	v_min3_f32 v145, v56, v57, v138
	v_pk_add_f32 v[56:57], v[32:33], v[52:53]
	s_nop 0
	v_min3_f32 v144, v56, v57, v141
	v_pk_add_f32 v[56:57], v[24:25], v[52:53]
	s_nop 0
	v_min3_f32 v143, v56, v57, v136
	v_pk_add_f32 v[56:57], v[20:21], v[52:53]
	s_nop 0
	v_min3_f32 v142, v56, v57, v137
	v_pk_add_f32 v[56:57], v[16:17], v[52:53]
	s_nop 0
	v_min3_f32 v141, v56, v57, v131
	v_pk_add_f32 v[56:57], v[12:13], v[52:53]
	s_nop 0
	v_min3_f32 v140, v56, v57, v132
	v_pk_add_f32 v[56:57], v[8:9], v[52:53]
	s_nop 0
	v_min3_f32 v138, v56, v57, v127
	v_pk_add_f32 v[56:57], v[4:5], v[52:53]
	v_pk_add_f32 v[52:53], v[0:1], v[52:53]
	v_min3_f32 v137, v56, v57, v128
	v_min3_f32 v136, v52, v53, v135
	v_pk_add_f32 v[52:53], v[32:33], v[48:49]
	s_nop 0
	v_min3_f32 v135, v52, v53, v139
	v_pk_add_f32 v[52:53], v[24:25], v[48:49]
	s_nop 0
	v_min3_f32 v132, v52, v53, v133
	v_pk_add_f32 v[52:53], v[20:21], v[48:49]
	s_nop 0
	v_min3_f32 v131, v52, v53, v134
	v_pk_add_f32 v[52:53], v[16:17], v[48:49]
	s_nop 0
	v_min3_f32 v129, v52, v53, v129
	v_pk_add_f32 v[52:53], v[12:13], v[48:49]
	s_nop 0
	v_min3_f32 v128, v52, v53, v130
	v_pk_add_f32 v[52:53], v[8:9], v[48:49]
	s_nop 0
	v_min3_f32 v127, v52, v53, v125
	v_pk_add_f32 v[52:53], v[4:5], v[48:49]
	v_pk_add_f32 v[48:49], v[0:1], v[48:49]
	v_min3_f32 v126, v52, v53, v126
	v_min3_f32 v125, v48, v49, v123
	v_pk_add_f32 v[48:49], v[32:33], v[44:45]
	s_nop 0
	v_min3_f32 v124, v48, v49, v124
	v_pk_add_f32 v[48:49], v[24:25], v[44:45]
	s_nop 0
	v_min3_f32 v123, v48, v49, v121
	v_pk_add_f32 v[48:49], v[20:21], v[44:45]
	s_nop 0
	v_min3_f32 v122, v48, v49, v122
	v_pk_add_f32 v[48:49], v[16:17], v[44:45]
	s_nop 0
	v_min3_f32 v121, v48, v49, v119
	v_pk_add_f32 v[48:49], v[12:13], v[44:45]
	s_nop 0
	v_min3_f32 v119, v48, v49, v120
	v_pk_add_f32 v[48:49], v[8:9], v[44:45]
	s_nop 0
	v_min3_f32 v88, v48, v49, v117
	v_pk_add_f32 v[48:49], v[4:5], v[44:45]
	v_pk_add_f32 v[44:45], v[0:1], v[44:45]
	v_min3_f32 v87, v48, v49, v118
	v_min3_f32 v86, v44, v45, v115
	v_pk_add_f32 v[44:45], v[32:33], v[40:41]
	s_nop 0
	v_min3_f32 v85, v44, v45, v116
	v_pk_add_f32 v[44:45], v[24:25], v[40:41]
	s_nop 0
	v_min3_f32 v84, v44, v45, v113
	v_pk_add_f32 v[44:45], v[20:21], v[40:41]
	s_nop 0
	v_min3_f32 v83, v44, v45, v114
	v_pk_add_f32 v[44:45], v[16:17], v[40:41]
	s_nop 0
	v_min3_f32 v61, v44, v45, v111
	v_pk_add_f32 v[44:45], v[12:13], v[40:41]
	s_nop 0
	v_min3_f32 v60, v44, v45, v112
	v_pk_add_f32 v[44:45], v[8:9], v[40:41]
	s_nop 0
	v_min3_f32 v57, v44, v45, v108
	v_pk_add_f32 v[44:45], v[4:5], v[40:41]
	v_pk_add_f32 v[40:41], v[0:1], v[40:41]
	v_min3_f32 v56, v44, v45, v109
	v_min3_f32 v53, v40, v41, v107
	v_pk_add_f32 v[40:41], v[32:33], v[36:37]
	v_pk_add_f32 v[32:33], v[32:33], v[28:29]
	v_min3_f32 v52, v40, v41, v110
	v_pk_add_f32 v[40:41], v[24:25], v[36:37]
	v_pk_add_f32 v[24:25], v[24:25], v[28:29]
	;; [unrolled: 3-line block ×6, first 2 shown]
	v_pk_add_f32 v[36:37], v[0:1], v[36:37]
	v_pk_add_f32 v[8:9], v[8:9], v[28:29]
	;; [unrolled: 1-line block ×5, first 2 shown]
	v_min3_f32 v36, v36, v37, v99
	v_min3_f32 v99, v28, v29, v154
	v_pk_add_f32 v[28:29], v[26:27], v[62:63]
	v_min3_f32 v0, v0, v1, v98
	v_min3_f32 v98, v28, v29, v155
	v_pk_add_f32 v[28:29], v[22:23], v[62:63]
	;; [unrolled: 3-line block ×11, first 2 shown]
	s_nop 0
	v_min3_f32 v103, v28, v29, v160
	v_pk_add_f32 v[28:29], v[14:15], v[58:59]
	s_nop 0
	v_min3_f32 v104, v28, v29, v161
	v_pk_add_f32 v[28:29], v[10:11], v[58:59]
	;; [unrolled: 3-line block ×38, first 2 shown]
	v_pk_add_f32 v[26:27], v[26:27], v[30:31]
	v_min3_f32 v152, v28, v29, v49
	v_pk_add_f32 v[28:29], v[22:23], v[38:39]
	v_pk_add_f32 v[22:23], v[22:23], v[30:31]
	v_min3_f32 v153, v28, v29, v48
	v_pk_add_f32 v[28:29], v[18:19], v[38:39]
	;; [unrolled: 3-line block ×7, first 2 shown]
	v_min3_f32 v166, v2, v3, v0
	v_lshl_add_u64 v[0:1], v[68:69], 0, v[64:65]
	v_min3_f32 v159, v28, v29, v32
	v_min3_f32 v160, v26, v27, v24
	;; [unrolled: 1-line block ×7, first 2 shown]
	global_load_dword v89, v[0:1], off
	global_load_dword v90, v[0:1], off offset:256
	global_load_dword v91, v[0:1], off offset:512
	;; [unrolled: 1-line block ×4, first 2 shown]
	ds_read_b128 v[28:31], v75
	ds_read_b128 v[24:27], v75 offset:512
	ds_read_b128 v[20:23], v75 offset:1024
	;; [unrolled: 1-line block ×7, first 2 shown]
	ds_read_b128 v[60:63], v78
	ds_read_b128 v[56:59], v78 offset:128
	ds_read_b128 v[52:55], v78 offset:256
	;; [unrolled: 1-line block ×7, first 2 shown]
	s_waitcnt lgkmcnt(7)
	v_pk_add_f32 v[84:85], v[28:29], v[60:61]
	v_lshl_add_u64 v[66:67], v[66:67], 0, 32
	v_min3_f32 v167, v84, v85, v99
	v_pk_add_f32 v[84:85], v[24:25], v[60:61]
	v_lshl_add_u64 v[68:69], v[68:69], 0, s[6:7]
	v_min3_f32 v168, v84, v85, v98
	v_pk_add_f32 v[84:85], v[20:21], v[60:61]
	s_waitcnt vmcnt(3)
	ds_write2st64_b32 v79, v89, v90 offset1:4
	s_waitcnt vmcnt(1)
	ds_write2st64_b32 v79, v91, v150 offset0:8 offset1:12
	s_waitcnt vmcnt(0)
	ds_write_b32 v80, v151
	v_min3_f32 v169, v84, v85, v97
	v_pk_add_f32 v[84:85], v[16:17], v[60:61]
	s_waitcnt lgkmcnt(0)
	v_min3_f32 v170, v84, v85, v96
	v_pk_add_f32 v[84:85], v[12:13], v[60:61]
	s_barrier
	v_min3_f32 v171, v84, v85, v95
	v_pk_add_f32 v[84:85], v[8:9], v[60:61]
	s_nop 0
	v_min3_f32 v172, v84, v85, v94
	v_pk_add_f32 v[84:85], v[4:5], v[60:61]
	v_pk_add_f32 v[60:61], v[0:1], v[60:61]
	v_min3_f32 v173, v84, v85, v93
	v_min3_f32 v174, v60, v61, v92
	v_pk_add_f32 v[60:61], v[28:29], v[56:57]
	v_pk_add_f32 v[84:85], v[4:5], v[36:37]
	v_min3_f32 v136, v60, v61, v100
	v_pk_add_f32 v[60:61], v[24:25], v[56:57]
	s_nop 0
	v_min3_f32 v134, v60, v61, v101
	v_pk_add_f32 v[60:61], v[20:21], v[56:57]
	s_nop 0
	v_min3_f32 v126, v60, v61, v102
	v_pk_add_f32 v[60:61], v[16:17], v[56:57]
	s_nop 0
	v_min3_f32 v125, v60, v61, v103
	v_pk_add_f32 v[60:61], v[12:13], v[56:57]
	s_nop 0
	v_min3_f32 v124, v60, v61, v104
	v_pk_add_f32 v[60:61], v[8:9], v[56:57]
	s_nop 0
	v_min3_f32 v123, v60, v61, v105
	v_pk_add_f32 v[60:61], v[4:5], v[56:57]
	v_pk_add_f32 v[56:57], v[0:1], v[56:57]
	v_min3_f32 v122, v60, v61, v106
	v_min3_f32 v121, v56, v57, v107
	v_pk_add_f32 v[56:57], v[28:29], v[52:53]
	s_nop 0
	v_min3_f32 v119, v56, v57, v108
	v_pk_add_f32 v[56:57], v[24:25], v[52:53]
	s_nop 0
	v_min3_f32 v117, v56, v57, v109
	v_pk_add_f32 v[56:57], v[20:21], v[52:53]
	s_nop 0
	v_min3_f32 v116, v56, v57, v110
	v_pk_add_f32 v[56:57], v[16:17], v[52:53]
	s_nop 0
	v_min3_f32 v115, v56, v57, v111
	v_pk_add_f32 v[56:57], v[12:13], v[52:53]
	s_nop 0
	v_min3_f32 v114, v56, v57, v112
	v_pk_add_f32 v[56:57], v[8:9], v[52:53]
	s_nop 0
	v_min3_f32 v113, v56, v57, v113
	v_pk_add_f32 v[56:57], v[4:5], v[52:53]
	v_pk_add_f32 v[52:53], v[0:1], v[52:53]
	v_min3_f32 v112, v56, v57, v118
	v_min3_f32 v111, v52, v53, v120
	v_pk_add_f32 v[52:53], v[28:29], v[48:49]
	s_nop 0
	;; [unrolled: 22-line block ×4, first 2 shown]
	v_min3_f32 v94, v44, v45, v142
	v_pk_add_f32 v[44:45], v[24:25], v[40:41]
	s_nop 0
	v_min3_f32 v93, v44, v45, v143
	v_pk_add_f32 v[44:45], v[20:21], v[40:41]
	s_nop 0
	;; [unrolled: 3-line block ×5, first 2 shown]
	v_min3_f32 v57, v44, v45, v146
	v_pk_add_f32 v[44:45], v[4:5], v[40:41]
	v_pk_add_f32 v[40:41], v[0:1], v[40:41]
	v_min3_f32 v56, v44, v45, v147
	v_min3_f32 v53, v40, v41, v148
	v_pk_add_f32 v[40:41], v[28:29], v[36:37]
	v_pk_add_f32 v[28:29], v[28:29], v[32:33]
	v_min3_f32 v52, v40, v41, v149
	v_pk_add_f32 v[40:41], v[24:25], v[36:37]
	v_pk_add_f32 v[24:25], v[24:25], v[32:33]
	;; [unrolled: 3-line block ×6, first 2 shown]
	v_pk_add_f32 v[8:9], v[8:9], v[32:33]
	v_pk_add_f32 v[4:5], v[4:5], v[32:33]
	;; [unrolled: 1-line block ×4, first 2 shown]
	v_min3_f32 v41, v40, v41, v156
	v_min3_f32 v88, v32, v33, v167
	v_pk_add_f32 v[32:33], v[26:27], v[62:63]
	v_min3_f32 v40, v84, v85, v157
	v_min3_f32 v87, v32, v33, v168
	v_pk_add_f32 v[32:33], v[22:23], v[62:63]
	;; [unrolled: 3-line block ×11, first 2 shown]
	s_nop 0
	v_min3_f32 v143, v32, v33, v125
	v_pk_add_f32 v[32:33], v[14:15], v[58:59]
	s_nop 0
	v_min3_f32 v144, v32, v33, v124
	v_pk_add_f32 v[32:33], v[10:11], v[58:59]
	s_nop 0
	v_min3_f32 v140, v32, v33, v123
	v_pk_add_f32 v[32:33], v[6:7], v[58:59]
	s_nop 0
	v_min3_f32 v142, v32, v33, v122
	v_pk_add_f32 v[32:33], v[2:3], v[58:59]
	s_nop 0
	v_min3_f32 v138, v32, v33, v121
	v_pk_add_f32 v[32:33], v[30:31], v[54:55]
	s_nop 0
	v_min3_f32 v141, v32, v33, v119
	v_pk_add_f32 v[32:33], v[26:27], v[54:55]
	s_nop 0
	v_min3_f32 v136, v32, v33, v117
	v_pk_add_f32 v[32:33], v[22:23], v[54:55]
	s_nop 0
	v_min3_f32 v137, v32, v33, v116
	v_pk_add_f32 v[32:33], v[18:19], v[54:55]
	s_nop 0
	v_min3_f32 v131, v32, v33, v115
	v_pk_add_f32 v[32:33], v[14:15], v[54:55]
	s_nop 0
	v_min3_f32 v132, v32, v33, v114
	v_pk_add_f32 v[32:33], v[10:11], v[54:55]
	s_nop 0
	v_min3_f32 v127, v32, v33, v113
	v_pk_add_f32 v[32:33], v[6:7], v[54:55]
	s_nop 0
	v_min3_f32 v128, v32, v33, v112
	v_pk_add_f32 v[32:33], v[2:3], v[54:55]
	s_nop 0
	v_min3_f32 v135, v32, v33, v111
	v_pk_add_f32 v[32:33], v[30:31], v[50:51]
	s_nop 0
	v_min3_f32 v139, v32, v33, v110
	v_pk_add_f32 v[32:33], v[26:27], v[50:51]
	s_nop 0
	v_min3_f32 v133, v32, v33, v109
	v_pk_add_f32 v[32:33], v[22:23], v[50:51]
	s_nop 0
	v_min3_f32 v134, v32, v33, v108
	v_pk_add_f32 v[32:33], v[18:19], v[50:51]
	s_nop 0
	v_min3_f32 v129, v32, v33, v107
	v_pk_add_f32 v[32:33], v[14:15], v[50:51]
	s_nop 0
	v_min3_f32 v130, v32, v33, v106
	v_pk_add_f32 v[32:33], v[10:11], v[50:51]
	s_nop 0
	v_min3_f32 v125, v32, v33, v105
	v_pk_add_f32 v[32:33], v[6:7], v[50:51]
	s_nop 0
	v_min3_f32 v126, v32, v33, v104
	v_pk_add_f32 v[32:33], v[2:3], v[50:51]
	s_nop 0
	v_min3_f32 v123, v32, v33, v103
	v_pk_add_f32 v[32:33], v[30:31], v[46:47]
	s_nop 0
	v_min3_f32 v124, v32, v33, v102
	v_pk_add_f32 v[32:33], v[26:27], v[46:47]
	s_nop 0
	v_min3_f32 v121, v32, v33, v101
	v_pk_add_f32 v[32:33], v[22:23], v[46:47]
	s_nop 0
	v_min3_f32 v122, v32, v33, v100
	v_pk_add_f32 v[32:33], v[18:19], v[46:47]
	s_nop 0
	v_min3_f32 v119, v32, v33, v99
	v_pk_add_f32 v[32:33], v[14:15], v[46:47]
	s_nop 0
	v_min3_f32 v120, v32, v33, v98
	v_pk_add_f32 v[32:33], v[10:11], v[46:47]
	s_nop 0
	v_min3_f32 v117, v32, v33, v97
	v_pk_add_f32 v[32:33], v[6:7], v[46:47]
	s_nop 0
	v_min3_f32 v118, v32, v33, v96
	v_pk_add_f32 v[32:33], v[2:3], v[46:47]
	s_nop 0
	v_min3_f32 v115, v32, v33, v95
	v_pk_add_f32 v[32:33], v[30:31], v[42:43]
	s_nop 0
	v_min3_f32 v116, v32, v33, v94
	v_pk_add_f32 v[32:33], v[26:27], v[42:43]
	s_nop 0
	v_min3_f32 v113, v32, v33, v93
	v_pk_add_f32 v[32:33], v[22:23], v[42:43]
	s_nop 0
	v_min3_f32 v114, v32, v33, v92
	v_pk_add_f32 v[32:33], v[18:19], v[42:43]
	s_nop 0
	v_min3_f32 v111, v32, v33, v61
	v_pk_add_f32 v[32:33], v[14:15], v[42:43]
	s_nop 0
	v_min3_f32 v112, v32, v33, v60
	v_pk_add_f32 v[32:33], v[10:11], v[42:43]
	s_nop 0
	v_min3_f32 v108, v32, v33, v57
	v_pk_add_f32 v[32:33], v[6:7], v[42:43]
	s_nop 0
	v_min3_f32 v109, v32, v33, v56
	v_pk_add_f32 v[32:33], v[2:3], v[42:43]
	s_nop 0
	v_min3_f32 v107, v32, v33, v53
	v_pk_add_f32 v[32:33], v[30:31], v[38:39]
	v_pk_add_f32 v[30:31], v[30:31], v[34:35]
	v_min3_f32 v110, v32, v33, v52
	v_pk_add_f32 v[32:33], v[26:27], v[38:39]
	v_pk_add_f32 v[26:27], v[26:27], v[34:35]
	v_min3_f32 v105, v32, v33, v49
	v_pk_add_f32 v[32:33], v[22:23], v[38:39]
	;; [unrolled: 3-line block ×7, first 2 shown]
	v_pk_add_f32 v[2:3], v[2:3], v[34:35]
	v_min3_f32 v99, v32, v33, v36
	v_min3_f32 v100, v30, v31, v28
	;; [unrolled: 1-line block ×9, first 2 shown]
	s_cbranch_scc0 .LBB55_9
.LBB55_10:
	s_load_dwordx2 s[8:9], s[0:1], 0x70
	s_load_dword s6, s[0:1], 0x50
	s_load_dword s7, s[0:1], 0x68
	ds_read_b128 v[32:35], v75 offset:4096
	ds_read_b128 v[60:63], v74 offset:9216
	s_waitcnt lgkmcnt(0)
	s_mul_i32 s0, s9, s3
	s_mul_hi_u32 s1, s8, s3
	s_add_i32 s1, s1, s0
	s_mul_i32 s0, s8, s3
	s_lshl_b64 s[0:1], s[0:1], 2
	v_pk_add_f32 v[0:1], v[32:33], v[60:61]
	s_add_u32 s0, s10, s0
	v_min3_f32 v2, v0, v1, v88
	v_pk_add_f32 v[0:1], v[34:35], v[62:63]
	v_add_u32_e32 v150, s20, v73
	s_addc_u32 s1, s11, s1
	v_min3_f32 v2, v0, v1, v2
	v_add_u32_e32 v68, s2, v72
	v_mad_i64_i32 v[0:1], s[2:3], v150, s7, 0
	v_add_u32_e32 v64, 32, v68
	v_lshl_add_u64 v[88:89], v[0:1], 2, s[0:1]
	v_mad_i64_i32 v[0:1], s[2:3], v150, s6, 0
	v_ashrrev_i32_e32 v69, 31, v68
	v_ashrrev_i32_e32 v65, 31, v64
	s_mov_b64 s[2:3], -1
	v_max_f32_e32 v2, v2, v2
	s_mov_b64 vcc, s[4:5]
	s_cbranch_vccz .LBB55_12
; %bb.11:
	v_min_f32_e32 v3, 0, v2
	v_lshl_add_u64 v[4:5], v[68:69], 2, v[88:89]
	global_store_dword v[4:5], v3, off
	s_mov_b64 s[2:3], 0
.LBB55_12:
	ds_read_b128 v[28:31], v75 offset:4608
	ds_read_b128 v[24:27], v75 offset:5120
	v_lshl_add_u64 v[90:91], v[0:1], 2, s[12:13]
	v_mov_b32_e32 v70, 0
	s_andn2_b64 vcc, exec, s[2:3]
	v_lshlrev_b64 v[72:73], 2, v[68:69]
	s_cbranch_vccnz .LBB55_14
; %bb.13:
	v_lshl_add_u64 v[0:1], v[90:91], 0, v[72:73]
	global_load_dword v3, v[0:1], off
	v_lshl_add_u64 v[0:1], v[88:89], 0, v[72:73]
	s_waitcnt vmcnt(0)
	v_mul_f32_e32 v3, s17, v3
	v_min_f32_e32 v2, v3, v2
	global_store_dword v[0:1], v2, off
	v_lshl_add_u64 v[0:1], v[64:65], 2, v[90:91]
	global_load_dword v0, v[0:1], off
	s_waitcnt vmcnt(0)
	v_mul_f32_e32 v70, s17, v0
.LBB55_14:
	ds_read_b128 v[20:23], v75 offset:5632
	ds_read_b128 v[16:19], v75 offset:6144
	;; [unrolled: 1-line block ×12, first 2 shown]
	s_waitcnt lgkmcnt(13)
	v_pk_add_f32 v[66:67], v[28:29], v[60:61]
	v_add_u32_e32 v76, 64, v68
	v_min3_f32 v71, v66, v67, v87
	s_waitcnt lgkmcnt(12)
	v_pk_add_f32 v[66:67], v[24:25], v[60:61]
	v_ashrrev_i32_e32 v77, 31, v76
	v_min3_f32 v74, v66, v67, v149
	v_pk_add_f32 v[66:67], v[30:31], v[62:63]
	s_mov_b64 s[2:3], -1
	v_min_f32_e32 v75, v66, v67
	v_pk_add_f32 v[66:67], v[26:27], v[62:63]
	v_min3_f32 v75, v70, v75, v71
	v_min3_f32 v74, v66, v67, v74
	v_add_u32_e32 v66, 0x60, v68
	v_lshl_add_u64 v[70:71], v[64:65], 2, v[88:89]
	v_ashrrev_i32_e32 v67, 31, v66
	global_store_dword v[70:71], v75, off
	v_max_f32_e32 v70, v74, v74
	s_mov_b64 vcc, s[4:5]
	s_cbranch_vccz .LBB55_16
; %bb.15:
	v_min_f32_e32 v71, 0, v70
	v_lshl_add_u64 v[74:75], v[76:77], 2, v[88:89]
	global_store_dword v[74:75], v71, off
	s_mov_b64 s[2:3], 0
.LBB55_16:
	v_mov_b32_e32 v74, 0
	s_andn2_b64 vcc, exec, s[2:3]
	v_lshlrev_b64 v[80:81], 2, v[76:77]
	s_cbranch_vccnz .LBB55_18
; %bb.17:
	v_lshl_add_u64 v[74:75], v[90:91], 0, v[80:81]
	global_load_dword v71, v[74:75], off
	v_lshl_add_u64 v[74:75], v[88:89], 0, v[80:81]
	s_waitcnt vmcnt(0)
	v_mul_f32_e32 v71, s17, v71
	v_min_f32_e32 v70, v71, v70
	global_store_dword v[74:75], v70, off
	v_lshl_add_u64 v[70:71], v[66:67], 2, v[90:91]
	global_load_dword v70, v[70:71], off
	s_waitcnt vmcnt(0)
	v_mul_f32_e32 v74, s17, v70
.LBB55_18:
	s_waitcnt lgkmcnt(11)
	v_pk_add_f32 v[70:71], v[20:21], v[60:61]
	s_mov_b64 s[2:3], -1
	v_min3_f32 v75, v70, v71, v83
	s_waitcnt lgkmcnt(10)
	v_pk_add_f32 v[70:71], v[16:17], v[60:61]
	s_mov_b64 vcc, s[4:5]
	v_min3_f32 v78, v70, v71, v86
	v_pk_add_f32 v[70:71], v[22:23], v[62:63]
	s_nop 0
	v_min_f32_e32 v82, v70, v71
	v_pk_add_f32 v[70:71], v[18:19], v[62:63]
	v_min3_f32 v82, v74, v82, v75
	v_min3_f32 v83, v70, v71, v78
	v_add_u32_e32 v78, 0x80, v68
	v_add_u32_e32 v70, 0xa0, v68
	v_lshl_add_u64 v[74:75], v[66:67], 2, v[88:89]
	v_ashrrev_i32_e32 v79, 31, v78
	v_ashrrev_i32_e32 v71, 31, v70
	global_store_dword v[74:75], v82, off
	v_max_f32_e32 v74, v83, v83
	s_cbranch_vccz .LBB55_20
; %bb.19:
	v_min_f32_e32 v75, 0, v74
	v_lshl_add_u64 v[82:83], v[78:79], 2, v[88:89]
	global_store_dword v[82:83], v75, off
	s_mov_b64 s[2:3], 0
.LBB55_20:
	v_mov_b32_e32 v86, 0
	s_andn2_b64 vcc, exec, s[2:3]
	v_lshlrev_b64 v[82:83], 2, v[78:79]
	s_cbranch_vccnz .LBB55_22
; %bb.21:
	v_lshl_add_u64 v[86:87], v[90:91], 0, v[82:83]
	global_load_dword v75, v[86:87], off
	v_lshl_add_u64 v[86:87], v[88:89], 0, v[82:83]
	s_waitcnt vmcnt(0)
	v_mul_f32_e32 v75, s17, v75
	v_min_f32_e32 v74, v75, v74
	global_store_dword v[86:87], v74, off
	v_lshl_add_u64 v[74:75], v[70:71], 2, v[90:91]
	global_load_dword v74, v[74:75], off
	s_waitcnt vmcnt(0)
	v_mul_f32_e32 v86, s17, v74
.LBB55_22:
	s_waitcnt lgkmcnt(9)
	v_pk_add_f32 v[74:75], v[12:13], v[60:61]
	s_mov_b64 s[2:3], -1
	v_min3_f32 v87, v74, v75, v85
	s_waitcnt lgkmcnt(8)
	v_pk_add_f32 v[74:75], v[8:9], v[60:61]
	s_mov_b64 vcc, s[4:5]
	v_min3_f32 v84, v74, v75, v84
	v_pk_add_f32 v[74:75], v[14:15], v[62:63]
	s_nop 0
	v_min_f32_e32 v149, v74, v75
	v_pk_add_f32 v[74:75], v[10:11], v[62:63]
	v_min3_f32 v149, v86, v149, v87
	v_min3_f32 v151, v74, v75, v84
	v_add_u32_e32 v84, 0xc0, v68
	v_add_u32_e32 v74, 0xe0, v68
	v_lshl_add_u64 v[86:87], v[70:71], 2, v[88:89]
	v_ashrrev_i32_e32 v85, 31, v84
	v_ashrrev_i32_e32 v75, 31, v74
	global_store_dword v[86:87], v149, off
	v_max_f32_e32 v149, v151, v151
	s_cbranch_vccz .LBB55_24
; %bb.23:
	v_min_f32_e32 v151, 0, v149
	v_lshl_add_u64 v[86:87], v[84:85], 2, v[88:89]
	global_store_dword v[86:87], v151, off
	s_mov_b64 s[2:3], 0
.LBB55_24:
	v_mov_b32_e32 v151, 0
	s_andn2_b64 vcc, exec, s[2:3]
	v_lshlrev_b64 v[86:87], 2, v[84:85]
	s_cbranch_vccnz .LBB55_26
; %bb.25:
	v_lshl_add_u64 v[152:153], v[90:91], 0, v[86:87]
	global_load_dword v151, v[152:153], off
	v_lshl_add_u64 v[152:153], v[88:89], 0, v[86:87]
	v_lshl_add_u64 v[90:91], v[74:75], 2, v[90:91]
	s_waitcnt vmcnt(0)
	v_mul_f32_e32 v151, s17, v151
	v_min_f32_e32 v149, v151, v149
	global_store_dword v[152:153], v149, off
	global_load_dword v90, v[90:91], off
	s_waitcnt vmcnt(0)
	v_mul_f32_e32 v151, s17, v90
.LBB55_26:
	s_waitcnt lgkmcnt(7)
	v_pk_add_f32 v[60:61], v[0:1], v[60:61]
	s_mov_b64 vcc, s[4:5]
	v_min3_f32 v90, v60, v61, v147
	s_waitcnt lgkmcnt(6)
	v_pk_add_f32 v[60:61], v[32:33], v[56:57]
	s_nop 0
	v_min3_f32 v91, v60, v61, v148
	v_pk_add_f32 v[60:61], v[2:3], v[62:63]
	s_nop 0
	v_min_f32_e32 v62, v60, v61
	v_pk_add_f32 v[60:61], v[34:35], v[58:59]
	v_min3_f32 v62, v151, v62, v90
	v_min3_f32 v91, v60, v61, v91
	v_lshl_add_u64 v[60:61], v[74:75], 2, v[88:89]
	global_store_dword v[60:61], v62, off
	v_add_u32_e32 v62, 8, v150
	v_mad_i64_i32 v[60:61], s[2:3], v62, s7, 0
	v_mad_i64_i32 v[62:63], s[2:3], v62, s6, 0
	v_lshl_add_u64 v[60:61], v[60:61], 2, s[0:1]
	s_mov_b64 s[2:3], -1
	v_max_f32_e32 v88, v91, v91
	s_cbranch_vccz .LBB55_28
; %bb.27:
	v_min_f32_e32 v89, 0, v88
	v_lshl_add_u64 v[90:91], v[68:69], 2, v[60:61]
	global_store_dword v[90:91], v89, off
	s_mov_b64 s[2:3], 0
.LBB55_28:
	v_lshl_add_u64 v[62:63], v[62:63], 2, s[12:13]
	s_andn2_b64 vcc, exec, s[2:3]
	v_mov_b32_e32 v89, 0
	s_cbranch_vccnz .LBB55_30
; %bb.29:
	v_lshl_add_u64 v[90:91], v[62:63], 0, v[72:73]
	global_load_dword v89, v[90:91], off
	v_lshl_add_u64 v[90:91], v[60:61], 0, v[72:73]
	s_waitcnt vmcnt(0)
	v_mul_f32_e32 v89, s17, v89
	v_min_f32_e32 v88, v89, v88
	global_store_dword v[90:91], v88, off
	v_lshl_add_u64 v[88:89], v[64:65], 2, v[62:63]
	global_load_dword v88, v[88:89], off
	s_waitcnt vmcnt(0)
	v_mul_f32_e32 v89, s17, v88
.LBB55_30:
	v_pk_add_f32 v[90:91], v[28:29], v[56:57]
	s_mov_b64 s[2:3], -1
	v_min3_f32 v88, v90, v91, v145
	v_pk_add_f32 v[90:91], v[24:25], v[56:57]
	s_mov_b64 vcc, s[4:5]
	v_min3_f32 v145, v90, v91, v146
	v_pk_add_f32 v[90:91], v[30:31], v[58:59]
	s_nop 0
	v_min_f32_e32 v146, v90, v91
	v_pk_add_f32 v[90:91], v[26:27], v[58:59]
	s_nop 0
	v_min3_f32 v90, v90, v91, v145
	v_min3_f32 v91, v89, v146, v88
	v_lshl_add_u64 v[88:89], v[64:65], 2, v[60:61]
	global_store_dword v[88:89], v91, off
	v_max_f32_e32 v88, v90, v90
	s_cbranch_vccz .LBB55_32
; %bb.31:
	v_min_f32_e32 v89, 0, v88
	v_lshl_add_u64 v[90:91], v[76:77], 2, v[60:61]
	global_store_dword v[90:91], v89, off
	s_mov_b64 s[2:3], 0
.LBB55_32:
	s_andn2_b64 vcc, exec, s[2:3]
	v_mov_b32_e32 v89, 0
	s_cbranch_vccnz .LBB55_34
; %bb.33:
	v_lshl_add_u64 v[90:91], v[62:63], 0, v[80:81]
	global_load_dword v89, v[90:91], off
	v_lshl_add_u64 v[90:91], v[60:61], 0, v[80:81]
	s_waitcnt vmcnt(0)
	v_mul_f32_e32 v89, s17, v89
	v_min_f32_e32 v88, v89, v88
	global_store_dword v[90:91], v88, off
	v_lshl_add_u64 v[88:89], v[66:67], 2, v[62:63]
	global_load_dword v88, v[88:89], off
	s_waitcnt vmcnt(0)
	v_mul_f32_e32 v89, s17, v88
.LBB55_34:
	v_pk_add_f32 v[90:91], v[20:21], v[56:57]
	s_mov_b64 s[2:3], -1
	v_min3_f32 v88, v90, v91, v143
	v_pk_add_f32 v[90:91], v[16:17], v[56:57]
	s_mov_b64 vcc, s[4:5]
	v_min3_f32 v143, v90, v91, v144
	v_pk_add_f32 v[90:91], v[22:23], v[58:59]
	s_nop 0
	v_min_f32_e32 v144, v90, v91
	v_pk_add_f32 v[90:91], v[18:19], v[58:59]
	s_nop 0
	v_min3_f32 v90, v90, v91, v143
	v_min3_f32 v91, v89, v144, v88
	v_lshl_add_u64 v[88:89], v[66:67], 2, v[60:61]
	global_store_dword v[88:89], v91, off
	v_max_f32_e32 v88, v90, v90
	s_cbranch_vccz .LBB55_36
; %bb.35:
	v_min_f32_e32 v89, 0, v88
	v_lshl_add_u64 v[90:91], v[78:79], 2, v[60:61]
	global_store_dword v[90:91], v89, off
	s_mov_b64 s[2:3], 0
.LBB55_36:
	;; [unrolled: 39-line block ×3, first 2 shown]
	s_andn2_b64 vcc, exec, s[2:3]
	v_mov_b32_e32 v89, 0
	s_cbranch_vccnz .LBB55_42
; %bb.41:
	v_lshl_add_u64 v[90:91], v[62:63], 0, v[86:87]
	global_load_dword v89, v[90:91], off
	v_lshl_add_u64 v[90:91], v[60:61], 0, v[86:87]
	v_lshl_add_u64 v[62:63], v[74:75], 2, v[62:63]
	s_waitcnt vmcnt(0)
	v_mul_f32_e32 v89, s17, v89
	v_min_f32_e32 v88, v89, v88
	global_store_dword v[90:91], v88, off
	global_load_dword v62, v[62:63], off
	s_waitcnt vmcnt(0)
	v_mul_f32_e32 v89, s17, v62
.LBB55_42:
	v_pk_add_f32 v[56:57], v[0:1], v[56:57]
	s_mov_b64 vcc, s[4:5]
	v_min3_f32 v62, v56, v57, v138
	s_waitcnt lgkmcnt(5)
	v_pk_add_f32 v[56:57], v[32:33], v[52:53]
	s_nop 0
	v_min3_f32 v63, v56, v57, v141
	v_pk_add_f32 v[56:57], v[2:3], v[58:59]
	s_nop 0
	v_min_f32_e32 v58, v56, v57
	v_pk_add_f32 v[56:57], v[34:35], v[54:55]
	v_min3_f32 v58, v89, v58, v62
	v_min3_f32 v63, v56, v57, v63
	v_lshl_add_u64 v[56:57], v[74:75], 2, v[60:61]
	global_store_dword v[56:57], v58, off
	v_add_u32_e32 v58, 16, v150
	v_mad_i64_i32 v[56:57], s[2:3], v58, s7, 0
	v_mad_i64_i32 v[58:59], s[2:3], v58, s6, 0
	v_lshl_add_u64 v[56:57], v[56:57], 2, s[0:1]
	s_mov_b64 s[2:3], -1
	v_max_f32_e32 v60, v63, v63
	s_cbranch_vccz .LBB55_44
; %bb.43:
	v_min_f32_e32 v61, 0, v60
	v_lshl_add_u64 v[62:63], v[68:69], 2, v[56:57]
	global_store_dword v[62:63], v61, off
	s_mov_b64 s[2:3], 0
.LBB55_44:
	v_lshl_add_u64 v[58:59], v[58:59], 2, s[12:13]
	s_andn2_b64 vcc, exec, s[2:3]
	v_mov_b32_e32 v61, 0
	s_cbranch_vccnz .LBB55_46
; %bb.45:
	v_lshl_add_u64 v[62:63], v[58:59], 0, v[72:73]
	global_load_dword v61, v[62:63], off
	v_lshl_add_u64 v[62:63], v[56:57], 0, v[72:73]
	s_waitcnt vmcnt(0)
	v_mul_f32_e32 v61, s17, v61
	v_min_f32_e32 v60, v61, v60
	global_store_dword v[62:63], v60, off
	v_lshl_add_u64 v[60:61], v[64:65], 2, v[58:59]
	global_load_dword v60, v[60:61], off
	s_waitcnt vmcnt(0)
	v_mul_f32_e32 v61, s17, v60
.LBB55_46:
	v_pk_add_f32 v[62:63], v[28:29], v[52:53]
	s_mov_b64 s[2:3], -1
	v_min3_f32 v60, v62, v63, v136
	v_pk_add_f32 v[62:63], v[24:25], v[52:53]
	s_mov_b64 vcc, s[4:5]
	v_min3_f32 v88, v62, v63, v137
	v_pk_add_f32 v[62:63], v[30:31], v[54:55]
	s_nop 0
	v_min_f32_e32 v89, v62, v63
	v_pk_add_f32 v[62:63], v[26:27], v[54:55]
	s_nop 0
	v_min3_f32 v62, v62, v63, v88
	v_min3_f32 v63, v61, v89, v60
	v_lshl_add_u64 v[60:61], v[64:65], 2, v[56:57]
	global_store_dword v[60:61], v63, off
	v_max_f32_e32 v60, v62, v62
	s_cbranch_vccz .LBB55_48
; %bb.47:
	v_min_f32_e32 v61, 0, v60
	v_lshl_add_u64 v[62:63], v[76:77], 2, v[56:57]
	global_store_dword v[62:63], v61, off
	s_mov_b64 s[2:3], 0
.LBB55_48:
	s_andn2_b64 vcc, exec, s[2:3]
	v_mov_b32_e32 v61, 0
	s_cbranch_vccnz .LBB55_50
; %bb.49:
	v_lshl_add_u64 v[62:63], v[58:59], 0, v[80:81]
	global_load_dword v61, v[62:63], off
	v_lshl_add_u64 v[62:63], v[56:57], 0, v[80:81]
	s_waitcnt vmcnt(0)
	v_mul_f32_e32 v61, s17, v61
	v_min_f32_e32 v60, v61, v60
	global_store_dword v[62:63], v60, off
	v_lshl_add_u64 v[60:61], v[66:67], 2, v[58:59]
	global_load_dword v60, v[60:61], off
	s_waitcnt vmcnt(0)
	v_mul_f32_e32 v61, s17, v60
.LBB55_50:
	v_pk_add_f32 v[62:63], v[20:21], v[52:53]
	s_mov_b64 s[2:3], -1
	v_min3_f32 v60, v62, v63, v131
	v_pk_add_f32 v[62:63], v[16:17], v[52:53]
	s_mov_b64 vcc, s[4:5]
	v_min3_f32 v88, v62, v63, v132
	v_pk_add_f32 v[62:63], v[22:23], v[54:55]
	s_nop 0
	v_min_f32_e32 v89, v62, v63
	v_pk_add_f32 v[62:63], v[18:19], v[54:55]
	s_nop 0
	v_min3_f32 v62, v62, v63, v88
	v_min3_f32 v63, v61, v89, v60
	v_lshl_add_u64 v[60:61], v[66:67], 2, v[56:57]
	global_store_dword v[60:61], v63, off
	v_max_f32_e32 v60, v62, v62
	s_cbranch_vccz .LBB55_52
; %bb.51:
	v_min_f32_e32 v61, 0, v60
	v_lshl_add_u64 v[62:63], v[78:79], 2, v[56:57]
	global_store_dword v[62:63], v61, off
	s_mov_b64 s[2:3], 0
.LBB55_52:
	;; [unrolled: 39-line block ×3, first 2 shown]
	s_andn2_b64 vcc, exec, s[2:3]
	v_mov_b32_e32 v61, 0
	s_cbranch_vccnz .LBB55_58
; %bb.57:
	v_lshl_add_u64 v[62:63], v[58:59], 0, v[86:87]
	global_load_dword v61, v[62:63], off
	v_lshl_add_u64 v[62:63], v[56:57], 0, v[86:87]
	v_lshl_add_u64 v[58:59], v[74:75], 2, v[58:59]
	s_waitcnt vmcnt(0)
	v_mul_f32_e32 v61, s17, v61
	v_min_f32_e32 v60, v61, v60
	global_store_dword v[62:63], v60, off
	global_load_dword v58, v[58:59], off
	s_waitcnt vmcnt(0)
	v_mul_f32_e32 v61, s17, v58
.LBB55_58:
	v_pk_add_f32 v[52:53], v[0:1], v[52:53]
	s_mov_b64 vcc, s[4:5]
	v_min3_f32 v58, v52, v53, v135
	s_waitcnt lgkmcnt(4)
	v_pk_add_f32 v[52:53], v[32:33], v[48:49]
	s_nop 0
	v_min3_f32 v59, v52, v53, v139
	v_pk_add_f32 v[52:53], v[2:3], v[54:55]
	s_nop 0
	v_min_f32_e32 v54, v52, v53
	v_pk_add_f32 v[52:53], v[34:35], v[50:51]
	v_min3_f32 v54, v61, v54, v58
	v_min3_f32 v59, v52, v53, v59
	v_lshl_add_u64 v[52:53], v[74:75], 2, v[56:57]
	global_store_dword v[52:53], v54, off
	v_add_u32_e32 v54, 24, v150
	v_mad_i64_i32 v[52:53], s[2:3], v54, s7, 0
	v_mad_i64_i32 v[54:55], s[2:3], v54, s6, 0
	v_lshl_add_u64 v[52:53], v[52:53], 2, s[0:1]
	s_mov_b64 s[2:3], -1
	v_max_f32_e32 v56, v59, v59
	s_cbranch_vccz .LBB55_60
; %bb.59:
	v_min_f32_e32 v57, 0, v56
	v_lshl_add_u64 v[58:59], v[68:69], 2, v[52:53]
	global_store_dword v[58:59], v57, off
	s_mov_b64 s[2:3], 0
.LBB55_60:
	v_lshl_add_u64 v[54:55], v[54:55], 2, s[12:13]
	s_andn2_b64 vcc, exec, s[2:3]
	v_mov_b32_e32 v57, 0
	s_cbranch_vccnz .LBB55_62
; %bb.61:
	v_lshl_add_u64 v[58:59], v[54:55], 0, v[72:73]
	global_load_dword v57, v[58:59], off
	v_lshl_add_u64 v[58:59], v[52:53], 0, v[72:73]
	s_waitcnt vmcnt(0)
	v_mul_f32_e32 v57, s17, v57
	v_min_f32_e32 v56, v57, v56
	global_store_dword v[58:59], v56, off
	v_lshl_add_u64 v[56:57], v[64:65], 2, v[54:55]
	global_load_dword v56, v[56:57], off
	s_waitcnt vmcnt(0)
	v_mul_f32_e32 v57, s17, v56
.LBB55_62:
	v_pk_add_f32 v[58:59], v[28:29], v[48:49]
	s_mov_b64 s[2:3], -1
	v_min3_f32 v56, v58, v59, v133
	v_pk_add_f32 v[58:59], v[24:25], v[48:49]
	s_mov_b64 vcc, s[4:5]
	v_min3_f32 v60, v58, v59, v134
	v_pk_add_f32 v[58:59], v[30:31], v[50:51]
	s_nop 0
	v_min_f32_e32 v61, v58, v59
	v_pk_add_f32 v[58:59], v[26:27], v[50:51]
	s_nop 0
	v_min3_f32 v58, v58, v59, v60
	v_min3_f32 v59, v57, v61, v56
	v_lshl_add_u64 v[56:57], v[64:65], 2, v[52:53]
	global_store_dword v[56:57], v59, off
	v_max_f32_e32 v56, v58, v58
	s_cbranch_vccz .LBB55_64
; %bb.63:
	v_min_f32_e32 v57, 0, v56
	v_lshl_add_u64 v[58:59], v[76:77], 2, v[52:53]
	global_store_dword v[58:59], v57, off
	s_mov_b64 s[2:3], 0
.LBB55_64:
	s_andn2_b64 vcc, exec, s[2:3]
	v_mov_b32_e32 v57, 0
	s_cbranch_vccnz .LBB55_66
; %bb.65:
	v_lshl_add_u64 v[58:59], v[54:55], 0, v[80:81]
	global_load_dword v57, v[58:59], off
	v_lshl_add_u64 v[58:59], v[52:53], 0, v[80:81]
	s_waitcnt vmcnt(0)
	v_mul_f32_e32 v57, s17, v57
	v_min_f32_e32 v56, v57, v56
	global_store_dword v[58:59], v56, off
	v_lshl_add_u64 v[56:57], v[66:67], 2, v[54:55]
	global_load_dword v56, v[56:57], off
	s_waitcnt vmcnt(0)
	v_mul_f32_e32 v57, s17, v56
.LBB55_66:
	v_pk_add_f32 v[58:59], v[20:21], v[48:49]
	s_mov_b64 s[2:3], -1
	v_min3_f32 v56, v58, v59, v129
	v_pk_add_f32 v[58:59], v[16:17], v[48:49]
	s_mov_b64 vcc, s[4:5]
	v_min3_f32 v60, v58, v59, v130
	v_pk_add_f32 v[58:59], v[22:23], v[50:51]
	s_nop 0
	v_min_f32_e32 v61, v58, v59
	v_pk_add_f32 v[58:59], v[18:19], v[50:51]
	s_nop 0
	v_min3_f32 v58, v58, v59, v60
	v_min3_f32 v59, v57, v61, v56
	v_lshl_add_u64 v[56:57], v[66:67], 2, v[52:53]
	global_store_dword v[56:57], v59, off
	v_max_f32_e32 v56, v58, v58
	s_cbranch_vccz .LBB55_68
; %bb.67:
	v_min_f32_e32 v57, 0, v56
	v_lshl_add_u64 v[58:59], v[78:79], 2, v[52:53]
	global_store_dword v[58:59], v57, off
	s_mov_b64 s[2:3], 0
.LBB55_68:
	;; [unrolled: 39-line block ×3, first 2 shown]
	s_andn2_b64 vcc, exec, s[2:3]
	v_mov_b32_e32 v57, 0
	s_cbranch_vccnz .LBB55_74
; %bb.73:
	v_lshl_add_u64 v[58:59], v[54:55], 0, v[86:87]
	global_load_dword v57, v[58:59], off
	v_lshl_add_u64 v[58:59], v[52:53], 0, v[86:87]
	v_lshl_add_u64 v[54:55], v[74:75], 2, v[54:55]
	s_waitcnt vmcnt(0)
	v_mul_f32_e32 v57, s17, v57
	v_min_f32_e32 v56, v57, v56
	global_store_dword v[58:59], v56, off
	global_load_dword v54, v[54:55], off
	s_waitcnt vmcnt(0)
	v_mul_f32_e32 v57, s17, v54
.LBB55_74:
	v_pk_add_f32 v[48:49], v[0:1], v[48:49]
	s_mov_b64 vcc, s[4:5]
	v_min3_f32 v54, v48, v49, v123
	s_waitcnt lgkmcnt(3)
	v_pk_add_f32 v[48:49], v[32:33], v[44:45]
	s_nop 0
	v_min3_f32 v55, v48, v49, v124
	v_pk_add_f32 v[48:49], v[2:3], v[50:51]
	s_nop 0
	v_min_f32_e32 v50, v48, v49
	v_pk_add_f32 v[48:49], v[34:35], v[46:47]
	v_min3_f32 v50, v57, v50, v54
	v_min3_f32 v55, v48, v49, v55
	v_lshl_add_u64 v[48:49], v[74:75], 2, v[52:53]
	global_store_dword v[48:49], v50, off
	v_add_u32_e32 v50, 32, v150
	v_mad_i64_i32 v[48:49], s[2:3], v50, s7, 0
	v_mad_i64_i32 v[50:51], s[2:3], v50, s6, 0
	v_lshl_add_u64 v[48:49], v[48:49], 2, s[0:1]
	s_mov_b64 s[2:3], -1
	v_max_f32_e32 v52, v55, v55
	s_cbranch_vccz .LBB55_76
; %bb.75:
	v_min_f32_e32 v53, 0, v52
	v_lshl_add_u64 v[54:55], v[68:69], 2, v[48:49]
	global_store_dword v[54:55], v53, off
	s_mov_b64 s[2:3], 0
.LBB55_76:
	v_lshl_add_u64 v[50:51], v[50:51], 2, s[12:13]
	s_andn2_b64 vcc, exec, s[2:3]
	v_mov_b32_e32 v53, 0
	s_cbranch_vccnz .LBB55_78
; %bb.77:
	v_lshl_add_u64 v[54:55], v[50:51], 0, v[72:73]
	global_load_dword v53, v[54:55], off
	v_lshl_add_u64 v[54:55], v[48:49], 0, v[72:73]
	s_waitcnt vmcnt(0)
	v_mul_f32_e32 v53, s17, v53
	v_min_f32_e32 v52, v53, v52
	global_store_dword v[54:55], v52, off
	v_lshl_add_u64 v[52:53], v[64:65], 2, v[50:51]
	global_load_dword v52, v[52:53], off
	s_waitcnt vmcnt(0)
	v_mul_f32_e32 v53, s17, v52
.LBB55_78:
	v_pk_add_f32 v[54:55], v[28:29], v[44:45]
	s_mov_b64 s[2:3], -1
	v_min3_f32 v52, v54, v55, v121
	v_pk_add_f32 v[54:55], v[24:25], v[44:45]
	s_mov_b64 vcc, s[4:5]
	v_min3_f32 v56, v54, v55, v122
	v_pk_add_f32 v[54:55], v[30:31], v[46:47]
	s_nop 0
	v_min_f32_e32 v57, v54, v55
	v_pk_add_f32 v[54:55], v[26:27], v[46:47]
	s_nop 0
	v_min3_f32 v54, v54, v55, v56
	v_min3_f32 v55, v53, v57, v52
	v_lshl_add_u64 v[52:53], v[64:65], 2, v[48:49]
	global_store_dword v[52:53], v55, off
	v_max_f32_e32 v52, v54, v54
	s_cbranch_vccz .LBB55_80
; %bb.79:
	v_min_f32_e32 v53, 0, v52
	v_lshl_add_u64 v[54:55], v[76:77], 2, v[48:49]
	global_store_dword v[54:55], v53, off
	s_mov_b64 s[2:3], 0
.LBB55_80:
	s_andn2_b64 vcc, exec, s[2:3]
	v_mov_b32_e32 v53, 0
	s_cbranch_vccnz .LBB55_82
; %bb.81:
	v_lshl_add_u64 v[54:55], v[50:51], 0, v[80:81]
	global_load_dword v53, v[54:55], off
	v_lshl_add_u64 v[54:55], v[48:49], 0, v[80:81]
	s_waitcnt vmcnt(0)
	v_mul_f32_e32 v53, s17, v53
	v_min_f32_e32 v52, v53, v52
	global_store_dword v[54:55], v52, off
	v_lshl_add_u64 v[52:53], v[66:67], 2, v[50:51]
	global_load_dword v52, v[52:53], off
	s_waitcnt vmcnt(0)
	v_mul_f32_e32 v53, s17, v52
.LBB55_82:
	v_pk_add_f32 v[54:55], v[20:21], v[44:45]
	s_mov_b64 s[2:3], -1
	v_min3_f32 v52, v54, v55, v119
	v_pk_add_f32 v[54:55], v[16:17], v[44:45]
	s_mov_b64 vcc, s[4:5]
	v_min3_f32 v56, v54, v55, v120
	v_pk_add_f32 v[54:55], v[22:23], v[46:47]
	s_nop 0
	v_min_f32_e32 v57, v54, v55
	v_pk_add_f32 v[54:55], v[18:19], v[46:47]
	s_nop 0
	v_min3_f32 v54, v54, v55, v56
	v_min3_f32 v55, v53, v57, v52
	v_lshl_add_u64 v[52:53], v[66:67], 2, v[48:49]
	global_store_dword v[52:53], v55, off
	v_max_f32_e32 v52, v54, v54
	s_cbranch_vccz .LBB55_84
; %bb.83:
	v_min_f32_e32 v53, 0, v52
	v_lshl_add_u64 v[54:55], v[78:79], 2, v[48:49]
	global_store_dword v[54:55], v53, off
	s_mov_b64 s[2:3], 0
.LBB55_84:
	;; [unrolled: 39-line block ×3, first 2 shown]
	s_andn2_b64 vcc, exec, s[2:3]
	v_mov_b32_e32 v53, 0
	s_cbranch_vccnz .LBB55_90
; %bb.89:
	v_lshl_add_u64 v[54:55], v[50:51], 0, v[86:87]
	global_load_dword v53, v[54:55], off
	v_lshl_add_u64 v[54:55], v[48:49], 0, v[86:87]
	v_lshl_add_u64 v[50:51], v[74:75], 2, v[50:51]
	s_waitcnt vmcnt(0)
	v_mul_f32_e32 v53, s17, v53
	v_min_f32_e32 v52, v53, v52
	global_store_dword v[54:55], v52, off
	global_load_dword v50, v[50:51], off
	s_waitcnt vmcnt(0)
	v_mul_f32_e32 v53, s17, v50
.LBB55_90:
	v_pk_add_f32 v[44:45], v[0:1], v[44:45]
	s_mov_b64 vcc, s[4:5]
	v_min3_f32 v50, v44, v45, v115
	s_waitcnt lgkmcnt(2)
	v_pk_add_f32 v[44:45], v[32:33], v[40:41]
	s_nop 0
	v_min3_f32 v51, v44, v45, v116
	v_pk_add_f32 v[44:45], v[2:3], v[46:47]
	s_nop 0
	v_min_f32_e32 v46, v44, v45
	v_pk_add_f32 v[44:45], v[34:35], v[42:43]
	v_min3_f32 v46, v53, v46, v50
	v_min3_f32 v51, v44, v45, v51
	v_lshl_add_u64 v[44:45], v[74:75], 2, v[48:49]
	global_store_dword v[44:45], v46, off
	v_add_u32_e32 v46, 40, v150
	v_mad_i64_i32 v[44:45], s[2:3], v46, s7, 0
	v_mad_i64_i32 v[46:47], s[2:3], v46, s6, 0
	v_lshl_add_u64 v[44:45], v[44:45], 2, s[0:1]
	s_mov_b64 s[2:3], -1
	v_max_f32_e32 v48, v51, v51
	s_cbranch_vccz .LBB55_92
; %bb.91:
	v_min_f32_e32 v49, 0, v48
	v_lshl_add_u64 v[50:51], v[68:69], 2, v[44:45]
	global_store_dword v[50:51], v49, off
	s_mov_b64 s[2:3], 0
.LBB55_92:
	v_lshl_add_u64 v[46:47], v[46:47], 2, s[12:13]
	s_andn2_b64 vcc, exec, s[2:3]
	v_mov_b32_e32 v49, 0
	s_cbranch_vccnz .LBB55_94
; %bb.93:
	v_lshl_add_u64 v[50:51], v[46:47], 0, v[72:73]
	global_load_dword v49, v[50:51], off
	v_lshl_add_u64 v[50:51], v[44:45], 0, v[72:73]
	s_waitcnt vmcnt(0)
	v_mul_f32_e32 v49, s17, v49
	v_min_f32_e32 v48, v49, v48
	global_store_dword v[50:51], v48, off
	v_lshl_add_u64 v[48:49], v[64:65], 2, v[46:47]
	global_load_dword v48, v[48:49], off
	s_waitcnt vmcnt(0)
	v_mul_f32_e32 v49, s17, v48
.LBB55_94:
	v_pk_add_f32 v[50:51], v[28:29], v[40:41]
	s_mov_b64 s[2:3], -1
	v_min3_f32 v48, v50, v51, v113
	v_pk_add_f32 v[50:51], v[24:25], v[40:41]
	s_mov_b64 vcc, s[4:5]
	v_min3_f32 v52, v50, v51, v114
	v_pk_add_f32 v[50:51], v[30:31], v[42:43]
	s_nop 0
	v_min_f32_e32 v53, v50, v51
	v_pk_add_f32 v[50:51], v[26:27], v[42:43]
	s_nop 0
	v_min3_f32 v50, v50, v51, v52
	v_min3_f32 v51, v49, v53, v48
	v_lshl_add_u64 v[48:49], v[64:65], 2, v[44:45]
	global_store_dword v[48:49], v51, off
	v_max_f32_e32 v48, v50, v50
	s_cbranch_vccz .LBB55_96
; %bb.95:
	v_min_f32_e32 v49, 0, v48
	v_lshl_add_u64 v[50:51], v[76:77], 2, v[44:45]
	global_store_dword v[50:51], v49, off
	s_mov_b64 s[2:3], 0
.LBB55_96:
	s_andn2_b64 vcc, exec, s[2:3]
	v_mov_b32_e32 v49, 0
	s_cbranch_vccnz .LBB55_98
; %bb.97:
	v_lshl_add_u64 v[50:51], v[46:47], 0, v[80:81]
	global_load_dword v49, v[50:51], off
	v_lshl_add_u64 v[50:51], v[44:45], 0, v[80:81]
	s_waitcnt vmcnt(0)
	v_mul_f32_e32 v49, s17, v49
	v_min_f32_e32 v48, v49, v48
	global_store_dword v[50:51], v48, off
	v_lshl_add_u64 v[48:49], v[66:67], 2, v[46:47]
	global_load_dword v48, v[48:49], off
	s_waitcnt vmcnt(0)
	v_mul_f32_e32 v49, s17, v48
.LBB55_98:
	v_pk_add_f32 v[50:51], v[20:21], v[40:41]
	s_mov_b64 s[2:3], -1
	v_min3_f32 v48, v50, v51, v111
	v_pk_add_f32 v[50:51], v[16:17], v[40:41]
	s_mov_b64 vcc, s[4:5]
	v_min3_f32 v52, v50, v51, v112
	v_pk_add_f32 v[50:51], v[22:23], v[42:43]
	s_nop 0
	v_min_f32_e32 v53, v50, v51
	v_pk_add_f32 v[50:51], v[18:19], v[42:43]
	s_nop 0
	v_min3_f32 v50, v50, v51, v52
	v_min3_f32 v51, v49, v53, v48
	v_lshl_add_u64 v[48:49], v[66:67], 2, v[44:45]
	global_store_dword v[48:49], v51, off
	v_max_f32_e32 v48, v50, v50
	s_cbranch_vccz .LBB55_100
; %bb.99:
	v_min_f32_e32 v49, 0, v48
	v_lshl_add_u64 v[50:51], v[78:79], 2, v[44:45]
	global_store_dword v[50:51], v49, off
	s_mov_b64 s[2:3], 0
.LBB55_100:
	;; [unrolled: 39-line block ×3, first 2 shown]
	s_andn2_b64 vcc, exec, s[2:3]
	v_mov_b32_e32 v49, 0
	s_cbranch_vccnz .LBB55_106
; %bb.105:
	v_lshl_add_u64 v[50:51], v[46:47], 0, v[86:87]
	global_load_dword v49, v[50:51], off
	v_lshl_add_u64 v[50:51], v[44:45], 0, v[86:87]
	v_lshl_add_u64 v[46:47], v[74:75], 2, v[46:47]
	s_waitcnt vmcnt(0)
	v_mul_f32_e32 v49, s17, v49
	v_min_f32_e32 v48, v49, v48
	global_store_dword v[50:51], v48, off
	global_load_dword v46, v[46:47], off
	s_waitcnt vmcnt(0)
	v_mul_f32_e32 v49, s17, v46
.LBB55_106:
	v_pk_add_f32 v[40:41], v[0:1], v[40:41]
	s_mov_b64 vcc, s[4:5]
	v_min3_f32 v46, v40, v41, v107
	s_waitcnt lgkmcnt(1)
	v_pk_add_f32 v[40:41], v[32:33], v[36:37]
	s_nop 0
	v_min3_f32 v47, v40, v41, v110
	v_pk_add_f32 v[40:41], v[2:3], v[42:43]
	s_nop 0
	v_min_f32_e32 v42, v40, v41
	v_pk_add_f32 v[40:41], v[34:35], v[38:39]
	v_min3_f32 v42, v49, v42, v46
	v_min3_f32 v47, v40, v41, v47
	v_lshl_add_u64 v[40:41], v[74:75], 2, v[44:45]
	global_store_dword v[40:41], v42, off
	v_add_u32_e32 v42, 48, v150
	v_mad_i64_i32 v[40:41], s[2:3], v42, s7, 0
	v_mad_i64_i32 v[42:43], s[2:3], v42, s6, 0
	v_lshl_add_u64 v[40:41], v[40:41], 2, s[0:1]
	s_mov_b64 s[2:3], -1
	v_max_f32_e32 v44, v47, v47
	s_cbranch_vccz .LBB55_108
; %bb.107:
	v_min_f32_e32 v45, 0, v44
	v_lshl_add_u64 v[46:47], v[68:69], 2, v[40:41]
	global_store_dword v[46:47], v45, off
	s_mov_b64 s[2:3], 0
.LBB55_108:
	v_lshl_add_u64 v[42:43], v[42:43], 2, s[12:13]
	s_andn2_b64 vcc, exec, s[2:3]
	v_mov_b32_e32 v45, 0
	s_cbranch_vccnz .LBB55_110
; %bb.109:
	v_lshl_add_u64 v[46:47], v[42:43], 0, v[72:73]
	global_load_dword v45, v[46:47], off
	v_lshl_add_u64 v[46:47], v[40:41], 0, v[72:73]
	s_waitcnt vmcnt(0)
	v_mul_f32_e32 v45, s17, v45
	v_min_f32_e32 v44, v45, v44
	global_store_dword v[46:47], v44, off
	v_lshl_add_u64 v[44:45], v[64:65], 2, v[42:43]
	global_load_dword v44, v[44:45], off
	s_waitcnt vmcnt(0)
	v_mul_f32_e32 v45, s17, v44
.LBB55_110:
	v_pk_add_f32 v[46:47], v[28:29], v[36:37]
	s_mov_b64 s[2:3], -1
	v_min3_f32 v44, v46, v47, v105
	v_pk_add_f32 v[46:47], v[24:25], v[36:37]
	s_mov_b64 vcc, s[4:5]
	v_min3_f32 v48, v46, v47, v106
	v_pk_add_f32 v[46:47], v[30:31], v[38:39]
	s_nop 0
	v_min_f32_e32 v49, v46, v47
	v_pk_add_f32 v[46:47], v[26:27], v[38:39]
	s_nop 0
	v_min3_f32 v46, v46, v47, v48
	v_min3_f32 v47, v45, v49, v44
	v_lshl_add_u64 v[44:45], v[64:65], 2, v[40:41]
	global_store_dword v[44:45], v47, off
	v_max_f32_e32 v44, v46, v46
	s_cbranch_vccz .LBB55_112
; %bb.111:
	v_min_f32_e32 v45, 0, v44
	v_lshl_add_u64 v[46:47], v[76:77], 2, v[40:41]
	global_store_dword v[46:47], v45, off
	s_mov_b64 s[2:3], 0
.LBB55_112:
	s_andn2_b64 vcc, exec, s[2:3]
	v_mov_b32_e32 v45, 0
	s_cbranch_vccnz .LBB55_114
; %bb.113:
	v_lshl_add_u64 v[46:47], v[42:43], 0, v[80:81]
	global_load_dword v45, v[46:47], off
	v_lshl_add_u64 v[46:47], v[40:41], 0, v[80:81]
	s_waitcnt vmcnt(0)
	v_mul_f32_e32 v45, s17, v45
	v_min_f32_e32 v44, v45, v44
	global_store_dword v[46:47], v44, off
	v_lshl_add_u64 v[44:45], v[66:67], 2, v[42:43]
	global_load_dword v44, v[44:45], off
	s_waitcnt vmcnt(0)
	v_mul_f32_e32 v45, s17, v44
.LBB55_114:
	v_pk_add_f32 v[46:47], v[20:21], v[36:37]
	s_mov_b64 s[2:3], -1
	v_min3_f32 v44, v46, v47, v103
	v_pk_add_f32 v[46:47], v[16:17], v[36:37]
	s_mov_b64 vcc, s[4:5]
	v_min3_f32 v48, v46, v47, v104
	v_pk_add_f32 v[46:47], v[22:23], v[38:39]
	s_nop 0
	v_min_f32_e32 v49, v46, v47
	v_pk_add_f32 v[46:47], v[18:19], v[38:39]
	s_nop 0
	v_min3_f32 v46, v46, v47, v48
	v_min3_f32 v47, v45, v49, v44
	v_lshl_add_u64 v[44:45], v[66:67], 2, v[40:41]
	global_store_dword v[44:45], v47, off
	v_max_f32_e32 v44, v46, v46
	s_cbranch_vccz .LBB55_116
; %bb.115:
	v_min_f32_e32 v45, 0, v44
	v_lshl_add_u64 v[46:47], v[78:79], 2, v[40:41]
	global_store_dword v[46:47], v45, off
	s_mov_b64 s[2:3], 0
.LBB55_116:
	;; [unrolled: 39-line block ×3, first 2 shown]
	s_andn2_b64 vcc, exec, s[2:3]
	v_mov_b32_e32 v45, 0
	s_cbranch_vccnz .LBB55_122
; %bb.121:
	v_lshl_add_u64 v[46:47], v[42:43], 0, v[86:87]
	global_load_dword v45, v[46:47], off
	v_lshl_add_u64 v[46:47], v[40:41], 0, v[86:87]
	v_lshl_add_u64 v[42:43], v[74:75], 2, v[42:43]
	s_waitcnt vmcnt(0)
	v_mul_f32_e32 v45, s17, v45
	v_min_f32_e32 v44, v45, v44
	global_store_dword v[46:47], v44, off
	global_load_dword v42, v[42:43], off
	s_waitcnt vmcnt(0)
	v_mul_f32_e32 v45, s17, v42
.LBB55_122:
	v_pk_add_f32 v[36:37], v[0:1], v[36:37]
	s_waitcnt lgkmcnt(0)
	v_pk_add_f32 v[32:33], v[32:33], v[4:5]
	v_min3_f32 v36, v36, v37, v99
	v_min3_f32 v37, v32, v33, v100
	v_pk_add_f32 v[32:33], v[2:3], v[38:39]
	s_mov_b64 vcc, s[4:5]
	v_min_f32_e32 v38, v32, v33
	v_pk_add_f32 v[32:33], v[34:35], v[6:7]
	v_min3_f32 v34, v45, v38, v36
	v_min3_f32 v37, v32, v33, v37
	v_lshl_add_u64 v[32:33], v[74:75], 2, v[40:41]
	global_store_dword v[32:33], v34, off
	v_add_u32_e32 v34, 56, v150
	v_mad_i64_i32 v[32:33], s[2:3], v34, s7, 0
	v_lshl_add_u64 v[32:33], v[32:33], 2, s[0:1]
	v_mad_i64_i32 v[34:35], s[0:1], v34, s6, 0
	s_mov_b64 s[0:1], -1
	v_max_f32_e32 v36, v37, v37
	s_cbranch_vccz .LBB55_124
; %bb.123:
	v_min_f32_e32 v37, 0, v36
	v_lshl_add_u64 v[38:39], v[68:69], 2, v[32:33]
	global_store_dword v[38:39], v37, off
	s_mov_b64 s[0:1], 0
.LBB55_124:
	v_lshl_add_u64 v[34:35], v[34:35], 2, s[12:13]
	s_andn2_b64 vcc, exec, s[0:1]
	v_mov_b32_e32 v37, 0
	s_cbranch_vccnz .LBB55_126
; %bb.125:
	v_lshl_add_u64 v[38:39], v[34:35], 0, v[72:73]
	global_load_dword v37, v[38:39], off
	v_lshl_add_u64 v[38:39], v[32:33], 0, v[72:73]
	s_waitcnt vmcnt(0)
	v_mul_f32_e32 v37, s17, v37
	v_min_f32_e32 v36, v37, v36
	global_store_dword v[38:39], v36, off
	v_lshl_add_u64 v[36:37], v[64:65], 2, v[34:35]
	global_load_dword v36, v[36:37], off
	s_waitcnt vmcnt(0)
	v_mul_f32_e32 v37, s17, v36
.LBB55_126:
	v_pk_add_f32 v[28:29], v[28:29], v[4:5]
	v_pk_add_f32 v[24:25], v[24:25], v[4:5]
	v_min3_f32 v28, v28, v29, v96
	v_min3_f32 v29, v24, v25, v97
	v_pk_add_f32 v[24:25], v[30:31], v[6:7]
	s_mov_b64 s[0:1], -1
	v_min_f32_e32 v30, v24, v25
	v_pk_add_f32 v[24:25], v[26:27], v[6:7]
	v_min3_f32 v27, v37, v30, v28
	v_min3_f32 v26, v24, v25, v29
	v_lshl_add_u64 v[24:25], v[64:65], 2, v[32:33]
	global_store_dword v[24:25], v27, off
	v_max_f32_e32 v24, v26, v26
	s_mov_b64 vcc, s[4:5]
	s_cbranch_vccz .LBB55_128
; %bb.127:
	v_min_f32_e32 v25, 0, v24
	v_lshl_add_u64 v[26:27], v[76:77], 2, v[32:33]
	global_store_dword v[26:27], v25, off
	s_mov_b64 s[0:1], 0
.LBB55_128:
	s_andn2_b64 vcc, exec, s[0:1]
	v_mov_b32_e32 v25, 0
	s_cbranch_vccnz .LBB55_130
; %bb.129:
	v_lshl_add_u64 v[26:27], v[34:35], 0, v[80:81]
	global_load_dword v25, v[26:27], off
	v_lshl_add_u64 v[26:27], v[32:33], 0, v[80:81]
	s_waitcnt vmcnt(0)
	v_mul_f32_e32 v25, s17, v25
	v_min_f32_e32 v24, v25, v24
	global_store_dword v[26:27], v24, off
	v_lshl_add_u64 v[24:25], v[66:67], 2, v[34:35]
	global_load_dword v24, v[24:25], off
	s_waitcnt vmcnt(0)
	v_mul_f32_e32 v25, s17, v24
.LBB55_130:
	v_pk_add_f32 v[20:21], v[20:21], v[4:5]
	v_pk_add_f32 v[16:17], v[16:17], v[4:5]
	v_min3_f32 v20, v20, v21, v94
	v_min3_f32 v21, v16, v17, v95
	v_pk_add_f32 v[16:17], v[22:23], v[6:7]
	s_mov_b64 s[0:1], -1
	v_min_f32_e32 v22, v16, v17
	v_pk_add_f32 v[16:17], v[18:19], v[6:7]
	v_min3_f32 v19, v25, v22, v20
	v_min3_f32 v18, v16, v17, v21
	v_lshl_add_u64 v[16:17], v[66:67], 2, v[32:33]
	global_store_dword v[16:17], v19, off
	v_max_f32_e32 v16, v18, v18
	s_mov_b64 vcc, s[4:5]
	s_cbranch_vccz .LBB55_132
; %bb.131:
	v_min_f32_e32 v17, 0, v16
	v_lshl_add_u64 v[18:19], v[78:79], 2, v[32:33]
	global_store_dword v[18:19], v17, off
	s_mov_b64 s[0:1], 0
.LBB55_132:
	;; [unrolled: 37-line block ×3, first 2 shown]
	s_andn2_b64 vcc, exec, s[0:1]
	v_mov_b32_e32 v9, 0
	s_cbranch_vccnz .LBB55_138
; %bb.137:
	v_lshl_add_u64 v[10:11], v[34:35], 0, v[86:87]
	global_load_dword v9, v[10:11], off
	v_lshl_add_u64 v[10:11], v[32:33], 0, v[86:87]
	s_waitcnt vmcnt(0)
	v_mul_f32_e32 v9, s17, v9
	v_min_f32_e32 v8, v9, v8
	global_store_dword v[10:11], v8, off
	v_lshl_add_u64 v[8:9], v[74:75], 2, v[34:35]
	global_load_dword v8, v[8:9], off
	s_waitcnt vmcnt(0)
	v_mul_f32_e32 v9, s17, v8
.LBB55_138:
	v_pk_add_f32 v[2:3], v[2:3], v[6:7]
	v_pk_add_f32 v[0:1], v[0:1], v[4:5]
	v_min_f32_e32 v2, v2, v3
	v_min3_f32 v0, v0, v1, v98
	v_min3_f32 v2, v9, v2, v0
	v_lshl_add_u64 v[0:1], v[74:75], 2, v[32:33]
	global_store_dword v[0:1], v2, off
	s_endpgm
.LBB55_139:
	s_mov_b64 s[14:15], 0
	s_andn2_b64 vcc, exec, s[8:9]
	s_mov_b64 s[4:5], -1
	s_cbranch_vccz .LBB55_2
	s_branch .LBB55_3
	.section	.rodata,"a",@progbits
	.p2align	6, 0x0
	.amdhsa_kernel _ZN12_GLOBAL__N_120geam_min_plus_kernelIf15HIP_vector_typeIfLj2EEfLi32ELi8ELi256ELi64ELi4ELi64ELi4ELi4ELi64ELc78ELc78ELb1ELb0ELb1EfKffEEviiiT16_PT17_ilS6_ilS4_S6_ilPT18_ili26rocblas_geam_ex_operation_
		.amdhsa_group_segment_fixed_size 10240
		.amdhsa_private_segment_fixed_size 0
		.amdhsa_kernarg_size 128
		.amdhsa_user_sgpr_count 2
		.amdhsa_user_sgpr_dispatch_ptr 0
		.amdhsa_user_sgpr_queue_ptr 0
		.amdhsa_user_sgpr_kernarg_segment_ptr 1
		.amdhsa_user_sgpr_dispatch_id 0
		.amdhsa_user_sgpr_kernarg_preload_length 0
		.amdhsa_user_sgpr_kernarg_preload_offset 0
		.amdhsa_user_sgpr_private_segment_size 0
		.amdhsa_uses_dynamic_stack 0
		.amdhsa_enable_private_segment 0
		.amdhsa_system_sgpr_workgroup_id_x 1
		.amdhsa_system_sgpr_workgroup_id_y 0
		.amdhsa_system_sgpr_workgroup_id_z 1
		.amdhsa_system_sgpr_workgroup_info 0
		.amdhsa_system_vgpr_workitem_id 1
		.amdhsa_next_free_vgpr 175
		.amdhsa_next_free_sgpr 24
		.amdhsa_accum_offset 176
		.amdhsa_reserve_vcc 1
		.amdhsa_float_round_mode_32 0
		.amdhsa_float_round_mode_16_64 0
		.amdhsa_float_denorm_mode_32 3
		.amdhsa_float_denorm_mode_16_64 3
		.amdhsa_dx10_clamp 1
		.amdhsa_ieee_mode 1
		.amdhsa_fp16_overflow 0
		.amdhsa_tg_split 0
		.amdhsa_exception_fp_ieee_invalid_op 0
		.amdhsa_exception_fp_denorm_src 0
		.amdhsa_exception_fp_ieee_div_zero 0
		.amdhsa_exception_fp_ieee_overflow 0
		.amdhsa_exception_fp_ieee_underflow 0
		.amdhsa_exception_fp_ieee_inexact 0
		.amdhsa_exception_int_div_zero 0
	.end_amdhsa_kernel
	.section	.text._ZN12_GLOBAL__N_120geam_min_plus_kernelIf15HIP_vector_typeIfLj2EEfLi32ELi8ELi256ELi64ELi4ELi64ELi4ELi4ELi64ELc78ELc78ELb1ELb0ELb1EfKffEEviiiT16_PT17_ilS6_ilS4_S6_ilPT18_ili26rocblas_geam_ex_operation_,"axG",@progbits,_ZN12_GLOBAL__N_120geam_min_plus_kernelIf15HIP_vector_typeIfLj2EEfLi32ELi8ELi256ELi64ELi4ELi64ELi4ELi4ELi64ELc78ELc78ELb1ELb0ELb1EfKffEEviiiT16_PT17_ilS6_ilS4_S6_ilPT18_ili26rocblas_geam_ex_operation_,comdat
.Lfunc_end55:
	.size	_ZN12_GLOBAL__N_120geam_min_plus_kernelIf15HIP_vector_typeIfLj2EEfLi32ELi8ELi256ELi64ELi4ELi64ELi4ELi4ELi64ELc78ELc78ELb1ELb0ELb1EfKffEEviiiT16_PT17_ilS6_ilS4_S6_ilPT18_ili26rocblas_geam_ex_operation_, .Lfunc_end55-_ZN12_GLOBAL__N_120geam_min_plus_kernelIf15HIP_vector_typeIfLj2EEfLi32ELi8ELi256ELi64ELi4ELi64ELi4ELi4ELi64ELc78ELc78ELb1ELb0ELb1EfKffEEviiiT16_PT17_ilS6_ilS4_S6_ilPT18_ili26rocblas_geam_ex_operation_
                                        ; -- End function
	.set _ZN12_GLOBAL__N_120geam_min_plus_kernelIf15HIP_vector_typeIfLj2EEfLi32ELi8ELi256ELi64ELi4ELi64ELi4ELi4ELi64ELc78ELc78ELb1ELb0ELb1EfKffEEviiiT16_PT17_ilS6_ilS4_S6_ilPT18_ili26rocblas_geam_ex_operation_.num_vgpr, 175
	.set _ZN12_GLOBAL__N_120geam_min_plus_kernelIf15HIP_vector_typeIfLj2EEfLi32ELi8ELi256ELi64ELi4ELi64ELi4ELi4ELi64ELc78ELc78ELb1ELb0ELb1EfKffEEviiiT16_PT17_ilS6_ilS4_S6_ilPT18_ili26rocblas_geam_ex_operation_.num_agpr, 0
	.set _ZN12_GLOBAL__N_120geam_min_plus_kernelIf15HIP_vector_typeIfLj2EEfLi32ELi8ELi256ELi64ELi4ELi64ELi4ELi4ELi64ELc78ELc78ELb1ELb0ELb1EfKffEEviiiT16_PT17_ilS6_ilS4_S6_ilPT18_ili26rocblas_geam_ex_operation_.numbered_sgpr, 24
	.set _ZN12_GLOBAL__N_120geam_min_plus_kernelIf15HIP_vector_typeIfLj2EEfLi32ELi8ELi256ELi64ELi4ELi64ELi4ELi4ELi64ELc78ELc78ELb1ELb0ELb1EfKffEEviiiT16_PT17_ilS6_ilS4_S6_ilPT18_ili26rocblas_geam_ex_operation_.num_named_barrier, 0
	.set _ZN12_GLOBAL__N_120geam_min_plus_kernelIf15HIP_vector_typeIfLj2EEfLi32ELi8ELi256ELi64ELi4ELi64ELi4ELi4ELi64ELc78ELc78ELb1ELb0ELb1EfKffEEviiiT16_PT17_ilS6_ilS4_S6_ilPT18_ili26rocblas_geam_ex_operation_.private_seg_size, 0
	.set _ZN12_GLOBAL__N_120geam_min_plus_kernelIf15HIP_vector_typeIfLj2EEfLi32ELi8ELi256ELi64ELi4ELi64ELi4ELi4ELi64ELc78ELc78ELb1ELb0ELb1EfKffEEviiiT16_PT17_ilS6_ilS4_S6_ilPT18_ili26rocblas_geam_ex_operation_.uses_vcc, 1
	.set _ZN12_GLOBAL__N_120geam_min_plus_kernelIf15HIP_vector_typeIfLj2EEfLi32ELi8ELi256ELi64ELi4ELi64ELi4ELi4ELi64ELc78ELc78ELb1ELb0ELb1EfKffEEviiiT16_PT17_ilS6_ilS4_S6_ilPT18_ili26rocblas_geam_ex_operation_.uses_flat_scratch, 0
	.set _ZN12_GLOBAL__N_120geam_min_plus_kernelIf15HIP_vector_typeIfLj2EEfLi32ELi8ELi256ELi64ELi4ELi64ELi4ELi4ELi64ELc78ELc78ELb1ELb0ELb1EfKffEEviiiT16_PT17_ilS6_ilS4_S6_ilPT18_ili26rocblas_geam_ex_operation_.has_dyn_sized_stack, 0
	.set _ZN12_GLOBAL__N_120geam_min_plus_kernelIf15HIP_vector_typeIfLj2EEfLi32ELi8ELi256ELi64ELi4ELi64ELi4ELi4ELi64ELc78ELc78ELb1ELb0ELb1EfKffEEviiiT16_PT17_ilS6_ilS4_S6_ilPT18_ili26rocblas_geam_ex_operation_.has_recursion, 0
	.set _ZN12_GLOBAL__N_120geam_min_plus_kernelIf15HIP_vector_typeIfLj2EEfLi32ELi8ELi256ELi64ELi4ELi64ELi4ELi4ELi64ELc78ELc78ELb1ELb0ELb1EfKffEEviiiT16_PT17_ilS6_ilS4_S6_ilPT18_ili26rocblas_geam_ex_operation_.has_indirect_call, 0
	.section	.AMDGPU.csdata,"",@progbits
; Kernel info:
; codeLenInByte = 15748
; TotalNumSgprs: 30
; NumVgprs: 175
; NumAgprs: 0
; TotalNumVgprs: 175
; ScratchSize: 0
; MemoryBound: 0
; FloatMode: 240
; IeeeMode: 1
; LDSByteSize: 10240 bytes/workgroup (compile time only)
; SGPRBlocks: 3
; VGPRBlocks: 21
; NumSGPRsForWavesPerEU: 30
; NumVGPRsForWavesPerEU: 175
; AccumOffset: 176
; Occupancy: 2
; WaveLimiterHint : 1
; COMPUTE_PGM_RSRC2:SCRATCH_EN: 0
; COMPUTE_PGM_RSRC2:USER_SGPR: 2
; COMPUTE_PGM_RSRC2:TRAP_HANDLER: 0
; COMPUTE_PGM_RSRC2:TGID_X_EN: 1
; COMPUTE_PGM_RSRC2:TGID_Y_EN: 0
; COMPUTE_PGM_RSRC2:TGID_Z_EN: 1
; COMPUTE_PGM_RSRC2:TIDIG_COMP_CNT: 1
; COMPUTE_PGM_RSRC3_GFX90A:ACCUM_OFFSET: 43
; COMPUTE_PGM_RSRC3_GFX90A:TG_SPLIT: 0
	.section	.text._ZN12_GLOBAL__N_120geam_min_plus_kernelIf15HIP_vector_typeIfLj2EEfLi32ELi8ELi256ELi64ELi4ELi64ELi4ELi4ELi64ELc78ELc78ELb0ELb0ELb1EfKffEEviiiT16_PT17_ilS6_ilS4_S6_ilPT18_ili26rocblas_geam_ex_operation_,"axG",@progbits,_ZN12_GLOBAL__N_120geam_min_plus_kernelIf15HIP_vector_typeIfLj2EEfLi32ELi8ELi256ELi64ELi4ELi64ELi4ELi4ELi64ELc78ELc78ELb0ELb0ELb1EfKffEEviiiT16_PT17_ilS6_ilS4_S6_ilPT18_ili26rocblas_geam_ex_operation_,comdat
	.globl	_ZN12_GLOBAL__N_120geam_min_plus_kernelIf15HIP_vector_typeIfLj2EEfLi32ELi8ELi256ELi64ELi4ELi64ELi4ELi4ELi64ELc78ELc78ELb0ELb0ELb1EfKffEEviiiT16_PT17_ilS6_ilS4_S6_ilPT18_ili26rocblas_geam_ex_operation_ ; -- Begin function _ZN12_GLOBAL__N_120geam_min_plus_kernelIf15HIP_vector_typeIfLj2EEfLi32ELi8ELi256ELi64ELi4ELi64ELi4ELi4ELi64ELc78ELc78ELb0ELb0ELb1EfKffEEviiiT16_PT17_ilS6_ilS4_S6_ilPT18_ili26rocblas_geam_ex_operation_
	.p2align	8
	.type	_ZN12_GLOBAL__N_120geam_min_plus_kernelIf15HIP_vector_typeIfLj2EEfLi32ELi8ELi256ELi64ELi4ELi64ELi4ELi4ELi64ELc78ELc78ELb0ELb0ELb1EfKffEEviiiT16_PT17_ilS6_ilS4_S6_ilPT18_ili26rocblas_geam_ex_operation_,@function
_ZN12_GLOBAL__N_120geam_min_plus_kernelIf15HIP_vector_typeIfLj2EEfLi32ELi8ELi256ELi64ELi4ELi64ELi4ELi4ELi64ELc78ELc78ELb0ELb0ELb1EfKffEEviiiT16_PT17_ilS6_ilS4_S6_ilPT18_ili26rocblas_geam_ex_operation_: ; @_ZN12_GLOBAL__N_120geam_min_plus_kernelIf15HIP_vector_typeIfLj2EEfLi32ELi8ELi256ELi64ELi4ELi64ELi4ELi4ELi64ELc78ELc78ELb0ELb0ELb1EfKffEEviiiT16_PT17_ilS6_ilS4_S6_ilPT18_ili26rocblas_geam_ex_operation_
; %bb.0:
	s_load_dwordx2 s[18:19], s[0:1], 0x8
	s_load_dwordx4 s[8:11], s[0:1], 0x20
	s_waitcnt lgkmcnt(0)
	v_cmp_eq_f32_e64 s[6:7], s19, 0
	s_and_b64 s[4:5], exec, s[6:7]
	s_mov_b64 vcc, s[4:5]
	s_cbranch_vccnz .LBB56_175
; %bb.1:
	s_load_dwordx2 s[12:13], s[0:1], 0x10
	s_mul_i32 s9, s9, s3
	s_mul_hi_u32 s14, s8, s3
	s_add_i32 s9, s14, s9
	s_mul_i32 s8, s8, s3
	s_lshl_b64 s[8:9], s[8:9], 2
	s_waitcnt lgkmcnt(0)
	s_add_u32 s20, s12, s8
	s_addc_u32 s21, s13, s9
	s_andn2_b64 vcc, exec, s[6:7]
	s_mov_b64 s[6:7], -1
	s_cbranch_vccnz .LBB56_3
.LBB56_2:
	s_mov_b64 s[6:7], 0
.LBB56_3:
	s_mov_b64 s[16:17], 0
	s_andn2_b64 vcc, exec, s[6:7]
	s_mov_b64 s[22:23], 0
	s_cbranch_vccnz .LBB56_5
; %bb.4:
	s_load_dwordx2 s[6:7], s[0:1], 0x38
	s_waitcnt lgkmcnt(0)
	s_mul_i32 s7, s7, s3
	s_mul_hi_u32 s8, s6, s3
	s_add_i32 s7, s8, s7
	s_mul_i32 s6, s6, s3
	s_lshl_b64 s[6:7], s[6:7], 2
	s_add_u32 s22, s10, s6
	s_addc_u32 s23, s11, s7
.LBB56_5:
	s_load_dword s26, s[0:1], 0x40
	s_load_dwordx4 s[12:15], s[0:1], 0x58
	v_cmp_neq_f32_e64 s[24:25], s19, 0
	s_waitcnt lgkmcnt(0)
	v_cmp_eq_f32_e64 s[6:7], s26, 0
	s_and_b64 s[8:9], exec, s[6:7]
	s_mov_b64 vcc, s[8:9]
	s_cbranch_vccnz .LBB56_7
; %bb.6:
	s_load_dwordx2 s[6:7], s[0:1], 0x48
	s_mul_i32 s10, s13, s3
	s_mul_hi_u32 s11, s12, s3
	s_add_i32 s11, s11, s10
	s_mul_i32 s10, s12, s3
	s_lshl_b64 s[10:11], s[10:11], 2
	s_waitcnt lgkmcnt(0)
	s_add_u32 s16, s6, s10
	s_addc_u32 s17, s7, s11
.LBB56_7:
	s_load_dword s6, s[0:1], 0x0
	s_load_dword s10, s[0:1], 0x18
	v_and_b32_e32 v78, 0x3ff, v0
	v_bfe_u32 v79, v0, 10, 10
	v_lshl_add_u32 v2, v79, 5, v78
	s_waitcnt lgkmcnt(0)
	s_add_i32 s6, s6, -1
	s_ashr_i32 s7, s6, 31
	s_lshr_b32 s7, s7, 24
	s_add_i32 s6, s6, s7
	s_ashr_i32 s11, s6, 8
	s_add_i32 s12, s11, 1
	v_cvt_f32_u32_e32 v1, s12
	v_lshrrev_b32_e32 v46, 6, v2
	v_and_b32_e32 v47, 63, v2
	v_mov_b32_e32 v3, 0
	v_rcp_iflag_f32_e32 v0, v1
	s_nop 0
	v_mul_f32_e32 v0, 0x4f7ffffe, v0
	v_cvt_u32_f32_e32 v4, v0
	v_mad_i64_i32 v[0:1], s[6:7], s10, v46, 0
	s_not_b32 s6, s11
	v_readfirstlane_b32 s7, v4
	s_mul_i32 s6, s6, s7
	s_mul_hi_u32 s6, s7, s6
	s_add_i32 s7, s7, s6
	s_mul_hi_u32 s6, s2, s7
	s_mul_i32 s7, s6, s12
	s_sub_i32 s7, s2, s7
	s_add_i32 s11, s6, 1
	s_sub_i32 s13, s7, s12
	s_cmp_ge_u32 s7, s12
	s_cselect_b32 s6, s11, s6
	s_cselect_b32 s7, s13, s7
	s_add_i32 s11, s6, 1
	s_cmp_ge_u32 s7, s12
	s_cselect_b32 s29, s11, s6
	s_mul_i32 s28, s29, s12
	s_sub_i32 s6, s2, s28
	s_lshl_b32 s27, s6, 8
	v_or_b32_e32 v8, s27, v47
	v_cndmask_b32_e64 v4, 0, 1, s[24:25]
	v_lshl_add_u64 v[0:1], v[0:1], 2, s[20:21]
	v_cmp_ne_u32_e64 s[6:7], 1, v4
	s_andn2_b64 vcc, exec, s[24:25]
	v_ashrrev_i32_e32 v9, 31, v8
	v_mov_b32_e32 v4, 0
	s_cbranch_vccnz .LBB56_9
; %bb.8:
	v_lshl_add_u64 v[4:5], v[8:9], 2, v[0:1]
	global_load_dword v3, v[4:5], off
	global_load_dword v6, v[4:5], off offset:256
	s_waitcnt vmcnt(1)
	v_mul_f32_e32 v4, s19, v3
	s_waitcnt vmcnt(0)
	v_mul_f32_e32 v3, s19, v6
.LBB56_9:
	s_ashr_i32 s11, s10, 31
	s_mov_b64 vcc, s[4:5]
	s_cbranch_vccz .LBB56_11
; %bb.10:
	s_mov_b32 s12, 0
	v_mov_b32_e32 v6, s12
	v_mov_b32_e32 v5, 0
	v_mov_b32_e32 v7, 0
	s_cbranch_execz .LBB56_12
	s_branch .LBB56_13
.LBB56_11:
                                        ; implicit-def: $vgpr6
	v_mov_b32_e32 v5, 0
	v_mov_b32_e32 v7, 0
.LBB56_12:
	v_lshl_add_u64 v[0:1], v[8:9], 2, v[0:1]
	global_load_dword v6, v[0:1], off offset:512
	global_load_dword v7, v[0:1], off offset:768
	s_waitcnt vmcnt(1)
	v_mul_f32_e32 v6, s19, v6
	s_waitcnt vmcnt(0)
	v_mul_f32_e32 v7, s19, v7
.LBB56_13:
	s_load_dword s25, s[0:1], 0x30
	v_and_b32_e32 v0, 3, v78
	v_lshrrev_b32_e32 v12, 2, v2
	s_lshl_b32 s24, s29, 6
	s_and_b64 vcc, exec, s[6:7]
	v_add_u32_e32 v48, s24, v12
	v_lshlrev_b32_e32 v44, 2, v0
	s_cbranch_vccnz .LBB56_15
; %bb.14:
	s_waitcnt lgkmcnt(0)
	v_mad_i64_i32 v[0:1], s[12:13], v48, s25, 0
	v_lshl_add_u64 v[0:1], v[0:1], 2, s[22:23]
	v_mov_b32_e32 v45, 0
	v_lshl_add_u64 v[0:1], v[0:1], 0, v[44:45]
	global_load_dword v0, v[0:1], off
	s_waitcnt vmcnt(0)
	v_mul_f32_e32 v5, s19, v0
.LBB56_15:
	v_add_u32_e32 v0, 4, v46
	v_mad_i64_i32 v[0:1], s[12:13], s10, v0, 0
	v_lshl_add_u64 v[10:11], v[0:1], 2, s[20:21]
	v_mov_b32_e32 v1, 0
	s_and_b64 vcc, exec, s[6:7]
	v_mov_b32_e32 v0, 0
	s_cbranch_vccnz .LBB56_17
; %bb.16:
	v_lshl_add_u64 v[0:1], v[8:9], 2, v[10:11]
	global_load_dword v2, v[0:1], off
	global_load_dword v13, v[0:1], off offset:256
	s_waitcnt vmcnt(1)
	v_mul_f32_e32 v0, s19, v2
	s_waitcnt vmcnt(0)
	v_mul_f32_e32 v1, s19, v13
.LBB56_17:
	s_mov_b64 vcc, s[4:5]
	s_cbranch_vccz .LBB56_19
; %bb.18:
	s_mov_b32 s12, 0
	v_mov_b32_e32 v2, s12
	v_mov_b32_e32 v45, 0
	;; [unrolled: 1-line block ×3, first 2 shown]
	s_cbranch_execz .LBB56_20
	s_branch .LBB56_21
.LBB56_19:
                                        ; implicit-def: $vgpr2
	v_mov_b32_e32 v45, 0
	v_mov_b32_e32 v49, 0
.LBB56_20:
	v_lshl_add_u64 v[8:9], v[8:9], 2, v[10:11]
	global_load_dword v2, v[8:9], off offset:512
	global_load_dword v10, v[8:9], off offset:768
	s_waitcnt vmcnt(1)
	v_mul_f32_e32 v2, s19, v2
	s_waitcnt vmcnt(0)
	v_mul_f32_e32 v49, s19, v10
.LBB56_21:
	s_and_b64 vcc, exec, s[6:7]
	s_cbranch_vccnz .LBB56_23
; %bb.22:
	s_waitcnt lgkmcnt(0)
	v_mad_i64_i32 v[8:9], s[12:13], v48, s25, 0
	v_lshl_add_u64 v[8:9], v[8:9], 2, s[22:23]
	v_mov_b32_e32 v45, 0
	v_lshl_add_u64 v[8:9], v[8:9], 0, v[44:45]
	global_load_dword v8, v[8:9], off offset:16
	s_waitcnt vmcnt(0)
	v_mul_f32_e32 v45, s19, v8
.LBB56_23:
	v_lshlrev_b32_e32 v8, 4, v47
	v_lshl_add_u32 v82, v46, 2, v8
	ds_write2st64_b32 v82, v4, v3 offset1:4
	ds_write2st64_b32 v82, v6, v7 offset0:8 offset1:12
	v_lshl_or_b32 v3, v12, 4, v44
	v_lshlrev_b32_e32 v81, 4, v78
	ds_write_b32 v3, v5 offset:8192
	s_waitcnt lgkmcnt(0)
	s_barrier
	v_lshlrev_b32_e32 v80, 4, v79
	ds_read_b128 v[32:35], v81
	ds_read_b128 v[28:31], v81 offset:512
	ds_read_b128 v[24:27], v81 offset:1024
	;; [unrolled: 1-line block ×12, first 2 shown]
	s_waitcnt lgkmcnt(4)
	v_pk_add_f32 v[62:63], v[32:33], v[50:51]
	s_mov_b32 s12, 0x7f7fffff
	v_min3_f32 v66, v62, v63, s12
	v_pk_add_f32 v[62:63], v[28:29], v[50:51]
	s_cmp_lt_i32 s18, 9
	v_min3_f32 v67, v62, v63, s12
	v_pk_add_f32 v[62:63], v[24:25], v[50:51]
	s_nop 0
	v_min3_f32 v68, v62, v63, s12
	v_pk_add_f32 v[62:63], v[20:21], v[50:51]
	s_nop 0
	;; [unrolled: 3-line block ×4, first 2 shown]
	v_min3_f32 v71, v62, v63, s12
	v_pk_add_f32 v[62:63], v[8:9], v[50:51]
	v_pk_add_f32 v[50:51], v[4:5], v[50:51]
	v_min3_f32 v72, v62, v63, s12
	v_min3_f32 v73, v50, v51, s12
	s_waitcnt lgkmcnt(3)
	v_pk_add_f32 v[50:51], v[32:33], v[54:55]
	ds_read_b128 v[62:65], v80 offset:8832
	v_min3_f32 v74, v50, v51, s12
	v_pk_add_f32 v[50:51], v[28:29], v[54:55]
	s_nop 0
	v_min3_f32 v75, v50, v51, s12
	v_pk_add_f32 v[50:51], v[24:25], v[54:55]
	s_nop 0
	;; [unrolled: 3-line block ×7, first 2 shown]
	v_min3_f32 v54, v50, v51, s12
	s_waitcnt lgkmcnt(3)
	v_pk_add_f32 v[50:51], v[32:33], v[58:59]
	s_nop 0
	v_min3_f32 v55, v50, v51, s12
	v_pk_add_f32 v[50:51], v[28:29], v[58:59]
	s_nop 0
	v_min3_f32 v92, v50, v51, s12
	;; [unrolled: 3-line block ×8, first 2 shown]
	s_waitcnt lgkmcnt(2)
	v_pk_add_f32 v[50:51], v[32:33], v[40:41]
	s_nop 0
	v_min3_f32 v59, v50, v51, s12
	v_pk_add_f32 v[50:51], v[28:29], v[40:41]
	s_nop 0
	v_min3_f32 v98, v50, v51, s12
	;; [unrolled: 3-line block ×6, first 2 shown]
	v_pk_add_f32 v[50:51], v[8:9], v[40:41]
	v_pk_add_f32 v[40:41], v[4:5], v[40:41]
	v_min3_f32 v50, v50, v51, s12
	v_min3_f32 v51, v40, v41, s12
	s_waitcnt lgkmcnt(1)
	v_pk_add_f32 v[40:41], v[32:33], v[36:37]
	s_nop 0
	v_min3_f32 v103, v40, v41, s12
	v_pk_add_f32 v[40:41], v[28:29], v[36:37]
	s_nop 0
	v_min3_f32 v104, v40, v41, s12
	;; [unrolled: 3-line block ×6, first 2 shown]
	v_pk_add_f32 v[40:41], v[8:9], v[36:37]
	v_pk_add_f32 v[36:37], v[4:5], v[36:37]
	v_min3_f32 v109, v40, v41, s12
	v_pk_add_f32 v[40:41], v[34:35], v[52:53]
	s_nop 0
	v_min3_f32 v88, v40, v41, v66
	v_pk_add_f32 v[40:41], v[30:31], v[52:53]
	v_min3_f32 v66, v36, v37, s12
	s_waitcnt lgkmcnt(0)
	v_pk_add_f32 v[36:37], v[32:33], v[62:63]
	v_min3_f32 v149, v40, v41, v67
	v_min3_f32 v67, v36, v37, s12
	v_pk_add_f32 v[36:37], v[6:7], v[56:57]
	v_pk_add_f32 v[40:41], v[26:27], v[52:53]
	v_min3_f32 v140, v36, v37, v54
	v_pk_add_f32 v[36:37], v[34:35], v[60:61]
	v_min3_f32 v87, v40, v41, v68
	v_min3_f32 v139, v36, v37, v55
	v_pk_add_f32 v[36:37], v[30:31], v[60:61]
	v_pk_add_f32 v[40:41], v[22:23], v[52:53]
	v_min3_f32 v138, v36, v37, v92
	;; [unrolled: 6-line block ×5, first 2 shown]
	v_pk_add_f32 v[36:37], v[16:17], v[62:63]
	v_min3_f32 v84, v40, v41, v72
	v_pk_add_f32 v[40:41], v[6:7], v[52:53]
	v_min3_f32 v55, v36, v37, s12
	;; [unrolled: 2-line block ×25, first 2 shown]
	ds_read_b128 v[40:43], v80 offset:8960
	ds_read_b128 v[50:53], v80 offset:9088
	v_min3_f32 v121, v36, v37, v105
	v_pk_add_f32 v[36:37], v[22:23], v[38:39]
	ds_write2st64_b32 v82, v0, v1 offset0:16 offset1:20
	ds_write2st64_b32 v82, v2, v49 offset0:24 offset1:28
	ds_write_b32 v3, v45 offset:9216
	v_min3_f32 v120, v36, v37, v106
	v_pk_add_f32 v[36:37], v[18:19], v[38:39]
	s_waitcnt lgkmcnt(0)
	v_min3_f32 v119, v36, v37, v107
	v_pk_add_f32 v[36:37], v[14:15], v[38:39]
	s_barrier
	v_min3_f32 v116, v36, v37, v108
	v_pk_add_f32 v[36:37], v[10:11], v[38:39]
	s_nop 0
	v_min3_f32 v115, v36, v37, v109
	v_pk_add_f32 v[36:37], v[4:5], v[62:63]
	s_nop 0
	v_min3_f32 v58, v36, v37, s12
	v_pk_add_f32 v[36:37], v[32:33], v[40:41]
	v_pk_add_f32 v[32:33], v[32:33], v[50:51]
	v_min3_f32 v59, v36, v37, s12
	v_pk_add_f32 v[36:37], v[6:7], v[38:39]
	v_pk_add_f32 v[38:39], v[28:29], v[40:41]
	v_min3_f32 v118, v36, v37, v66
	v_pk_add_f32 v[36:37], v[34:35], v[64:65]
	v_min3_f32 v62, v38, v39, s12
	v_min3_f32 v117, v36, v37, v67
	v_pk_add_f32 v[36:37], v[30:31], v[64:65]
	v_pk_add_f32 v[38:39], v[24:25], v[40:41]
	v_min3_f32 v114, v36, v37, v56
	v_pk_add_f32 v[36:37], v[26:27], v[64:65]
	v_min3_f32 v63, v38, v39, s12
	;; [unrolled: 6-line block ×4, first 2 shown]
	v_min3_f32 v109, v36, v37, v61
	v_pk_add_f32 v[36:37], v[20:21], v[40:41]
	v_pk_add_f32 v[24:25], v[24:25], v[50:51]
	v_min3_f32 v54, v36, v37, s12
	v_pk_add_f32 v[36:37], v[16:17], v[40:41]
	v_pk_add_f32 v[8:9], v[8:9], v[50:51]
	v_min3_f32 v55, v36, v37, s12
	v_pk_add_f32 v[36:37], v[6:7], v[64:65]
	v_min3_f32 v24, v24, v25, s12
	v_min3_f32 v108, v36, v37, v58
	v_pk_add_f32 v[36:37], v[34:35], v[42:43]
	v_pk_add_f32 v[20:21], v[20:21], v[50:51]
	v_min3_f32 v107, v36, v37, v59
	v_pk_add_f32 v[36:37], v[30:31], v[42:43]
	v_min3_f32 v8, v8, v9, s12
	v_min3_f32 v106, v36, v37, v62
	v_pk_add_f32 v[36:37], v[26:27], v[42:43]
	v_min3_f32 v20, v20, v21, s12
	v_min3_f32 v105, v36, v37, v63
	v_pk_add_f32 v[36:37], v[22:23], v[42:43]
	v_pk_add_f32 v[16:17], v[16:17], v[50:51]
	v_min3_f32 v104, v36, v37, v54
	v_pk_add_f32 v[36:37], v[18:19], v[42:43]
	v_min3_f32 v21, v16, v17, s12
	v_min3_f32 v103, v36, v37, v55
	v_pk_add_f32 v[36:37], v[14:15], v[42:43]
	v_pk_add_f32 v[12:13], v[12:13], v[50:51]
	;; [unrolled: 6-line block ×3, first 2 shown]
	v_min3_f32 v38, v36, v37, s12
	v_min3_f32 v9, v4, v5, s12
	v_pk_add_f32 v[4:5], v[26:27], v[52:53]
	v_pk_add_f32 v[36:37], v[6:7], v[42:43]
	v_min3_f32 v98, v4, v5, v24
	v_pk_add_f32 v[4:5], v[22:23], v[52:53]
	v_pk_add_f32 v[28:29], v[28:29], v[50:51]
	v_min3_f32 v96, v4, v5, v20
	v_pk_add_f32 v[4:5], v[18:19], v[52:53]
	v_min3_f32 v99, v36, v37, v38
	v_min3_f32 v95, v4, v5, v21
	v_pk_add_f32 v[4:5], v[14:15], v[52:53]
	v_min3_f32 v36, v32, v33, s12
	v_min3_f32 v94, v4, v5, v12
	v_pk_add_f32 v[4:5], v[10:11], v[52:53]
	v_pk_add_f32 v[32:33], v[34:35], v[52:53]
	v_min3_f32 v28, v28, v29, s12
	v_pk_add_f32 v[16:17], v[30:31], v[52:53]
	v_min3_f32 v93, v4, v5, v8
	;; [unrolled: 2-line block ×3, first 2 shown]
	v_min3_f32 v97, v16, v17, v28
	v_min3_f32 v92, v4, v5, v9
	s_cbranch_scc1 .LBB56_46
; %bb.24:
	v_mov_b32_e32 v0, 0x1000
	v_lshl_add_u32 v151, v78, 4, v0
	v_mov_b32_e32 v0, 0x2400
	v_lshl_add_u32 v152, v79, 4, v0
	v_mad_i64_i32 v[0:1], s[12:13], s25, v48, 0
	v_mov_b32_e32 v45, 0
	v_lshl_add_u64 v[0:1], v[0:1], 2, v[44:45]
	v_lshl_add_u64 v[0:1], s[22:23], 0, v[0:1]
	;; [unrolled: 1-line block ×3, first 2 shown]
	v_lshl_or_b32 v0, s2, 8, v47
	s_lshl_b32 s2, s28, 8
	v_subrev_u32_e32 v0, s2, v0
	v_ashrrev_i32_e32 v1, 31, v0
	v_lshlrev_b64 v[70:71], 2, v[0:1]
	v_add_u32_e32 v0, 12, v46
	v_mad_i64_i32 v[0:1], s[12:13], v0, s10, 0
	v_lshl_add_u64 v[72:73], v[0:1], 2, s[20:21]
	v_add_u32_e32 v0, 8, v46
	s_lshl_b64 s[12:13], s[10:11], 5
	v_mad_i64_i32 v[0:1], s[10:11], v0, s10, 0
	v_add_u32_e32 v89, 0x2000, v3
	v_add_u32_e32 v90, 0x2000, v80
	;; [unrolled: 1-line block ×4, first 2 shown]
	s_add_i32 s18, s18, -8
	v_lshl_add_u64 v[74:75], v[0:1], 2, s[20:21]
	s_mov_b32 s2, 0
	s_mov_b32 s20, 0
	s_branch .LBB56_26
.LBB56_25:                              ;   in Loop: Header=BB56_26 Depth=1
	v_pk_add_f32 v[76:77], v[32:33], v[64:65]
	s_add_i32 s20, s20, 8
	v_min3_f32 v88, v76, v77, v88
	v_pk_add_f32 v[76:77], v[28:29], v[64:65]
	v_lshl_add_u64 v[68:69], v[68:69], 0, 32
	v_min3_f32 v149, v76, v77, v149
	v_pk_add_f32 v[76:77], v[24:25], v[64:65]
	v_lshl_add_u64 v[72:73], v[72:73], 0, s[12:13]
	v_min3_f32 v87, v76, v77, v87
	v_pk_add_f32 v[76:77], v[20:21], v[64:65]
	s_cmp_ge_i32 s20, s18
	v_min3_f32 v86, v76, v77, v86
	v_pk_add_f32 v[76:77], v[16:17], v[64:65]
	v_lshl_add_u64 v[74:75], v[74:75], 0, s[12:13]
	v_min3_f32 v83, v76, v77, v83
	v_pk_add_f32 v[76:77], v[12:13], v[64:65]
	s_nop 0
	v_min3_f32 v85, v76, v77, v85
	v_pk_add_f32 v[76:77], v[8:9], v[64:65]
	v_pk_add_f32 v[64:65], v[4:5], v[64:65]
	v_min3_f32 v76, v76, v77, v84
	v_min3_f32 v77, v64, v65, v148
	v_pk_add_f32 v[64:65], v[32:33], v[60:61]
	s_nop 0
	v_min3_f32 v84, v64, v65, v147
	v_pk_add_f32 v[64:65], v[28:29], v[60:61]
	s_nop 0
	v_min3_f32 v146, v64, v65, v146
	v_pk_add_f32 v[64:65], v[24:25], v[60:61]
	s_nop 0
	v_min3_f32 v145, v64, v65, v145
	v_pk_add_f32 v[64:65], v[20:21], v[60:61]
	s_nop 0
	v_min3_f32 v144, v64, v65, v144
	v_pk_add_f32 v[64:65], v[16:17], v[60:61]
	s_nop 0
	v_min3_f32 v143, v64, v65, v143
	v_pk_add_f32 v[64:65], v[12:13], v[60:61]
	s_nop 0
	v_min3_f32 v142, v64, v65, v142
	v_pk_add_f32 v[64:65], v[8:9], v[60:61]
	v_pk_add_f32 v[60:61], v[4:5], v[60:61]
	v_min3_f32 v64, v64, v65, v141
	v_min3_f32 v65, v60, v61, v140
	v_pk_add_f32 v[60:61], v[32:33], v[56:57]
	s_nop 0
	v_min3_f32 v139, v60, v61, v139
	v_pk_add_f32 v[60:61], v[28:29], v[56:57]
	s_nop 0
	v_min3_f32 v138, v60, v61, v138
	v_pk_add_f32 v[60:61], v[24:25], v[56:57]
	s_nop 0
	v_min3_f32 v137, v60, v61, v137
	v_pk_add_f32 v[60:61], v[20:21], v[56:57]
	s_nop 0
	v_min3_f32 v136, v60, v61, v136
	v_pk_add_f32 v[60:61], v[16:17], v[56:57]
	s_nop 0
	;; [unrolled: 22-line block ×5, first 2 shown]
	v_min3_f32 v111, v48, v49, v111
	v_pk_add_f32 v[48:49], v[12:13], v[44:45]
	s_nop 0
	v_min3_f32 v110, v48, v49, v110
	v_pk_add_f32 v[48:49], v[8:9], v[44:45]
	v_pk_add_f32 v[44:45], v[4:5], v[44:45]
	v_min3_f32 v48, v48, v49, v109
	v_min3_f32 v49, v44, v45, v108
	v_pk_add_f32 v[44:45], v[32:33], v[40:41]
	v_pk_add_f32 v[32:33], v[32:33], v[36:37]
	v_min3_f32 v107, v44, v45, v107
	v_pk_add_f32 v[44:45], v[28:29], v[40:41]
	v_pk_add_f32 v[28:29], v[28:29], v[36:37]
	v_min3_f32 v106, v44, v45, v106
	v_pk_add_f32 v[44:45], v[24:25], v[40:41]
	v_min3_f32 v28, v28, v29, v97
	v_min3_f32 v105, v44, v45, v105
	v_pk_add_f32 v[44:45], v[20:21], v[40:41]
	v_pk_add_f32 v[20:21], v[20:21], v[36:37]
	v_min3_f32 v104, v44, v45, v104
	v_pk_add_f32 v[44:45], v[16:17], v[40:41]
	v_pk_add_f32 v[16:17], v[16:17], v[36:37]
	;; [unrolled: 3-line block ×4, first 2 shown]
	v_pk_add_f32 v[8:9], v[8:9], v[36:37]
	v_pk_add_f32 v[4:5], v[4:5], v[36:37]
	v_min3_f32 v8, v8, v9, v93
	v_min3_f32 v9, v4, v5, v92
	v_pk_add_f32 v[4:5], v[34:35], v[66:67]
	v_min3_f32 v12, v12, v13, v94
	v_min3_f32 v88, v4, v5, v88
	;; [unrolled: 3-line block ×4, first 2 shown]
	v_pk_add_f32 v[4:5], v[22:23], v[66:67]
	v_pk_add_f32 v[24:25], v[24:25], v[36:37]
	v_min3_f32 v86, v4, v5, v86
	v_pk_add_f32 v[4:5], v[18:19], v[66:67]
	v_min3_f32 v24, v24, v25, v98
	v_min3_f32 v83, v4, v5, v83
	v_pk_add_f32 v[4:5], v[14:15], v[66:67]
	v_min3_f32 v40, v40, v41, v99
	;; [unrolled: 3-line block ×4, first 2 shown]
	v_min3_f32 v94, v4, v5, v77
	v_pk_add_f32 v[4:5], v[34:35], v[62:63]
	s_nop 0
	v_min3_f32 v84, v4, v5, v84
	v_pk_add_f32 v[4:5], v[30:31], v[62:63]
	s_nop 0
	;; [unrolled: 3-line block ×56, first 2 shown]
	v_min3_f32 v149, v4, v5, v9
	ds_read_b128 v[4:7], v81
	ds_read_b128 v[8:11], v81 offset:512
	ds_read_b128 v[12:15], v81 offset:1024
	;; [unrolled: 1-line block ×7, first 2 shown]
	ds_read_b128 v[40:43], v90
	ds_read_b128 v[44:47], v90 offset:128
	ds_read_b128 v[48:51], v90 offset:256
	;; [unrolled: 1-line block ×7, first 2 shown]
	s_waitcnt lgkmcnt(7)
	v_pk_add_f32 v[76:77], v[4:5], v[40:41]
	ds_write2st64_b32 v91, v0, v1 offset1:4
	ds_write2st64_b32 v91, v2, v153 offset0:8 offset1:12
	ds_write_b32 v150, v3
	v_min3_f32 v88, v76, v77, v88
	v_pk_add_f32 v[76:77], v[8:9], v[40:41]
	s_waitcnt lgkmcnt(0)
	v_min3_f32 v92, v76, v77, v92
	v_pk_add_f32 v[76:77], v[12:13], v[40:41]
	s_barrier
	v_min3_f32 v87, v76, v77, v87
	v_pk_add_f32 v[76:77], v[16:17], v[40:41]
	s_nop 0
	v_min3_f32 v86, v76, v77, v86
	v_pk_add_f32 v[76:77], v[20:21], v[40:41]
	s_nop 0
	;; [unrolled: 3-line block ×3, first 2 shown]
	v_min3_f32 v85, v76, v77, v85
	v_pk_add_f32 v[76:77], v[28:29], v[40:41]
	v_pk_add_f32 v[40:41], v[32:33], v[40:41]
	v_min3_f32 v76, v76, v77, v93
	v_min3_f32 v77, v40, v41, v94
	v_pk_add_f32 v[40:41], v[4:5], v[44:45]
	s_nop 0
	v_min3_f32 v93, v40, v41, v84
	v_pk_add_f32 v[40:41], v[8:9], v[44:45]
	s_nop 0
	;; [unrolled: 3-line block ×40, first 2 shown]
	v_min3_f32 v60, v40, v41, v139
	v_pk_add_f32 v[40:41], v[4:5], v[64:65]
	v_pk_add_f32 v[4:5], v[4:5], v[36:37]
	v_min3_f32 v61, v40, v41, v107
	v_pk_add_f32 v[40:41], v[8:9], v[64:65]
	s_nop 0
	v_min3_f32 v106, v40, v41, v106
	v_pk_add_f32 v[40:41], v[12:13], v[64:65]
	s_nop 0
	;; [unrolled: 3-line block ×7, first 2 shown]
	v_min3_f32 v40, v40, v41, v141
	v_min3_f32 v41, v4, v5, v142
	v_pk_add_f32 v[4:5], v[8:9], v[36:37]
	s_nop 0
	v_min3_f32 v8, v4, v5, v143
	v_pk_add_f32 v[4:5], v[12:13], v[36:37]
	s_nop 0
	;; [unrolled: 3-line block ×71, first 2 shown]
	v_min3_f32 v92, v4, v5, v20
	s_cbranch_scc1 .LBB56_46
.LBB56_26:                              ; =>This Inner Loop Header: Depth=1
	s_mov_b64 s[10:11], -1
	s_mov_b64 vcc, s[4:5]
                                        ; implicit-def: $vgpr0_vgpr1_vgpr2_vgpr3
	s_cbranch_vccnz .LBB56_37
; %bb.27:                               ;   in Loop: Header=BB56_26 Depth=1
	v_mov_b32_e32 v1, 0
	s_andn2_b64 vcc, exec, s[10:11]
	v_lshl_add_u64 v[4:5], v[74:75], 0, v[70:71]
	s_cbranch_vccz .LBB56_38
.LBB56_28:                              ;   in Loop: Header=BB56_26 Depth=1
	s_mov_b64 s[10:11], -1
	s_mov_b64 vcc, s[4:5]
                                        ; implicit-def: $vgpr2
	s_cbranch_vccnz .LBB56_39
.LBB56_29:                              ;   in Loop: Header=BB56_26 Depth=1
	v_mov_b32_e32 v3, 0
	s_andn2_b64 vcc, exec, s[10:11]
	v_mov_b32_e32 v76, 0
	s_cbranch_vccz .LBB56_40
.LBB56_30:                              ;   in Loop: Header=BB56_26 Depth=1
	s_and_b64 vcc, exec, s[6:7]
	s_cbranch_vccnz .LBB56_32
.LBB56_31:                              ;   in Loop: Header=BB56_26 Depth=1
	global_load_dword v3, v[68:69], off
	s_waitcnt vmcnt(0)
	v_mul_f32_e32 v3, s19, v3
.LBB56_32:                              ;   in Loop: Header=BB56_26 Depth=1
	ds_read_b128 v[32:35], v151
	ds_read_b128 v[28:31], v151 offset:512
	ds_read_b128 v[24:27], v151 offset:1024
	;; [unrolled: 1-line block ×7, first 2 shown]
	ds_read_b128 v[64:67], v152
	ds_read_b128 v[60:63], v152 offset:128
	ds_read_b128 v[56:59], v152 offset:256
	;; [unrolled: 1-line block ×7, first 2 shown]
	s_mov_b64 s[10:11], -1
	s_mov_b64 vcc, s[4:5]
	ds_write2st64_b32 v82, v0, v1 offset1:4
	ds_write2st64_b32 v82, v2, v76 offset0:8 offset1:12
	ds_write_b32 v89, v3
	s_waitcnt lgkmcnt(0)
	s_barrier
                                        ; implicit-def: $vgpr0_vgpr1_vgpr2_vgpr3
	s_cbranch_vccnz .LBB56_41
; %bb.33:                               ;   in Loop: Header=BB56_26 Depth=1
	v_mov_b32_e32 v1, 0
	s_andn2_b64 vcc, exec, s[10:11]
	v_lshl_add_u64 v[76:77], v[72:73], 0, v[70:71]
	s_cbranch_vccz .LBB56_42
.LBB56_34:                              ;   in Loop: Header=BB56_26 Depth=1
	s_mov_b64 s[10:11], -1
	s_mov_b64 vcc, s[4:5]
                                        ; implicit-def: $vgpr2
	s_cbranch_vccnz .LBB56_43
.LBB56_35:                              ;   in Loop: Header=BB56_26 Depth=1
	v_mov_b32_e32 v3, 0
	s_andn2_b64 vcc, exec, s[10:11]
	v_mov_b32_e32 v153, 0
	s_cbranch_vccz .LBB56_44
.LBB56_36:                              ;   in Loop: Header=BB56_26 Depth=1
	s_and_b64 vcc, exec, s[6:7]
	s_cbranch_vccz .LBB56_45
	s_branch .LBB56_25
.LBB56_37:                              ;   in Loop: Header=BB56_26 Depth=1
	v_mov_b32_e32 v0, s2
	v_mov_b32_e32 v1, 0
	v_lshl_add_u64 v[4:5], v[74:75], 0, v[70:71]
	s_cbranch_execnz .LBB56_28
.LBB56_38:                              ;   in Loop: Header=BB56_26 Depth=1
	global_load_dword v0, v[4:5], off
	global_load_dword v1, v[4:5], off offset:256
	s_waitcnt vmcnt(1)
	v_mul_f32_e32 v0, s19, v0
	s_waitcnt vmcnt(0)
	v_mul_f32_e32 v1, s19, v1
	s_mov_b64 s[10:11], -1
	s_mov_b64 vcc, s[4:5]
                                        ; implicit-def: $vgpr2
	s_cbranch_vccz .LBB56_29
.LBB56_39:                              ;   in Loop: Header=BB56_26 Depth=1
	v_mov_b32_e32 v2, s2
	v_mov_b32_e32 v3, 0
	;; [unrolled: 1-line block ×3, first 2 shown]
	s_cbranch_execnz .LBB56_30
.LBB56_40:                              ;   in Loop: Header=BB56_26 Depth=1
	global_load_dword v2, v[4:5], off offset:512
	global_load_dword v6, v[4:5], off offset:768
	s_waitcnt vmcnt(1)
	v_mul_f32_e32 v2, s19, v2
	s_waitcnt vmcnt(0)
	v_mul_f32_e32 v76, s19, v6
	s_and_b64 vcc, exec, s[6:7]
	s_cbranch_vccz .LBB56_31
	s_branch .LBB56_32
.LBB56_41:                              ;   in Loop: Header=BB56_26 Depth=1
	v_mov_b32_e32 v0, s2
	v_mov_b32_e32 v1, 0
	v_lshl_add_u64 v[76:77], v[72:73], 0, v[70:71]
	s_cbranch_execnz .LBB56_34
.LBB56_42:                              ;   in Loop: Header=BB56_26 Depth=1
	global_load_dword v0, v[76:77], off
	global_load_dword v1, v[76:77], off offset:256
	s_waitcnt vmcnt(1)
	v_mul_f32_e32 v0, s19, v0
	s_waitcnt vmcnt(0)
	v_mul_f32_e32 v1, s19, v1
	s_mov_b64 s[10:11], -1
	s_mov_b64 vcc, s[4:5]
                                        ; implicit-def: $vgpr2
	s_cbranch_vccz .LBB56_35
.LBB56_43:                              ;   in Loop: Header=BB56_26 Depth=1
	v_mov_b32_e32 v2, s2
	v_mov_b32_e32 v3, 0
	;; [unrolled: 1-line block ×3, first 2 shown]
	s_cbranch_execnz .LBB56_36
.LBB56_44:                              ;   in Loop: Header=BB56_26 Depth=1
	global_load_dword v2, v[76:77], off offset:512
	s_nop 0
	global_load_dword v76, v[76:77], off offset:768
	s_waitcnt vmcnt(1)
	v_mul_f32_e32 v2, s19, v2
	s_waitcnt vmcnt(0)
	v_mul_f32_e32 v153, s19, v76
	s_and_b64 vcc, exec, s[6:7]
	s_cbranch_vccnz .LBB56_25
.LBB56_45:                              ;   in Loop: Header=BB56_26 Depth=1
	global_load_dword v3, v[68:69], off offset:16
	s_waitcnt vmcnt(0)
	v_mul_f32_e32 v3, s19, v3
	s_branch .LBB56_25
.LBB56_46:
	s_load_dwordx2 s[6:7], s[0:1], 0x70
	s_load_dword s4, s[0:1], 0x50
	s_load_dword s5, s[0:1], 0x68
	ds_read_b128 v[32:35], v81 offset:4096
	ds_read_b128 v[60:63], v80 offset:9216
	s_waitcnt lgkmcnt(0)
	s_mul_i32 s0, s7, s3
	s_mul_hi_u32 s1, s6, s3
	s_add_i32 s1, s1, s0
	s_mul_i32 s0, s6, s3
	s_lshl_b64 s[0:1], s[0:1], 2
	v_pk_add_f32 v[0:1], v[32:33], v[60:61]
	s_add_u32 s0, s14, s0
	v_min3_f32 v2, v0, v1, v88
	v_pk_add_f32 v[0:1], v[34:35], v[62:63]
	v_add_u32_e32 v150, s24, v79
	s_addc_u32 s1, s15, s1
	v_min3_f32 v2, v0, v1, v2
	v_add_u32_e32 v68, s27, v78
	v_mad_i64_i32 v[0:1], s[2:3], v150, s5, 0
	v_add_u32_e32 v64, 32, v68
	v_lshl_add_u64 v[88:89], v[0:1], 2, s[0:1]
	v_mad_i64_i32 v[0:1], s[2:3], v150, s4, 0
	v_ashrrev_i32_e32 v69, 31, v68
	v_ashrrev_i32_e32 v65, 31, v64
	s_mov_b64 s[2:3], -1
	v_max_f32_e32 v2, v2, v2
	s_mov_b64 vcc, s[8:9]
	s_cbranch_vccz .LBB56_48
; %bb.47:
	v_min_f32_e32 v3, 0, v2
	v_lshl_add_u64 v[4:5], v[68:69], 2, v[88:89]
	global_store_dword v[4:5], v3, off
	s_mov_b64 s[2:3], 0
.LBB56_48:
	ds_read_b128 v[28:31], v81 offset:4608
	ds_read_b128 v[24:27], v81 offset:5120
	v_lshl_add_u64 v[90:91], v[0:1], 2, s[16:17]
	v_mov_b32_e32 v70, 0
	s_andn2_b64 vcc, exec, s[2:3]
	v_lshlrev_b64 v[72:73], 2, v[68:69]
	s_cbranch_vccnz .LBB56_50
; %bb.49:
	v_lshl_add_u64 v[0:1], v[90:91], 0, v[72:73]
	global_load_dword v3, v[0:1], off
	v_lshl_add_u64 v[0:1], v[88:89], 0, v[72:73]
	s_waitcnt vmcnt(0)
	v_mul_f32_e32 v3, s26, v3
	v_min_f32_e32 v2, v3, v2
	global_store_dword v[0:1], v2, off
	v_lshl_add_u64 v[0:1], v[64:65], 2, v[90:91]
	global_load_dword v0, v[0:1], off
	s_waitcnt vmcnt(0)
	v_mul_f32_e32 v70, s26, v0
.LBB56_50:
	ds_read_b128 v[20:23], v81 offset:5632
	ds_read_b128 v[16:19], v81 offset:6144
	;; [unrolled: 1-line block ×12, first 2 shown]
	s_waitcnt lgkmcnt(13)
	v_pk_add_f32 v[66:67], v[28:29], v[60:61]
	v_add_u32_e32 v76, 64, v68
	v_min3_f32 v71, v66, v67, v149
	s_waitcnt lgkmcnt(12)
	v_pk_add_f32 v[66:67], v[24:25], v[60:61]
	v_ashrrev_i32_e32 v77, 31, v76
	v_min3_f32 v74, v66, v67, v87
	v_pk_add_f32 v[66:67], v[30:31], v[62:63]
	s_mov_b64 s[2:3], -1
	v_min_f32_e32 v75, v66, v67
	v_pk_add_f32 v[66:67], v[26:27], v[62:63]
	v_min3_f32 v75, v70, v75, v71
	v_min3_f32 v74, v66, v67, v74
	v_add_u32_e32 v66, 0x60, v68
	v_lshl_add_u64 v[70:71], v[64:65], 2, v[88:89]
	v_ashrrev_i32_e32 v67, 31, v66
	global_store_dword v[70:71], v75, off
	v_max_f32_e32 v70, v74, v74
	s_mov_b64 vcc, s[8:9]
	s_cbranch_vccz .LBB56_52
; %bb.51:
	v_min_f32_e32 v71, 0, v70
	v_lshl_add_u64 v[74:75], v[76:77], 2, v[88:89]
	global_store_dword v[74:75], v71, off
	s_mov_b64 s[2:3], 0
.LBB56_52:
	v_mov_b32_e32 v74, 0
	s_andn2_b64 vcc, exec, s[2:3]
	v_lshlrev_b64 v[80:81], 2, v[76:77]
	s_cbranch_vccnz .LBB56_54
; %bb.53:
	v_lshl_add_u64 v[74:75], v[90:91], 0, v[80:81]
	global_load_dword v71, v[74:75], off
	v_lshl_add_u64 v[74:75], v[88:89], 0, v[80:81]
	s_waitcnt vmcnt(0)
	v_mul_f32_e32 v71, s26, v71
	v_min_f32_e32 v70, v71, v70
	global_store_dword v[74:75], v70, off
	v_lshl_add_u64 v[70:71], v[66:67], 2, v[90:91]
	global_load_dword v70, v[70:71], off
	s_waitcnt vmcnt(0)
	v_mul_f32_e32 v74, s26, v70
.LBB56_54:
	s_waitcnt lgkmcnt(11)
	v_pk_add_f32 v[70:71], v[20:21], v[60:61]
	s_mov_b64 s[2:3], -1
	v_min3_f32 v75, v70, v71, v86
	s_waitcnt lgkmcnt(10)
	v_pk_add_f32 v[70:71], v[16:17], v[60:61]
	s_mov_b64 vcc, s[8:9]
	v_min3_f32 v78, v70, v71, v83
	v_pk_add_f32 v[70:71], v[22:23], v[62:63]
	s_nop 0
	v_min_f32_e32 v82, v70, v71
	v_pk_add_f32 v[70:71], v[18:19], v[62:63]
	v_min3_f32 v82, v74, v82, v75
	v_min3_f32 v83, v70, v71, v78
	v_add_u32_e32 v78, 0x80, v68
	v_add_u32_e32 v70, 0xa0, v68
	v_lshl_add_u64 v[74:75], v[66:67], 2, v[88:89]
	v_ashrrev_i32_e32 v79, 31, v78
	v_ashrrev_i32_e32 v71, 31, v70
	global_store_dword v[74:75], v82, off
	v_max_f32_e32 v74, v83, v83
	s_cbranch_vccz .LBB56_56
; %bb.55:
	v_min_f32_e32 v75, 0, v74
	v_lshl_add_u64 v[82:83], v[78:79], 2, v[88:89]
	global_store_dword v[82:83], v75, off
	s_mov_b64 s[2:3], 0
.LBB56_56:
	v_mov_b32_e32 v86, 0
	s_andn2_b64 vcc, exec, s[2:3]
	v_lshlrev_b64 v[82:83], 2, v[78:79]
	s_cbranch_vccnz .LBB56_58
; %bb.57:
	v_lshl_add_u64 v[86:87], v[90:91], 0, v[82:83]
	global_load_dword v75, v[86:87], off
	v_lshl_add_u64 v[86:87], v[88:89], 0, v[82:83]
	s_waitcnt vmcnt(0)
	v_mul_f32_e32 v75, s26, v75
	v_min_f32_e32 v74, v75, v74
	global_store_dword v[86:87], v74, off
	v_lshl_add_u64 v[74:75], v[70:71], 2, v[90:91]
	global_load_dword v74, v[74:75], off
	s_waitcnt vmcnt(0)
	v_mul_f32_e32 v86, s26, v74
.LBB56_58:
	s_waitcnt lgkmcnt(9)
	v_pk_add_f32 v[74:75], v[12:13], v[60:61]
	s_mov_b64 s[2:3], -1
	v_min3_f32 v87, v74, v75, v85
	s_waitcnt lgkmcnt(8)
	v_pk_add_f32 v[74:75], v[8:9], v[60:61]
	s_mov_b64 vcc, s[8:9]
	v_min3_f32 v84, v74, v75, v84
	v_pk_add_f32 v[74:75], v[14:15], v[62:63]
	s_nop 0
	v_min_f32_e32 v149, v74, v75
	v_pk_add_f32 v[74:75], v[10:11], v[62:63]
	v_min3_f32 v149, v86, v149, v87
	v_min3_f32 v151, v74, v75, v84
	v_add_u32_e32 v84, 0xc0, v68
	v_add_u32_e32 v74, 0xe0, v68
	v_lshl_add_u64 v[86:87], v[70:71], 2, v[88:89]
	v_ashrrev_i32_e32 v85, 31, v84
	v_ashrrev_i32_e32 v75, 31, v74
	global_store_dword v[86:87], v149, off
	v_max_f32_e32 v149, v151, v151
	s_cbranch_vccz .LBB56_60
; %bb.59:
	v_min_f32_e32 v151, 0, v149
	v_lshl_add_u64 v[86:87], v[84:85], 2, v[88:89]
	global_store_dword v[86:87], v151, off
	s_mov_b64 s[2:3], 0
.LBB56_60:
	v_mov_b32_e32 v151, 0
	s_andn2_b64 vcc, exec, s[2:3]
	v_lshlrev_b64 v[86:87], 2, v[84:85]
	s_cbranch_vccnz .LBB56_62
; %bb.61:
	v_lshl_add_u64 v[152:153], v[90:91], 0, v[86:87]
	global_load_dword v151, v[152:153], off
	v_lshl_add_u64 v[152:153], v[88:89], 0, v[86:87]
	v_lshl_add_u64 v[90:91], v[74:75], 2, v[90:91]
	s_waitcnt vmcnt(0)
	v_mul_f32_e32 v151, s26, v151
	v_min_f32_e32 v149, v151, v149
	global_store_dword v[152:153], v149, off
	global_load_dword v90, v[90:91], off
	s_waitcnt vmcnt(0)
	v_mul_f32_e32 v151, s26, v90
.LBB56_62:
	s_waitcnt lgkmcnt(7)
	v_pk_add_f32 v[60:61], v[0:1], v[60:61]
	s_mov_b64 vcc, s[8:9]
	v_min3_f32 v90, v60, v61, v148
	s_waitcnt lgkmcnt(6)
	v_pk_add_f32 v[60:61], v[32:33], v[56:57]
	s_nop 0
	v_min3_f32 v91, v60, v61, v147
	v_pk_add_f32 v[60:61], v[2:3], v[62:63]
	s_nop 0
	v_min_f32_e32 v62, v60, v61
	v_pk_add_f32 v[60:61], v[34:35], v[58:59]
	v_min3_f32 v62, v151, v62, v90
	v_min3_f32 v91, v60, v61, v91
	v_lshl_add_u64 v[60:61], v[74:75], 2, v[88:89]
	global_store_dword v[60:61], v62, off
	v_add_u32_e32 v62, 8, v150
	v_mad_i64_i32 v[60:61], s[2:3], v62, s5, 0
	v_mad_i64_i32 v[62:63], s[2:3], v62, s4, 0
	v_lshl_add_u64 v[60:61], v[60:61], 2, s[0:1]
	s_mov_b64 s[2:3], -1
	v_max_f32_e32 v88, v91, v91
	s_cbranch_vccz .LBB56_64
; %bb.63:
	v_min_f32_e32 v89, 0, v88
	v_lshl_add_u64 v[90:91], v[68:69], 2, v[60:61]
	global_store_dword v[90:91], v89, off
	s_mov_b64 s[2:3], 0
.LBB56_64:
	v_lshl_add_u64 v[62:63], v[62:63], 2, s[16:17]
	s_andn2_b64 vcc, exec, s[2:3]
	v_mov_b32_e32 v89, 0
	s_cbranch_vccnz .LBB56_66
; %bb.65:
	v_lshl_add_u64 v[90:91], v[62:63], 0, v[72:73]
	global_load_dword v89, v[90:91], off
	v_lshl_add_u64 v[90:91], v[60:61], 0, v[72:73]
	s_waitcnt vmcnt(0)
	v_mul_f32_e32 v89, s26, v89
	v_min_f32_e32 v88, v89, v88
	global_store_dword v[90:91], v88, off
	v_lshl_add_u64 v[88:89], v[64:65], 2, v[62:63]
	global_load_dword v88, v[88:89], off
	s_waitcnt vmcnt(0)
	v_mul_f32_e32 v89, s26, v88
.LBB56_66:
	v_pk_add_f32 v[90:91], v[28:29], v[56:57]
	s_mov_b64 s[2:3], -1
	v_min3_f32 v88, v90, v91, v146
	v_pk_add_f32 v[90:91], v[24:25], v[56:57]
	s_mov_b64 vcc, s[8:9]
	v_min3_f32 v145, v90, v91, v145
	v_pk_add_f32 v[90:91], v[30:31], v[58:59]
	s_nop 0
	v_min_f32_e32 v146, v90, v91
	v_pk_add_f32 v[90:91], v[26:27], v[58:59]
	s_nop 0
	v_min3_f32 v90, v90, v91, v145
	v_min3_f32 v91, v89, v146, v88
	v_lshl_add_u64 v[88:89], v[64:65], 2, v[60:61]
	global_store_dword v[88:89], v91, off
	v_max_f32_e32 v88, v90, v90
	s_cbranch_vccz .LBB56_68
; %bb.67:
	v_min_f32_e32 v89, 0, v88
	v_lshl_add_u64 v[90:91], v[76:77], 2, v[60:61]
	global_store_dword v[90:91], v89, off
	s_mov_b64 s[2:3], 0
.LBB56_68:
	s_andn2_b64 vcc, exec, s[2:3]
	v_mov_b32_e32 v89, 0
	s_cbranch_vccnz .LBB56_70
; %bb.69:
	v_lshl_add_u64 v[90:91], v[62:63], 0, v[80:81]
	global_load_dword v89, v[90:91], off
	v_lshl_add_u64 v[90:91], v[60:61], 0, v[80:81]
	s_waitcnt vmcnt(0)
	v_mul_f32_e32 v89, s26, v89
	v_min_f32_e32 v88, v89, v88
	global_store_dword v[90:91], v88, off
	v_lshl_add_u64 v[88:89], v[66:67], 2, v[62:63]
	global_load_dword v88, v[88:89], off
	s_waitcnt vmcnt(0)
	v_mul_f32_e32 v89, s26, v88
.LBB56_70:
	v_pk_add_f32 v[90:91], v[20:21], v[56:57]
	s_mov_b64 s[2:3], -1
	v_min3_f32 v88, v90, v91, v144
	v_pk_add_f32 v[90:91], v[16:17], v[56:57]
	s_mov_b64 vcc, s[8:9]
	v_min3_f32 v143, v90, v91, v143
	v_pk_add_f32 v[90:91], v[22:23], v[58:59]
	s_nop 0
	v_min_f32_e32 v144, v90, v91
	v_pk_add_f32 v[90:91], v[18:19], v[58:59]
	s_nop 0
	v_min3_f32 v90, v90, v91, v143
	v_min3_f32 v91, v89, v144, v88
	v_lshl_add_u64 v[88:89], v[66:67], 2, v[60:61]
	global_store_dword v[88:89], v91, off
	v_max_f32_e32 v88, v90, v90
	s_cbranch_vccz .LBB56_72
; %bb.71:
	v_min_f32_e32 v89, 0, v88
	v_lshl_add_u64 v[90:91], v[78:79], 2, v[60:61]
	global_store_dword v[90:91], v89, off
	s_mov_b64 s[2:3], 0
.LBB56_72:
	;; [unrolled: 39-line block ×3, first 2 shown]
	s_andn2_b64 vcc, exec, s[2:3]
	v_mov_b32_e32 v89, 0
	s_cbranch_vccnz .LBB56_78
; %bb.77:
	v_lshl_add_u64 v[90:91], v[62:63], 0, v[86:87]
	global_load_dword v89, v[90:91], off
	v_lshl_add_u64 v[90:91], v[60:61], 0, v[86:87]
	v_lshl_add_u64 v[62:63], v[74:75], 2, v[62:63]
	s_waitcnt vmcnt(0)
	v_mul_f32_e32 v89, s26, v89
	v_min_f32_e32 v88, v89, v88
	global_store_dword v[90:91], v88, off
	global_load_dword v62, v[62:63], off
	s_waitcnt vmcnt(0)
	v_mul_f32_e32 v89, s26, v62
.LBB56_78:
	v_pk_add_f32 v[56:57], v[0:1], v[56:57]
	s_mov_b64 vcc, s[8:9]
	v_min3_f32 v62, v56, v57, v140
	s_waitcnt lgkmcnt(5)
	v_pk_add_f32 v[56:57], v[32:33], v[52:53]
	s_nop 0
	v_min3_f32 v63, v56, v57, v139
	v_pk_add_f32 v[56:57], v[2:3], v[58:59]
	s_nop 0
	v_min_f32_e32 v58, v56, v57
	v_pk_add_f32 v[56:57], v[34:35], v[54:55]
	v_min3_f32 v58, v89, v58, v62
	v_min3_f32 v63, v56, v57, v63
	v_lshl_add_u64 v[56:57], v[74:75], 2, v[60:61]
	global_store_dword v[56:57], v58, off
	v_add_u32_e32 v58, 16, v150
	v_mad_i64_i32 v[56:57], s[2:3], v58, s5, 0
	v_mad_i64_i32 v[58:59], s[2:3], v58, s4, 0
	v_lshl_add_u64 v[56:57], v[56:57], 2, s[0:1]
	s_mov_b64 s[2:3], -1
	v_max_f32_e32 v60, v63, v63
	s_cbranch_vccz .LBB56_80
; %bb.79:
	v_min_f32_e32 v61, 0, v60
	v_lshl_add_u64 v[62:63], v[68:69], 2, v[56:57]
	global_store_dword v[62:63], v61, off
	s_mov_b64 s[2:3], 0
.LBB56_80:
	v_lshl_add_u64 v[58:59], v[58:59], 2, s[16:17]
	s_andn2_b64 vcc, exec, s[2:3]
	v_mov_b32_e32 v61, 0
	s_cbranch_vccnz .LBB56_82
; %bb.81:
	v_lshl_add_u64 v[62:63], v[58:59], 0, v[72:73]
	global_load_dword v61, v[62:63], off
	v_lshl_add_u64 v[62:63], v[56:57], 0, v[72:73]
	s_waitcnt vmcnt(0)
	v_mul_f32_e32 v61, s26, v61
	v_min_f32_e32 v60, v61, v60
	global_store_dword v[62:63], v60, off
	v_lshl_add_u64 v[60:61], v[64:65], 2, v[58:59]
	global_load_dword v60, v[60:61], off
	s_waitcnt vmcnt(0)
	v_mul_f32_e32 v61, s26, v60
.LBB56_82:
	v_pk_add_f32 v[62:63], v[28:29], v[52:53]
	s_mov_b64 s[2:3], -1
	v_min3_f32 v60, v62, v63, v138
	v_pk_add_f32 v[62:63], v[24:25], v[52:53]
	s_mov_b64 vcc, s[8:9]
	v_min3_f32 v88, v62, v63, v137
	v_pk_add_f32 v[62:63], v[30:31], v[54:55]
	s_nop 0
	v_min_f32_e32 v89, v62, v63
	v_pk_add_f32 v[62:63], v[26:27], v[54:55]
	s_nop 0
	v_min3_f32 v62, v62, v63, v88
	v_min3_f32 v63, v61, v89, v60
	v_lshl_add_u64 v[60:61], v[64:65], 2, v[56:57]
	global_store_dword v[60:61], v63, off
	v_max_f32_e32 v60, v62, v62
	s_cbranch_vccz .LBB56_84
; %bb.83:
	v_min_f32_e32 v61, 0, v60
	v_lshl_add_u64 v[62:63], v[76:77], 2, v[56:57]
	global_store_dword v[62:63], v61, off
	s_mov_b64 s[2:3], 0
.LBB56_84:
	s_andn2_b64 vcc, exec, s[2:3]
	v_mov_b32_e32 v61, 0
	s_cbranch_vccnz .LBB56_86
; %bb.85:
	v_lshl_add_u64 v[62:63], v[58:59], 0, v[80:81]
	global_load_dword v61, v[62:63], off
	v_lshl_add_u64 v[62:63], v[56:57], 0, v[80:81]
	s_waitcnt vmcnt(0)
	v_mul_f32_e32 v61, s26, v61
	v_min_f32_e32 v60, v61, v60
	global_store_dword v[62:63], v60, off
	v_lshl_add_u64 v[60:61], v[66:67], 2, v[58:59]
	global_load_dword v60, v[60:61], off
	s_waitcnt vmcnt(0)
	v_mul_f32_e32 v61, s26, v60
.LBB56_86:
	v_pk_add_f32 v[62:63], v[20:21], v[52:53]
	s_mov_b64 s[2:3], -1
	v_min3_f32 v60, v62, v63, v136
	v_pk_add_f32 v[62:63], v[16:17], v[52:53]
	s_mov_b64 vcc, s[8:9]
	v_min3_f32 v88, v62, v63, v135
	v_pk_add_f32 v[62:63], v[22:23], v[54:55]
	s_nop 0
	v_min_f32_e32 v89, v62, v63
	v_pk_add_f32 v[62:63], v[18:19], v[54:55]
	s_nop 0
	v_min3_f32 v62, v62, v63, v88
	v_min3_f32 v63, v61, v89, v60
	v_lshl_add_u64 v[60:61], v[66:67], 2, v[56:57]
	global_store_dword v[60:61], v63, off
	v_max_f32_e32 v60, v62, v62
	s_cbranch_vccz .LBB56_88
; %bb.87:
	v_min_f32_e32 v61, 0, v60
	v_lshl_add_u64 v[62:63], v[78:79], 2, v[56:57]
	global_store_dword v[62:63], v61, off
	s_mov_b64 s[2:3], 0
.LBB56_88:
	;; [unrolled: 39-line block ×3, first 2 shown]
	s_andn2_b64 vcc, exec, s[2:3]
	v_mov_b32_e32 v61, 0
	s_cbranch_vccnz .LBB56_94
; %bb.93:
	v_lshl_add_u64 v[62:63], v[58:59], 0, v[86:87]
	global_load_dword v61, v[62:63], off
	v_lshl_add_u64 v[62:63], v[56:57], 0, v[86:87]
	v_lshl_add_u64 v[58:59], v[74:75], 2, v[58:59]
	s_waitcnt vmcnt(0)
	v_mul_f32_e32 v61, s26, v61
	v_min_f32_e32 v60, v61, v60
	global_store_dword v[62:63], v60, off
	global_load_dword v58, v[58:59], off
	s_waitcnt vmcnt(0)
	v_mul_f32_e32 v61, s26, v58
.LBB56_94:
	v_pk_add_f32 v[52:53], v[0:1], v[52:53]
	s_mov_b64 vcc, s[8:9]
	v_min3_f32 v58, v52, v53, v132
	s_waitcnt lgkmcnt(4)
	v_pk_add_f32 v[52:53], v[32:33], v[48:49]
	s_nop 0
	v_min3_f32 v59, v52, v53, v131
	v_pk_add_f32 v[52:53], v[2:3], v[54:55]
	s_nop 0
	v_min_f32_e32 v54, v52, v53
	v_pk_add_f32 v[52:53], v[34:35], v[50:51]
	v_min3_f32 v54, v61, v54, v58
	v_min3_f32 v59, v52, v53, v59
	v_lshl_add_u64 v[52:53], v[74:75], 2, v[56:57]
	global_store_dword v[52:53], v54, off
	v_add_u32_e32 v54, 24, v150
	v_mad_i64_i32 v[52:53], s[2:3], v54, s5, 0
	v_mad_i64_i32 v[54:55], s[2:3], v54, s4, 0
	v_lshl_add_u64 v[52:53], v[52:53], 2, s[0:1]
	s_mov_b64 s[2:3], -1
	v_max_f32_e32 v56, v59, v59
	s_cbranch_vccz .LBB56_96
; %bb.95:
	v_min_f32_e32 v57, 0, v56
	v_lshl_add_u64 v[58:59], v[68:69], 2, v[52:53]
	global_store_dword v[58:59], v57, off
	s_mov_b64 s[2:3], 0
.LBB56_96:
	v_lshl_add_u64 v[54:55], v[54:55], 2, s[16:17]
	s_andn2_b64 vcc, exec, s[2:3]
	v_mov_b32_e32 v57, 0
	s_cbranch_vccnz .LBB56_98
; %bb.97:
	v_lshl_add_u64 v[58:59], v[54:55], 0, v[72:73]
	global_load_dword v57, v[58:59], off
	v_lshl_add_u64 v[58:59], v[52:53], 0, v[72:73]
	s_waitcnt vmcnt(0)
	v_mul_f32_e32 v57, s26, v57
	v_min_f32_e32 v56, v57, v56
	global_store_dword v[58:59], v56, off
	v_lshl_add_u64 v[56:57], v[64:65], 2, v[54:55]
	global_load_dword v56, v[56:57], off
	s_waitcnt vmcnt(0)
	v_mul_f32_e32 v57, s26, v56
.LBB56_98:
	v_pk_add_f32 v[58:59], v[28:29], v[48:49]
	s_mov_b64 s[2:3], -1
	v_min3_f32 v56, v58, v59, v130
	v_pk_add_f32 v[58:59], v[24:25], v[48:49]
	s_mov_b64 vcc, s[8:9]
	v_min3_f32 v60, v58, v59, v129
	v_pk_add_f32 v[58:59], v[30:31], v[50:51]
	s_nop 0
	v_min_f32_e32 v61, v58, v59
	v_pk_add_f32 v[58:59], v[26:27], v[50:51]
	s_nop 0
	v_min3_f32 v58, v58, v59, v60
	v_min3_f32 v59, v57, v61, v56
	v_lshl_add_u64 v[56:57], v[64:65], 2, v[52:53]
	global_store_dword v[56:57], v59, off
	v_max_f32_e32 v56, v58, v58
	s_cbranch_vccz .LBB56_100
; %bb.99:
	v_min_f32_e32 v57, 0, v56
	v_lshl_add_u64 v[58:59], v[76:77], 2, v[52:53]
	global_store_dword v[58:59], v57, off
	s_mov_b64 s[2:3], 0
.LBB56_100:
	s_andn2_b64 vcc, exec, s[2:3]
	v_mov_b32_e32 v57, 0
	s_cbranch_vccnz .LBB56_102
; %bb.101:
	v_lshl_add_u64 v[58:59], v[54:55], 0, v[80:81]
	global_load_dword v57, v[58:59], off
	v_lshl_add_u64 v[58:59], v[52:53], 0, v[80:81]
	s_waitcnt vmcnt(0)
	v_mul_f32_e32 v57, s26, v57
	v_min_f32_e32 v56, v57, v56
	global_store_dword v[58:59], v56, off
	v_lshl_add_u64 v[56:57], v[66:67], 2, v[54:55]
	global_load_dword v56, v[56:57], off
	s_waitcnt vmcnt(0)
	v_mul_f32_e32 v57, s26, v56
.LBB56_102:
	v_pk_add_f32 v[58:59], v[20:21], v[48:49]
	s_mov_b64 s[2:3], -1
	v_min3_f32 v56, v58, v59, v128
	v_pk_add_f32 v[58:59], v[16:17], v[48:49]
	s_mov_b64 vcc, s[8:9]
	v_min3_f32 v60, v58, v59, v127
	v_pk_add_f32 v[58:59], v[22:23], v[50:51]
	s_nop 0
	v_min_f32_e32 v61, v58, v59
	v_pk_add_f32 v[58:59], v[18:19], v[50:51]
	s_nop 0
	v_min3_f32 v58, v58, v59, v60
	v_min3_f32 v59, v57, v61, v56
	v_lshl_add_u64 v[56:57], v[66:67], 2, v[52:53]
	global_store_dword v[56:57], v59, off
	v_max_f32_e32 v56, v58, v58
	s_cbranch_vccz .LBB56_104
; %bb.103:
	v_min_f32_e32 v57, 0, v56
	v_lshl_add_u64 v[58:59], v[78:79], 2, v[52:53]
	global_store_dword v[58:59], v57, off
	s_mov_b64 s[2:3], 0
.LBB56_104:
	;; [unrolled: 39-line block ×3, first 2 shown]
	s_andn2_b64 vcc, exec, s[2:3]
	v_mov_b32_e32 v57, 0
	s_cbranch_vccnz .LBB56_110
; %bb.109:
	v_lshl_add_u64 v[58:59], v[54:55], 0, v[86:87]
	global_load_dword v57, v[58:59], off
	v_lshl_add_u64 v[58:59], v[52:53], 0, v[86:87]
	v_lshl_add_u64 v[54:55], v[74:75], 2, v[54:55]
	s_waitcnt vmcnt(0)
	v_mul_f32_e32 v57, s26, v57
	v_min_f32_e32 v56, v57, v56
	global_store_dword v[58:59], v56, off
	global_load_dword v54, v[54:55], off
	s_waitcnt vmcnt(0)
	v_mul_f32_e32 v57, s26, v54
.LBB56_110:
	v_pk_add_f32 v[48:49], v[0:1], v[48:49]
	s_mov_b64 vcc, s[8:9]
	v_min3_f32 v54, v48, v49, v124
	s_waitcnt lgkmcnt(3)
	v_pk_add_f32 v[48:49], v[32:33], v[44:45]
	s_nop 0
	v_min3_f32 v55, v48, v49, v123
	v_pk_add_f32 v[48:49], v[2:3], v[50:51]
	s_nop 0
	v_min_f32_e32 v50, v48, v49
	v_pk_add_f32 v[48:49], v[34:35], v[46:47]
	v_min3_f32 v50, v57, v50, v54
	v_min3_f32 v55, v48, v49, v55
	v_lshl_add_u64 v[48:49], v[74:75], 2, v[52:53]
	global_store_dword v[48:49], v50, off
	v_add_u32_e32 v50, 32, v150
	v_mad_i64_i32 v[48:49], s[2:3], v50, s5, 0
	v_mad_i64_i32 v[50:51], s[2:3], v50, s4, 0
	v_lshl_add_u64 v[48:49], v[48:49], 2, s[0:1]
	s_mov_b64 s[2:3], -1
	v_max_f32_e32 v52, v55, v55
	s_cbranch_vccz .LBB56_112
; %bb.111:
	v_min_f32_e32 v53, 0, v52
	v_lshl_add_u64 v[54:55], v[68:69], 2, v[48:49]
	global_store_dword v[54:55], v53, off
	s_mov_b64 s[2:3], 0
.LBB56_112:
	v_lshl_add_u64 v[50:51], v[50:51], 2, s[16:17]
	s_andn2_b64 vcc, exec, s[2:3]
	v_mov_b32_e32 v53, 0
	s_cbranch_vccnz .LBB56_114
; %bb.113:
	v_lshl_add_u64 v[54:55], v[50:51], 0, v[72:73]
	global_load_dword v53, v[54:55], off
	v_lshl_add_u64 v[54:55], v[48:49], 0, v[72:73]
	s_waitcnt vmcnt(0)
	v_mul_f32_e32 v53, s26, v53
	v_min_f32_e32 v52, v53, v52
	global_store_dword v[54:55], v52, off
	v_lshl_add_u64 v[52:53], v[64:65], 2, v[50:51]
	global_load_dword v52, v[52:53], off
	s_waitcnt vmcnt(0)
	v_mul_f32_e32 v53, s26, v52
.LBB56_114:
	v_pk_add_f32 v[54:55], v[28:29], v[44:45]
	s_mov_b64 s[2:3], -1
	v_min3_f32 v52, v54, v55, v122
	v_pk_add_f32 v[54:55], v[24:25], v[44:45]
	s_mov_b64 vcc, s[8:9]
	v_min3_f32 v56, v54, v55, v121
	v_pk_add_f32 v[54:55], v[30:31], v[46:47]
	s_nop 0
	v_min_f32_e32 v57, v54, v55
	v_pk_add_f32 v[54:55], v[26:27], v[46:47]
	s_nop 0
	v_min3_f32 v54, v54, v55, v56
	v_min3_f32 v55, v53, v57, v52
	v_lshl_add_u64 v[52:53], v[64:65], 2, v[48:49]
	global_store_dword v[52:53], v55, off
	v_max_f32_e32 v52, v54, v54
	s_cbranch_vccz .LBB56_116
; %bb.115:
	v_min_f32_e32 v53, 0, v52
	v_lshl_add_u64 v[54:55], v[76:77], 2, v[48:49]
	global_store_dword v[54:55], v53, off
	s_mov_b64 s[2:3], 0
.LBB56_116:
	s_andn2_b64 vcc, exec, s[2:3]
	v_mov_b32_e32 v53, 0
	s_cbranch_vccnz .LBB56_118
; %bb.117:
	v_lshl_add_u64 v[54:55], v[50:51], 0, v[80:81]
	global_load_dword v53, v[54:55], off
	v_lshl_add_u64 v[54:55], v[48:49], 0, v[80:81]
	s_waitcnt vmcnt(0)
	v_mul_f32_e32 v53, s26, v53
	v_min_f32_e32 v52, v53, v52
	global_store_dword v[54:55], v52, off
	v_lshl_add_u64 v[52:53], v[66:67], 2, v[50:51]
	global_load_dword v52, v[52:53], off
	s_waitcnt vmcnt(0)
	v_mul_f32_e32 v53, s26, v52
.LBB56_118:
	v_pk_add_f32 v[54:55], v[20:21], v[44:45]
	s_mov_b64 s[2:3], -1
	v_min3_f32 v52, v54, v55, v120
	v_pk_add_f32 v[54:55], v[16:17], v[44:45]
	s_mov_b64 vcc, s[8:9]
	v_min3_f32 v56, v54, v55, v119
	v_pk_add_f32 v[54:55], v[22:23], v[46:47]
	s_nop 0
	v_min_f32_e32 v57, v54, v55
	v_pk_add_f32 v[54:55], v[18:19], v[46:47]
	s_nop 0
	v_min3_f32 v54, v54, v55, v56
	v_min3_f32 v55, v53, v57, v52
	v_lshl_add_u64 v[52:53], v[66:67], 2, v[48:49]
	global_store_dword v[52:53], v55, off
	v_max_f32_e32 v52, v54, v54
	s_cbranch_vccz .LBB56_120
; %bb.119:
	v_min_f32_e32 v53, 0, v52
	v_lshl_add_u64 v[54:55], v[78:79], 2, v[48:49]
	global_store_dword v[54:55], v53, off
	s_mov_b64 s[2:3], 0
.LBB56_120:
	;; [unrolled: 39-line block ×3, first 2 shown]
	s_andn2_b64 vcc, exec, s[2:3]
	v_mov_b32_e32 v53, 0
	s_cbranch_vccnz .LBB56_126
; %bb.125:
	v_lshl_add_u64 v[54:55], v[50:51], 0, v[86:87]
	global_load_dword v53, v[54:55], off
	v_lshl_add_u64 v[54:55], v[48:49], 0, v[86:87]
	v_lshl_add_u64 v[50:51], v[74:75], 2, v[50:51]
	s_waitcnt vmcnt(0)
	v_mul_f32_e32 v53, s26, v53
	v_min_f32_e32 v52, v53, v52
	global_store_dword v[54:55], v52, off
	global_load_dword v50, v[50:51], off
	s_waitcnt vmcnt(0)
	v_mul_f32_e32 v53, s26, v50
.LBB56_126:
	v_pk_add_f32 v[44:45], v[0:1], v[44:45]
	s_mov_b64 vcc, s[8:9]
	v_min3_f32 v50, v44, v45, v118
	s_waitcnt lgkmcnt(2)
	v_pk_add_f32 v[44:45], v[32:33], v[40:41]
	s_nop 0
	v_min3_f32 v51, v44, v45, v117
	v_pk_add_f32 v[44:45], v[2:3], v[46:47]
	s_nop 0
	v_min_f32_e32 v46, v44, v45
	v_pk_add_f32 v[44:45], v[34:35], v[42:43]
	v_min3_f32 v46, v53, v46, v50
	v_min3_f32 v51, v44, v45, v51
	v_lshl_add_u64 v[44:45], v[74:75], 2, v[48:49]
	global_store_dword v[44:45], v46, off
	v_add_u32_e32 v46, 40, v150
	v_mad_i64_i32 v[44:45], s[2:3], v46, s5, 0
	v_mad_i64_i32 v[46:47], s[2:3], v46, s4, 0
	v_lshl_add_u64 v[44:45], v[44:45], 2, s[0:1]
	s_mov_b64 s[2:3], -1
	v_max_f32_e32 v48, v51, v51
	s_cbranch_vccz .LBB56_128
; %bb.127:
	v_min_f32_e32 v49, 0, v48
	v_lshl_add_u64 v[50:51], v[68:69], 2, v[44:45]
	global_store_dword v[50:51], v49, off
	s_mov_b64 s[2:3], 0
.LBB56_128:
	v_lshl_add_u64 v[46:47], v[46:47], 2, s[16:17]
	s_andn2_b64 vcc, exec, s[2:3]
	v_mov_b32_e32 v49, 0
	s_cbranch_vccnz .LBB56_130
; %bb.129:
	v_lshl_add_u64 v[50:51], v[46:47], 0, v[72:73]
	global_load_dword v49, v[50:51], off
	v_lshl_add_u64 v[50:51], v[44:45], 0, v[72:73]
	s_waitcnt vmcnt(0)
	v_mul_f32_e32 v49, s26, v49
	v_min_f32_e32 v48, v49, v48
	global_store_dword v[50:51], v48, off
	v_lshl_add_u64 v[48:49], v[64:65], 2, v[46:47]
	global_load_dword v48, v[48:49], off
	s_waitcnt vmcnt(0)
	v_mul_f32_e32 v49, s26, v48
.LBB56_130:
	v_pk_add_f32 v[50:51], v[28:29], v[40:41]
	s_mov_b64 s[2:3], -1
	v_min3_f32 v48, v50, v51, v114
	v_pk_add_f32 v[50:51], v[24:25], v[40:41]
	s_mov_b64 vcc, s[8:9]
	v_min3_f32 v52, v50, v51, v113
	v_pk_add_f32 v[50:51], v[30:31], v[42:43]
	s_nop 0
	v_min_f32_e32 v53, v50, v51
	v_pk_add_f32 v[50:51], v[26:27], v[42:43]
	s_nop 0
	v_min3_f32 v50, v50, v51, v52
	v_min3_f32 v51, v49, v53, v48
	v_lshl_add_u64 v[48:49], v[64:65], 2, v[44:45]
	global_store_dword v[48:49], v51, off
	v_max_f32_e32 v48, v50, v50
	s_cbranch_vccz .LBB56_132
; %bb.131:
	v_min_f32_e32 v49, 0, v48
	v_lshl_add_u64 v[50:51], v[76:77], 2, v[44:45]
	global_store_dword v[50:51], v49, off
	s_mov_b64 s[2:3], 0
.LBB56_132:
	s_andn2_b64 vcc, exec, s[2:3]
	v_mov_b32_e32 v49, 0
	s_cbranch_vccnz .LBB56_134
; %bb.133:
	v_lshl_add_u64 v[50:51], v[46:47], 0, v[80:81]
	global_load_dword v49, v[50:51], off
	v_lshl_add_u64 v[50:51], v[44:45], 0, v[80:81]
	s_waitcnt vmcnt(0)
	v_mul_f32_e32 v49, s26, v49
	v_min_f32_e32 v48, v49, v48
	global_store_dword v[50:51], v48, off
	v_lshl_add_u64 v[48:49], v[66:67], 2, v[46:47]
	global_load_dword v48, v[48:49], off
	s_waitcnt vmcnt(0)
	v_mul_f32_e32 v49, s26, v48
.LBB56_134:
	v_pk_add_f32 v[50:51], v[20:21], v[40:41]
	s_mov_b64 s[2:3], -1
	v_min3_f32 v48, v50, v51, v112
	v_pk_add_f32 v[50:51], v[16:17], v[40:41]
	s_mov_b64 vcc, s[8:9]
	v_min3_f32 v52, v50, v51, v111
	v_pk_add_f32 v[50:51], v[22:23], v[42:43]
	s_nop 0
	v_min_f32_e32 v53, v50, v51
	v_pk_add_f32 v[50:51], v[18:19], v[42:43]
	s_nop 0
	v_min3_f32 v50, v50, v51, v52
	v_min3_f32 v51, v49, v53, v48
	v_lshl_add_u64 v[48:49], v[66:67], 2, v[44:45]
	global_store_dword v[48:49], v51, off
	v_max_f32_e32 v48, v50, v50
	s_cbranch_vccz .LBB56_136
; %bb.135:
	v_min_f32_e32 v49, 0, v48
	v_lshl_add_u64 v[50:51], v[78:79], 2, v[44:45]
	global_store_dword v[50:51], v49, off
	s_mov_b64 s[2:3], 0
.LBB56_136:
	;; [unrolled: 39-line block ×3, first 2 shown]
	s_andn2_b64 vcc, exec, s[2:3]
	v_mov_b32_e32 v49, 0
	s_cbranch_vccnz .LBB56_142
; %bb.141:
	v_lshl_add_u64 v[50:51], v[46:47], 0, v[86:87]
	global_load_dword v49, v[50:51], off
	v_lshl_add_u64 v[50:51], v[44:45], 0, v[86:87]
	v_lshl_add_u64 v[46:47], v[74:75], 2, v[46:47]
	s_waitcnt vmcnt(0)
	v_mul_f32_e32 v49, s26, v49
	v_min_f32_e32 v48, v49, v48
	global_store_dword v[50:51], v48, off
	global_load_dword v46, v[46:47], off
	s_waitcnt vmcnt(0)
	v_mul_f32_e32 v49, s26, v46
.LBB56_142:
	v_pk_add_f32 v[40:41], v[0:1], v[40:41]
	s_mov_b64 vcc, s[8:9]
	v_min3_f32 v46, v40, v41, v108
	s_waitcnt lgkmcnt(1)
	v_pk_add_f32 v[40:41], v[32:33], v[36:37]
	s_nop 0
	v_min3_f32 v47, v40, v41, v107
	v_pk_add_f32 v[40:41], v[2:3], v[42:43]
	s_nop 0
	v_min_f32_e32 v42, v40, v41
	v_pk_add_f32 v[40:41], v[34:35], v[38:39]
	v_min3_f32 v42, v49, v42, v46
	v_min3_f32 v47, v40, v41, v47
	v_lshl_add_u64 v[40:41], v[74:75], 2, v[44:45]
	global_store_dword v[40:41], v42, off
	v_add_u32_e32 v42, 48, v150
	v_mad_i64_i32 v[40:41], s[2:3], v42, s5, 0
	v_mad_i64_i32 v[42:43], s[2:3], v42, s4, 0
	v_lshl_add_u64 v[40:41], v[40:41], 2, s[0:1]
	s_mov_b64 s[2:3], -1
	v_max_f32_e32 v44, v47, v47
	s_cbranch_vccz .LBB56_144
; %bb.143:
	v_min_f32_e32 v45, 0, v44
	v_lshl_add_u64 v[46:47], v[68:69], 2, v[40:41]
	global_store_dword v[46:47], v45, off
	s_mov_b64 s[2:3], 0
.LBB56_144:
	v_lshl_add_u64 v[42:43], v[42:43], 2, s[16:17]
	s_andn2_b64 vcc, exec, s[2:3]
	v_mov_b32_e32 v45, 0
	s_cbranch_vccnz .LBB56_146
; %bb.145:
	v_lshl_add_u64 v[46:47], v[42:43], 0, v[72:73]
	global_load_dword v45, v[46:47], off
	v_lshl_add_u64 v[46:47], v[40:41], 0, v[72:73]
	s_waitcnt vmcnt(0)
	v_mul_f32_e32 v45, s26, v45
	v_min_f32_e32 v44, v45, v44
	global_store_dword v[46:47], v44, off
	v_lshl_add_u64 v[44:45], v[64:65], 2, v[42:43]
	global_load_dword v44, v[44:45], off
	s_waitcnt vmcnt(0)
	v_mul_f32_e32 v45, s26, v44
.LBB56_146:
	v_pk_add_f32 v[46:47], v[28:29], v[36:37]
	s_mov_b64 s[2:3], -1
	v_min3_f32 v44, v46, v47, v106
	v_pk_add_f32 v[46:47], v[24:25], v[36:37]
	s_mov_b64 vcc, s[8:9]
	v_min3_f32 v48, v46, v47, v105
	v_pk_add_f32 v[46:47], v[30:31], v[38:39]
	s_nop 0
	v_min_f32_e32 v49, v46, v47
	v_pk_add_f32 v[46:47], v[26:27], v[38:39]
	s_nop 0
	v_min3_f32 v46, v46, v47, v48
	v_min3_f32 v47, v45, v49, v44
	v_lshl_add_u64 v[44:45], v[64:65], 2, v[40:41]
	global_store_dword v[44:45], v47, off
	v_max_f32_e32 v44, v46, v46
	s_cbranch_vccz .LBB56_148
; %bb.147:
	v_min_f32_e32 v45, 0, v44
	v_lshl_add_u64 v[46:47], v[76:77], 2, v[40:41]
	global_store_dword v[46:47], v45, off
	s_mov_b64 s[2:3], 0
.LBB56_148:
	s_andn2_b64 vcc, exec, s[2:3]
	v_mov_b32_e32 v45, 0
	s_cbranch_vccnz .LBB56_150
; %bb.149:
	v_lshl_add_u64 v[46:47], v[42:43], 0, v[80:81]
	global_load_dword v45, v[46:47], off
	v_lshl_add_u64 v[46:47], v[40:41], 0, v[80:81]
	s_waitcnt vmcnt(0)
	v_mul_f32_e32 v45, s26, v45
	v_min_f32_e32 v44, v45, v44
	global_store_dword v[46:47], v44, off
	v_lshl_add_u64 v[44:45], v[66:67], 2, v[42:43]
	global_load_dword v44, v[44:45], off
	s_waitcnt vmcnt(0)
	v_mul_f32_e32 v45, s26, v44
.LBB56_150:
	v_pk_add_f32 v[46:47], v[20:21], v[36:37]
	s_mov_b64 s[2:3], -1
	v_min3_f32 v44, v46, v47, v104
	v_pk_add_f32 v[46:47], v[16:17], v[36:37]
	s_mov_b64 vcc, s[8:9]
	v_min3_f32 v48, v46, v47, v103
	v_pk_add_f32 v[46:47], v[22:23], v[38:39]
	s_nop 0
	v_min_f32_e32 v49, v46, v47
	v_pk_add_f32 v[46:47], v[18:19], v[38:39]
	s_nop 0
	v_min3_f32 v46, v46, v47, v48
	v_min3_f32 v47, v45, v49, v44
	v_lshl_add_u64 v[44:45], v[66:67], 2, v[40:41]
	global_store_dword v[44:45], v47, off
	v_max_f32_e32 v44, v46, v46
	s_cbranch_vccz .LBB56_152
; %bb.151:
	v_min_f32_e32 v45, 0, v44
	v_lshl_add_u64 v[46:47], v[78:79], 2, v[40:41]
	global_store_dword v[46:47], v45, off
	s_mov_b64 s[2:3], 0
.LBB56_152:
	;; [unrolled: 39-line block ×3, first 2 shown]
	s_andn2_b64 vcc, exec, s[2:3]
	v_mov_b32_e32 v45, 0
	s_cbranch_vccnz .LBB56_158
; %bb.157:
	v_lshl_add_u64 v[46:47], v[42:43], 0, v[86:87]
	global_load_dword v45, v[46:47], off
	v_lshl_add_u64 v[46:47], v[40:41], 0, v[86:87]
	v_lshl_add_u64 v[42:43], v[74:75], 2, v[42:43]
	s_waitcnt vmcnt(0)
	v_mul_f32_e32 v45, s26, v45
	v_min_f32_e32 v44, v45, v44
	global_store_dword v[46:47], v44, off
	global_load_dword v42, v[42:43], off
	s_waitcnt vmcnt(0)
	v_mul_f32_e32 v45, s26, v42
.LBB56_158:
	v_pk_add_f32 v[36:37], v[0:1], v[36:37]
	s_waitcnt lgkmcnt(0)
	v_pk_add_f32 v[32:33], v[32:33], v[4:5]
	v_min3_f32 v36, v36, v37, v99
	v_min3_f32 v37, v32, v33, v100
	v_pk_add_f32 v[32:33], v[2:3], v[38:39]
	s_mov_b64 vcc, s[8:9]
	v_min_f32_e32 v38, v32, v33
	v_pk_add_f32 v[32:33], v[34:35], v[6:7]
	v_min3_f32 v34, v45, v38, v36
	v_min3_f32 v37, v32, v33, v37
	v_lshl_add_u64 v[32:33], v[74:75], 2, v[40:41]
	global_store_dword v[32:33], v34, off
	v_add_u32_e32 v34, 56, v150
	v_mad_i64_i32 v[32:33], s[2:3], v34, s5, 0
	v_lshl_add_u64 v[32:33], v[32:33], 2, s[0:1]
	v_mad_i64_i32 v[34:35], s[0:1], v34, s4, 0
	s_mov_b64 s[0:1], -1
	v_max_f32_e32 v36, v37, v37
	s_cbranch_vccz .LBB56_160
; %bb.159:
	v_min_f32_e32 v37, 0, v36
	v_lshl_add_u64 v[38:39], v[68:69], 2, v[32:33]
	global_store_dword v[38:39], v37, off
	s_mov_b64 s[0:1], 0
.LBB56_160:
	v_lshl_add_u64 v[34:35], v[34:35], 2, s[16:17]
	s_andn2_b64 vcc, exec, s[0:1]
	v_mov_b32_e32 v37, 0
	s_cbranch_vccnz .LBB56_162
; %bb.161:
	v_lshl_add_u64 v[38:39], v[34:35], 0, v[72:73]
	global_load_dword v37, v[38:39], off
	v_lshl_add_u64 v[38:39], v[32:33], 0, v[72:73]
	s_waitcnt vmcnt(0)
	v_mul_f32_e32 v37, s26, v37
	v_min_f32_e32 v36, v37, v36
	global_store_dword v[38:39], v36, off
	v_lshl_add_u64 v[36:37], v[64:65], 2, v[34:35]
	global_load_dword v36, v[36:37], off
	s_waitcnt vmcnt(0)
	v_mul_f32_e32 v37, s26, v36
.LBB56_162:
	v_pk_add_f32 v[28:29], v[28:29], v[4:5]
	v_pk_add_f32 v[24:25], v[24:25], v[4:5]
	v_min3_f32 v28, v28, v29, v97
	v_min3_f32 v29, v24, v25, v98
	v_pk_add_f32 v[24:25], v[30:31], v[6:7]
	s_mov_b64 s[0:1], -1
	v_min_f32_e32 v30, v24, v25
	v_pk_add_f32 v[24:25], v[26:27], v[6:7]
	v_min3_f32 v27, v37, v30, v28
	v_min3_f32 v26, v24, v25, v29
	v_lshl_add_u64 v[24:25], v[64:65], 2, v[32:33]
	global_store_dword v[24:25], v27, off
	v_max_f32_e32 v24, v26, v26
	s_mov_b64 vcc, s[8:9]
	s_cbranch_vccz .LBB56_164
; %bb.163:
	v_min_f32_e32 v25, 0, v24
	v_lshl_add_u64 v[26:27], v[76:77], 2, v[32:33]
	global_store_dword v[26:27], v25, off
	s_mov_b64 s[0:1], 0
.LBB56_164:
	s_andn2_b64 vcc, exec, s[0:1]
	v_mov_b32_e32 v25, 0
	s_cbranch_vccnz .LBB56_166
; %bb.165:
	v_lshl_add_u64 v[26:27], v[34:35], 0, v[80:81]
	global_load_dword v25, v[26:27], off
	v_lshl_add_u64 v[26:27], v[32:33], 0, v[80:81]
	s_waitcnt vmcnt(0)
	v_mul_f32_e32 v25, s26, v25
	v_min_f32_e32 v24, v25, v24
	global_store_dword v[26:27], v24, off
	v_lshl_add_u64 v[24:25], v[66:67], 2, v[34:35]
	global_load_dword v24, v[24:25], off
	s_waitcnt vmcnt(0)
	v_mul_f32_e32 v25, s26, v24
.LBB56_166:
	v_pk_add_f32 v[20:21], v[20:21], v[4:5]
	v_pk_add_f32 v[16:17], v[16:17], v[4:5]
	v_min3_f32 v20, v20, v21, v96
	v_min3_f32 v21, v16, v17, v95
	v_pk_add_f32 v[16:17], v[22:23], v[6:7]
	s_mov_b64 s[0:1], -1
	v_min_f32_e32 v22, v16, v17
	v_pk_add_f32 v[16:17], v[18:19], v[6:7]
	v_min3_f32 v19, v25, v22, v20
	v_min3_f32 v18, v16, v17, v21
	v_lshl_add_u64 v[16:17], v[66:67], 2, v[32:33]
	global_store_dword v[16:17], v19, off
	v_max_f32_e32 v16, v18, v18
	s_mov_b64 vcc, s[8:9]
	s_cbranch_vccz .LBB56_168
; %bb.167:
	v_min_f32_e32 v17, 0, v16
	v_lshl_add_u64 v[18:19], v[78:79], 2, v[32:33]
	global_store_dword v[18:19], v17, off
	s_mov_b64 s[0:1], 0
.LBB56_168:
	s_andn2_b64 vcc, exec, s[0:1]
	v_mov_b32_e32 v17, 0
	s_cbranch_vccnz .LBB56_170
; %bb.169:
	v_lshl_add_u64 v[18:19], v[34:35], 0, v[82:83]
	global_load_dword v17, v[18:19], off
	v_lshl_add_u64 v[18:19], v[32:33], 0, v[82:83]
	s_waitcnt vmcnt(0)
	v_mul_f32_e32 v17, s26, v17
	v_min_f32_e32 v16, v17, v16
	global_store_dword v[18:19], v16, off
	v_lshl_add_u64 v[16:17], v[70:71], 2, v[34:35]
	global_load_dword v16, v[16:17], off
	s_waitcnt vmcnt(0)
	v_mul_f32_e32 v17, s26, v16
.LBB56_170:
	v_pk_add_f32 v[12:13], v[12:13], v[4:5]
	v_pk_add_f32 v[8:9], v[8:9], v[4:5]
	v_min3_f32 v12, v12, v13, v94
	v_min3_f32 v13, v8, v9, v93
	v_pk_add_f32 v[8:9], v[14:15], v[6:7]
	s_mov_b64 s[0:1], -1
	v_min_f32_e32 v14, v8, v9
	v_pk_add_f32 v[8:9], v[10:11], v[6:7]
	v_min3_f32 v11, v17, v14, v12
	v_min3_f32 v10, v8, v9, v13
	v_lshl_add_u64 v[8:9], v[70:71], 2, v[32:33]
	global_store_dword v[8:9], v11, off
	v_max_f32_e32 v8, v10, v10
	s_mov_b64 vcc, s[8:9]
	s_cbranch_vccz .LBB56_172
; %bb.171:
	v_min_f32_e32 v9, 0, v8
	v_lshl_add_u64 v[10:11], v[84:85], 2, v[32:33]
	global_store_dword v[10:11], v9, off
	s_mov_b64 s[0:1], 0
.LBB56_172:
	s_andn2_b64 vcc, exec, s[0:1]
	v_mov_b32_e32 v9, 0
	s_cbranch_vccnz .LBB56_174
; %bb.173:
	v_lshl_add_u64 v[10:11], v[34:35], 0, v[86:87]
	global_load_dword v9, v[10:11], off
	v_lshl_add_u64 v[10:11], v[32:33], 0, v[86:87]
	s_waitcnt vmcnt(0)
	v_mul_f32_e32 v9, s26, v9
	v_min_f32_e32 v8, v9, v8
	global_store_dword v[10:11], v8, off
	v_lshl_add_u64 v[8:9], v[74:75], 2, v[34:35]
	global_load_dword v8, v[8:9], off
	s_waitcnt vmcnt(0)
	v_mul_f32_e32 v9, s26, v8
.LBB56_174:
	v_pk_add_f32 v[2:3], v[2:3], v[6:7]
	v_pk_add_f32 v[0:1], v[0:1], v[4:5]
	v_min_f32_e32 v2, v2, v3
	v_min3_f32 v0, v0, v1, v92
	v_min3_f32 v2, v9, v2, v0
	v_lshl_add_u64 v[0:1], v[74:75], 2, v[32:33]
	global_store_dword v[0:1], v2, off
	s_endpgm
.LBB56_175:
	s_mov_b64 s[20:21], 0
	s_andn2_b64 vcc, exec, s[6:7]
	s_mov_b64 s[6:7], -1
	s_cbranch_vccz .LBB56_2
	s_branch .LBB56_3
	.section	.rodata,"a",@progbits
	.p2align	6, 0x0
	.amdhsa_kernel _ZN12_GLOBAL__N_120geam_min_plus_kernelIf15HIP_vector_typeIfLj2EEfLi32ELi8ELi256ELi64ELi4ELi64ELi4ELi4ELi64ELc78ELc78ELb0ELb0ELb1EfKffEEviiiT16_PT17_ilS6_ilS4_S6_ilPT18_ili26rocblas_geam_ex_operation_
		.amdhsa_group_segment_fixed_size 10240
		.amdhsa_private_segment_fixed_size 0
		.amdhsa_kernarg_size 128
		.amdhsa_user_sgpr_count 2
		.amdhsa_user_sgpr_dispatch_ptr 0
		.amdhsa_user_sgpr_queue_ptr 0
		.amdhsa_user_sgpr_kernarg_segment_ptr 1
		.amdhsa_user_sgpr_dispatch_id 0
		.amdhsa_user_sgpr_kernarg_preload_length 0
		.amdhsa_user_sgpr_kernarg_preload_offset 0
		.amdhsa_user_sgpr_private_segment_size 0
		.amdhsa_uses_dynamic_stack 0
		.amdhsa_enable_private_segment 0
		.amdhsa_system_sgpr_workgroup_id_x 1
		.amdhsa_system_sgpr_workgroup_id_y 0
		.amdhsa_system_sgpr_workgroup_id_z 1
		.amdhsa_system_sgpr_workgroup_info 0
		.amdhsa_system_vgpr_workitem_id 1
		.amdhsa_next_free_vgpr 158
		.amdhsa_next_free_sgpr 30
		.amdhsa_accum_offset 160
		.amdhsa_reserve_vcc 1
		.amdhsa_float_round_mode_32 0
		.amdhsa_float_round_mode_16_64 0
		.amdhsa_float_denorm_mode_32 3
		.amdhsa_float_denorm_mode_16_64 3
		.amdhsa_dx10_clamp 1
		.amdhsa_ieee_mode 1
		.amdhsa_fp16_overflow 0
		.amdhsa_tg_split 0
		.amdhsa_exception_fp_ieee_invalid_op 0
		.amdhsa_exception_fp_denorm_src 0
		.amdhsa_exception_fp_ieee_div_zero 0
		.amdhsa_exception_fp_ieee_overflow 0
		.amdhsa_exception_fp_ieee_underflow 0
		.amdhsa_exception_fp_ieee_inexact 0
		.amdhsa_exception_int_div_zero 0
	.end_amdhsa_kernel
	.section	.text._ZN12_GLOBAL__N_120geam_min_plus_kernelIf15HIP_vector_typeIfLj2EEfLi32ELi8ELi256ELi64ELi4ELi64ELi4ELi4ELi64ELc78ELc78ELb0ELb0ELb1EfKffEEviiiT16_PT17_ilS6_ilS4_S6_ilPT18_ili26rocblas_geam_ex_operation_,"axG",@progbits,_ZN12_GLOBAL__N_120geam_min_plus_kernelIf15HIP_vector_typeIfLj2EEfLi32ELi8ELi256ELi64ELi4ELi64ELi4ELi4ELi64ELc78ELc78ELb0ELb0ELb1EfKffEEviiiT16_PT17_ilS6_ilS4_S6_ilPT18_ili26rocblas_geam_ex_operation_,comdat
.Lfunc_end56:
	.size	_ZN12_GLOBAL__N_120geam_min_plus_kernelIf15HIP_vector_typeIfLj2EEfLi32ELi8ELi256ELi64ELi4ELi64ELi4ELi4ELi64ELc78ELc78ELb0ELb0ELb1EfKffEEviiiT16_PT17_ilS6_ilS4_S6_ilPT18_ili26rocblas_geam_ex_operation_, .Lfunc_end56-_ZN12_GLOBAL__N_120geam_min_plus_kernelIf15HIP_vector_typeIfLj2EEfLi32ELi8ELi256ELi64ELi4ELi64ELi4ELi4ELi64ELc78ELc78ELb0ELb0ELb1EfKffEEviiiT16_PT17_ilS6_ilS4_S6_ilPT18_ili26rocblas_geam_ex_operation_
                                        ; -- End function
	.set _ZN12_GLOBAL__N_120geam_min_plus_kernelIf15HIP_vector_typeIfLj2EEfLi32ELi8ELi256ELi64ELi4ELi64ELi4ELi4ELi64ELc78ELc78ELb0ELb0ELb1EfKffEEviiiT16_PT17_ilS6_ilS4_S6_ilPT18_ili26rocblas_geam_ex_operation_.num_vgpr, 158
	.set _ZN12_GLOBAL__N_120geam_min_plus_kernelIf15HIP_vector_typeIfLj2EEfLi32ELi8ELi256ELi64ELi4ELi64ELi4ELi4ELi64ELc78ELc78ELb0ELb0ELb1EfKffEEviiiT16_PT17_ilS6_ilS4_S6_ilPT18_ili26rocblas_geam_ex_operation_.num_agpr, 0
	.set _ZN12_GLOBAL__N_120geam_min_plus_kernelIf15HIP_vector_typeIfLj2EEfLi32ELi8ELi256ELi64ELi4ELi64ELi4ELi4ELi64ELc78ELc78ELb0ELb0ELb1EfKffEEviiiT16_PT17_ilS6_ilS4_S6_ilPT18_ili26rocblas_geam_ex_operation_.numbered_sgpr, 30
	.set _ZN12_GLOBAL__N_120geam_min_plus_kernelIf15HIP_vector_typeIfLj2EEfLi32ELi8ELi256ELi64ELi4ELi64ELi4ELi4ELi64ELc78ELc78ELb0ELb0ELb1EfKffEEviiiT16_PT17_ilS6_ilS4_S6_ilPT18_ili26rocblas_geam_ex_operation_.num_named_barrier, 0
	.set _ZN12_GLOBAL__N_120geam_min_plus_kernelIf15HIP_vector_typeIfLj2EEfLi32ELi8ELi256ELi64ELi4ELi64ELi4ELi4ELi64ELc78ELc78ELb0ELb0ELb1EfKffEEviiiT16_PT17_ilS6_ilS4_S6_ilPT18_ili26rocblas_geam_ex_operation_.private_seg_size, 0
	.set _ZN12_GLOBAL__N_120geam_min_plus_kernelIf15HIP_vector_typeIfLj2EEfLi32ELi8ELi256ELi64ELi4ELi64ELi4ELi4ELi64ELc78ELc78ELb0ELb0ELb1EfKffEEviiiT16_PT17_ilS6_ilS4_S6_ilPT18_ili26rocblas_geam_ex_operation_.uses_vcc, 1
	.set _ZN12_GLOBAL__N_120geam_min_plus_kernelIf15HIP_vector_typeIfLj2EEfLi32ELi8ELi256ELi64ELi4ELi64ELi4ELi4ELi64ELc78ELc78ELb0ELb0ELb1EfKffEEviiiT16_PT17_ilS6_ilS4_S6_ilPT18_ili26rocblas_geam_ex_operation_.uses_flat_scratch, 0
	.set _ZN12_GLOBAL__N_120geam_min_plus_kernelIf15HIP_vector_typeIfLj2EEfLi32ELi8ELi256ELi64ELi4ELi64ELi4ELi4ELi64ELc78ELc78ELb0ELb0ELb1EfKffEEviiiT16_PT17_ilS6_ilS4_S6_ilPT18_ili26rocblas_geam_ex_operation_.has_dyn_sized_stack, 0
	.set _ZN12_GLOBAL__N_120geam_min_plus_kernelIf15HIP_vector_typeIfLj2EEfLi32ELi8ELi256ELi64ELi4ELi64ELi4ELi4ELi64ELc78ELc78ELb0ELb0ELb1EfKffEEviiiT16_PT17_ilS6_ilS4_S6_ilPT18_ili26rocblas_geam_ex_operation_.has_recursion, 0
	.set _ZN12_GLOBAL__N_120geam_min_plus_kernelIf15HIP_vector_typeIfLj2EEfLi32ELi8ELi256ELi64ELi4ELi64ELi4ELi4ELi64ELc78ELc78ELb0ELb0ELb1EfKffEEviiiT16_PT17_ilS6_ilS4_S6_ilPT18_ili26rocblas_geam_ex_operation_.has_indirect_call, 0
	.section	.AMDGPU.csdata,"",@progbits
; Kernel info:
; codeLenInByte = 16632
; TotalNumSgprs: 36
; NumVgprs: 158
; NumAgprs: 0
; TotalNumVgprs: 158
; ScratchSize: 0
; MemoryBound: 0
; FloatMode: 240
; IeeeMode: 1
; LDSByteSize: 10240 bytes/workgroup (compile time only)
; SGPRBlocks: 4
; VGPRBlocks: 19
; NumSGPRsForWavesPerEU: 36
; NumVGPRsForWavesPerEU: 158
; AccumOffset: 160
; Occupancy: 3
; WaveLimiterHint : 1
; COMPUTE_PGM_RSRC2:SCRATCH_EN: 0
; COMPUTE_PGM_RSRC2:USER_SGPR: 2
; COMPUTE_PGM_RSRC2:TRAP_HANDLER: 0
; COMPUTE_PGM_RSRC2:TGID_X_EN: 1
; COMPUTE_PGM_RSRC2:TGID_Y_EN: 0
; COMPUTE_PGM_RSRC2:TGID_Z_EN: 1
; COMPUTE_PGM_RSRC2:TIDIG_COMP_CNT: 1
; COMPUTE_PGM_RSRC3_GFX90A:ACCUM_OFFSET: 39
; COMPUTE_PGM_RSRC3_GFX90A:TG_SPLIT: 0
	.section	.text._ZN12_GLOBAL__N_120geam_min_plus_kernelIf15HIP_vector_typeIfLj2EEfLi32ELi8ELi256ELi64ELi4ELi64ELi4ELi4ELi64ELc78ELc78ELb0ELb1ELb1EPKfS3_fEEviiiT16_PT17_ilS7_ilS5_S7_ilPT18_ili26rocblas_geam_ex_operation_,"axG",@progbits,_ZN12_GLOBAL__N_120geam_min_plus_kernelIf15HIP_vector_typeIfLj2EEfLi32ELi8ELi256ELi64ELi4ELi64ELi4ELi4ELi64ELc78ELc78ELb0ELb1ELb1EPKfS3_fEEviiiT16_PT17_ilS7_ilS5_S7_ilPT18_ili26rocblas_geam_ex_operation_,comdat
	.globl	_ZN12_GLOBAL__N_120geam_min_plus_kernelIf15HIP_vector_typeIfLj2EEfLi32ELi8ELi256ELi64ELi4ELi64ELi4ELi4ELi64ELc78ELc78ELb0ELb1ELb1EPKfS3_fEEviiiT16_PT17_ilS7_ilS5_S7_ilPT18_ili26rocblas_geam_ex_operation_ ; -- Begin function _ZN12_GLOBAL__N_120geam_min_plus_kernelIf15HIP_vector_typeIfLj2EEfLi32ELi8ELi256ELi64ELi4ELi64ELi4ELi4ELi64ELc78ELc78ELb0ELb1ELb1EPKfS3_fEEviiiT16_PT17_ilS7_ilS5_S7_ilPT18_ili26rocblas_geam_ex_operation_
	.p2align	8
	.type	_ZN12_GLOBAL__N_120geam_min_plus_kernelIf15HIP_vector_typeIfLj2EEfLi32ELi8ELi256ELi64ELi4ELi64ELi4ELi4ELi64ELc78ELc78ELb0ELb1ELb1EPKfS3_fEEviiiT16_PT17_ilS7_ilS5_S7_ilPT18_ili26rocblas_geam_ex_operation_,@function
_ZN12_GLOBAL__N_120geam_min_plus_kernelIf15HIP_vector_typeIfLj2EEfLi32ELi8ELi256ELi64ELi4ELi64ELi4ELi4ELi64ELc78ELc78ELb0ELb1ELb1EPKfS3_fEEviiiT16_PT17_ilS7_ilS5_S7_ilPT18_ili26rocblas_geam_ex_operation_: ; @_ZN12_GLOBAL__N_120geam_min_plus_kernelIf15HIP_vector_typeIfLj2EEfLi32ELi8ELi256ELi64ELi4ELi64ELi4ELi4ELi64ELc78ELc78ELb0ELb1ELb1EPKfS3_fEEviiiT16_PT17_ilS7_ilS5_S7_ilPT18_ili26rocblas_geam_ex_operation_
; %bb.0:
	s_load_dwordx4 s[12:15], s[0:1], 0x10
	s_load_dwordx4 s[4:7], s[0:1], 0x28
	;; [unrolled: 1-line block ×3, first 2 shown]
	s_mov_b32 s16, s3
	s_mov_b32 s17, 0
	s_lshl_b64 s[18:19], s[16:17], 2
	s_waitcnt lgkmcnt(0)
	s_add_u32 s12, s12, s18
	s_addc_u32 s13, s13, s19
	s_load_dword s34, s[12:13], 0x0
	s_load_dwordx2 s[20:21], s[0:1], 0x50
	s_add_u32 s10, s10, s18
	s_addc_u32 s11, s11, s19
	s_mov_b64 s[30:31], 0
	s_waitcnt lgkmcnt(0)
	v_cmp_eq_f32_e64 s[18:19], s34, 0
	v_cmp_neq_f32_e64 s[12:13], s34, 0
	s_and_b64 vcc, exec, s[18:19]
	s_mov_b64 s[18:19], 0
	s_cbranch_vccnz .LBB57_2
; %bb.1:
	s_mul_i32 s3, s5, s16
	s_mul_hi_u32 s5, s4, s16
	s_add_i32 s5, s5, s3
	s_mul_i32 s4, s4, s16
	s_lshl_b64 s[4:5], s[4:5], 2
	s_add_u32 s18, s14, s4
	s_addc_u32 s19, s15, s5
.LBB57_2:
	s_load_dword s33, s[10:11], 0x0
	s_andn2_b64 vcc, exec, s[12:13]
	s_cbranch_vccnz .LBB57_4
; %bb.3:
	s_mul_i32 s3, s9, s16
	s_mul_hi_u32 s4, s8, s16
	s_add_i32 s5, s4, s3
	s_mul_i32 s4, s8, s16
	s_lshl_b64 s[4:5], s[4:5], 2
	s_add_u32 s30, s6, s4
	s_addc_u32 s31, s7, s5
.LBB57_4:
	s_load_dwordx4 s[12:15], s[0:1], 0x60
	s_waitcnt lgkmcnt(0)
	v_cmp_eq_f32_e64 s[4:5], s33, 0
	v_cmp_neq_f32_e64 s[26:27], s33, 0
	s_and_b64 vcc, exec, s[4:5]
	s_cbranch_vccnz .LBB57_6
; %bb.5:
	s_mul_i32 s3, s13, s16
	s_mul_hi_u32 s4, s12, s16
	s_add_i32 s5, s4, s3
	s_mul_i32 s4, s12, s16
	s_lshl_b64 s[4:5], s[4:5], 2
	s_add_u32 s24, s20, s4
	s_addc_u32 s25, s21, s5
	s_branch .LBB57_7
.LBB57_6:
	s_mov_b64 s[24:25], 0
.LBB57_7:
	s_load_dwordx4 s[20:23], s[0:1], 0x0
	v_and_b32_e32 v70, 0x3ff, v0
	v_bfe_u32 v71, v0, 10, 10
	s_waitcnt lgkmcnt(0)
	s_load_dword s23, s[0:1], 0x20
	v_lshl_add_u32 v7, v71, 5, v70
	s_add_i32 s3, s20, -1
	s_ashr_i32 s4, s3, 31
	s_lshr_b32 s4, s4, 24
	s_add_i32 s3, s3, s4
	s_ashr_i32 s3, s3, 8
	s_add_i32 s4, s3, 1
	v_cvt_f32_u32_e32 v1, s4
	s_not_b32 s3, s3
	v_and_b32_e32 v2, 63, v7
	v_lshrrev_b32_e32 v72, 6, v7
	v_rcp_iflag_f32_e32 v0, v1
	v_cmp_le_i32_e64 s[8:9], s22, v72
	v_cmp_eq_f32_e64 s[28:29], s34, 0
	v_mov_b32_e32 v4, 0x7f7fffff
	v_mul_f32_e32 v0, 0x4f7ffffe, v0
	v_cvt_u32_f32_e32 v0, v0
	s_nop 0
	v_readfirstlane_b32 s5, v0
	s_mul_i32 s3, s3, s5
	s_mul_hi_u32 s3, s5, s3
	s_add_i32 s5, s5, s3
	s_mul_hi_u32 s3, s2, s5
	s_mul_i32 s5, s3, s4
	s_sub_i32 s5, s2, s5
	s_add_i32 s6, s3, 1
	s_sub_i32 s7, s5, s4
	s_cmp_ge_u32 s5, s4
	s_cselect_b32 s3, s6, s3
	s_cselect_b32 s5, s7, s5
	s_add_i32 s6, s3, 1
	s_cmp_ge_u32 s5, s4
	s_cselect_b32 s10, s6, s3
	s_mul_i32 s3, s10, s4
	s_sub_i32 s2, s2, s3
	s_add_i32 s36, s22, -1
	s_lshl_b32 s17, s2, 8
	v_min_i32_e32 v0, s36, v72
	v_or_b32_e32 v64, s17, v2
	s_waitcnt lgkmcnt(0)
	v_mad_i64_i32 v[0:1], s[2:3], s23, v0, 0
	v_cmp_le_i32_e32 vcc, s20, v64
	s_or_b64 s[2:3], vcc, s[8:9]
	v_lshl_add_u64 v[0:1], v[0:1], 2, s[18:19]
	v_cndmask_b32_e64 v3, 0, v4, s[2:3]
	s_nor_b64 s[4:5], s[28:29], s[2:3]
	v_ashrrev_i32_e32 v65, 31, v64
	s_and_saveexec_b64 s[2:3], s[4:5]
	s_cbranch_execz .LBB57_9
; %bb.8:
	v_lshl_add_u64 v[8:9], v[64:65], 2, v[0:1]
	global_load_dword v3, v[8:9], off
	s_waitcnt vmcnt(0)
	v_mul_f32_e32 v3, s34, v3
.LBB57_9:
	s_or_b64 exec, exec, s[2:3]
	v_or_b32_e32 v5, 64, v64
	v_cmp_le_i32_e64 s[2:3], s20, v5
	s_or_b64 s[4:5], s[2:3], s[8:9]
	v_cndmask_b32_e64 v4, 0, v4, s[4:5]
	s_nor_b64 s[6:7], s[28:29], s[4:5]
	s_and_saveexec_b64 s[4:5], s[6:7]
	s_cbranch_execz .LBB57_11
; %bb.10:
	v_lshl_add_u64 v[4:5], v[64:65], 2, v[0:1]
	global_load_dword v4, v[4:5], off offset:256
	s_waitcnt vmcnt(0)
	v_mul_f32_e32 v4, s34, v4
.LBB57_11:
	s_or_b64 exec, exec, s[4:5]
	v_or_b32_e32 v5, 0x80, v64
	v_cmp_le_i32_e64 s[4:5], s20, v5
	v_mov_b32_e32 v6, 0x7f7fffff
	s_or_b64 s[6:7], s[4:5], s[8:9]
	v_cndmask_b32_e64 v5, 0, v6, s[6:7]
	s_nor_b64 s[12:13], s[28:29], s[6:7]
	s_and_saveexec_b64 s[6:7], s[12:13]
	s_cbranch_execz .LBB57_13
; %bb.12:
	v_lshl_add_u64 v[8:9], v[64:65], 2, v[0:1]
	global_load_dword v5, v[8:9], off offset:512
	s_waitcnt vmcnt(0)
	v_mul_f32_e32 v5, s34, v5
.LBB57_13:
	s_or_b64 exec, exec, s[6:7]
	v_or_b32_e32 v8, 0xc0, v64
	v_cmp_le_i32_e64 s[6:7], s20, v8
	s_or_b64 s[8:9], s[6:7], s[8:9]
	v_cndmask_b32_e64 v6, 0, v6, s[8:9]
	s_nor_b64 s[12:13], s[28:29], s[8:9]
	s_and_saveexec_b64 s[8:9], s[12:13]
	s_cbranch_execz .LBB57_15
; %bb.14:
	v_lshl_add_u64 v[0:1], v[64:65], 2, v[0:1]
	global_load_dword v0, v[0:1], off offset:768
	s_waitcnt vmcnt(0)
	v_mul_f32_e32 v6, s34, v0
.LBB57_15:
	s_or_b64 exec, exec, s[8:9]
	s_load_dword s38, s[0:1], 0x38
	v_lshrrev_b32_e32 v7, 2, v7
	s_lshl_b32 s35, s10, 6
	v_and_b32_e32 v75, 3, v70
	v_add_u32_e32 v57, s35, v7
	v_cmp_le_i32_e64 s[10:11], s22, v75
	v_cmp_le_i32_e64 s[8:9], s21, v57
	v_mov_b32_e32 v9, 0x7f7fffff
	s_or_b64 s[10:11], s[10:11], s[8:9]
	v_cndmask_b32_e64 v8, 0, v9, s[10:11]
	s_nor_b64 s[12:13], s[28:29], s[10:11]
	s_and_saveexec_b64 s[10:11], s[12:13]
	s_cbranch_execz .LBB57_17
; %bb.16:
	s_waitcnt lgkmcnt(0)
	v_mad_i64_i32 v[0:1], s[12:13], v57, s38, 0
	v_min_u32_e32 v8, s36, v75
	v_lshl_add_u64 v[0:1], v[0:1], 2, s[30:31]
	v_lshlrev_b32_e32 v10, 2, v8
	v_mov_b32_e32 v11, 0
	v_lshl_add_u64 v[0:1], v[0:1], 0, v[10:11]
	global_load_dword v0, v[0:1], off
	s_waitcnt vmcnt(0)
	v_mul_f32_e32 v8, s34, v0
.LBB57_17:
	s_or_b64 exec, exec, s[10:11]
	v_add_u32_e32 v0, 4, v72
	v_cmp_le_i32_e64 s[10:11], s22, v0
	v_min_i32_e32 v0, s36, v0
	v_mad_i64_i32 v[0:1], s[12:13], s23, v0, 0
	s_or_b64 s[12:13], vcc, s[10:11]
	v_lshl_add_u64 v[0:1], v[0:1], 2, s[18:19]
	v_cndmask_b32_e64 v58, 0, v9, s[12:13]
	s_nor_b64 s[40:41], s[28:29], s[12:13]
	s_and_saveexec_b64 s[12:13], s[40:41]
	s_cbranch_execz .LBB57_19
; %bb.18:
	v_lshl_add_u64 v[10:11], v[64:65], 2, v[0:1]
	global_load_dword v9, v[10:11], off
	s_waitcnt vmcnt(0)
	v_mul_f32_e32 v58, s34, v9
.LBB57_19:
	s_or_b64 exec, exec, s[12:13]
	v_mov_b32_e32 v9, 0x7f7fffff
	s_or_b64 s[12:13], s[2:3], s[10:11]
	v_cndmask_b32_e64 v59, 0, v9, s[12:13]
	s_nor_b64 s[40:41], s[28:29], s[12:13]
	s_and_saveexec_b64 s[12:13], s[40:41]
	s_cbranch_execz .LBB57_21
; %bb.20:
	v_lshl_add_u64 v[10:11], v[64:65], 2, v[0:1]
	global_load_dword v10, v[10:11], off offset:256
	s_waitcnt vmcnt(0)
	v_mul_f32_e32 v59, s34, v10
.LBB57_21:
	s_or_b64 exec, exec, s[12:13]
	s_or_b64 s[12:13], s[4:5], s[10:11]
	v_cndmask_b32_e64 v60, 0, v9, s[12:13]
	s_nor_b64 s[40:41], s[28:29], s[12:13]
	s_and_saveexec_b64 s[12:13], s[40:41]
	s_cbranch_execz .LBB57_23
; %bb.22:
	v_lshl_add_u64 v[10:11], v[64:65], 2, v[0:1]
	global_load_dword v9, v[10:11], off offset:512
	s_waitcnt vmcnt(0)
	v_mul_f32_e32 v60, s34, v9
.LBB57_23:
	s_or_b64 exec, exec, s[12:13]
	v_mov_b32_e32 v9, 0x7f7fffff
	s_or_b64 s[10:11], s[6:7], s[10:11]
	v_cndmask_b32_e64 v61, 0, v9, s[10:11]
	s_nor_b64 s[12:13], s[28:29], s[10:11]
	s_and_saveexec_b64 s[10:11], s[12:13]
	s_cbranch_execz .LBB57_25
; %bb.24:
	v_lshl_add_u64 v[0:1], v[64:65], 2, v[0:1]
	global_load_dword v0, v[0:1], off offset:768
	s_waitcnt vmcnt(0)
	v_mul_f32_e32 v61, s34, v0
.LBB57_25:
	s_or_b64 exec, exec, s[10:11]
	v_or_b32_e32 v0, 4, v75
	v_cmp_le_i32_e64 s[10:11], s22, v0
	s_or_b64 s[10:11], s[10:11], s[8:9]
	s_nor_b64 s[40:41], s[28:29], s[10:11]
	v_cndmask_b32_e64 v62, 0, v9, s[10:11]
	s_mov_b32 s12, 0x7f7fffff
	s_and_saveexec_b64 s[10:11], s[40:41]
	s_cbranch_execz .LBB57_27
; %bb.26:
	s_waitcnt lgkmcnt(0)
	v_mad_i64_i32 v[10:11], s[40:41], v57, s38, 0
	v_min_u32_e32 v0, s36, v0
	v_lshl_add_u64 v[10:11], v[10:11], 2, s[30:31]
	v_lshlrev_b32_e32 v0, 2, v0
	v_mov_b32_e32 v1, 0
	v_lshl_add_u64 v[0:1], v[10:11], 0, v[0:1]
	global_load_dword v0, v[0:1], off
	s_waitcnt vmcnt(0)
	v_mul_f32_e32 v62, s34, v0
.LBB57_27:
	s_or_b64 exec, exec, s[10:11]
	v_lshlrev_b32_e32 v0, 4, v2
	v_lshlrev_b32_e32 v56, 2, v75
	v_lshl_add_u32 v76, v72, 2, v0
	v_lshl_or_b32 v63, v7, 4, v56
	v_lshlrev_b32_e32 v74, 4, v70
	ds_write2st64_b32 v76, v3, v4 offset1:4
	ds_write2st64_b32 v76, v5, v6 offset0:8 offset1:12
	ds_write_b32 v63, v8 offset:8192
	s_waitcnt lgkmcnt(0)
	s_barrier
	v_lshlrev_b32_e32 v73, 4, v71
	ds_read_b128 v[28:31], v74
	ds_read_b128 v[24:27], v74 offset:512
	ds_read_b128 v[20:23], v74 offset:1024
	;; [unrolled: 1-line block ×13, first 2 shown]
	s_waitcnt lgkmcnt(5)
	v_pk_add_f32 v[66:67], v[28:29], v[52:53]
	s_cmp_lt_i32 s22, 9
	v_min3_f32 v68, v66, v67, s12
	v_pk_add_f32 v[66:67], v[24:25], v[52:53]
	s_nop 0
	v_min3_f32 v69, v66, v67, s12
	v_pk_add_f32 v[66:67], v[20:21], v[52:53]
	s_nop 0
	v_min3_f32 v77, v66, v67, s12
	v_pk_add_f32 v[66:67], v[16:17], v[52:53]
	s_nop 0
	v_min3_f32 v78, v66, v67, s12
	v_pk_add_f32 v[66:67], v[12:13], v[52:53]
	s_nop 0
	v_min3_f32 v79, v66, v67, s12
	v_pk_add_f32 v[66:67], v[8:9], v[52:53]
	s_nop 0
	v_min3_f32 v80, v66, v67, s12
	v_pk_add_f32 v[66:67], v[4:5], v[52:53]
	v_pk_add_f32 v[52:53], v[0:1], v[52:53]
	v_min3_f32 v66, v66, v67, s12
	v_min3_f32 v67, v52, v53, s12
	s_waitcnt lgkmcnt(4)
	v_pk_add_f32 v[52:53], v[28:29], v[48:49]
	s_nop 0
	v_min3_f32 v81, v52, v53, s12
	v_pk_add_f32 v[52:53], v[24:25], v[48:49]
	s_nop 0
	v_min3_f32 v82, v52, v53, s12
	v_pk_add_f32 v[52:53], v[20:21], v[48:49]
	s_nop 0
	v_min3_f32 v83, v52, v53, s12
	v_pk_add_f32 v[52:53], v[16:17], v[48:49]
	s_nop 0
	v_min3_f32 v84, v52, v53, s12
	v_pk_add_f32 v[52:53], v[12:13], v[48:49]
	s_nop 0
	v_min3_f32 v85, v52, v53, s12
	v_pk_add_f32 v[52:53], v[8:9], v[48:49]
	s_nop 0
	v_min3_f32 v86, v52, v53, s12
	v_pk_add_f32 v[52:53], v[4:5], v[48:49]
	v_pk_add_f32 v[48:49], v[0:1], v[48:49]
	v_min3_f32 v52, v52, v53, s12
	v_min3_f32 v53, v48, v49, s12
	s_waitcnt lgkmcnt(3)
	v_pk_add_f32 v[48:49], v[28:29], v[44:45]
	s_nop 0
	;; [unrolled: 23-line block ×4, first 2 shown]
	v_min3_f32 v101, v40, v41, s12
	v_pk_add_f32 v[40:41], v[24:25], v[36:37]
	s_nop 0
	v_min3_f32 v102, v40, v41, s12
	v_pk_add_f32 v[40:41], v[20:21], v[36:37]
	s_nop 0
	;; [unrolled: 3-line block ×5, first 2 shown]
	v_min3_f32 v106, v40, v41, s12
	v_pk_add_f32 v[40:41], v[4:5], v[36:37]
	v_pk_add_f32 v[36:37], v[0:1], v[36:37]
	v_min3_f32 v107, v40, v41, s12
	v_min3_f32 v108, v36, v37, s12
	s_waitcnt lgkmcnt(0)
	v_pk_add_f32 v[36:37], v[28:29], v[32:33]
	v_pk_add_f32 v[40:41], v[4:5], v[32:33]
	v_min3_f32 v125, v36, v37, s12
	v_pk_add_f32 v[36:37], v[24:25], v[32:33]
	v_min3_f32 v40, v40, v41, s12
	v_min3_f32 v146, v36, v37, s12
	v_pk_add_f32 v[36:37], v[20:21], v[32:33]
	s_nop 0
	v_min3_f32 v147, v36, v37, s12
	v_pk_add_f32 v[36:37], v[16:17], v[32:33]
	s_nop 0
	;; [unrolled: 3-line block ×10, first 2 shown]
	v_min3_f32 v66, v36, v37, s12
	v_pk_add_f32 v[36:37], v[8:9], v[32:33]
	v_pk_add_f32 v[32:33], v[0:1], v[32:33]
	v_min3_f32 v68, v36, v37, s12
	v_min3_f32 v41, v32, v33, s12
	v_pk_add_f32 v[32:33], v[30:31], v[50:51]
	v_pk_add_f32 v[36:37], v[2:3], v[54:55]
	v_min3_f32 v140, v32, v33, v81
	v_pk_add_f32 v[32:33], v[26:27], v[50:51]
	v_min3_f32 v141, v36, v37, v67
	v_min3_f32 v139, v32, v33, v82
	v_pk_add_f32 v[32:33], v[22:23], v[50:51]
	s_nop 0
	v_min3_f32 v138, v32, v33, v83
	v_pk_add_f32 v[32:33], v[18:19], v[50:51]
	s_nop 0
	;; [unrolled: 3-line block ×5, first 2 shown]
	v_min3_f32 v134, v32, v33, v52
	v_pk_add_f32 v[32:33], v[2:3], v[50:51]
	ds_read_b128 v[48:51], v73 offset:8960
	v_min3_f32 v133, v32, v33, v53
	v_pk_add_f32 v[32:33], v[30:31], v[46:47]
	ds_read_b128 v[52:55], v73 offset:9088
	v_min3_f32 v132, v32, v33, v87
	v_pk_add_f32 v[32:33], v[26:27], v[46:47]
	s_waitcnt lgkmcnt(1)
	v_pk_add_f32 v[36:37], v[20:21], v[48:49]
	v_min3_f32 v131, v32, v33, v88
	v_pk_add_f32 v[32:33], v[22:23], v[46:47]
	s_waitcnt lgkmcnt(0)
	v_pk_add_f32 v[20:21], v[20:21], v[52:53]
	v_min3_f32 v130, v32, v33, v89
	v_pk_add_f32 v[32:33], v[18:19], v[46:47]
	v_min3_f32 v20, v20, v21, s12
	v_min3_f32 v129, v32, v33, v90
	v_pk_add_f32 v[32:33], v[14:15], v[46:47]
	ds_write2st64_b32 v76, v58, v59 offset0:16 offset1:20
	ds_write2st64_b32 v76, v60, v61 offset0:24 offset1:28
	ds_write_b32 v63, v62 offset:9216
	v_min3_f32 v128, v32, v33, v91
	v_pk_add_f32 v[32:33], v[10:11], v[46:47]
	s_waitcnt lgkmcnt(0)
	v_min3_f32 v126, v32, v33, v92
	v_pk_add_f32 v[32:33], v[6:7], v[46:47]
	s_barrier
	v_min3_f32 v123, v32, v33, v93
	v_pk_add_f32 v[32:33], v[28:29], v[48:49]
	v_pk_add_f32 v[28:29], v[28:29], v[52:53]
	v_min3_f32 v67, v32, v33, s12
	v_pk_add_f32 v[32:33], v[24:25], v[48:49]
	v_min3_f32 v28, v28, v29, s12
	v_min3_f32 v69, v32, v33, s12
	v_pk_add_f32 v[32:33], v[2:3], v[46:47]
	v_min3_f32 v46, v36, v37, s12
	v_min3_f32 v127, v32, v33, v94
	v_pk_add_f32 v[32:33], v[30:31], v[42:43]
	v_pk_add_f32 v[36:37], v[16:17], v[48:49]
	v_min3_f32 v124, v32, v33, v95
	v_pk_add_f32 v[32:33], v[26:27], v[42:43]
	v_min3_f32 v47, v36, v37, s12
	v_min3_f32 v122, v32, v33, v96
	v_pk_add_f32 v[32:33], v[22:23], v[42:43]
	v_pk_add_f32 v[36:37], v[4:5], v[48:49]
	v_min3_f32 v121, v32, v33, v97
	v_pk_add_f32 v[32:33], v[18:19], v[42:43]
	v_pk_add_f32 v[4:5], v[4:5], v[52:53]
	;; [unrolled: 3-line block ×4, first 2 shown]
	v_min3_f32 v118, v32, v33, v100
	v_pk_add_f32 v[32:33], v[6:7], v[42:43]
	v_min3_f32 v4, v4, v5, s12
	v_min3_f32 v117, v32, v33, v44
	v_pk_add_f32 v[32:33], v[12:13], v[48:49]
	v_min3_f32 v29, v24, v25, s12
	;; [unrolled: 3-line block ×4, first 2 shown]
	v_min3_f32 v116, v32, v33, v45
	v_pk_add_f32 v[32:33], v[30:31], v[38:39]
	v_pk_add_f32 v[36:37], v[0:1], v[48:49]
	v_min3_f32 v115, v32, v33, v101
	v_pk_add_f32 v[32:33], v[26:27], v[38:39]
	v_pk_add_f32 v[0:1], v[0:1], v[52:53]
	v_min3_f32 v114, v32, v33, v102
	v_pk_add_f32 v[32:33], v[22:23], v[38:39]
	v_min3_f32 v5, v0, v1, s12
	v_min3_f32 v113, v32, v33, v103
	v_pk_add_f32 v[32:33], v[18:19], v[38:39]
	v_pk_add_f32 v[0:1], v[30:31], v[54:55]
	v_min3_f32 v112, v32, v33, v104
	v_pk_add_f32 v[32:33], v[14:15], v[38:39]
	v_pk_add_f32 v[16:17], v[30:31], v[50:51]
	v_min3_f32 v111, v32, v33, v105
	v_pk_add_f32 v[32:33], v[10:11], v[38:39]
	v_min3_f32 v91, v0, v1, v28
	v_min3_f32 v110, v32, v33, v106
	v_pk_add_f32 v[32:33], v[6:7], v[38:39]
	v_pk_add_f32 v[0:1], v[26:27], v[54:55]
	v_min3_f32 v109, v32, v33, v107
	v_pk_add_f32 v[32:33], v[2:3], v[38:39]
	v_min3_f32 v99, v16, v17, v67
	;; [unrolled: 6-line block ×3, first 2 shown]
	v_pk_add_f32 v[0:1], v[22:23], v[54:55]
	v_min3_f32 v106, v32, v33, v146
	v_pk_add_f32 v[32:33], v[22:23], v[34:35]
	v_min3_f32 v98, v16, v17, v69
	v_pk_add_f32 v[16:17], v[22:23], v[50:51]
	v_pk_add_f32 v[12:13], v[12:13], v[52:53]
	v_min3_f32 v89, v0, v1, v20
	v_pk_add_f32 v[0:1], v[18:19], v[54:55]
	v_min3_f32 v105, v32, v33, v147
	v_pk_add_f32 v[32:33], v[18:19], v[34:35]
	v_min3_f32 v97, v16, v17, v46
	v_pk_add_f32 v[16:17], v[18:19], v[50:51]
	v_min3_f32 v12, v12, v13, s12
	v_pk_add_f32 v[8:9], v[8:9], v[52:53]
	v_min3_f32 v87, v0, v1, v21
	v_pk_add_f32 v[0:1], v[14:15], v[54:55]
	v_min3_f32 v104, v32, v33, v148
	v_pk_add_f32 v[32:33], v[14:15], v[34:35]
	v_min3_f32 v96, v16, v17, v47
	v_pk_add_f32 v[16:17], v[14:15], v[50:51]
	v_min3_f32 v13, v8, v9, s12
	v_min3_f32 v86, v0, v1, v12
	v_pk_add_f32 v[0:1], v[10:11], v[54:55]
	v_min3_f32 v103, v32, v33, v66
	v_pk_add_f32 v[32:33], v[10:11], v[34:35]
	v_min3_f32 v95, v16, v17, v44
	v_pk_add_f32 v[16:17], v[10:11], v[50:51]
	v_min3_f32 v85, v0, v1, v13
	v_pk_add_f32 v[0:1], v[6:7], v[54:55]
	v_min3_f32 v36, v36, v37, s12
	v_min3_f32 v102, v32, v33, v68
	v_pk_add_f32 v[32:33], v[6:7], v[34:35]
	v_pk_add_f32 v[24:25], v[2:3], v[34:35]
	v_min3_f32 v94, v16, v17, v80
	v_pk_add_f32 v[16:17], v[6:7], v[50:51]
	v_pk_add_f32 v[8:9], v[2:3], v[50:51]
	v_min3_f32 v84, v0, v1, v4
	v_pk_add_f32 v[0:1], v[2:3], v[54:55]
	v_min3_f32 v101, v32, v33, v40
	v_min3_f32 v100, v24, v25, v41
	v_min3_f32 v93, v16, v17, v42
	v_min3_f32 v92, v8, v9, v36
	v_min3_f32 v88, v0, v1, v5
	s_cbranch_scc1 .LBB57_50
; %bb.28:
	v_mov_b32_e32 v0, 0x1000
	v_lshl_add_u32 v125, v70, 4, v0
	v_mov_b32_e32 v0, 0x2400
	v_lshl_add_u32 v146, v71, 4, v0
	v_mad_i64_i32 v[0:1], s[10:11], s38, v57, 0
	v_mov_b32_e32 v57, 0
	v_lshl_add_u64 v[0:1], v[0:1], 2, v[56:57]
	v_lshl_add_u64 v[0:1], s[30:31], 0, v[0:1]
	v_add_u32_e32 v80, 0x2000, v63
	v_add_u32_e32 v81, 0x2000, v73
	;; [unrolled: 1-line block ×4, first 2 shown]
	s_add_i32 s37, s22, -8
	v_lshl_add_u64 v[66:67], v[0:1], 0, 32
	s_mov_b32 s30, 0
	v_mov_b32_e32 v147, 0x7f7fffff
	s_branch .LBB57_30
.LBB57_29:                              ;   in Loop: Header=BB57_30 Depth=1
	s_or_b64 exec, exec, s[10:11]
	v_pk_add_f32 v[152:153], v[28:29], v[60:61]
	s_add_i32 s30, s30, 8
	v_min3_f32 v69, v152, v153, v145
	v_pk_add_f32 v[152:153], v[24:25], v[60:61]
	s_cmp_ge_i32 s30, s37
	v_min3_f32 v152, v152, v153, v144
	v_pk_add_f32 v[144:145], v[20:21], v[60:61]
	v_lshl_add_u64 v[66:67], v[66:67], 0, 32
	v_min3_f32 v153, v144, v145, v143
	v_pk_add_f32 v[144:145], v[16:17], v[60:61]
	s_nop 0
	v_min3_f32 v144, v144, v145, v142
	v_pk_add_f32 v[142:143], v[12:13], v[60:61]
	s_nop 0
	v_min3_f32 v79, v142, v143, v79
	v_pk_add_f32 v[142:143], v[8:9], v[60:61]
	s_nop 0
	v_min3_f32 v77, v142, v143, v77
	v_pk_add_f32 v[142:143], v[4:5], v[60:61]
	v_pk_add_f32 v[60:61], v[0:1], v[60:61]
	v_min3_f32 v78, v142, v143, v78
	v_min3_f32 v141, v60, v61, v141
	v_pk_add_f32 v[60:61], v[28:29], v[56:57]
	s_nop 0
	v_min3_f32 v140, v60, v61, v140
	v_pk_add_f32 v[60:61], v[24:25], v[56:57]
	s_nop 0
	v_min3_f32 v139, v60, v61, v139
	v_pk_add_f32 v[60:61], v[20:21], v[56:57]
	s_nop 0
	v_min3_f32 v138, v60, v61, v138
	v_pk_add_f32 v[60:61], v[16:17], v[56:57]
	s_nop 0
	v_min3_f32 v137, v60, v61, v137
	v_pk_add_f32 v[60:61], v[12:13], v[56:57]
	s_nop 0
	v_min3_f32 v136, v60, v61, v136
	v_pk_add_f32 v[60:61], v[8:9], v[56:57]
	s_nop 0
	v_min3_f32 v135, v60, v61, v135
	v_pk_add_f32 v[60:61], v[4:5], v[56:57]
	v_pk_add_f32 v[56:57], v[0:1], v[56:57]
	v_min3_f32 v60, v60, v61, v134
	v_min3_f32 v61, v56, v57, v133
	v_pk_add_f32 v[56:57], v[28:29], v[52:53]
	s_nop 0
	v_min3_f32 v132, v56, v57, v132
	v_pk_add_f32 v[56:57], v[24:25], v[52:53]
	s_nop 0
	v_min3_f32 v131, v56, v57, v131
	v_pk_add_f32 v[56:57], v[20:21], v[52:53]
	s_nop 0
	;; [unrolled: 22-line block ×5, first 2 shown]
	v_min3_f32 v105, v44, v45, v105
	v_pk_add_f32 v[44:45], v[16:17], v[40:41]
	s_nop 0
	v_min3_f32 v104, v44, v45, v104
	v_pk_add_f32 v[44:45], v[12:13], v[40:41]
	s_nop 0
	v_min3_f32 v103, v44, v45, v103
	v_pk_add_f32 v[44:45], v[8:9], v[40:41]
	s_nop 0
	v_min3_f32 v102, v44, v45, v102
	v_pk_add_f32 v[44:45], v[4:5], v[40:41]
	v_pk_add_f32 v[40:41], v[0:1], v[40:41]
	v_min3_f32 v44, v44, v45, v101
	v_min3_f32 v45, v40, v41, v100
	v_pk_add_f32 v[40:41], v[28:29], v[36:37]
	v_pk_add_f32 v[28:29], v[28:29], v[32:33]
	v_min3_f32 v99, v40, v41, v99
	v_pk_add_f32 v[40:41], v[24:25], v[36:37]
	v_pk_add_f32 v[24:25], v[24:25], v[32:33]
	;; [unrolled: 3-line block ×7, first 2 shown]
	v_pk_add_f32 v[4:5], v[4:5], v[32:33]
	v_pk_add_f32 v[0:1], v[0:1], v[32:33]
	v_min3_f32 v4, v4, v5, v84
	v_min3_f32 v5, v0, v1, v88
	v_pk_add_f32 v[0:1], v[30:31], v[62:63]
	v_min3_f32 v8, v8, v9, v85
	v_min3_f32 v69, v0, v1, v69
	;; [unrolled: 3-line block ×9, first 2 shown]
	v_pk_add_f32 v[0:1], v[30:31], v[58:59]
	s_nop 0
	v_min3_f32 v90, v0, v1, v140
	v_pk_add_f32 v[0:1], v[26:27], v[58:59]
	s_nop 0
	v_min3_f32 v91, v0, v1, v139
	v_pk_add_f32 v[0:1], v[22:23], v[58:59]
	s_nop 0
	v_min3_f32 v92, v0, v1, v138
	v_pk_add_f32 v[0:1], v[18:19], v[58:59]
	s_nop 0
	v_min3_f32 v93, v0, v1, v137
	v_pk_add_f32 v[0:1], v[14:15], v[58:59]
	s_nop 0
	v_min3_f32 v100, v0, v1, v136
	v_pk_add_f32 v[0:1], v[10:11], v[58:59]
	s_nop 0
	v_min3_f32 v101, v0, v1, v135
	v_pk_add_f32 v[0:1], v[6:7], v[58:59]
	s_nop 0
	v_min3_f32 v108, v0, v1, v60
	v_pk_add_f32 v[0:1], v[2:3], v[58:59]
	s_nop 0
	v_min3_f32 v109, v0, v1, v61
	v_pk_add_f32 v[0:1], v[30:31], v[54:55]
	s_nop 0
	v_min3_f32 v116, v0, v1, v132
	v_pk_add_f32 v[0:1], v[26:27], v[54:55]
	s_nop 0
	v_min3_f32 v117, v0, v1, v131
	v_pk_add_f32 v[0:1], v[22:23], v[54:55]
	s_nop 0
	v_min3_f32 v124, v0, v1, v130
	v_pk_add_f32 v[0:1], v[18:19], v[54:55]
	s_nop 0
	v_min3_f32 v127, v0, v1, v129
	v_pk_add_f32 v[0:1], v[14:15], v[54:55]
	s_nop 0
	v_min3_f32 v128, v0, v1, v128
	v_pk_add_f32 v[0:1], v[10:11], v[54:55]
	s_nop 0
	v_min3_f32 v126, v0, v1, v126
	v_pk_add_f32 v[0:1], v[6:7], v[54:55]
	s_nop 0
	v_min3_f32 v129, v0, v1, v56
	v_pk_add_f32 v[0:1], v[2:3], v[54:55]
	s_nop 0
	v_min3_f32 v130, v0, v1, v57
	v_pk_add_f32 v[0:1], v[30:31], v[50:51]
	s_nop 0
	v_min3_f32 v123, v0, v1, v123
	v_pk_add_f32 v[0:1], v[26:27], v[50:51]
	s_nop 0
	v_min3_f32 v122, v0, v1, v122
	v_pk_add_f32 v[0:1], v[22:23], v[50:51]
	s_nop 0
	v_min3_f32 v121, v0, v1, v121
	v_pk_add_f32 v[0:1], v[18:19], v[50:51]
	s_nop 0
	v_min3_f32 v120, v0, v1, v120
	v_pk_add_f32 v[0:1], v[14:15], v[50:51]
	s_nop 0
	v_min3_f32 v119, v0, v1, v119
	v_pk_add_f32 v[0:1], v[10:11], v[50:51]
	s_nop 0
	v_min3_f32 v118, v0, v1, v118
	v_pk_add_f32 v[0:1], v[6:7], v[50:51]
	s_nop 0
	v_min3_f32 v131, v0, v1, v52
	v_pk_add_f32 v[0:1], v[2:3], v[50:51]
	s_nop 0
	v_min3_f32 v132, v0, v1, v53
	v_pk_add_f32 v[0:1], v[30:31], v[46:47]
	s_nop 0
	v_min3_f32 v115, v0, v1, v115
	v_pk_add_f32 v[0:1], v[26:27], v[46:47]
	s_nop 0
	v_min3_f32 v114, v0, v1, v114
	v_pk_add_f32 v[0:1], v[22:23], v[46:47]
	s_nop 0
	v_min3_f32 v113, v0, v1, v113
	v_pk_add_f32 v[0:1], v[18:19], v[46:47]
	s_nop 0
	v_min3_f32 v112, v0, v1, v112
	v_pk_add_f32 v[0:1], v[14:15], v[46:47]
	s_nop 0
	v_min3_f32 v111, v0, v1, v111
	v_pk_add_f32 v[0:1], v[10:11], v[46:47]
	s_nop 0
	v_min3_f32 v110, v0, v1, v110
	v_pk_add_f32 v[0:1], v[6:7], v[46:47]
	s_nop 0
	v_min3_f32 v133, v0, v1, v48
	v_pk_add_f32 v[0:1], v[2:3], v[46:47]
	s_nop 0
	v_min3_f32 v134, v0, v1, v49
	v_pk_add_f32 v[0:1], v[30:31], v[42:43]
	s_nop 0
	v_min3_f32 v107, v0, v1, v107
	v_pk_add_f32 v[0:1], v[26:27], v[42:43]
	s_nop 0
	v_min3_f32 v106, v0, v1, v106
	v_pk_add_f32 v[0:1], v[22:23], v[42:43]
	s_nop 0
	v_min3_f32 v105, v0, v1, v105
	v_pk_add_f32 v[0:1], v[18:19], v[42:43]
	s_nop 0
	v_min3_f32 v104, v0, v1, v104
	v_pk_add_f32 v[0:1], v[14:15], v[42:43]
	s_nop 0
	v_min3_f32 v103, v0, v1, v103
	v_pk_add_f32 v[0:1], v[10:11], v[42:43]
	s_nop 0
	v_min3_f32 v102, v0, v1, v102
	v_pk_add_f32 v[0:1], v[6:7], v[42:43]
	s_nop 0
	v_min3_f32 v135, v0, v1, v44
	v_pk_add_f32 v[0:1], v[2:3], v[42:43]
	s_nop 0
	v_min3_f32 v136, v0, v1, v45
	v_pk_add_f32 v[0:1], v[30:31], v[38:39]
	s_nop 0
	v_min3_f32 v99, v0, v1, v99
	v_pk_add_f32 v[0:1], v[26:27], v[38:39]
	s_nop 0
	v_min3_f32 v98, v0, v1, v98
	v_pk_add_f32 v[0:1], v[22:23], v[38:39]
	s_nop 0
	v_min3_f32 v97, v0, v1, v97
	v_pk_add_f32 v[0:1], v[18:19], v[38:39]
	s_nop 0
	v_min3_f32 v96, v0, v1, v96
	v_pk_add_f32 v[0:1], v[14:15], v[38:39]
	s_nop 0
	v_min3_f32 v95, v0, v1, v95
	v_pk_add_f32 v[0:1], v[10:11], v[38:39]
	s_nop 0
	v_min3_f32 v94, v0, v1, v94
	v_pk_add_f32 v[0:1], v[6:7], v[38:39]
	s_nop 0
	v_min3_f32 v137, v0, v1, v40
	v_pk_add_f32 v[0:1], v[2:3], v[38:39]
	s_nop 0
	v_min3_f32 v138, v0, v1, v36
	v_pk_add_f32 v[0:1], v[30:31], v[34:35]
	s_nop 0
	v_min3_f32 v139, v0, v1, v28
	v_pk_add_f32 v[0:1], v[26:27], v[34:35]
	s_nop 0
	v_min3_f32 v140, v0, v1, v24
	v_pk_add_f32 v[0:1], v[22:23], v[34:35]
	s_nop 0
	v_min3_f32 v141, v0, v1, v20
	v_pk_add_f32 v[0:1], v[18:19], v[34:35]
	s_nop 0
	v_min3_f32 v142, v0, v1, v16
	v_pk_add_f32 v[0:1], v[14:15], v[34:35]
	s_nop 0
	v_min3_f32 v143, v0, v1, v12
	v_pk_add_f32 v[0:1], v[10:11], v[34:35]
	s_nop 0
	v_min3_f32 v144, v0, v1, v8
	v_pk_add_f32 v[0:1], v[6:7], v[34:35]
	s_nop 0
	v_min3_f32 v145, v0, v1, v4
	v_pk_add_f32 v[0:1], v[2:3], v[34:35]
	s_nop 0
	v_min3_f32 v152, v0, v1, v5
	ds_read_b128 v[0:3], v74
	ds_read_b128 v[4:7], v74 offset:512
	ds_read_b128 v[8:11], v74 offset:1024
	;; [unrolled: 1-line block ×7, first 2 shown]
	ds_read_b128 v[36:39], v81
	ds_read_b128 v[40:43], v81 offset:128
	ds_read_b128 v[44:47], v81 offset:256
	;; [unrolled: 1-line block ×7, first 2 shown]
	s_waitcnt lgkmcnt(7)
	v_pk_add_f32 v[78:79], v[0:1], v[36:37]
	ds_write2st64_b32 v82, v148, v149 offset1:4
	ds_write2st64_b32 v82, v150, v151 offset0:8 offset1:12
	ds_write_b32 v83, v68
	v_min3_f32 v69, v78, v79, v69
	v_pk_add_f32 v[78:79], v[4:5], v[36:37]
	s_waitcnt lgkmcnt(0)
	v_min3_f32 v84, v78, v79, v84
	v_pk_add_f32 v[78:79], v[8:9], v[36:37]
	s_barrier
	v_min3_f32 v85, v78, v79, v85
	v_pk_add_f32 v[78:79], v[12:13], v[36:37]
	s_nop 0
	v_min3_f32 v86, v78, v79, v86
	v_pk_add_f32 v[78:79], v[16:17], v[36:37]
	s_nop 0
	;; [unrolled: 3-line block ×3, first 2 shown]
	v_min3_f32 v77, v78, v79, v77
	v_pk_add_f32 v[78:79], v[24:25], v[36:37]
	v_pk_add_f32 v[36:37], v[28:29], v[36:37]
	v_min3_f32 v78, v78, v79, v88
	v_min3_f32 v88, v36, v37, v89
	v_pk_add_f32 v[36:37], v[0:1], v[40:41]
	s_nop 0
	v_min3_f32 v89, v36, v37, v90
	v_pk_add_f32 v[36:37], v[4:5], v[40:41]
	s_nop 0
	;; [unrolled: 3-line block ×40, first 2 shown]
	v_min3_f32 v56, v36, v37, v136
	v_pk_add_f32 v[36:37], v[0:1], v[60:61]
	v_pk_add_f32 v[0:1], v[0:1], v[32:33]
	v_min3_f32 v57, v36, v37, v99
	v_pk_add_f32 v[36:37], v[4:5], v[60:61]
	s_nop 0
	v_min3_f32 v98, v36, v37, v98
	v_pk_add_f32 v[36:37], v[8:9], v[60:61]
	s_nop 0
	;; [unrolled: 3-line block ×7, first 2 shown]
	v_min3_f32 v36, v36, v37, v138
	v_min3_f32 v37, v0, v1, v139
	v_pk_add_f32 v[0:1], v[4:5], v[32:33]
	s_nop 0
	v_min3_f32 v4, v0, v1, v140
	v_pk_add_f32 v[0:1], v[8:9], v[32:33]
	s_nop 0
	;; [unrolled: 3-line block ×71, first 2 shown]
	v_min3_f32 v88, v0, v1, v16
	s_cbranch_scc1 .LBB57_50
.LBB57_30:                              ; =>This Inner Loop Header: Depth=1
	v_add_u32_e32 v68, s30, v72
	v_add_u32_e32 v0, 8, v68
	v_cmp_le_i32_e64 s[10:11], s22, v0
	v_min_i32_e32 v0, s36, v0
	v_mad_i64_i32 v[0:1], s[12:13], v0, s23, 0
	v_lshl_add_u64 v[0:1], v[0:1], 2, s[18:19]
	s_or_b64 s[12:13], vcc, s[10:11]
	v_cndmask_b32_e64 v69, 0, v147, s[12:13]
	s_nor_b64 s[38:39], s[28:29], s[12:13]
	v_lshl_add_u64 v[0:1], v[64:65], 2, v[0:1]
	s_and_saveexec_b64 s[12:13], s[38:39]
	s_cbranch_execz .LBB57_32
; %bb.31:                               ;   in Loop: Header=BB57_30 Depth=1
	global_load_dword v2, v[0:1], off
	s_waitcnt vmcnt(0)
	v_mul_f32_e32 v69, s34, v2
.LBB57_32:                              ;   in Loop: Header=BB57_30 Depth=1
	s_or_b64 exec, exec, s[12:13]
	s_or_b64 s[12:13], s[2:3], s[10:11]
	v_cndmask_b32_e64 v148, 0, v147, s[12:13]
	s_nor_b64 s[38:39], s[28:29], s[12:13]
	s_and_saveexec_b64 s[12:13], s[38:39]
	s_cbranch_execz .LBB57_34
; %bb.33:                               ;   in Loop: Header=BB57_30 Depth=1
	global_load_dword v2, v[0:1], off offset:256
	s_waitcnt vmcnt(0)
	v_mul_f32_e32 v148, s34, v2
.LBB57_34:                              ;   in Loop: Header=BB57_30 Depth=1
	s_or_b64 exec, exec, s[12:13]
	s_or_b64 s[12:13], s[4:5], s[10:11]
	v_cndmask_b32_e64 v149, 0, v147, s[12:13]
	s_nor_b64 s[38:39], s[28:29], s[12:13]
	s_and_saveexec_b64 s[12:13], s[38:39]
	s_cbranch_execz .LBB57_36
; %bb.35:                               ;   in Loop: Header=BB57_30 Depth=1
	global_load_dword v2, v[0:1], off offset:512
	s_waitcnt vmcnt(0)
	v_mul_f32_e32 v149, s34, v2
.LBB57_36:                              ;   in Loop: Header=BB57_30 Depth=1
	;; [unrolled: 11-line block ×3, first 2 shown]
	s_or_b64 exec, exec, s[10:11]
	v_add_u32_e32 v152, s30, v75
	v_add_u32_e32 v0, 8, v152
	v_cmp_le_i32_e64 s[10:11], s22, v0
	s_or_b64 s[10:11], s[10:11], s[8:9]
	s_nor_b64 s[12:13], s[28:29], s[10:11]
	v_cndmask_b32_e64 v151, 0, v147, s[10:11]
	s_and_saveexec_b64 s[10:11], s[12:13]
	s_cbranch_execz .LBB57_40
; %bb.39:                               ;   in Loop: Header=BB57_30 Depth=1
	global_load_dword v0, v[66:67], off
	s_waitcnt vmcnt(0)
	v_mul_f32_e32 v151, s34, v0
.LBB57_40:                              ;   in Loop: Header=BB57_30 Depth=1
	s_or_b64 exec, exec, s[10:11]
	ds_read_b128 v[28:31], v125
	ds_read_b128 v[24:27], v125 offset:512
	ds_read_b128 v[20:23], v125 offset:1024
	;; [unrolled: 1-line block ×7, first 2 shown]
	ds_read_b128 v[60:63], v146
	ds_read_b128 v[56:59], v146 offset:128
	ds_read_b128 v[52:55], v146 offset:256
	;; [unrolled: 1-line block ×7, first 2 shown]
	v_add_u32_e32 v68, 12, v68
	v_cmp_le_i32_e64 s[10:11], s22, v68
	v_min_i32_e32 v68, s36, v68
	ds_write2st64_b32 v76, v69, v148 offset1:4
	ds_write2st64_b32 v76, v149, v150 offset0:8 offset1:12
	ds_write_b32 v80, v151
	v_mad_i64_i32 v[68:69], s[12:13], v68, s23, 0
	v_lshl_add_u64 v[68:69], v[68:69], 2, s[18:19]
	s_or_b64 s[12:13], vcc, s[10:11]
	v_cndmask_b32_e64 v148, 0, v147, s[12:13]
	s_nor_b64 s[38:39], s[28:29], s[12:13]
	v_lshl_add_u64 v[68:69], v[64:65], 2, v[68:69]
	s_waitcnt lgkmcnt(0)
	s_barrier
	s_and_saveexec_b64 s[12:13], s[38:39]
	s_cbranch_execz .LBB57_42
; %bb.41:                               ;   in Loop: Header=BB57_30 Depth=1
	global_load_dword v148, v[68:69], off
	s_waitcnt vmcnt(0)
	v_mul_f32_e32 v148, s34, v148
.LBB57_42:                              ;   in Loop: Header=BB57_30 Depth=1
	s_or_b64 exec, exec, s[12:13]
	s_or_b64 s[12:13], s[2:3], s[10:11]
	v_cndmask_b32_e64 v149, 0, v147, s[12:13]
	s_nor_b64 s[38:39], s[28:29], s[12:13]
	s_and_saveexec_b64 s[12:13], s[38:39]
	s_cbranch_execz .LBB57_44
; %bb.43:                               ;   in Loop: Header=BB57_30 Depth=1
	global_load_dword v149, v[68:69], off offset:256
	s_waitcnt vmcnt(0)
	v_mul_f32_e32 v149, s34, v149
.LBB57_44:                              ;   in Loop: Header=BB57_30 Depth=1
	s_or_b64 exec, exec, s[12:13]
	s_or_b64 s[12:13], s[4:5], s[10:11]
	v_cndmask_b32_e64 v150, 0, v147, s[12:13]
	s_nor_b64 s[38:39], s[28:29], s[12:13]
	s_and_saveexec_b64 s[12:13], s[38:39]
	s_cbranch_execz .LBB57_46
; %bb.45:                               ;   in Loop: Header=BB57_30 Depth=1
	global_load_dword v150, v[68:69], off offset:512
	s_waitcnt vmcnt(0)
	v_mul_f32_e32 v150, s34, v150
.LBB57_46:                              ;   in Loop: Header=BB57_30 Depth=1
	;; [unrolled: 11-line block ×3, first 2 shown]
	s_or_b64 exec, exec, s[10:11]
	v_add_u32_e32 v68, 12, v152
	v_cmp_le_i32_e64 s[10:11], s22, v68
	s_or_b64 s[10:11], s[10:11], s[8:9]
	s_nor_b64 s[12:13], s[28:29], s[10:11]
	v_cndmask_b32_e64 v68, 0, v147, s[10:11]
	s_and_saveexec_b64 s[10:11], s[12:13]
	s_cbranch_execz .LBB57_29
; %bb.49:                               ;   in Loop: Header=BB57_30 Depth=1
	global_load_dword v68, v[66:67], off offset:16
	s_waitcnt vmcnt(0)
	v_mul_f32_e32 v68, s34, v68
	s_branch .LBB57_29
.LBB57_50:
	s_load_dwordx2 s[2:3], s[0:1], 0x78
	s_load_dword s29, s[0:1], 0x58
	s_load_dword s28, s[0:1], 0x70
	ds_read_b128 v[32:35], v74 offset:4096
	ds_read_b128 v[28:31], v74 offset:4608
	;; [unrolled: 1-line block ×16, first 2 shown]
	v_add_u32_e32 v125, s35, v71
	s_waitcnt lgkmcnt(0)
	s_mul_i32 s1, s3, s16
	s_mul_hi_u32 s3, s2, s16
	s_mul_i32 s0, s2, s16
	s_add_i32 s1, s3, s1
	s_lshl_b64 s[0:1], s[0:1], 2
	s_add_u32 s22, s14, s0
	s_addc_u32 s23, s15, s1
	v_mad_i64_i32 v[66:67], s[0:1], v125, s29, 0
	v_add_u32_e32 v64, s17, v70
	v_lshl_add_u64 v[82:83], v[66:67], 2, s[24:25]
	v_mad_i64_i32 v[66:67], s[0:1], v125, s28, 0
	v_cmp_gt_i32_e64 s[18:19], s21, v125
	v_lshl_add_u64 v[80:81], v[66:67], 2, s[22:23]
	v_cmp_gt_i32_e64 s[2:3], s20, v64
	v_cndmask_b32_e64 v66, 0, 1, s[26:27]
	s_and_b64 s[6:7], s[2:3], s[18:19]
	v_ashrrev_i32_e32 v65, 31, v64
	v_cmp_ne_u32_e64 s[0:1], 1, v66
	s_and_saveexec_b64 s[4:5], s[6:7]
	s_cbranch_execz .LBB57_55
; %bb.51:
	s_and_b64 vcc, exec, s[0:1]
	s_cbranch_vccnz .LBB57_53
; %bb.52:
	v_lshl_add_u64 v[66:67], v[64:65], 2, v[82:83]
	global_load_dword v66, v[66:67], off
	s_waitcnt vmcnt(0)
	v_mul_f32_e32 v66, s33, v66
	s_branch .LBB57_54
.LBB57_53:
	v_mov_b32_e32 v66, 0
.LBB57_54:
	v_pk_add_f32 v[68:69], v[32:33], v[60:61]
	s_nop 0
	v_min3_f32 v67, v68, v69, v145
	v_pk_add_f32 v[68:69], v[34:35], v[62:63]
	s_nop 0
	v_min_f32_e32 v68, v68, v69
	v_min3_f32 v68, v66, v68, v67
	v_lshl_add_u64 v[66:67], v[64:65], 2, v[80:81]
	global_store_dword v[66:67], v68, off
.LBB57_55:
	s_or_b64 exec, exec, s[4:5]
	v_add_u32_e32 v66, 32, v64
	v_cmp_gt_i32_e64 s[4:5], s20, v66
	s_and_b64 s[8:9], s[4:5], s[18:19]
	v_ashrrev_i32_e32 v67, 31, v66
	s_and_saveexec_b64 s[6:7], s[8:9]
	s_cbranch_execz .LBB57_60
; %bb.56:
	s_and_b64 vcc, exec, s[0:1]
	s_cbranch_vccnz .LBB57_58
; %bb.57:
	v_lshl_add_u64 v[68:69], v[66:67], 2, v[82:83]
	global_load_dword v68, v[68:69], off
	s_waitcnt vmcnt(0)
	v_mul_f32_e32 v68, s33, v68
	s_branch .LBB57_59
.LBB57_58:
	v_mov_b32_e32 v68, 0
.LBB57_59:
	v_pk_add_f32 v[70:71], v[28:29], v[60:61]
	s_nop 0
	v_min3_f32 v69, v70, v71, v144
	v_pk_add_f32 v[70:71], v[30:31], v[62:63]
	s_nop 0
	v_min_f32_e32 v70, v70, v71
	v_min3_f32 v70, v68, v70, v69
	v_lshl_add_u64 v[68:69], v[66:67], 2, v[80:81]
	global_store_dword v[68:69], v70, off
.LBB57_60:
	s_or_b64 exec, exec, s[6:7]
	v_add_u32_e32 v68, 64, v64
	v_cmp_gt_i32_e64 s[6:7], s20, v68
	s_and_b64 s[10:11], s[6:7], s[18:19]
	v_ashrrev_i32_e32 v69, 31, v68
	;; [unrolled: 29-line block ×7, first 2 shown]
	s_and_saveexec_b64 s[18:19], s[26:27]
	s_cbranch_execz .LBB57_90
; %bb.86:
	s_and_b64 vcc, exec, s[0:1]
	s_cbranch_vccnz .LBB57_88
; %bb.87:
	v_lshl_add_u64 v[82:83], v[78:79], 2, v[82:83]
	global_load_dword v82, v[82:83], off
	s_waitcnt vmcnt(0)
	v_mul_f32_e32 v82, s33, v82
	s_branch .LBB57_89
.LBB57_88:
	v_mov_b32_e32 v82, 0
.LBB57_89:
	v_pk_add_f32 v[60:61], v[0:1], v[60:61]
	s_nop 0
	v_min3_f32 v83, v60, v61, v141
	v_pk_add_f32 v[60:61], v[2:3], v[62:63]
	s_nop 0
	v_min_f32_e32 v60, v60, v61
	v_min3_f32 v62, v82, v60, v83
	v_lshl_add_u64 v[60:61], v[78:79], 2, v[80:81]
	global_store_dword v[60:61], v62, off
.LBB57_90:
	s_or_b64 exec, exec, s[18:19]
	v_add_u32_e32 v80, 8, v125
	v_mad_i64_i32 v[60:61], s[26:27], v80, s29, 0
	v_cmp_gt_i32_e64 s[18:19], s21, v80
	v_lshl_add_u64 v[62:63], v[60:61], 2, s[24:25]
	v_mad_i64_i32 v[60:61], s[26:27], v80, s28, 0
	v_lshl_add_u64 v[60:61], v[60:61], 2, s[22:23]
	s_and_b64 s[30:31], s[2:3], s[18:19]
	s_and_saveexec_b64 s[26:27], s[30:31]
	s_cbranch_execnz .LBB57_98
; %bb.91:
	s_or_b64 exec, exec, s[26:27]
	s_and_b64 s[30:31], s[4:5], s[18:19]
	s_and_saveexec_b64 s[26:27], s[30:31]
	s_cbranch_execnz .LBB57_102
.LBB57_92:
	s_or_b64 exec, exec, s[26:27]
	s_and_b64 s[30:31], s[6:7], s[18:19]
	s_and_saveexec_b64 s[26:27], s[30:31]
	s_cbranch_execnz .LBB57_106
.LBB57_93:
	s_or_b64 exec, exec, s[26:27]
	s_and_b64 s[30:31], s[8:9], s[18:19]
	s_and_saveexec_b64 s[26:27], s[30:31]
	s_cbranch_execnz .LBB57_110
.LBB57_94:
	s_or_b64 exec, exec, s[26:27]
	s_and_b64 s[30:31], s[10:11], s[18:19]
	s_and_saveexec_b64 s[26:27], s[30:31]
	s_cbranch_execnz .LBB57_114
.LBB57_95:
	s_or_b64 exec, exec, s[26:27]
	s_and_b64 s[30:31], s[12:13], s[18:19]
	s_and_saveexec_b64 s[26:27], s[30:31]
	s_cbranch_execnz .LBB57_118
.LBB57_96:
	s_or_b64 exec, exec, s[26:27]
	s_and_b64 s[30:31], s[14:15], s[18:19]
	s_and_saveexec_b64 s[26:27], s[30:31]
	s_cbranch_execnz .LBB57_122
.LBB57_97:
	s_or_b64 exec, exec, s[26:27]
	s_and_b64 s[26:27], s[16:17], s[18:19]
	s_and_saveexec_b64 s[18:19], s[26:27]
	s_cbranch_execnz .LBB57_126
	s_branch .LBB57_130
.LBB57_98:
	s_and_b64 vcc, exec, s[0:1]
	s_cbranch_vccnz .LBB57_100
; %bb.99:
	v_lshl_add_u64 v[80:81], v[64:65], 2, v[62:63]
	global_load_dword v80, v[80:81], off
	s_waitcnt vmcnt(0)
	v_mul_f32_e32 v80, s33, v80
	s_branch .LBB57_101
.LBB57_100:
	v_mov_b32_e32 v80, 0
.LBB57_101:
	v_pk_add_f32 v[82:83], v[32:33], v[56:57]
	s_nop 0
	v_min3_f32 v81, v82, v83, v140
	v_pk_add_f32 v[82:83], v[34:35], v[58:59]
	s_nop 0
	v_min_f32_e32 v82, v82, v83
	v_min3_f32 v82, v80, v82, v81
	v_lshl_add_u64 v[80:81], v[64:65], 2, v[60:61]
	global_store_dword v[80:81], v82, off
	s_or_b64 exec, exec, s[26:27]
	s_and_b64 s[30:31], s[4:5], s[18:19]
	s_and_saveexec_b64 s[26:27], s[30:31]
	s_cbranch_execz .LBB57_92
.LBB57_102:
	s_and_b64 vcc, exec, s[0:1]
	s_cbranch_vccnz .LBB57_104
; %bb.103:
	v_lshl_add_u64 v[80:81], v[66:67], 2, v[62:63]
	global_load_dword v80, v[80:81], off
	s_waitcnt vmcnt(0)
	v_mul_f32_e32 v80, s33, v80
	s_branch .LBB57_105
.LBB57_104:
	v_mov_b32_e32 v80, 0
.LBB57_105:
	v_pk_add_f32 v[82:83], v[28:29], v[56:57]
	s_nop 0
	v_min3_f32 v81, v82, v83, v139
	v_pk_add_f32 v[82:83], v[30:31], v[58:59]
	s_nop 0
	v_min_f32_e32 v82, v82, v83
	v_min3_f32 v82, v80, v82, v81
	v_lshl_add_u64 v[80:81], v[66:67], 2, v[60:61]
	global_store_dword v[80:81], v82, off
	s_or_b64 exec, exec, s[26:27]
	s_and_b64 s[30:31], s[6:7], s[18:19]
	s_and_saveexec_b64 s[26:27], s[30:31]
	s_cbranch_execz .LBB57_93
.LBB57_106:
	s_and_b64 vcc, exec, s[0:1]
	s_cbranch_vccnz .LBB57_108
; %bb.107:
	v_lshl_add_u64 v[80:81], v[68:69], 2, v[62:63]
	global_load_dword v80, v[80:81], off
	s_waitcnt vmcnt(0)
	v_mul_f32_e32 v80, s33, v80
	s_branch .LBB57_109
.LBB57_108:
	v_mov_b32_e32 v80, 0
.LBB57_109:
	v_pk_add_f32 v[82:83], v[24:25], v[56:57]
	s_nop 0
	v_min3_f32 v81, v82, v83, v138
	v_pk_add_f32 v[82:83], v[26:27], v[58:59]
	s_nop 0
	v_min_f32_e32 v82, v82, v83
	v_min3_f32 v82, v80, v82, v81
	v_lshl_add_u64 v[80:81], v[68:69], 2, v[60:61]
	global_store_dword v[80:81], v82, off
	s_or_b64 exec, exec, s[26:27]
	s_and_b64 s[30:31], s[8:9], s[18:19]
	s_and_saveexec_b64 s[26:27], s[30:31]
	s_cbranch_execz .LBB57_94
.LBB57_110:
	s_and_b64 vcc, exec, s[0:1]
	s_cbranch_vccnz .LBB57_112
; %bb.111:
	v_lshl_add_u64 v[80:81], v[70:71], 2, v[62:63]
	global_load_dword v80, v[80:81], off
	s_waitcnt vmcnt(0)
	v_mul_f32_e32 v80, s33, v80
	s_branch .LBB57_113
.LBB57_112:
	v_mov_b32_e32 v80, 0
.LBB57_113:
	v_pk_add_f32 v[82:83], v[20:21], v[56:57]
	s_nop 0
	v_min3_f32 v81, v82, v83, v137
	v_pk_add_f32 v[82:83], v[22:23], v[58:59]
	s_nop 0
	v_min_f32_e32 v82, v82, v83
	v_min3_f32 v82, v80, v82, v81
	v_lshl_add_u64 v[80:81], v[70:71], 2, v[60:61]
	global_store_dword v[80:81], v82, off
	s_or_b64 exec, exec, s[26:27]
	s_and_b64 s[30:31], s[10:11], s[18:19]
	s_and_saveexec_b64 s[26:27], s[30:31]
	s_cbranch_execz .LBB57_95
.LBB57_114:
	s_and_b64 vcc, exec, s[0:1]
	s_cbranch_vccnz .LBB57_116
; %bb.115:
	v_lshl_add_u64 v[80:81], v[72:73], 2, v[62:63]
	global_load_dword v80, v[80:81], off
	s_waitcnt vmcnt(0)
	v_mul_f32_e32 v80, s33, v80
	s_branch .LBB57_117
.LBB57_116:
	v_mov_b32_e32 v80, 0
.LBB57_117:
	v_pk_add_f32 v[82:83], v[16:17], v[56:57]
	s_nop 0
	v_min3_f32 v81, v82, v83, v136
	v_pk_add_f32 v[82:83], v[18:19], v[58:59]
	s_nop 0
	v_min_f32_e32 v82, v82, v83
	v_min3_f32 v82, v80, v82, v81
	v_lshl_add_u64 v[80:81], v[72:73], 2, v[60:61]
	global_store_dword v[80:81], v82, off
	s_or_b64 exec, exec, s[26:27]
	s_and_b64 s[30:31], s[12:13], s[18:19]
	s_and_saveexec_b64 s[26:27], s[30:31]
	s_cbranch_execz .LBB57_96
.LBB57_118:
	s_and_b64 vcc, exec, s[0:1]
	s_cbranch_vccnz .LBB57_120
; %bb.119:
	v_lshl_add_u64 v[80:81], v[74:75], 2, v[62:63]
	global_load_dword v80, v[80:81], off
	s_waitcnt vmcnt(0)
	v_mul_f32_e32 v80, s33, v80
	s_branch .LBB57_121
.LBB57_120:
	v_mov_b32_e32 v80, 0
.LBB57_121:
	v_pk_add_f32 v[82:83], v[12:13], v[56:57]
	s_nop 0
	v_min3_f32 v81, v82, v83, v135
	v_pk_add_f32 v[82:83], v[14:15], v[58:59]
	s_nop 0
	v_min_f32_e32 v82, v82, v83
	v_min3_f32 v82, v80, v82, v81
	v_lshl_add_u64 v[80:81], v[74:75], 2, v[60:61]
	global_store_dword v[80:81], v82, off
	s_or_b64 exec, exec, s[26:27]
	s_and_b64 s[30:31], s[14:15], s[18:19]
	s_and_saveexec_b64 s[26:27], s[30:31]
	s_cbranch_execz .LBB57_97
.LBB57_122:
	s_and_b64 vcc, exec, s[0:1]
	s_cbranch_vccnz .LBB57_124
; %bb.123:
	v_lshl_add_u64 v[80:81], v[76:77], 2, v[62:63]
	global_load_dword v80, v[80:81], off
	s_waitcnt vmcnt(0)
	v_mul_f32_e32 v80, s33, v80
	s_branch .LBB57_125
.LBB57_124:
	v_mov_b32_e32 v80, 0
.LBB57_125:
	v_pk_add_f32 v[82:83], v[8:9], v[56:57]
	s_nop 0
	v_min3_f32 v81, v82, v83, v134
	v_pk_add_f32 v[82:83], v[10:11], v[58:59]
	s_nop 0
	v_min_f32_e32 v82, v82, v83
	v_min3_f32 v82, v80, v82, v81
	v_lshl_add_u64 v[80:81], v[76:77], 2, v[60:61]
	global_store_dword v[80:81], v82, off
	s_or_b64 exec, exec, s[26:27]
	s_and_b64 s[26:27], s[16:17], s[18:19]
	s_and_saveexec_b64 s[18:19], s[26:27]
	s_cbranch_execz .LBB57_130
.LBB57_126:
	s_and_b64 vcc, exec, s[0:1]
	s_cbranch_vccnz .LBB57_128
; %bb.127:
	v_lshl_add_u64 v[62:63], v[78:79], 2, v[62:63]
	global_load_dword v62, v[62:63], off
	s_waitcnt vmcnt(0)
	v_mul_f32_e32 v62, s33, v62
	s_branch .LBB57_129
.LBB57_128:
	v_mov_b32_e32 v62, 0
.LBB57_129:
	v_pk_add_f32 v[56:57], v[0:1], v[56:57]
	s_nop 0
	v_min3_f32 v63, v56, v57, v133
	v_pk_add_f32 v[56:57], v[2:3], v[58:59]
	s_nop 0
	v_min_f32_e32 v56, v56, v57
	v_min3_f32 v58, v62, v56, v63
	v_lshl_add_u64 v[56:57], v[78:79], 2, v[60:61]
	global_store_dword v[56:57], v58, off
.LBB57_130:
	s_or_b64 exec, exec, s[18:19]
	v_add_u32_e32 v60, 16, v125
	v_mad_i64_i32 v[56:57], s[26:27], v60, s29, 0
	v_cmp_gt_i32_e64 s[18:19], s21, v60
	v_lshl_add_u64 v[58:59], v[56:57], 2, s[24:25]
	v_mad_i64_i32 v[56:57], s[26:27], v60, s28, 0
	v_lshl_add_u64 v[56:57], v[56:57], 2, s[22:23]
	s_and_b64 s[30:31], s[2:3], s[18:19]
	s_and_saveexec_b64 s[26:27], s[30:31]
	s_cbranch_execnz .LBB57_138
; %bb.131:
	s_or_b64 exec, exec, s[26:27]
	s_and_b64 s[30:31], s[4:5], s[18:19]
	s_and_saveexec_b64 s[26:27], s[30:31]
	s_cbranch_execnz .LBB57_142
.LBB57_132:
	s_or_b64 exec, exec, s[26:27]
	s_and_b64 s[30:31], s[6:7], s[18:19]
	s_and_saveexec_b64 s[26:27], s[30:31]
	s_cbranch_execnz .LBB57_146
.LBB57_133:
	s_or_b64 exec, exec, s[26:27]
	s_and_b64 s[30:31], s[8:9], s[18:19]
	s_and_saveexec_b64 s[26:27], s[30:31]
	s_cbranch_execnz .LBB57_150
.LBB57_134:
	s_or_b64 exec, exec, s[26:27]
	s_and_b64 s[30:31], s[10:11], s[18:19]
	s_and_saveexec_b64 s[26:27], s[30:31]
	s_cbranch_execnz .LBB57_154
.LBB57_135:
	s_or_b64 exec, exec, s[26:27]
	s_and_b64 s[30:31], s[12:13], s[18:19]
	s_and_saveexec_b64 s[26:27], s[30:31]
	s_cbranch_execnz .LBB57_158
.LBB57_136:
	s_or_b64 exec, exec, s[26:27]
	s_and_b64 s[30:31], s[14:15], s[18:19]
	s_and_saveexec_b64 s[26:27], s[30:31]
	s_cbranch_execnz .LBB57_162
.LBB57_137:
	s_or_b64 exec, exec, s[26:27]
	s_and_b64 s[26:27], s[16:17], s[18:19]
	s_and_saveexec_b64 s[18:19], s[26:27]
	s_cbranch_execnz .LBB57_166
	s_branch .LBB57_170
.LBB57_138:
	s_and_b64 vcc, exec, s[0:1]
	s_cbranch_vccnz .LBB57_140
; %bb.139:
	v_lshl_add_u64 v[60:61], v[64:65], 2, v[58:59]
	global_load_dword v60, v[60:61], off
	s_waitcnt vmcnt(0)
	v_mul_f32_e32 v60, s33, v60
	s_branch .LBB57_141
.LBB57_140:
	v_mov_b32_e32 v60, 0
.LBB57_141:
	v_pk_add_f32 v[62:63], v[32:33], v[52:53]
	s_nop 0
	v_min3_f32 v61, v62, v63, v132
	v_pk_add_f32 v[62:63], v[34:35], v[54:55]
	s_nop 0
	v_min_f32_e32 v62, v62, v63
	v_min3_f32 v62, v60, v62, v61
	v_lshl_add_u64 v[60:61], v[64:65], 2, v[56:57]
	global_store_dword v[60:61], v62, off
	s_or_b64 exec, exec, s[26:27]
	s_and_b64 s[30:31], s[4:5], s[18:19]
	s_and_saveexec_b64 s[26:27], s[30:31]
	s_cbranch_execz .LBB57_132
.LBB57_142:
	s_and_b64 vcc, exec, s[0:1]
	s_cbranch_vccnz .LBB57_144
; %bb.143:
	v_lshl_add_u64 v[60:61], v[66:67], 2, v[58:59]
	global_load_dword v60, v[60:61], off
	s_waitcnt vmcnt(0)
	v_mul_f32_e32 v60, s33, v60
	s_branch .LBB57_145
.LBB57_144:
	v_mov_b32_e32 v60, 0
.LBB57_145:
	v_pk_add_f32 v[62:63], v[28:29], v[52:53]
	s_nop 0
	v_min3_f32 v61, v62, v63, v131
	v_pk_add_f32 v[62:63], v[30:31], v[54:55]
	s_nop 0
	v_min_f32_e32 v62, v62, v63
	v_min3_f32 v62, v60, v62, v61
	v_lshl_add_u64 v[60:61], v[66:67], 2, v[56:57]
	global_store_dword v[60:61], v62, off
	s_or_b64 exec, exec, s[26:27]
	s_and_b64 s[30:31], s[6:7], s[18:19]
	s_and_saveexec_b64 s[26:27], s[30:31]
	s_cbranch_execz .LBB57_133
.LBB57_146:
	s_and_b64 vcc, exec, s[0:1]
	s_cbranch_vccnz .LBB57_148
; %bb.147:
	v_lshl_add_u64 v[60:61], v[68:69], 2, v[58:59]
	global_load_dword v60, v[60:61], off
	s_waitcnt vmcnt(0)
	v_mul_f32_e32 v60, s33, v60
	s_branch .LBB57_149
.LBB57_148:
	v_mov_b32_e32 v60, 0
.LBB57_149:
	v_pk_add_f32 v[62:63], v[24:25], v[52:53]
	s_nop 0
	v_min3_f32 v61, v62, v63, v130
	v_pk_add_f32 v[62:63], v[26:27], v[54:55]
	s_nop 0
	v_min_f32_e32 v62, v62, v63
	v_min3_f32 v62, v60, v62, v61
	v_lshl_add_u64 v[60:61], v[68:69], 2, v[56:57]
	global_store_dword v[60:61], v62, off
	s_or_b64 exec, exec, s[26:27]
	s_and_b64 s[30:31], s[8:9], s[18:19]
	s_and_saveexec_b64 s[26:27], s[30:31]
	s_cbranch_execz .LBB57_134
.LBB57_150:
	s_and_b64 vcc, exec, s[0:1]
	s_cbranch_vccnz .LBB57_152
; %bb.151:
	v_lshl_add_u64 v[60:61], v[70:71], 2, v[58:59]
	global_load_dword v60, v[60:61], off
	s_waitcnt vmcnt(0)
	v_mul_f32_e32 v60, s33, v60
	s_branch .LBB57_153
.LBB57_152:
	v_mov_b32_e32 v60, 0
.LBB57_153:
	v_pk_add_f32 v[62:63], v[20:21], v[52:53]
	s_nop 0
	v_min3_f32 v61, v62, v63, v129
	v_pk_add_f32 v[62:63], v[22:23], v[54:55]
	s_nop 0
	v_min_f32_e32 v62, v62, v63
	v_min3_f32 v62, v60, v62, v61
	v_lshl_add_u64 v[60:61], v[70:71], 2, v[56:57]
	global_store_dword v[60:61], v62, off
	s_or_b64 exec, exec, s[26:27]
	s_and_b64 s[30:31], s[10:11], s[18:19]
	s_and_saveexec_b64 s[26:27], s[30:31]
	s_cbranch_execz .LBB57_135
.LBB57_154:
	s_and_b64 vcc, exec, s[0:1]
	s_cbranch_vccnz .LBB57_156
; %bb.155:
	v_lshl_add_u64 v[60:61], v[72:73], 2, v[58:59]
	global_load_dword v60, v[60:61], off
	s_waitcnt vmcnt(0)
	v_mul_f32_e32 v60, s33, v60
	s_branch .LBB57_157
.LBB57_156:
	v_mov_b32_e32 v60, 0
.LBB57_157:
	v_pk_add_f32 v[62:63], v[16:17], v[52:53]
	s_nop 0
	v_min3_f32 v61, v62, v63, v128
	v_pk_add_f32 v[62:63], v[18:19], v[54:55]
	s_nop 0
	v_min_f32_e32 v62, v62, v63
	v_min3_f32 v62, v60, v62, v61
	v_lshl_add_u64 v[60:61], v[72:73], 2, v[56:57]
	global_store_dword v[60:61], v62, off
	s_or_b64 exec, exec, s[26:27]
	s_and_b64 s[30:31], s[12:13], s[18:19]
	s_and_saveexec_b64 s[26:27], s[30:31]
	s_cbranch_execz .LBB57_136
.LBB57_158:
	s_and_b64 vcc, exec, s[0:1]
	s_cbranch_vccnz .LBB57_160
; %bb.159:
	v_lshl_add_u64 v[60:61], v[74:75], 2, v[58:59]
	global_load_dword v60, v[60:61], off
	s_waitcnt vmcnt(0)
	v_mul_f32_e32 v60, s33, v60
	s_branch .LBB57_161
.LBB57_160:
	v_mov_b32_e32 v60, 0
.LBB57_161:
	v_pk_add_f32 v[62:63], v[12:13], v[52:53]
	s_nop 0
	v_min3_f32 v61, v62, v63, v126
	v_pk_add_f32 v[62:63], v[14:15], v[54:55]
	s_nop 0
	v_min_f32_e32 v62, v62, v63
	v_min3_f32 v62, v60, v62, v61
	v_lshl_add_u64 v[60:61], v[74:75], 2, v[56:57]
	global_store_dword v[60:61], v62, off
	s_or_b64 exec, exec, s[26:27]
	s_and_b64 s[30:31], s[14:15], s[18:19]
	s_and_saveexec_b64 s[26:27], s[30:31]
	s_cbranch_execz .LBB57_137
.LBB57_162:
	s_and_b64 vcc, exec, s[0:1]
	s_cbranch_vccnz .LBB57_164
; %bb.163:
	v_lshl_add_u64 v[60:61], v[76:77], 2, v[58:59]
	global_load_dword v60, v[60:61], off
	s_waitcnt vmcnt(0)
	v_mul_f32_e32 v60, s33, v60
	s_branch .LBB57_165
.LBB57_164:
	v_mov_b32_e32 v60, 0
.LBB57_165:
	v_pk_add_f32 v[62:63], v[8:9], v[52:53]
	s_nop 0
	v_min3_f32 v61, v62, v63, v123
	v_pk_add_f32 v[62:63], v[10:11], v[54:55]
	s_nop 0
	v_min_f32_e32 v62, v62, v63
	v_min3_f32 v62, v60, v62, v61
	v_lshl_add_u64 v[60:61], v[76:77], 2, v[56:57]
	global_store_dword v[60:61], v62, off
	s_or_b64 exec, exec, s[26:27]
	s_and_b64 s[26:27], s[16:17], s[18:19]
	s_and_saveexec_b64 s[18:19], s[26:27]
	s_cbranch_execz .LBB57_170
.LBB57_166:
	s_and_b64 vcc, exec, s[0:1]
	s_cbranch_vccnz .LBB57_168
; %bb.167:
	v_lshl_add_u64 v[58:59], v[78:79], 2, v[58:59]
	global_load_dword v58, v[58:59], off
	s_waitcnt vmcnt(0)
	v_mul_f32_e32 v58, s33, v58
	s_branch .LBB57_169
.LBB57_168:
	v_mov_b32_e32 v58, 0
.LBB57_169:
	v_pk_add_f32 v[52:53], v[0:1], v[52:53]
	s_nop 0
	v_min3_f32 v59, v52, v53, v127
	v_pk_add_f32 v[52:53], v[2:3], v[54:55]
	s_nop 0
	v_min_f32_e32 v52, v52, v53
	v_min3_f32 v54, v58, v52, v59
	v_lshl_add_u64 v[52:53], v[78:79], 2, v[56:57]
	global_store_dword v[52:53], v54, off
.LBB57_170:
	s_or_b64 exec, exec, s[18:19]
	v_add_u32_e32 v56, 24, v125
	v_mad_i64_i32 v[52:53], s[26:27], v56, s29, 0
	v_cmp_gt_i32_e64 s[18:19], s21, v56
	v_lshl_add_u64 v[54:55], v[52:53], 2, s[24:25]
	v_mad_i64_i32 v[52:53], s[26:27], v56, s28, 0
	v_lshl_add_u64 v[52:53], v[52:53], 2, s[22:23]
	s_and_b64 s[30:31], s[2:3], s[18:19]
	s_and_saveexec_b64 s[26:27], s[30:31]
	s_cbranch_execnz .LBB57_178
; %bb.171:
	s_or_b64 exec, exec, s[26:27]
	s_and_b64 s[30:31], s[4:5], s[18:19]
	s_and_saveexec_b64 s[26:27], s[30:31]
	s_cbranch_execnz .LBB57_182
.LBB57_172:
	s_or_b64 exec, exec, s[26:27]
	s_and_b64 s[30:31], s[6:7], s[18:19]
	s_and_saveexec_b64 s[26:27], s[30:31]
	s_cbranch_execnz .LBB57_186
.LBB57_173:
	s_or_b64 exec, exec, s[26:27]
	s_and_b64 s[30:31], s[8:9], s[18:19]
	s_and_saveexec_b64 s[26:27], s[30:31]
	s_cbranch_execnz .LBB57_190
.LBB57_174:
	s_or_b64 exec, exec, s[26:27]
	s_and_b64 s[30:31], s[10:11], s[18:19]
	s_and_saveexec_b64 s[26:27], s[30:31]
	s_cbranch_execnz .LBB57_194
.LBB57_175:
	s_or_b64 exec, exec, s[26:27]
	s_and_b64 s[30:31], s[12:13], s[18:19]
	s_and_saveexec_b64 s[26:27], s[30:31]
	s_cbranch_execnz .LBB57_198
.LBB57_176:
	s_or_b64 exec, exec, s[26:27]
	s_and_b64 s[30:31], s[14:15], s[18:19]
	s_and_saveexec_b64 s[26:27], s[30:31]
	s_cbranch_execnz .LBB57_202
.LBB57_177:
	s_or_b64 exec, exec, s[26:27]
	s_and_b64 s[26:27], s[16:17], s[18:19]
	s_and_saveexec_b64 s[18:19], s[26:27]
	s_cbranch_execnz .LBB57_206
	s_branch .LBB57_210
.LBB57_178:
	s_and_b64 vcc, exec, s[0:1]
	s_cbranch_vccnz .LBB57_180
; %bb.179:
	v_lshl_add_u64 v[56:57], v[64:65], 2, v[54:55]
	global_load_dword v56, v[56:57], off
	s_waitcnt vmcnt(0)
	v_mul_f32_e32 v56, s33, v56
	s_branch .LBB57_181
.LBB57_180:
	v_mov_b32_e32 v56, 0
.LBB57_181:
	v_pk_add_f32 v[58:59], v[32:33], v[48:49]
	s_nop 0
	v_min3_f32 v57, v58, v59, v124
	v_pk_add_f32 v[58:59], v[34:35], v[50:51]
	s_nop 0
	v_min_f32_e32 v58, v58, v59
	v_min3_f32 v58, v56, v58, v57
	v_lshl_add_u64 v[56:57], v[64:65], 2, v[52:53]
	global_store_dword v[56:57], v58, off
	s_or_b64 exec, exec, s[26:27]
	s_and_b64 s[30:31], s[4:5], s[18:19]
	s_and_saveexec_b64 s[26:27], s[30:31]
	s_cbranch_execz .LBB57_172
.LBB57_182:
	s_and_b64 vcc, exec, s[0:1]
	s_cbranch_vccnz .LBB57_184
; %bb.183:
	v_lshl_add_u64 v[56:57], v[66:67], 2, v[54:55]
	global_load_dword v56, v[56:57], off
	s_waitcnt vmcnt(0)
	v_mul_f32_e32 v56, s33, v56
	s_branch .LBB57_185
.LBB57_184:
	v_mov_b32_e32 v56, 0
.LBB57_185:
	v_pk_add_f32 v[58:59], v[28:29], v[48:49]
	s_nop 0
	v_min3_f32 v57, v58, v59, v122
	v_pk_add_f32 v[58:59], v[30:31], v[50:51]
	s_nop 0
	v_min_f32_e32 v58, v58, v59
	v_min3_f32 v58, v56, v58, v57
	v_lshl_add_u64 v[56:57], v[66:67], 2, v[52:53]
	global_store_dword v[56:57], v58, off
	s_or_b64 exec, exec, s[26:27]
	s_and_b64 s[30:31], s[6:7], s[18:19]
	s_and_saveexec_b64 s[26:27], s[30:31]
	s_cbranch_execz .LBB57_173
.LBB57_186:
	s_and_b64 vcc, exec, s[0:1]
	s_cbranch_vccnz .LBB57_188
; %bb.187:
	v_lshl_add_u64 v[56:57], v[68:69], 2, v[54:55]
	global_load_dword v56, v[56:57], off
	s_waitcnt vmcnt(0)
	v_mul_f32_e32 v56, s33, v56
	s_branch .LBB57_189
.LBB57_188:
	v_mov_b32_e32 v56, 0
.LBB57_189:
	v_pk_add_f32 v[58:59], v[24:25], v[48:49]
	s_nop 0
	v_min3_f32 v57, v58, v59, v121
	v_pk_add_f32 v[58:59], v[26:27], v[50:51]
	s_nop 0
	v_min_f32_e32 v58, v58, v59
	v_min3_f32 v58, v56, v58, v57
	v_lshl_add_u64 v[56:57], v[68:69], 2, v[52:53]
	global_store_dword v[56:57], v58, off
	s_or_b64 exec, exec, s[26:27]
	s_and_b64 s[30:31], s[8:9], s[18:19]
	s_and_saveexec_b64 s[26:27], s[30:31]
	s_cbranch_execz .LBB57_174
.LBB57_190:
	s_and_b64 vcc, exec, s[0:1]
	s_cbranch_vccnz .LBB57_192
; %bb.191:
	v_lshl_add_u64 v[56:57], v[70:71], 2, v[54:55]
	global_load_dword v56, v[56:57], off
	s_waitcnt vmcnt(0)
	v_mul_f32_e32 v56, s33, v56
	s_branch .LBB57_193
.LBB57_192:
	v_mov_b32_e32 v56, 0
.LBB57_193:
	v_pk_add_f32 v[58:59], v[20:21], v[48:49]
	s_nop 0
	v_min3_f32 v57, v58, v59, v120
	v_pk_add_f32 v[58:59], v[22:23], v[50:51]
	s_nop 0
	v_min_f32_e32 v58, v58, v59
	v_min3_f32 v58, v56, v58, v57
	v_lshl_add_u64 v[56:57], v[70:71], 2, v[52:53]
	global_store_dword v[56:57], v58, off
	s_or_b64 exec, exec, s[26:27]
	s_and_b64 s[30:31], s[10:11], s[18:19]
	s_and_saveexec_b64 s[26:27], s[30:31]
	s_cbranch_execz .LBB57_175
.LBB57_194:
	s_and_b64 vcc, exec, s[0:1]
	s_cbranch_vccnz .LBB57_196
; %bb.195:
	v_lshl_add_u64 v[56:57], v[72:73], 2, v[54:55]
	global_load_dword v56, v[56:57], off
	s_waitcnt vmcnt(0)
	v_mul_f32_e32 v56, s33, v56
	s_branch .LBB57_197
.LBB57_196:
	v_mov_b32_e32 v56, 0
.LBB57_197:
	v_pk_add_f32 v[58:59], v[16:17], v[48:49]
	s_nop 0
	v_min3_f32 v57, v58, v59, v119
	v_pk_add_f32 v[58:59], v[18:19], v[50:51]
	s_nop 0
	v_min_f32_e32 v58, v58, v59
	v_min3_f32 v58, v56, v58, v57
	v_lshl_add_u64 v[56:57], v[72:73], 2, v[52:53]
	global_store_dword v[56:57], v58, off
	s_or_b64 exec, exec, s[26:27]
	s_and_b64 s[30:31], s[12:13], s[18:19]
	s_and_saveexec_b64 s[26:27], s[30:31]
	s_cbranch_execz .LBB57_176
.LBB57_198:
	s_and_b64 vcc, exec, s[0:1]
	s_cbranch_vccnz .LBB57_200
; %bb.199:
	v_lshl_add_u64 v[56:57], v[74:75], 2, v[54:55]
	global_load_dword v56, v[56:57], off
	s_waitcnt vmcnt(0)
	v_mul_f32_e32 v56, s33, v56
	s_branch .LBB57_201
.LBB57_200:
	v_mov_b32_e32 v56, 0
.LBB57_201:
	v_pk_add_f32 v[58:59], v[12:13], v[48:49]
	s_nop 0
	v_min3_f32 v57, v58, v59, v118
	v_pk_add_f32 v[58:59], v[14:15], v[50:51]
	s_nop 0
	v_min_f32_e32 v58, v58, v59
	v_min3_f32 v58, v56, v58, v57
	v_lshl_add_u64 v[56:57], v[74:75], 2, v[52:53]
	global_store_dword v[56:57], v58, off
	s_or_b64 exec, exec, s[26:27]
	s_and_b64 s[30:31], s[14:15], s[18:19]
	s_and_saveexec_b64 s[26:27], s[30:31]
	s_cbranch_execz .LBB57_177
.LBB57_202:
	s_and_b64 vcc, exec, s[0:1]
	s_cbranch_vccnz .LBB57_204
; %bb.203:
	v_lshl_add_u64 v[56:57], v[76:77], 2, v[54:55]
	global_load_dword v56, v[56:57], off
	s_waitcnt vmcnt(0)
	v_mul_f32_e32 v56, s33, v56
	s_branch .LBB57_205
.LBB57_204:
	v_mov_b32_e32 v56, 0
.LBB57_205:
	v_pk_add_f32 v[58:59], v[8:9], v[48:49]
	s_nop 0
	v_min3_f32 v57, v58, v59, v117
	v_pk_add_f32 v[58:59], v[10:11], v[50:51]
	s_nop 0
	v_min_f32_e32 v58, v58, v59
	v_min3_f32 v58, v56, v58, v57
	v_lshl_add_u64 v[56:57], v[76:77], 2, v[52:53]
	global_store_dword v[56:57], v58, off
	s_or_b64 exec, exec, s[26:27]
	s_and_b64 s[26:27], s[16:17], s[18:19]
	s_and_saveexec_b64 s[18:19], s[26:27]
	s_cbranch_execz .LBB57_210
.LBB57_206:
	s_and_b64 vcc, exec, s[0:1]
	s_cbranch_vccnz .LBB57_208
; %bb.207:
	v_lshl_add_u64 v[54:55], v[78:79], 2, v[54:55]
	global_load_dword v54, v[54:55], off
	s_waitcnt vmcnt(0)
	v_mul_f32_e32 v54, s33, v54
	s_branch .LBB57_209
.LBB57_208:
	v_mov_b32_e32 v54, 0
.LBB57_209:
	v_pk_add_f32 v[48:49], v[0:1], v[48:49]
	s_nop 0
	v_min3_f32 v55, v48, v49, v116
	v_pk_add_f32 v[48:49], v[2:3], v[50:51]
	s_nop 0
	v_min_f32_e32 v48, v48, v49
	v_min3_f32 v50, v54, v48, v55
	v_lshl_add_u64 v[48:49], v[78:79], 2, v[52:53]
	global_store_dword v[48:49], v50, off
.LBB57_210:
	s_or_b64 exec, exec, s[18:19]
	v_add_u32_e32 v52, 32, v125
	v_mad_i64_i32 v[48:49], s[26:27], v52, s29, 0
	v_cmp_gt_i32_e64 s[18:19], s21, v52
	v_lshl_add_u64 v[50:51], v[48:49], 2, s[24:25]
	v_mad_i64_i32 v[48:49], s[26:27], v52, s28, 0
	v_lshl_add_u64 v[48:49], v[48:49], 2, s[22:23]
	s_and_b64 s[30:31], s[2:3], s[18:19]
	s_and_saveexec_b64 s[26:27], s[30:31]
	s_cbranch_execnz .LBB57_218
; %bb.211:
	s_or_b64 exec, exec, s[26:27]
	s_and_b64 s[30:31], s[4:5], s[18:19]
	s_and_saveexec_b64 s[26:27], s[30:31]
	s_cbranch_execnz .LBB57_222
.LBB57_212:
	s_or_b64 exec, exec, s[26:27]
	s_and_b64 s[30:31], s[6:7], s[18:19]
	s_and_saveexec_b64 s[26:27], s[30:31]
	s_cbranch_execnz .LBB57_226
.LBB57_213:
	s_or_b64 exec, exec, s[26:27]
	s_and_b64 s[30:31], s[8:9], s[18:19]
	s_and_saveexec_b64 s[26:27], s[30:31]
	s_cbranch_execnz .LBB57_230
.LBB57_214:
	s_or_b64 exec, exec, s[26:27]
	s_and_b64 s[30:31], s[10:11], s[18:19]
	s_and_saveexec_b64 s[26:27], s[30:31]
	s_cbranch_execnz .LBB57_234
.LBB57_215:
	s_or_b64 exec, exec, s[26:27]
	s_and_b64 s[30:31], s[12:13], s[18:19]
	s_and_saveexec_b64 s[26:27], s[30:31]
	s_cbranch_execnz .LBB57_238
.LBB57_216:
	s_or_b64 exec, exec, s[26:27]
	s_and_b64 s[30:31], s[14:15], s[18:19]
	s_and_saveexec_b64 s[26:27], s[30:31]
	s_cbranch_execnz .LBB57_242
.LBB57_217:
	s_or_b64 exec, exec, s[26:27]
	s_and_b64 s[26:27], s[16:17], s[18:19]
	s_and_saveexec_b64 s[18:19], s[26:27]
	s_cbranch_execnz .LBB57_246
	s_branch .LBB57_250
.LBB57_218:
	s_and_b64 vcc, exec, s[0:1]
	s_cbranch_vccnz .LBB57_220
; %bb.219:
	v_lshl_add_u64 v[52:53], v[64:65], 2, v[50:51]
	global_load_dword v52, v[52:53], off
	s_waitcnt vmcnt(0)
	v_mul_f32_e32 v52, s33, v52
	s_branch .LBB57_221
.LBB57_220:
	v_mov_b32_e32 v52, 0
.LBB57_221:
	v_pk_add_f32 v[54:55], v[32:33], v[44:45]
	s_nop 0
	v_min3_f32 v53, v54, v55, v115
	v_pk_add_f32 v[54:55], v[34:35], v[46:47]
	s_nop 0
	v_min_f32_e32 v54, v54, v55
	v_min3_f32 v54, v52, v54, v53
	v_lshl_add_u64 v[52:53], v[64:65], 2, v[48:49]
	global_store_dword v[52:53], v54, off
	s_or_b64 exec, exec, s[26:27]
	s_and_b64 s[30:31], s[4:5], s[18:19]
	s_and_saveexec_b64 s[26:27], s[30:31]
	s_cbranch_execz .LBB57_212
.LBB57_222:
	s_and_b64 vcc, exec, s[0:1]
	s_cbranch_vccnz .LBB57_224
; %bb.223:
	v_lshl_add_u64 v[52:53], v[66:67], 2, v[50:51]
	global_load_dword v52, v[52:53], off
	s_waitcnt vmcnt(0)
	v_mul_f32_e32 v52, s33, v52
	s_branch .LBB57_225
.LBB57_224:
	v_mov_b32_e32 v52, 0
.LBB57_225:
	v_pk_add_f32 v[54:55], v[28:29], v[44:45]
	s_nop 0
	v_min3_f32 v53, v54, v55, v114
	v_pk_add_f32 v[54:55], v[30:31], v[46:47]
	s_nop 0
	v_min_f32_e32 v54, v54, v55
	v_min3_f32 v54, v52, v54, v53
	v_lshl_add_u64 v[52:53], v[66:67], 2, v[48:49]
	global_store_dword v[52:53], v54, off
	s_or_b64 exec, exec, s[26:27]
	s_and_b64 s[30:31], s[6:7], s[18:19]
	s_and_saveexec_b64 s[26:27], s[30:31]
	s_cbranch_execz .LBB57_213
.LBB57_226:
	s_and_b64 vcc, exec, s[0:1]
	s_cbranch_vccnz .LBB57_228
; %bb.227:
	v_lshl_add_u64 v[52:53], v[68:69], 2, v[50:51]
	global_load_dword v52, v[52:53], off
	s_waitcnt vmcnt(0)
	v_mul_f32_e32 v52, s33, v52
	s_branch .LBB57_229
.LBB57_228:
	v_mov_b32_e32 v52, 0
.LBB57_229:
	v_pk_add_f32 v[54:55], v[24:25], v[44:45]
	s_nop 0
	v_min3_f32 v53, v54, v55, v113
	v_pk_add_f32 v[54:55], v[26:27], v[46:47]
	s_nop 0
	v_min_f32_e32 v54, v54, v55
	v_min3_f32 v54, v52, v54, v53
	v_lshl_add_u64 v[52:53], v[68:69], 2, v[48:49]
	global_store_dword v[52:53], v54, off
	s_or_b64 exec, exec, s[26:27]
	s_and_b64 s[30:31], s[8:9], s[18:19]
	s_and_saveexec_b64 s[26:27], s[30:31]
	s_cbranch_execz .LBB57_214
.LBB57_230:
	s_and_b64 vcc, exec, s[0:1]
	s_cbranch_vccnz .LBB57_232
; %bb.231:
	v_lshl_add_u64 v[52:53], v[70:71], 2, v[50:51]
	global_load_dword v52, v[52:53], off
	s_waitcnt vmcnt(0)
	v_mul_f32_e32 v52, s33, v52
	s_branch .LBB57_233
.LBB57_232:
	v_mov_b32_e32 v52, 0
.LBB57_233:
	v_pk_add_f32 v[54:55], v[20:21], v[44:45]
	s_nop 0
	v_min3_f32 v53, v54, v55, v112
	v_pk_add_f32 v[54:55], v[22:23], v[46:47]
	s_nop 0
	v_min_f32_e32 v54, v54, v55
	v_min3_f32 v54, v52, v54, v53
	v_lshl_add_u64 v[52:53], v[70:71], 2, v[48:49]
	global_store_dword v[52:53], v54, off
	s_or_b64 exec, exec, s[26:27]
	s_and_b64 s[30:31], s[10:11], s[18:19]
	s_and_saveexec_b64 s[26:27], s[30:31]
	s_cbranch_execz .LBB57_215
.LBB57_234:
	s_and_b64 vcc, exec, s[0:1]
	s_cbranch_vccnz .LBB57_236
; %bb.235:
	v_lshl_add_u64 v[52:53], v[72:73], 2, v[50:51]
	global_load_dword v52, v[52:53], off
	s_waitcnt vmcnt(0)
	v_mul_f32_e32 v52, s33, v52
	s_branch .LBB57_237
.LBB57_236:
	v_mov_b32_e32 v52, 0
.LBB57_237:
	v_pk_add_f32 v[54:55], v[16:17], v[44:45]
	s_nop 0
	v_min3_f32 v53, v54, v55, v111
	v_pk_add_f32 v[54:55], v[18:19], v[46:47]
	s_nop 0
	v_min_f32_e32 v54, v54, v55
	v_min3_f32 v54, v52, v54, v53
	v_lshl_add_u64 v[52:53], v[72:73], 2, v[48:49]
	global_store_dword v[52:53], v54, off
	s_or_b64 exec, exec, s[26:27]
	s_and_b64 s[30:31], s[12:13], s[18:19]
	s_and_saveexec_b64 s[26:27], s[30:31]
	s_cbranch_execz .LBB57_216
.LBB57_238:
	s_and_b64 vcc, exec, s[0:1]
	s_cbranch_vccnz .LBB57_240
; %bb.239:
	v_lshl_add_u64 v[52:53], v[74:75], 2, v[50:51]
	global_load_dword v52, v[52:53], off
	s_waitcnt vmcnt(0)
	v_mul_f32_e32 v52, s33, v52
	s_branch .LBB57_241
.LBB57_240:
	v_mov_b32_e32 v52, 0
.LBB57_241:
	v_pk_add_f32 v[54:55], v[12:13], v[44:45]
	s_nop 0
	v_min3_f32 v53, v54, v55, v110
	v_pk_add_f32 v[54:55], v[14:15], v[46:47]
	s_nop 0
	v_min_f32_e32 v54, v54, v55
	v_min3_f32 v54, v52, v54, v53
	v_lshl_add_u64 v[52:53], v[74:75], 2, v[48:49]
	global_store_dword v[52:53], v54, off
	s_or_b64 exec, exec, s[26:27]
	s_and_b64 s[30:31], s[14:15], s[18:19]
	s_and_saveexec_b64 s[26:27], s[30:31]
	s_cbranch_execz .LBB57_217
.LBB57_242:
	s_and_b64 vcc, exec, s[0:1]
	s_cbranch_vccnz .LBB57_244
; %bb.243:
	v_lshl_add_u64 v[52:53], v[76:77], 2, v[50:51]
	global_load_dword v52, v[52:53], off
	s_waitcnt vmcnt(0)
	v_mul_f32_e32 v52, s33, v52
	s_branch .LBB57_245
.LBB57_244:
	v_mov_b32_e32 v52, 0
.LBB57_245:
	v_pk_add_f32 v[54:55], v[8:9], v[44:45]
	s_nop 0
	v_min3_f32 v53, v54, v55, v109
	v_pk_add_f32 v[54:55], v[10:11], v[46:47]
	s_nop 0
	v_min_f32_e32 v54, v54, v55
	v_min3_f32 v54, v52, v54, v53
	v_lshl_add_u64 v[52:53], v[76:77], 2, v[48:49]
	global_store_dword v[52:53], v54, off
	s_or_b64 exec, exec, s[26:27]
	s_and_b64 s[26:27], s[16:17], s[18:19]
	s_and_saveexec_b64 s[18:19], s[26:27]
	s_cbranch_execz .LBB57_250
.LBB57_246:
	s_and_b64 vcc, exec, s[0:1]
	s_cbranch_vccnz .LBB57_248
; %bb.247:
	v_lshl_add_u64 v[50:51], v[78:79], 2, v[50:51]
	global_load_dword v50, v[50:51], off
	s_waitcnt vmcnt(0)
	v_mul_f32_e32 v50, s33, v50
	s_branch .LBB57_249
.LBB57_248:
	v_mov_b32_e32 v50, 0
.LBB57_249:
	v_pk_add_f32 v[44:45], v[0:1], v[44:45]
	s_nop 0
	v_min3_f32 v51, v44, v45, v108
	v_pk_add_f32 v[44:45], v[2:3], v[46:47]
	s_nop 0
	v_min_f32_e32 v44, v44, v45
	v_min3_f32 v46, v50, v44, v51
	v_lshl_add_u64 v[44:45], v[78:79], 2, v[48:49]
	global_store_dword v[44:45], v46, off
.LBB57_250:
	s_or_b64 exec, exec, s[18:19]
	v_add_u32_e32 v48, 40, v125
	v_mad_i64_i32 v[44:45], s[26:27], v48, s29, 0
	v_cmp_gt_i32_e64 s[18:19], s21, v48
	v_lshl_add_u64 v[46:47], v[44:45], 2, s[24:25]
	v_mad_i64_i32 v[44:45], s[26:27], v48, s28, 0
	v_lshl_add_u64 v[44:45], v[44:45], 2, s[22:23]
	s_and_b64 s[30:31], s[2:3], s[18:19]
	s_and_saveexec_b64 s[26:27], s[30:31]
	s_cbranch_execnz .LBB57_258
; %bb.251:
	s_or_b64 exec, exec, s[26:27]
	s_and_b64 s[30:31], s[4:5], s[18:19]
	s_and_saveexec_b64 s[26:27], s[30:31]
	s_cbranch_execnz .LBB57_262
.LBB57_252:
	s_or_b64 exec, exec, s[26:27]
	s_and_b64 s[30:31], s[6:7], s[18:19]
	s_and_saveexec_b64 s[26:27], s[30:31]
	s_cbranch_execnz .LBB57_266
.LBB57_253:
	s_or_b64 exec, exec, s[26:27]
	s_and_b64 s[30:31], s[8:9], s[18:19]
	s_and_saveexec_b64 s[26:27], s[30:31]
	s_cbranch_execnz .LBB57_270
.LBB57_254:
	s_or_b64 exec, exec, s[26:27]
	s_and_b64 s[30:31], s[10:11], s[18:19]
	s_and_saveexec_b64 s[26:27], s[30:31]
	s_cbranch_execnz .LBB57_274
.LBB57_255:
	s_or_b64 exec, exec, s[26:27]
	s_and_b64 s[30:31], s[12:13], s[18:19]
	s_and_saveexec_b64 s[26:27], s[30:31]
	s_cbranch_execnz .LBB57_278
.LBB57_256:
	s_or_b64 exec, exec, s[26:27]
	s_and_b64 s[30:31], s[14:15], s[18:19]
	s_and_saveexec_b64 s[26:27], s[30:31]
	s_cbranch_execnz .LBB57_282
.LBB57_257:
	s_or_b64 exec, exec, s[26:27]
	s_and_b64 s[26:27], s[16:17], s[18:19]
	s_and_saveexec_b64 s[18:19], s[26:27]
	s_cbranch_execnz .LBB57_286
	s_branch .LBB57_290
.LBB57_258:
	s_and_b64 vcc, exec, s[0:1]
	s_cbranch_vccnz .LBB57_260
; %bb.259:
	v_lshl_add_u64 v[48:49], v[64:65], 2, v[46:47]
	global_load_dword v48, v[48:49], off
	s_waitcnt vmcnt(0)
	v_mul_f32_e32 v48, s33, v48
	s_branch .LBB57_261
.LBB57_260:
	v_mov_b32_e32 v48, 0
.LBB57_261:
	v_pk_add_f32 v[50:51], v[32:33], v[40:41]
	s_nop 0
	v_min3_f32 v49, v50, v51, v107
	v_pk_add_f32 v[50:51], v[34:35], v[42:43]
	s_nop 0
	v_min_f32_e32 v50, v50, v51
	v_min3_f32 v50, v48, v50, v49
	v_lshl_add_u64 v[48:49], v[64:65], 2, v[44:45]
	global_store_dword v[48:49], v50, off
	s_or_b64 exec, exec, s[26:27]
	s_and_b64 s[30:31], s[4:5], s[18:19]
	s_and_saveexec_b64 s[26:27], s[30:31]
	s_cbranch_execz .LBB57_252
.LBB57_262:
	s_and_b64 vcc, exec, s[0:1]
	s_cbranch_vccnz .LBB57_264
; %bb.263:
	v_lshl_add_u64 v[48:49], v[66:67], 2, v[46:47]
	global_load_dword v48, v[48:49], off
	s_waitcnt vmcnt(0)
	v_mul_f32_e32 v48, s33, v48
	s_branch .LBB57_265
.LBB57_264:
	v_mov_b32_e32 v48, 0
.LBB57_265:
	v_pk_add_f32 v[50:51], v[28:29], v[40:41]
	s_nop 0
	v_min3_f32 v49, v50, v51, v106
	v_pk_add_f32 v[50:51], v[30:31], v[42:43]
	s_nop 0
	v_min_f32_e32 v50, v50, v51
	v_min3_f32 v50, v48, v50, v49
	v_lshl_add_u64 v[48:49], v[66:67], 2, v[44:45]
	global_store_dword v[48:49], v50, off
	s_or_b64 exec, exec, s[26:27]
	s_and_b64 s[30:31], s[6:7], s[18:19]
	s_and_saveexec_b64 s[26:27], s[30:31]
	s_cbranch_execz .LBB57_253
.LBB57_266:
	s_and_b64 vcc, exec, s[0:1]
	s_cbranch_vccnz .LBB57_268
; %bb.267:
	v_lshl_add_u64 v[48:49], v[68:69], 2, v[46:47]
	global_load_dword v48, v[48:49], off
	s_waitcnt vmcnt(0)
	v_mul_f32_e32 v48, s33, v48
	s_branch .LBB57_269
.LBB57_268:
	v_mov_b32_e32 v48, 0
.LBB57_269:
	v_pk_add_f32 v[50:51], v[24:25], v[40:41]
	s_nop 0
	v_min3_f32 v49, v50, v51, v105
	v_pk_add_f32 v[50:51], v[26:27], v[42:43]
	s_nop 0
	v_min_f32_e32 v50, v50, v51
	v_min3_f32 v50, v48, v50, v49
	v_lshl_add_u64 v[48:49], v[68:69], 2, v[44:45]
	global_store_dword v[48:49], v50, off
	s_or_b64 exec, exec, s[26:27]
	s_and_b64 s[30:31], s[8:9], s[18:19]
	s_and_saveexec_b64 s[26:27], s[30:31]
	s_cbranch_execz .LBB57_254
.LBB57_270:
	s_and_b64 vcc, exec, s[0:1]
	s_cbranch_vccnz .LBB57_272
; %bb.271:
	v_lshl_add_u64 v[48:49], v[70:71], 2, v[46:47]
	global_load_dword v48, v[48:49], off
	s_waitcnt vmcnt(0)
	v_mul_f32_e32 v48, s33, v48
	s_branch .LBB57_273
.LBB57_272:
	v_mov_b32_e32 v48, 0
.LBB57_273:
	v_pk_add_f32 v[50:51], v[20:21], v[40:41]
	s_nop 0
	v_min3_f32 v49, v50, v51, v104
	v_pk_add_f32 v[50:51], v[22:23], v[42:43]
	s_nop 0
	v_min_f32_e32 v50, v50, v51
	v_min3_f32 v50, v48, v50, v49
	v_lshl_add_u64 v[48:49], v[70:71], 2, v[44:45]
	global_store_dword v[48:49], v50, off
	s_or_b64 exec, exec, s[26:27]
	s_and_b64 s[30:31], s[10:11], s[18:19]
	s_and_saveexec_b64 s[26:27], s[30:31]
	s_cbranch_execz .LBB57_255
.LBB57_274:
	s_and_b64 vcc, exec, s[0:1]
	s_cbranch_vccnz .LBB57_276
; %bb.275:
	v_lshl_add_u64 v[48:49], v[72:73], 2, v[46:47]
	global_load_dword v48, v[48:49], off
	s_waitcnt vmcnt(0)
	v_mul_f32_e32 v48, s33, v48
	s_branch .LBB57_277
.LBB57_276:
	v_mov_b32_e32 v48, 0
.LBB57_277:
	v_pk_add_f32 v[50:51], v[16:17], v[40:41]
	s_nop 0
	v_min3_f32 v49, v50, v51, v103
	v_pk_add_f32 v[50:51], v[18:19], v[42:43]
	s_nop 0
	v_min_f32_e32 v50, v50, v51
	v_min3_f32 v50, v48, v50, v49
	v_lshl_add_u64 v[48:49], v[72:73], 2, v[44:45]
	global_store_dword v[48:49], v50, off
	s_or_b64 exec, exec, s[26:27]
	s_and_b64 s[30:31], s[12:13], s[18:19]
	s_and_saveexec_b64 s[26:27], s[30:31]
	s_cbranch_execz .LBB57_256
.LBB57_278:
	s_and_b64 vcc, exec, s[0:1]
	s_cbranch_vccnz .LBB57_280
; %bb.279:
	v_lshl_add_u64 v[48:49], v[74:75], 2, v[46:47]
	global_load_dword v48, v[48:49], off
	s_waitcnt vmcnt(0)
	v_mul_f32_e32 v48, s33, v48
	s_branch .LBB57_281
.LBB57_280:
	v_mov_b32_e32 v48, 0
.LBB57_281:
	v_pk_add_f32 v[50:51], v[12:13], v[40:41]
	s_nop 0
	v_min3_f32 v49, v50, v51, v102
	v_pk_add_f32 v[50:51], v[14:15], v[42:43]
	s_nop 0
	v_min_f32_e32 v50, v50, v51
	v_min3_f32 v50, v48, v50, v49
	v_lshl_add_u64 v[48:49], v[74:75], 2, v[44:45]
	global_store_dword v[48:49], v50, off
	s_or_b64 exec, exec, s[26:27]
	s_and_b64 s[30:31], s[14:15], s[18:19]
	s_and_saveexec_b64 s[26:27], s[30:31]
	s_cbranch_execz .LBB57_257
.LBB57_282:
	s_and_b64 vcc, exec, s[0:1]
	s_cbranch_vccnz .LBB57_284
; %bb.283:
	v_lshl_add_u64 v[48:49], v[76:77], 2, v[46:47]
	global_load_dword v48, v[48:49], off
	s_waitcnt vmcnt(0)
	v_mul_f32_e32 v48, s33, v48
	s_branch .LBB57_285
.LBB57_284:
	v_mov_b32_e32 v48, 0
.LBB57_285:
	v_pk_add_f32 v[50:51], v[8:9], v[40:41]
	s_nop 0
	v_min3_f32 v49, v50, v51, v101
	v_pk_add_f32 v[50:51], v[10:11], v[42:43]
	s_nop 0
	v_min_f32_e32 v50, v50, v51
	v_min3_f32 v50, v48, v50, v49
	v_lshl_add_u64 v[48:49], v[76:77], 2, v[44:45]
	global_store_dword v[48:49], v50, off
	s_or_b64 exec, exec, s[26:27]
	s_and_b64 s[26:27], s[16:17], s[18:19]
	s_and_saveexec_b64 s[18:19], s[26:27]
	s_cbranch_execz .LBB57_290
.LBB57_286:
	s_and_b64 vcc, exec, s[0:1]
	s_cbranch_vccnz .LBB57_288
; %bb.287:
	v_lshl_add_u64 v[46:47], v[78:79], 2, v[46:47]
	global_load_dword v46, v[46:47], off
	s_waitcnt vmcnt(0)
	v_mul_f32_e32 v46, s33, v46
	s_branch .LBB57_289
.LBB57_288:
	v_mov_b32_e32 v46, 0
.LBB57_289:
	v_pk_add_f32 v[40:41], v[0:1], v[40:41]
	s_nop 0
	v_min3_f32 v47, v40, v41, v100
	v_pk_add_f32 v[40:41], v[2:3], v[42:43]
	s_nop 0
	v_min_f32_e32 v40, v40, v41
	v_min3_f32 v42, v46, v40, v47
	v_lshl_add_u64 v[40:41], v[78:79], 2, v[44:45]
	global_store_dword v[40:41], v42, off
.LBB57_290:
	s_or_b64 exec, exec, s[18:19]
	v_add_u32_e32 v44, 48, v125
	v_mad_i64_i32 v[40:41], s[26:27], v44, s29, 0
	v_cmp_gt_i32_e64 s[18:19], s21, v44
	v_lshl_add_u64 v[42:43], v[40:41], 2, s[24:25]
	v_mad_i64_i32 v[40:41], s[26:27], v44, s28, 0
	v_lshl_add_u64 v[40:41], v[40:41], 2, s[22:23]
	s_and_b64 s[30:31], s[2:3], s[18:19]
	s_and_saveexec_b64 s[26:27], s[30:31]
	s_cbranch_execnz .LBB57_298
; %bb.291:
	s_or_b64 exec, exec, s[26:27]
	s_and_b64 s[30:31], s[4:5], s[18:19]
	s_and_saveexec_b64 s[26:27], s[30:31]
	s_cbranch_execnz .LBB57_302
.LBB57_292:
	s_or_b64 exec, exec, s[26:27]
	s_and_b64 s[30:31], s[6:7], s[18:19]
	s_and_saveexec_b64 s[26:27], s[30:31]
	s_cbranch_execnz .LBB57_306
.LBB57_293:
	s_or_b64 exec, exec, s[26:27]
	s_and_b64 s[30:31], s[8:9], s[18:19]
	s_and_saveexec_b64 s[26:27], s[30:31]
	s_cbranch_execnz .LBB57_310
.LBB57_294:
	s_or_b64 exec, exec, s[26:27]
	s_and_b64 s[30:31], s[10:11], s[18:19]
	s_and_saveexec_b64 s[26:27], s[30:31]
	s_cbranch_execnz .LBB57_314
.LBB57_295:
	s_or_b64 exec, exec, s[26:27]
	s_and_b64 s[30:31], s[12:13], s[18:19]
	s_and_saveexec_b64 s[26:27], s[30:31]
	s_cbranch_execnz .LBB57_318
.LBB57_296:
	s_or_b64 exec, exec, s[26:27]
	s_and_b64 s[30:31], s[14:15], s[18:19]
	s_and_saveexec_b64 s[26:27], s[30:31]
	s_cbranch_execnz .LBB57_322
.LBB57_297:
	s_or_b64 exec, exec, s[26:27]
	s_and_b64 s[26:27], s[16:17], s[18:19]
	s_and_saveexec_b64 s[18:19], s[26:27]
	s_cbranch_execnz .LBB57_326
	s_branch .LBB57_330
.LBB57_298:
	s_and_b64 vcc, exec, s[0:1]
	s_cbranch_vccnz .LBB57_300
; %bb.299:
	v_lshl_add_u64 v[44:45], v[64:65], 2, v[42:43]
	global_load_dword v44, v[44:45], off
	s_waitcnt vmcnt(0)
	v_mul_f32_e32 v44, s33, v44
	s_branch .LBB57_301
.LBB57_300:
	v_mov_b32_e32 v44, 0
.LBB57_301:
	v_pk_add_f32 v[46:47], v[32:33], v[36:37]
	s_nop 0
	v_min3_f32 v45, v46, v47, v99
	v_pk_add_f32 v[46:47], v[34:35], v[38:39]
	s_nop 0
	v_min_f32_e32 v46, v46, v47
	v_min3_f32 v46, v44, v46, v45
	v_lshl_add_u64 v[44:45], v[64:65], 2, v[40:41]
	global_store_dword v[44:45], v46, off
	s_or_b64 exec, exec, s[26:27]
	s_and_b64 s[30:31], s[4:5], s[18:19]
	s_and_saveexec_b64 s[26:27], s[30:31]
	s_cbranch_execz .LBB57_292
.LBB57_302:
	s_and_b64 vcc, exec, s[0:1]
	s_cbranch_vccnz .LBB57_304
; %bb.303:
	v_lshl_add_u64 v[44:45], v[66:67], 2, v[42:43]
	global_load_dword v44, v[44:45], off
	s_waitcnt vmcnt(0)
	v_mul_f32_e32 v44, s33, v44
	s_branch .LBB57_305
.LBB57_304:
	v_mov_b32_e32 v44, 0
.LBB57_305:
	v_pk_add_f32 v[46:47], v[28:29], v[36:37]
	s_nop 0
	v_min3_f32 v45, v46, v47, v98
	v_pk_add_f32 v[46:47], v[30:31], v[38:39]
	s_nop 0
	v_min_f32_e32 v46, v46, v47
	v_min3_f32 v46, v44, v46, v45
	v_lshl_add_u64 v[44:45], v[66:67], 2, v[40:41]
	global_store_dword v[44:45], v46, off
	s_or_b64 exec, exec, s[26:27]
	s_and_b64 s[30:31], s[6:7], s[18:19]
	s_and_saveexec_b64 s[26:27], s[30:31]
	s_cbranch_execz .LBB57_293
.LBB57_306:
	s_and_b64 vcc, exec, s[0:1]
	s_cbranch_vccnz .LBB57_308
; %bb.307:
	v_lshl_add_u64 v[44:45], v[68:69], 2, v[42:43]
	global_load_dword v44, v[44:45], off
	s_waitcnt vmcnt(0)
	v_mul_f32_e32 v44, s33, v44
	s_branch .LBB57_309
.LBB57_308:
	v_mov_b32_e32 v44, 0
.LBB57_309:
	v_pk_add_f32 v[46:47], v[24:25], v[36:37]
	s_nop 0
	v_min3_f32 v45, v46, v47, v97
	v_pk_add_f32 v[46:47], v[26:27], v[38:39]
	s_nop 0
	v_min_f32_e32 v46, v46, v47
	v_min3_f32 v46, v44, v46, v45
	v_lshl_add_u64 v[44:45], v[68:69], 2, v[40:41]
	global_store_dword v[44:45], v46, off
	s_or_b64 exec, exec, s[26:27]
	s_and_b64 s[30:31], s[8:9], s[18:19]
	s_and_saveexec_b64 s[26:27], s[30:31]
	s_cbranch_execz .LBB57_294
.LBB57_310:
	s_and_b64 vcc, exec, s[0:1]
	s_cbranch_vccnz .LBB57_312
; %bb.311:
	v_lshl_add_u64 v[44:45], v[70:71], 2, v[42:43]
	global_load_dword v44, v[44:45], off
	s_waitcnt vmcnt(0)
	v_mul_f32_e32 v44, s33, v44
	s_branch .LBB57_313
.LBB57_312:
	v_mov_b32_e32 v44, 0
.LBB57_313:
	v_pk_add_f32 v[46:47], v[20:21], v[36:37]
	s_nop 0
	v_min3_f32 v45, v46, v47, v96
	v_pk_add_f32 v[46:47], v[22:23], v[38:39]
	s_nop 0
	v_min_f32_e32 v46, v46, v47
	v_min3_f32 v46, v44, v46, v45
	v_lshl_add_u64 v[44:45], v[70:71], 2, v[40:41]
	global_store_dword v[44:45], v46, off
	s_or_b64 exec, exec, s[26:27]
	s_and_b64 s[30:31], s[10:11], s[18:19]
	s_and_saveexec_b64 s[26:27], s[30:31]
	s_cbranch_execz .LBB57_295
.LBB57_314:
	s_and_b64 vcc, exec, s[0:1]
	s_cbranch_vccnz .LBB57_316
; %bb.315:
	v_lshl_add_u64 v[44:45], v[72:73], 2, v[42:43]
	global_load_dword v44, v[44:45], off
	s_waitcnt vmcnt(0)
	v_mul_f32_e32 v44, s33, v44
	s_branch .LBB57_317
.LBB57_316:
	v_mov_b32_e32 v44, 0
.LBB57_317:
	v_pk_add_f32 v[46:47], v[16:17], v[36:37]
	s_nop 0
	v_min3_f32 v45, v46, v47, v95
	v_pk_add_f32 v[46:47], v[18:19], v[38:39]
	s_nop 0
	v_min_f32_e32 v46, v46, v47
	v_min3_f32 v46, v44, v46, v45
	v_lshl_add_u64 v[44:45], v[72:73], 2, v[40:41]
	global_store_dword v[44:45], v46, off
	s_or_b64 exec, exec, s[26:27]
	s_and_b64 s[30:31], s[12:13], s[18:19]
	s_and_saveexec_b64 s[26:27], s[30:31]
	s_cbranch_execz .LBB57_296
.LBB57_318:
	s_and_b64 vcc, exec, s[0:1]
	s_cbranch_vccnz .LBB57_320
; %bb.319:
	v_lshl_add_u64 v[44:45], v[74:75], 2, v[42:43]
	global_load_dword v44, v[44:45], off
	s_waitcnt vmcnt(0)
	v_mul_f32_e32 v44, s33, v44
	s_branch .LBB57_321
.LBB57_320:
	v_mov_b32_e32 v44, 0
.LBB57_321:
	v_pk_add_f32 v[46:47], v[12:13], v[36:37]
	s_nop 0
	v_min3_f32 v45, v46, v47, v94
	v_pk_add_f32 v[46:47], v[14:15], v[38:39]
	s_nop 0
	v_min_f32_e32 v46, v46, v47
	v_min3_f32 v46, v44, v46, v45
	v_lshl_add_u64 v[44:45], v[74:75], 2, v[40:41]
	global_store_dword v[44:45], v46, off
	s_or_b64 exec, exec, s[26:27]
	s_and_b64 s[30:31], s[14:15], s[18:19]
	s_and_saveexec_b64 s[26:27], s[30:31]
	s_cbranch_execz .LBB57_297
.LBB57_322:
	s_and_b64 vcc, exec, s[0:1]
	s_cbranch_vccnz .LBB57_324
; %bb.323:
	v_lshl_add_u64 v[44:45], v[76:77], 2, v[42:43]
	global_load_dword v44, v[44:45], off
	s_waitcnt vmcnt(0)
	v_mul_f32_e32 v44, s33, v44
	s_branch .LBB57_325
.LBB57_324:
	v_mov_b32_e32 v44, 0
.LBB57_325:
	v_pk_add_f32 v[46:47], v[8:9], v[36:37]
	s_nop 0
	v_min3_f32 v45, v46, v47, v93
	v_pk_add_f32 v[46:47], v[10:11], v[38:39]
	s_nop 0
	v_min_f32_e32 v46, v46, v47
	v_min3_f32 v46, v44, v46, v45
	v_lshl_add_u64 v[44:45], v[76:77], 2, v[40:41]
	global_store_dword v[44:45], v46, off
	s_or_b64 exec, exec, s[26:27]
	s_and_b64 s[26:27], s[16:17], s[18:19]
	s_and_saveexec_b64 s[18:19], s[26:27]
	s_cbranch_execz .LBB57_330
.LBB57_326:
	s_and_b64 vcc, exec, s[0:1]
	s_cbranch_vccnz .LBB57_328
; %bb.327:
	v_lshl_add_u64 v[42:43], v[78:79], 2, v[42:43]
	global_load_dword v42, v[42:43], off
	s_waitcnt vmcnt(0)
	v_mul_f32_e32 v42, s33, v42
	s_branch .LBB57_329
.LBB57_328:
	v_mov_b32_e32 v42, 0
.LBB57_329:
	v_pk_add_f32 v[36:37], v[0:1], v[36:37]
	s_nop 0
	v_min3_f32 v43, v36, v37, v92
	v_pk_add_f32 v[36:37], v[2:3], v[38:39]
	s_nop 0
	v_min_f32_e32 v36, v36, v37
	v_min3_f32 v38, v42, v36, v43
	v_lshl_add_u64 v[36:37], v[78:79], 2, v[40:41]
	global_store_dword v[36:37], v38, off
.LBB57_330:
	s_or_b64 exec, exec, s[18:19]
	v_add_u32_e32 v40, 56, v125
	v_cmp_gt_i32_e64 s[18:19], s21, v40
	v_mad_i64_i32 v[36:37], s[20:21], v40, s29, 0
	v_lshl_add_u64 v[38:39], v[36:37], 2, s[24:25]
	v_mad_i64_i32 v[36:37], s[20:21], v40, s28, 0
	v_lshl_add_u64 v[36:37], v[36:37], 2, s[22:23]
	s_and_b64 s[20:21], s[2:3], s[18:19]
	s_and_saveexec_b64 s[2:3], s[20:21]
	s_cbranch_execnz .LBB57_339
; %bb.331:
	s_or_b64 exec, exec, s[2:3]
	s_and_b64 s[4:5], s[4:5], s[18:19]
	s_and_saveexec_b64 s[2:3], s[4:5]
	s_cbranch_execnz .LBB57_343
.LBB57_332:
	s_or_b64 exec, exec, s[2:3]
	s_and_b64 s[4:5], s[6:7], s[18:19]
	s_and_saveexec_b64 s[2:3], s[4:5]
	s_cbranch_execnz .LBB57_347
.LBB57_333:
	s_or_b64 exec, exec, s[2:3]
	s_and_b64 s[4:5], s[8:9], s[18:19]
	s_and_saveexec_b64 s[2:3], s[4:5]
	s_cbranch_execnz .LBB57_351
.LBB57_334:
	s_or_b64 exec, exec, s[2:3]
	s_and_b64 s[4:5], s[10:11], s[18:19]
	s_and_saveexec_b64 s[2:3], s[4:5]
	s_cbranch_execnz .LBB57_355
.LBB57_335:
	s_or_b64 exec, exec, s[2:3]
	s_and_b64 s[4:5], s[12:13], s[18:19]
	s_and_saveexec_b64 s[2:3], s[4:5]
	s_cbranch_execnz .LBB57_359
.LBB57_336:
	s_or_b64 exec, exec, s[2:3]
	s_and_b64 s[4:5], s[14:15], s[18:19]
	s_and_saveexec_b64 s[2:3], s[4:5]
	s_cbranch_execnz .LBB57_363
.LBB57_337:
	s_or_b64 exec, exec, s[2:3]
	s_and_b64 s[2:3], s[16:17], s[18:19]
	s_and_saveexec_b64 s[4:5], s[2:3]
	s_cbranch_execnz .LBB57_367
.LBB57_338:
	s_endpgm
.LBB57_339:
	s_and_b64 vcc, exec, s[0:1]
	s_cbranch_vccnz .LBB57_341
; %bb.340:
	v_lshl_add_u64 v[40:41], v[64:65], 2, v[38:39]
	global_load_dword v40, v[40:41], off
	s_waitcnt vmcnt(0)
	v_mul_f32_e32 v40, s33, v40
	s_branch .LBB57_342
.LBB57_341:
	v_mov_b32_e32 v40, 0
.LBB57_342:
	v_pk_add_f32 v[32:33], v[32:33], v[4:5]
	s_nop 0
	v_min3_f32 v41, v32, v33, v91
	v_pk_add_f32 v[32:33], v[34:35], v[6:7]
	s_nop 0
	v_min_f32_e32 v32, v32, v33
	v_min3_f32 v34, v40, v32, v41
	v_lshl_add_u64 v[32:33], v[64:65], 2, v[36:37]
	global_store_dword v[32:33], v34, off
	s_or_b64 exec, exec, s[2:3]
	s_and_b64 s[4:5], s[4:5], s[18:19]
	s_and_saveexec_b64 s[2:3], s[4:5]
	s_cbranch_execz .LBB57_332
.LBB57_343:
	s_and_b64 vcc, exec, s[0:1]
	s_cbranch_vccnz .LBB57_345
; %bb.344:
	v_lshl_add_u64 v[32:33], v[66:67], 2, v[38:39]
	global_load_dword v32, v[32:33], off
	s_waitcnt vmcnt(0)
	v_mul_f32_e32 v32, s33, v32
	s_branch .LBB57_346
.LBB57_345:
	v_mov_b32_e32 v32, 0
.LBB57_346:
	v_pk_add_f32 v[28:29], v[28:29], v[4:5]
	s_nop 0
	v_min3_f32 v33, v28, v29, v90
	v_pk_add_f32 v[28:29], v[30:31], v[6:7]
	s_nop 0
	v_min_f32_e32 v28, v28, v29
	v_min3_f32 v30, v32, v28, v33
	v_lshl_add_u64 v[28:29], v[66:67], 2, v[36:37]
	global_store_dword v[28:29], v30, off
	s_or_b64 exec, exec, s[2:3]
	s_and_b64 s[4:5], s[6:7], s[18:19]
	s_and_saveexec_b64 s[2:3], s[4:5]
	s_cbranch_execz .LBB57_333
.LBB57_347:
	s_and_b64 vcc, exec, s[0:1]
	s_cbranch_vccnz .LBB57_349
; %bb.348:
	v_lshl_add_u64 v[28:29], v[68:69], 2, v[38:39]
	global_load_dword v28, v[28:29], off
	s_waitcnt vmcnt(0)
	v_mul_f32_e32 v28, s33, v28
	s_branch .LBB57_350
.LBB57_349:
	v_mov_b32_e32 v28, 0
.LBB57_350:
	v_pk_add_f32 v[24:25], v[24:25], v[4:5]
	s_nop 0
	v_min3_f32 v29, v24, v25, v89
	v_pk_add_f32 v[24:25], v[26:27], v[6:7]
	s_nop 0
	v_min_f32_e32 v24, v24, v25
	v_min3_f32 v26, v28, v24, v29
	v_lshl_add_u64 v[24:25], v[68:69], 2, v[36:37]
	global_store_dword v[24:25], v26, off
	s_or_b64 exec, exec, s[2:3]
	s_and_b64 s[4:5], s[8:9], s[18:19]
	s_and_saveexec_b64 s[2:3], s[4:5]
	s_cbranch_execz .LBB57_334
.LBB57_351:
	s_and_b64 vcc, exec, s[0:1]
	s_cbranch_vccnz .LBB57_353
; %bb.352:
	v_lshl_add_u64 v[24:25], v[70:71], 2, v[38:39]
	global_load_dword v24, v[24:25], off
	s_waitcnt vmcnt(0)
	v_mul_f32_e32 v24, s33, v24
	s_branch .LBB57_354
.LBB57_353:
	v_mov_b32_e32 v24, 0
.LBB57_354:
	v_pk_add_f32 v[20:21], v[20:21], v[4:5]
	s_nop 0
	v_min3_f32 v25, v20, v21, v87
	v_pk_add_f32 v[20:21], v[22:23], v[6:7]
	s_nop 0
	v_min_f32_e32 v20, v20, v21
	v_min3_f32 v22, v24, v20, v25
	v_lshl_add_u64 v[20:21], v[70:71], 2, v[36:37]
	global_store_dword v[20:21], v22, off
	s_or_b64 exec, exec, s[2:3]
	s_and_b64 s[4:5], s[10:11], s[18:19]
	s_and_saveexec_b64 s[2:3], s[4:5]
	s_cbranch_execz .LBB57_335
.LBB57_355:
	s_and_b64 vcc, exec, s[0:1]
	s_cbranch_vccnz .LBB57_357
; %bb.356:
	v_lshl_add_u64 v[20:21], v[72:73], 2, v[38:39]
	global_load_dword v20, v[20:21], off
	s_waitcnt vmcnt(0)
	v_mul_f32_e32 v20, s33, v20
	s_branch .LBB57_358
.LBB57_357:
	v_mov_b32_e32 v20, 0
.LBB57_358:
	v_pk_add_f32 v[16:17], v[16:17], v[4:5]
	s_nop 0
	v_min3_f32 v21, v16, v17, v86
	v_pk_add_f32 v[16:17], v[18:19], v[6:7]
	s_nop 0
	v_min_f32_e32 v16, v16, v17
	v_min3_f32 v18, v20, v16, v21
	v_lshl_add_u64 v[16:17], v[72:73], 2, v[36:37]
	global_store_dword v[16:17], v18, off
	s_or_b64 exec, exec, s[2:3]
	s_and_b64 s[4:5], s[12:13], s[18:19]
	s_and_saveexec_b64 s[2:3], s[4:5]
	s_cbranch_execz .LBB57_336
.LBB57_359:
	s_and_b64 vcc, exec, s[0:1]
	s_cbranch_vccnz .LBB57_361
; %bb.360:
	v_lshl_add_u64 v[16:17], v[74:75], 2, v[38:39]
	global_load_dword v16, v[16:17], off
	s_waitcnt vmcnt(0)
	v_mul_f32_e32 v16, s33, v16
	s_branch .LBB57_362
.LBB57_361:
	v_mov_b32_e32 v16, 0
.LBB57_362:
	v_pk_add_f32 v[12:13], v[12:13], v[4:5]
	s_nop 0
	v_min3_f32 v17, v12, v13, v85
	v_pk_add_f32 v[12:13], v[14:15], v[6:7]
	s_nop 0
	v_min_f32_e32 v12, v12, v13
	v_min3_f32 v14, v16, v12, v17
	v_lshl_add_u64 v[12:13], v[74:75], 2, v[36:37]
	global_store_dword v[12:13], v14, off
	s_or_b64 exec, exec, s[2:3]
	s_and_b64 s[4:5], s[14:15], s[18:19]
	s_and_saveexec_b64 s[2:3], s[4:5]
	s_cbranch_execz .LBB57_337
.LBB57_363:
	s_and_b64 vcc, exec, s[0:1]
	s_cbranch_vccnz .LBB57_365
; %bb.364:
	v_lshl_add_u64 v[12:13], v[76:77], 2, v[38:39]
	global_load_dword v12, v[12:13], off
	s_waitcnt vmcnt(0)
	v_mul_f32_e32 v12, s33, v12
	s_branch .LBB57_366
.LBB57_365:
	v_mov_b32_e32 v12, 0
.LBB57_366:
	v_pk_add_f32 v[8:9], v[8:9], v[4:5]
	s_nop 0
	v_min3_f32 v13, v8, v9, v84
	v_pk_add_f32 v[8:9], v[10:11], v[6:7]
	s_nop 0
	v_min_f32_e32 v8, v8, v9
	v_min3_f32 v10, v12, v8, v13
	v_lshl_add_u64 v[8:9], v[76:77], 2, v[36:37]
	global_store_dword v[8:9], v10, off
	s_or_b64 exec, exec, s[2:3]
	s_and_b64 s[2:3], s[16:17], s[18:19]
	s_and_saveexec_b64 s[4:5], s[2:3]
	s_cbranch_execz .LBB57_338
.LBB57_367:
	s_and_b64 vcc, exec, s[0:1]
	s_cbranch_vccnz .LBB57_369
; %bb.368:
	v_lshl_add_u64 v[8:9], v[78:79], 2, v[38:39]
	global_load_dword v8, v[8:9], off
	s_waitcnt vmcnt(0)
	v_mul_f32_e32 v8, s33, v8
	s_branch .LBB57_370
.LBB57_369:
	v_mov_b32_e32 v8, 0
.LBB57_370:
	v_pk_add_f32 v[0:1], v[0:1], v[4:5]
	s_nop 0
	v_min3_f32 v4, v0, v1, v88
	v_pk_add_f32 v[0:1], v[2:3], v[6:7]
	s_nop 0
	v_min_f32_e32 v0, v0, v1
	v_min3_f32 v2, v8, v0, v4
	v_lshl_add_u64 v[0:1], v[78:79], 2, v[36:37]
	global_store_dword v[0:1], v2, off
	s_endpgm
	.section	.rodata,"a",@progbits
	.p2align	6, 0x0
	.amdhsa_kernel _ZN12_GLOBAL__N_120geam_min_plus_kernelIf15HIP_vector_typeIfLj2EEfLi32ELi8ELi256ELi64ELi4ELi64ELi4ELi4ELi64ELc78ELc78ELb0ELb1ELb1EPKfS3_fEEviiiT16_PT17_ilS7_ilS5_S7_ilPT18_ili26rocblas_geam_ex_operation_
		.amdhsa_group_segment_fixed_size 10240
		.amdhsa_private_segment_fixed_size 0
		.amdhsa_kernarg_size 136
		.amdhsa_user_sgpr_count 2
		.amdhsa_user_sgpr_dispatch_ptr 0
		.amdhsa_user_sgpr_queue_ptr 0
		.amdhsa_user_sgpr_kernarg_segment_ptr 1
		.amdhsa_user_sgpr_dispatch_id 0
		.amdhsa_user_sgpr_kernarg_preload_length 0
		.amdhsa_user_sgpr_kernarg_preload_offset 0
		.amdhsa_user_sgpr_private_segment_size 0
		.amdhsa_uses_dynamic_stack 0
		.amdhsa_enable_private_segment 0
		.amdhsa_system_sgpr_workgroup_id_x 1
		.amdhsa_system_sgpr_workgroup_id_y 0
		.amdhsa_system_sgpr_workgroup_id_z 1
		.amdhsa_system_sgpr_workgroup_info 0
		.amdhsa_system_vgpr_workitem_id 1
		.amdhsa_next_free_vgpr 157
		.amdhsa_next_free_sgpr 42
		.amdhsa_accum_offset 160
		.amdhsa_reserve_vcc 1
		.amdhsa_float_round_mode_32 0
		.amdhsa_float_round_mode_16_64 0
		.amdhsa_float_denorm_mode_32 3
		.amdhsa_float_denorm_mode_16_64 3
		.amdhsa_dx10_clamp 1
		.amdhsa_ieee_mode 1
		.amdhsa_fp16_overflow 0
		.amdhsa_tg_split 0
		.amdhsa_exception_fp_ieee_invalid_op 0
		.amdhsa_exception_fp_denorm_src 0
		.amdhsa_exception_fp_ieee_div_zero 0
		.amdhsa_exception_fp_ieee_overflow 0
		.amdhsa_exception_fp_ieee_underflow 0
		.amdhsa_exception_fp_ieee_inexact 0
		.amdhsa_exception_int_div_zero 0
	.end_amdhsa_kernel
	.section	.text._ZN12_GLOBAL__N_120geam_min_plus_kernelIf15HIP_vector_typeIfLj2EEfLi32ELi8ELi256ELi64ELi4ELi64ELi4ELi4ELi64ELc78ELc78ELb0ELb1ELb1EPKfS3_fEEviiiT16_PT17_ilS7_ilS5_S7_ilPT18_ili26rocblas_geam_ex_operation_,"axG",@progbits,_ZN12_GLOBAL__N_120geam_min_plus_kernelIf15HIP_vector_typeIfLj2EEfLi32ELi8ELi256ELi64ELi4ELi64ELi4ELi4ELi64ELc78ELc78ELb0ELb1ELb1EPKfS3_fEEviiiT16_PT17_ilS7_ilS5_S7_ilPT18_ili26rocblas_geam_ex_operation_,comdat
.Lfunc_end57:
	.size	_ZN12_GLOBAL__N_120geam_min_plus_kernelIf15HIP_vector_typeIfLj2EEfLi32ELi8ELi256ELi64ELi4ELi64ELi4ELi4ELi64ELc78ELc78ELb0ELb1ELb1EPKfS3_fEEviiiT16_PT17_ilS7_ilS5_S7_ilPT18_ili26rocblas_geam_ex_operation_, .Lfunc_end57-_ZN12_GLOBAL__N_120geam_min_plus_kernelIf15HIP_vector_typeIfLj2EEfLi32ELi8ELi256ELi64ELi4ELi64ELi4ELi4ELi64ELc78ELc78ELb0ELb1ELb1EPKfS3_fEEviiiT16_PT17_ilS7_ilS5_S7_ilPT18_ili26rocblas_geam_ex_operation_
                                        ; -- End function
	.set _ZN12_GLOBAL__N_120geam_min_plus_kernelIf15HIP_vector_typeIfLj2EEfLi32ELi8ELi256ELi64ELi4ELi64ELi4ELi4ELi64ELc78ELc78ELb0ELb1ELb1EPKfS3_fEEviiiT16_PT17_ilS7_ilS5_S7_ilPT18_ili26rocblas_geam_ex_operation_.num_vgpr, 157
	.set _ZN12_GLOBAL__N_120geam_min_plus_kernelIf15HIP_vector_typeIfLj2EEfLi32ELi8ELi256ELi64ELi4ELi64ELi4ELi4ELi64ELc78ELc78ELb0ELb1ELb1EPKfS3_fEEviiiT16_PT17_ilS7_ilS5_S7_ilPT18_ili26rocblas_geam_ex_operation_.num_agpr, 0
	.set _ZN12_GLOBAL__N_120geam_min_plus_kernelIf15HIP_vector_typeIfLj2EEfLi32ELi8ELi256ELi64ELi4ELi64ELi4ELi4ELi64ELc78ELc78ELb0ELb1ELb1EPKfS3_fEEviiiT16_PT17_ilS7_ilS5_S7_ilPT18_ili26rocblas_geam_ex_operation_.numbered_sgpr, 42
	.set _ZN12_GLOBAL__N_120geam_min_plus_kernelIf15HIP_vector_typeIfLj2EEfLi32ELi8ELi256ELi64ELi4ELi64ELi4ELi4ELi64ELc78ELc78ELb0ELb1ELb1EPKfS3_fEEviiiT16_PT17_ilS7_ilS5_S7_ilPT18_ili26rocblas_geam_ex_operation_.num_named_barrier, 0
	.set _ZN12_GLOBAL__N_120geam_min_plus_kernelIf15HIP_vector_typeIfLj2EEfLi32ELi8ELi256ELi64ELi4ELi64ELi4ELi4ELi64ELc78ELc78ELb0ELb1ELb1EPKfS3_fEEviiiT16_PT17_ilS7_ilS5_S7_ilPT18_ili26rocblas_geam_ex_operation_.private_seg_size, 0
	.set _ZN12_GLOBAL__N_120geam_min_plus_kernelIf15HIP_vector_typeIfLj2EEfLi32ELi8ELi256ELi64ELi4ELi64ELi4ELi4ELi64ELc78ELc78ELb0ELb1ELb1EPKfS3_fEEviiiT16_PT17_ilS7_ilS5_S7_ilPT18_ili26rocblas_geam_ex_operation_.uses_vcc, 1
	.set _ZN12_GLOBAL__N_120geam_min_plus_kernelIf15HIP_vector_typeIfLj2EEfLi32ELi8ELi256ELi64ELi4ELi64ELi4ELi4ELi64ELc78ELc78ELb0ELb1ELb1EPKfS3_fEEviiiT16_PT17_ilS7_ilS5_S7_ilPT18_ili26rocblas_geam_ex_operation_.uses_flat_scratch, 0
	.set _ZN12_GLOBAL__N_120geam_min_plus_kernelIf15HIP_vector_typeIfLj2EEfLi32ELi8ELi256ELi64ELi4ELi64ELi4ELi4ELi64ELc78ELc78ELb0ELb1ELb1EPKfS3_fEEviiiT16_PT17_ilS7_ilS5_S7_ilPT18_ili26rocblas_geam_ex_operation_.has_dyn_sized_stack, 0
	.set _ZN12_GLOBAL__N_120geam_min_plus_kernelIf15HIP_vector_typeIfLj2EEfLi32ELi8ELi256ELi64ELi4ELi64ELi4ELi4ELi64ELc78ELc78ELb0ELb1ELb1EPKfS3_fEEviiiT16_PT17_ilS7_ilS5_S7_ilPT18_ili26rocblas_geam_ex_operation_.has_recursion, 0
	.set _ZN12_GLOBAL__N_120geam_min_plus_kernelIf15HIP_vector_typeIfLj2EEfLi32ELi8ELi256ELi64ELi4ELi64ELi4ELi4ELi64ELc78ELc78ELb0ELb1ELb1EPKfS3_fEEviiiT16_PT17_ilS7_ilS5_S7_ilPT18_ili26rocblas_geam_ex_operation_.has_indirect_call, 0
	.section	.AMDGPU.csdata,"",@progbits
; Kernel info:
; codeLenInByte = 18624
; TotalNumSgprs: 48
; NumVgprs: 157
; NumAgprs: 0
; TotalNumVgprs: 157
; ScratchSize: 0
; MemoryBound: 0
; FloatMode: 240
; IeeeMode: 1
; LDSByteSize: 10240 bytes/workgroup (compile time only)
; SGPRBlocks: 5
; VGPRBlocks: 19
; NumSGPRsForWavesPerEU: 48
; NumVGPRsForWavesPerEU: 157
; AccumOffset: 160
; Occupancy: 3
; WaveLimiterHint : 0
; COMPUTE_PGM_RSRC2:SCRATCH_EN: 0
; COMPUTE_PGM_RSRC2:USER_SGPR: 2
; COMPUTE_PGM_RSRC2:TRAP_HANDLER: 0
; COMPUTE_PGM_RSRC2:TGID_X_EN: 1
; COMPUTE_PGM_RSRC2:TGID_Y_EN: 0
; COMPUTE_PGM_RSRC2:TGID_Z_EN: 1
; COMPUTE_PGM_RSRC2:TIDIG_COMP_CNT: 1
; COMPUTE_PGM_RSRC3_GFX90A:ACCUM_OFFSET: 39
; COMPUTE_PGM_RSRC3_GFX90A:TG_SPLIT: 0
	.section	.text._ZN12_GLOBAL__N_120geam_min_plus_kernelIf15HIP_vector_typeIfLj2EEfLi32ELi8ELi256ELi64ELi4ELi64ELi4ELi4ELi64ELc78ELc78ELb1ELb1ELb1EfKffEEviiiT16_PT17_ilS6_ilS4_S6_ilPT18_ili26rocblas_geam_ex_operation_,"axG",@progbits,_ZN12_GLOBAL__N_120geam_min_plus_kernelIf15HIP_vector_typeIfLj2EEfLi32ELi8ELi256ELi64ELi4ELi64ELi4ELi4ELi64ELc78ELc78ELb1ELb1ELb1EfKffEEviiiT16_PT17_ilS6_ilS4_S6_ilPT18_ili26rocblas_geam_ex_operation_,comdat
	.globl	_ZN12_GLOBAL__N_120geam_min_plus_kernelIf15HIP_vector_typeIfLj2EEfLi32ELi8ELi256ELi64ELi4ELi64ELi4ELi4ELi64ELc78ELc78ELb1ELb1ELb1EfKffEEviiiT16_PT17_ilS6_ilS4_S6_ilPT18_ili26rocblas_geam_ex_operation_ ; -- Begin function _ZN12_GLOBAL__N_120geam_min_plus_kernelIf15HIP_vector_typeIfLj2EEfLi32ELi8ELi256ELi64ELi4ELi64ELi4ELi4ELi64ELc78ELc78ELb1ELb1ELb1EfKffEEviiiT16_PT17_ilS6_ilS4_S6_ilPT18_ili26rocblas_geam_ex_operation_
	.p2align	8
	.type	_ZN12_GLOBAL__N_120geam_min_plus_kernelIf15HIP_vector_typeIfLj2EEfLi32ELi8ELi256ELi64ELi4ELi64ELi4ELi4ELi64ELc78ELc78ELb1ELb1ELb1EfKffEEviiiT16_PT17_ilS6_ilS4_S6_ilPT18_ili26rocblas_geam_ex_operation_,@function
_ZN12_GLOBAL__N_120geam_min_plus_kernelIf15HIP_vector_typeIfLj2EEfLi32ELi8ELi256ELi64ELi4ELi64ELi4ELi4ELi64ELc78ELc78ELb1ELb1ELb1EfKffEEviiiT16_PT17_ilS6_ilS4_S6_ilPT18_ili26rocblas_geam_ex_operation_: ; @_ZN12_GLOBAL__N_120geam_min_plus_kernelIf15HIP_vector_typeIfLj2EEfLi32ELi8ELi256ELi64ELi4ELi64ELi4ELi4ELi64ELc78ELc78ELb1ELb1ELb1EfKffEEviiiT16_PT17_ilS6_ilS4_S6_ilPT18_ili26rocblas_geam_ex_operation_
; %bb.0:
	s_load_dwordx4 s[20:23], s[0:1], 0x0
	s_load_dwordx4 s[4:7], s[0:1], 0x20
	s_waitcnt lgkmcnt(0)
	v_cmp_eq_f32_e64 s[8:9], s23, 0
	s_and_b64 vcc, exec, s[8:9]
	s_cbranch_vccnz .LBB58_53
; %bb.1:
	s_load_dwordx2 s[10:11], s[0:1], 0x10
	s_mul_i32 s5, s5, s3
	s_mul_hi_u32 s12, s4, s3
	s_add_i32 s5, s12, s5
	s_mul_i32 s4, s4, s3
	s_lshl_b64 s[4:5], s[4:5], 2
	s_waitcnt lgkmcnt(0)
	s_add_u32 s28, s10, s4
	s_addc_u32 s29, s11, s5
	s_andn2_b64 vcc, exec, s[8:9]
	s_mov_b64 s[4:5], -1
	s_cbranch_vccnz .LBB58_3
.LBB58_2:
	s_mov_b64 s[4:5], 0
.LBB58_3:
	s_mov_b64 s[24:25], 0
	s_andn2_b64 vcc, exec, s[4:5]
	s_mov_b64 s[30:31], 0
	s_cbranch_vccnz .LBB58_5
; %bb.4:
	s_load_dwordx2 s[4:5], s[0:1], 0x38
	s_waitcnt lgkmcnt(0)
	s_mul_i32 s5, s5, s3
	s_mul_hi_u32 s8, s4, s3
	s_add_i32 s5, s8, s5
	s_mul_i32 s4, s4, s3
	s_lshl_b64 s[4:5], s[4:5], 2
	s_add_u32 s30, s6, s4
	s_addc_u32 s31, s7, s5
.LBB58_5:
	s_load_dword s33, s[0:1], 0x40
	s_load_dwordx4 s[16:19], s[0:1], 0x58
	s_waitcnt lgkmcnt(0)
	v_cmp_eq_f32_e64 s[4:5], s33, 0
	v_cmp_neq_f32_e64 s[26:27], s33, 0
	s_and_b64 vcc, exec, s[4:5]
	s_cbranch_vccnz .LBB58_7
; %bb.6:
	s_load_dwordx2 s[4:5], s[0:1], 0x48
	s_mul_i32 s6, s17, s3
	s_mul_hi_u32 s7, s16, s3
	s_add_i32 s7, s7, s6
	s_mul_i32 s6, s16, s3
	s_lshl_b64 s[6:7], s[6:7], 2
	s_waitcnt lgkmcnt(0)
	s_add_u32 s24, s4, s6
	s_addc_u32 s25, s5, s7
.LBB58_7:
	s_add_i32 s4, s20, -1
	s_ashr_i32 s5, s4, 31
	s_lshr_b32 s5, s5, 24
	s_add_i32 s4, s4, s5
	s_ashr_i32 s4, s4, 8
	s_add_i32 s5, s4, 1
	v_cvt_f32_u32_e32 v1, s5
	v_and_b32_e32 v74, 0x3ff, v0
	v_bfe_u32 v75, v0, 10, 10
	s_not_b32 s4, s4
	v_rcp_iflag_f32_e32 v1, v1
	s_load_dword s16, s[0:1], 0x18
	v_lshl_add_u32 v7, v75, 5, v74
	v_and_b32_e32 v2, 63, v7
	v_mul_f32_e32 v0, 0x4f7ffffe, v1
	v_cvt_u32_f32_e32 v0, v0
	v_lshrrev_b32_e32 v77, 6, v7
	v_mov_b32_e32 v3, 0x7f7fffff
	v_mov_b32_e32 v4, 0x7f7fffff
	v_readfirstlane_b32 s6, v0
	s_mul_i32 s4, s4, s6
	s_mul_hi_u32 s4, s6, s4
	s_add_i32 s6, s6, s4
	s_mul_hi_u32 s4, s2, s6
	s_mul_i32 s6, s4, s5
	s_sub_i32 s6, s2, s6
	s_add_i32 s7, s4, 1
	s_sub_i32 s8, s6, s5
	s_cmp_ge_u32 s6, s5
	s_cselect_b32 s4, s7, s4
	s_cselect_b32 s6, s8, s6
	s_add_i32 s7, s4, 1
	s_cmp_ge_u32 s6, s5
	s_cselect_b32 s10, s7, s4
	s_mul_i32 s4, s10, s5
	s_sub_i32 s2, s2, s4
	s_lshl_b32 s2, s2, 8
	v_or_b32_e32 v56, s2, v2
	v_cmp_le_i32_e64 s[8:9], s22, v77
	s_waitcnt lgkmcnt(0)
	v_mad_i64_i32 v[0:1], s[4:5], s16, v77, 0
	v_cmp_le_i32_e32 vcc, s20, v56
	v_lshl_add_u64 v[0:1], v[0:1], 2, s[28:29]
	s_nor_b64 s[6:7], vcc, s[8:9]
	v_ashrrev_i32_e32 v57, 31, v56
	s_and_saveexec_b64 s[4:5], s[6:7]
	s_cbranch_execz .LBB58_9
; %bb.8:
	v_lshl_add_u64 v[4:5], v[56:57], 2, v[0:1]
	global_load_dword v4, v[4:5], off
.LBB58_9:
	s_or_b64 exec, exec, s[4:5]
	v_or_b32_e32 v5, 64, v56
	v_cmp_le_i32_e64 s[12:13], s20, v5
	s_nor_b64 s[6:7], s[12:13], s[8:9]
	s_and_saveexec_b64 s[4:5], s[6:7]
	s_cbranch_execz .LBB58_11
; %bb.10:
	v_lshl_add_u64 v[8:9], v[56:57], 2, v[0:1]
	global_load_dword v3, v[8:9], off offset:256
.LBB58_11:
	s_or_b64 exec, exec, s[4:5]
	v_or_b32_e32 v5, 0x80, v56
	v_cmp_le_i32_e64 s[4:5], s20, v5
	s_ashr_i32 s17, s16, 31
	s_nor_b64 s[14:15], s[4:5], s[8:9]
	v_mov_b32_e32 v5, 0x7f7fffff
	v_mov_b32_e32 v6, 0x7f7fffff
	s_and_saveexec_b64 s[6:7], s[14:15]
	s_cbranch_execz .LBB58_13
; %bb.12:
	v_lshl_add_u64 v[8:9], v[56:57], 2, v[0:1]
	global_load_dword v6, v[8:9], off offset:512
.LBB58_13:
	s_or_b64 exec, exec, s[6:7]
	v_or_b32_e32 v8, 0xc0, v56
	v_cmp_le_i32_e64 s[6:7], s20, v8
	s_nor_b64 s[14:15], s[6:7], s[8:9]
	s_and_saveexec_b64 s[8:9], s[14:15]
	s_cbranch_execz .LBB58_15
; %bb.14:
	v_lshl_add_u64 v[0:1], v[56:57], 2, v[0:1]
	global_load_dword v5, v[0:1], off offset:768
.LBB58_15:
	s_or_b64 exec, exec, s[8:9]
	s_load_dword s35, s[0:1], 0x30
	v_lshrrev_b32_e32 v7, 2, v7
	s_lshl_b32 s34, s10, 6
	v_and_b32_e32 v79, 3, v74
	v_add_u32_e32 v60, s34, v7
	v_cmp_gt_i32_e64 s[10:11], s22, v79
	v_cmp_gt_i32_e64 s[14:15], s21, v60
	v_cmp_le_i32_e64 s[8:9], s21, v60
	s_and_b64 s[14:15], s[10:11], s[14:15]
	v_mov_b32_e32 v61, 0x7f7fffff
	v_lshlrev_b32_e32 v58, 2, v79
	v_mov_b32_e32 v8, 0x7f7fffff
	s_and_saveexec_b64 s[10:11], s[14:15]
	s_cbranch_execz .LBB58_17
; %bb.16:
	s_waitcnt lgkmcnt(0)
	v_mad_i64_i32 v[0:1], s[14:15], v60, s35, 0
	v_lshl_add_u64 v[0:1], v[0:1], 2, s[30:31]
	v_mov_b32_e32 v59, 0
	v_lshl_add_u64 v[0:1], v[0:1], 0, v[58:59]
	global_load_dword v8, v[0:1], off
.LBB58_17:
	s_or_b64 exec, exec, s[10:11]
	v_add_u32_e32 v0, 4, v77
	v_cmp_le_i32_e64 s[10:11], s22, v0
	v_mad_i64_i32 v[0:1], s[14:15], s16, v0, 0
	v_lshl_add_u64 v[0:1], v[0:1], 2, s[28:29]
	s_nor_b64 s[36:37], vcc, s[10:11]
	s_and_saveexec_b64 s[14:15], s[36:37]
	s_cbranch_execz .LBB58_19
; %bb.18:
	v_lshl_add_u64 v[10:11], v[56:57], 2, v[0:1]
	global_load_dword v61, v[10:11], off
.LBB58_19:
	s_or_b64 exec, exec, s[14:15]
	s_nor_b64 s[36:37], s[12:13], s[10:11]
	v_mov_b32_e32 v62, 0x7f7fffff
	v_mov_b32_e32 v63, 0x7f7fffff
	s_and_saveexec_b64 s[14:15], s[36:37]
	s_cbranch_execz .LBB58_21
; %bb.20:
	v_lshl_add_u64 v[10:11], v[56:57], 2, v[0:1]
	global_load_dword v63, v[10:11], off offset:256
.LBB58_21:
	s_or_b64 exec, exec, s[14:15]
	s_nor_b64 s[36:37], s[4:5], s[10:11]
	s_and_saveexec_b64 s[14:15], s[36:37]
	s_cbranch_execz .LBB58_23
; %bb.22:
	v_lshl_add_u64 v[10:11], v[56:57], 2, v[0:1]
	global_load_dword v62, v[10:11], off offset:512
.LBB58_23:
	s_or_b64 exec, exec, s[14:15]
	s_nor_b64 s[14:15], s[6:7], s[10:11]
	v_mov_b32_e32 v59, 0x7f7fffff
	v_mov_b32_e32 v64, 0x7f7fffff
	s_and_saveexec_b64 s[10:11], s[14:15]
	s_cbranch_execz .LBB58_25
; %bb.24:
	v_lshl_add_u64 v[0:1], v[56:57], 2, v[0:1]
	global_load_dword v64, v[0:1], off offset:768
.LBB58_25:
	s_or_b64 exec, exec, s[10:11]
	v_or_b32_e32 v0, 4, v79
	v_cmp_gt_i32_e64 s[10:11], s22, v0
	s_xor_b64 s[14:15], s[8:9], -1
	s_and_b64 s[10:11], s[10:11], s[14:15]
	s_and_saveexec_b64 s[8:9], s[10:11]
	s_cbranch_execz .LBB58_27
; %bb.26:
	s_waitcnt lgkmcnt(0)
	v_mad_i64_i32 v[0:1], s[10:11], v60, s35, 0
	v_lshl_add_u64 v[0:1], v[0:1], 2, s[30:31]
	v_mov_b32_e32 v59, 0
	v_lshl_add_u64 v[0:1], v[0:1], 0, v[58:59]
	global_load_dword v59, v[0:1], off offset:16
.LBB58_27:
	s_or_b64 exec, exec, s[8:9]
	v_lshlrev_b32_e32 v0, 4, v2
	v_lshl_add_u32 v80, v77, 2, v0
	v_lshl_or_b32 v65, v7, 4, v58
	v_lshlrev_b32_e32 v78, 4, v74
	s_waitcnt vmcnt(0)
	ds_write2st64_b32 v80, v4, v3 offset1:4
	ds_write2st64_b32 v80, v6, v5 offset0:8 offset1:12
	ds_write_b32 v65, v8 offset:8192
	s_waitcnt lgkmcnt(0)
	s_barrier
	v_lshlrev_b32_e32 v76, 4, v75
	ds_read_b128 v[28:31], v78
	ds_read_b128 v[24:27], v78 offset:512
	ds_read_b128 v[20:23], v78 offset:1024
	ds_read_b128 v[16:19], v78 offset:1536
	ds_read_b128 v[12:15], v78 offset:2048
	ds_read_b128 v[8:11], v78 offset:2560
	ds_read_b128 v[4:7], v78 offset:3072
	ds_read_b128 v[0:3], v78 offset:3584
	ds_read_b128 v[52:55], v76 offset:8192
	ds_read_b128 v[48:51], v76 offset:8320
	ds_read_b128 v[44:47], v76 offset:8448
	ds_read_b128 v[40:43], v76 offset:8576
	ds_read_b128 v[36:39], v76 offset:8704
	ds_read_b128 v[32:35], v76 offset:8832
	s_waitcnt lgkmcnt(5)
	v_pk_add_f32 v[66:67], v[28:29], v[52:53]
	s_mov_b32 s8, 0x7f7fffff
	v_min3_f32 v68, v66, v67, s8
	v_pk_add_f32 v[66:67], v[24:25], v[52:53]
	s_cmp_lt_i32 s22, 9
	v_min3_f32 v69, v66, v67, s8
	v_pk_add_f32 v[66:67], v[20:21], v[52:53]
	s_nop 0
	v_min3_f32 v70, v66, v67, s8
	v_pk_add_f32 v[66:67], v[16:17], v[52:53]
	s_nop 0
	v_min3_f32 v71, v66, v67, s8
	v_pk_add_f32 v[66:67], v[12:13], v[52:53]
	s_nop 0
	v_min3_f32 v72, v66, v67, s8
	v_pk_add_f32 v[66:67], v[8:9], v[52:53]
	s_nop 0
	v_min3_f32 v73, v66, v67, s8
	v_pk_add_f32 v[66:67], v[4:5], v[52:53]
	v_pk_add_f32 v[52:53], v[0:1], v[52:53]
	v_min3_f32 v66, v66, v67, s8
	v_min3_f32 v67, v52, v53, s8
	s_waitcnt lgkmcnt(4)
	v_pk_add_f32 v[52:53], v[28:29], v[48:49]
	s_nop 0
	v_min3_f32 v81, v52, v53, s8
	v_pk_add_f32 v[52:53], v[24:25], v[48:49]
	s_nop 0
	v_min3_f32 v82, v52, v53, s8
	v_pk_add_f32 v[52:53], v[20:21], v[48:49]
	s_nop 0
	v_min3_f32 v83, v52, v53, s8
	v_pk_add_f32 v[52:53], v[16:17], v[48:49]
	s_nop 0
	v_min3_f32 v84, v52, v53, s8
	v_pk_add_f32 v[52:53], v[12:13], v[48:49]
	s_nop 0
	v_min3_f32 v85, v52, v53, s8
	v_pk_add_f32 v[52:53], v[8:9], v[48:49]
	s_nop 0
	v_min3_f32 v86, v52, v53, s8
	v_pk_add_f32 v[52:53], v[4:5], v[48:49]
	v_pk_add_f32 v[48:49], v[0:1], v[48:49]
	v_min3_f32 v52, v52, v53, s8
	v_min3_f32 v87, v48, v49, s8
	s_waitcnt lgkmcnt(3)
	v_pk_add_f32 v[48:49], v[28:29], v[44:45]
	s_nop 0
	v_min3_f32 v88, v48, v49, s8
	v_pk_add_f32 v[48:49], v[24:25], v[44:45]
	s_nop 0
	;; [unrolled: 23-line block ×5, first 2 shown]
	v_min3_f32 v149, v36, v37, s8
	v_pk_add_f32 v[36:37], v[20:21], v[32:33]
	s_nop 0
	v_min3_f32 v150, v36, v37, s8
	v_pk_add_f32 v[36:37], v[16:17], v[32:33]
	s_nop 0
	v_min3_f32 v151, v36, v37, s8
	v_pk_add_f32 v[36:37], v[12:13], v[32:33]
	s_nop 0
	v_min3_f32 v152, v36, v37, s8
	v_pk_add_f32 v[36:37], v[30:31], v[54:55]
	s_nop 0
	v_min3_f32 v148, v36, v37, v68
	v_pk_add_f32 v[36:37], v[26:27], v[54:55]
	s_nop 0
	v_min3_f32 v147, v36, v37, v69
	v_pk_add_f32 v[36:37], v[22:23], v[54:55]
	s_nop 0
	v_min3_f32 v146, v36, v37, v70
	v_pk_add_f32 v[36:37], v[18:19], v[54:55]
	s_nop 0
	v_min3_f32 v145, v36, v37, v71
	v_pk_add_f32 v[36:37], v[14:15], v[54:55]
	s_nop 0
	v_min3_f32 v144, v36, v37, v72
	v_pk_add_f32 v[36:37], v[10:11], v[54:55]
	s_nop 0
	v_min3_f32 v143, v36, v37, v73
	v_pk_add_f32 v[36:37], v[6:7], v[54:55]
	s_nop 0
	v_min3_f32 v142, v36, v37, v66
	v_pk_add_f32 v[36:37], v[8:9], v[32:33]
	s_nop 0
	v_min3_f32 v66, v36, v37, s8
	v_pk_add_f32 v[36:37], v[4:5], v[32:33]
	v_pk_add_f32 v[32:33], v[0:1], v[32:33]
	v_min3_f32 v68, v36, v37, s8
	v_pk_add_f32 v[36:37], v[2:3], v[54:55]
	s_nop 0
	v_min3_f32 v141, v36, v37, v67
	v_pk_add_f32 v[36:37], v[30:31], v[50:51]
	v_min3_f32 v67, v32, v33, s8
	v_min3_f32 v140, v36, v37, v81
	v_pk_add_f32 v[36:37], v[26:27], v[50:51]
	s_nop 0
	v_min3_f32 v139, v36, v37, v82
	v_pk_add_f32 v[36:37], v[22:23], v[50:51]
	s_nop 0
	;; [unrolled: 3-line block ×6, first 2 shown]
	v_min3_f32 v131, v36, v37, v52
	ds_read_b128 v[52:55], v76 offset:8960
	v_pk_add_f32 v[36:37], v[2:3], v[50:51]
	ds_read_b128 v[48:51], v76 offset:9088
	v_min3_f32 v136, v36, v37, v87
	ds_write2st64_b32 v80, v61, v63 offset0:16 offset1:20
	ds_write2st64_b32 v80, v62, v64 offset0:24 offset1:28
	ds_write_b32 v65, v59 offset:9216
	s_waitcnt lgkmcnt(4)
	v_pk_add_f32 v[32:33], v[28:29], v[52:53]
	v_pk_add_f32 v[36:37], v[16:17], v[52:53]
	v_min3_f32 v69, v32, v33, s8
	v_pk_add_f32 v[32:33], v[30:31], v[46:47]
	s_waitcnt lgkmcnt(3)
	v_pk_add_f32 v[16:17], v[16:17], v[48:49]
	v_min3_f32 v134, v32, v33, v88
	v_pk_add_f32 v[32:33], v[26:27], v[46:47]
	v_min3_f32 v16, v16, v17, s8
	v_min3_f32 v132, v32, v33, v89
	v_pk_add_f32 v[32:33], v[22:23], v[46:47]
	v_pk_add_f32 v[28:29], v[28:29], v[48:49]
	v_min3_f32 v130, v32, v33, v90
	v_pk_add_f32 v[32:33], v[18:19], v[46:47]
	s_waitcnt lgkmcnt(0)
	v_min3_f32 v129, v32, v33, v91
	v_pk_add_f32 v[32:33], v[14:15], v[46:47]
	s_barrier
	v_min3_f32 v128, v32, v33, v92
	v_pk_add_f32 v[32:33], v[10:11], v[46:47]
	s_nop 0
	v_min3_f32 v127, v32, v33, v93
	v_pk_add_f32 v[32:33], v[6:7], v[46:47]
	s_nop 0
	v_min3_f32 v126, v32, v33, v94
	v_pk_add_f32 v[32:33], v[24:25], v[52:53]
	v_pk_add_f32 v[24:25], v[24:25], v[48:49]
	v_min3_f32 v70, v32, v33, s8
	v_pk_add_f32 v[32:33], v[20:21], v[52:53]
	v_min3_f32 v24, v24, v25, s8
	v_min3_f32 v71, v32, v33, s8
	v_pk_add_f32 v[32:33], v[2:3], v[46:47]
	v_min3_f32 v46, v36, v37, s8
	v_min3_f32 v125, v32, v33, v95
	v_pk_add_f32 v[32:33], v[30:31], v[42:43]
	v_pk_add_f32 v[36:37], v[12:13], v[52:53]
	v_min3_f32 v124, v32, v33, v96
	v_pk_add_f32 v[32:33], v[26:27], v[42:43]
	v_pk_add_f32 v[12:13], v[12:13], v[48:49]
	v_min3_f32 v122, v32, v33, v97
	v_pk_add_f32 v[32:33], v[22:23], v[42:43]
	v_min3_f32 v17, v12, v13, s8
	v_min3_f32 v121, v32, v33, v98
	v_pk_add_f32 v[32:33], v[18:19], v[42:43]
	v_pk_add_f32 v[12:13], v[30:31], v[54:55]
	v_min3_f32 v120, v32, v33, v99
	v_pk_add_f32 v[32:33], v[14:15], v[42:43]
	v_min3_f32 v99, v12, v13, v69
	v_min3_f32 v119, v32, v33, v100
	v_pk_add_f32 v[32:33], v[10:11], v[42:43]
	v_pk_add_f32 v[12:13], v[26:27], v[54:55]
	v_min3_f32 v118, v32, v33, v101
	v_pk_add_f32 v[32:33], v[6:7], v[42:43]
	v_min3_f32 v98, v12, v13, v70
	v_min3_f32 v117, v32, v33, v44
	v_pk_add_f32 v[32:33], v[8:9], v[52:53]
	v_pk_add_f32 v[12:13], v[22:23], v[54:55]
	v_min3_f32 v44, v32, v33, s8
	v_pk_add_f32 v[32:33], v[4:5], v[52:53]
	v_min3_f32 v97, v12, v13, v71
	v_min3_f32 v72, v32, v33, s8
	v_pk_add_f32 v[32:33], v[2:3], v[42:43]
	v_pk_add_f32 v[12:13], v[18:19], v[54:55]
	v_min3_f32 v116, v32, v33, v45
	v_pk_add_f32 v[32:33], v[30:31], v[38:39]
	v_min3_f32 v47, v36, v37, s8
	v_min3_f32 v115, v32, v33, v102
	v_pk_add_f32 v[32:33], v[26:27], v[38:39]
	v_min3_f32 v96, v12, v13, v46
	v_pk_add_f32 v[12:13], v[14:15], v[54:55]
	;; [unrolled: 2-line block ×5, first 2 shown]
	v_pk_add_f32 v[36:37], v[0:1], v[52:53]
	v_min3_f32 v94, v12, v13, v44
	v_pk_add_f32 v[12:13], v[6:7], v[54:55]
	v_pk_add_f32 v[0:1], v[0:1], v[48:49]
	v_min3_f32 v112, v32, v33, v105
	v_pk_add_f32 v[32:33], v[14:15], v[38:39]
	v_min3_f32 v36, v36, v37, s8
	v_min3_f32 v37, v28, v29, s8
	;; [unrolled: 1-line block ×4, first 2 shown]
	v_pk_add_f32 v[0:1], v[30:31], v[50:51]
	v_min3_f32 v111, v32, v33, v106
	v_pk_add_f32 v[32:33], v[10:11], v[38:39]
	v_pk_add_f32 v[28:29], v[30:31], v[34:35]
	;; [unrolled: 1-line block ×3, first 2 shown]
	v_min3_f32 v91, v0, v1, v37
	v_pk_add_f32 v[0:1], v[26:27], v[50:51]
	v_min3_f32 v110, v32, v33, v107
	v_min3_f32 v107, v28, v29, v123
	v_pk_add_f32 v[28:29], v[26:27], v[34:35]
	v_min3_f32 v25, v20, v21, s8
	;; [unrolled: 3-line block ×3, first 2 shown]
	v_pk_add_f32 v[28:29], v[22:23], v[34:35]
	v_min3_f32 v89, v0, v1, v25
	v_pk_add_f32 v[0:1], v[18:19], v[50:51]
	v_min3_f32 v105, v28, v29, v150
	v_pk_add_f32 v[28:29], v[18:19], v[34:35]
	v_pk_add_f32 v[8:9], v[8:9], v[48:49]
	v_min3_f32 v87, v0, v1, v16
	v_pk_add_f32 v[0:1], v[14:15], v[50:51]
	v_min3_f32 v104, v28, v29, v151
	;; [unrolled: 2-line block ×4, first 2 shown]
	v_pk_add_f32 v[0:1], v[10:11], v[50:51]
	v_pk_add_f32 v[32:33], v[6:7], v[38:39]
	v_min3_f32 v103, v28, v29, v152
	v_pk_add_f32 v[28:29], v[10:11], v[34:35]
	v_min3_f32 v9, v4, v5, s8
	v_min3_f32 v85, v0, v1, v8
	v_pk_add_f32 v[0:1], v[6:7], v[50:51]
	v_min3_f32 v109, v32, v33, v40
	v_pk_add_f32 v[32:33], v[2:3], v[38:39]
	;; [unrolled: 2-line block ×3, first 2 shown]
	v_pk_add_f32 v[20:21], v[2:3], v[34:35]
	v_pk_add_f32 v[4:5], v[2:3], v[54:55]
	v_min3_f32 v84, v0, v1, v9
	v_pk_add_f32 v[0:1], v[2:3], v[50:51]
	v_min3_f32 v108, v32, v33, v41
	v_min3_f32 v101, v28, v29, v68
	;; [unrolled: 1-line block ×5, first 2 shown]
	s_cbranch_scc1 .LBB58_50
; %bb.28:
	v_mov_b32_e32 v0, 0x1000
	v_lshl_add_u32 v149, v74, 4, v0
	v_mov_b32_e32 v0, 0x2400
	v_lshl_add_u32 v150, v75, 4, v0
	v_mad_i64_i32 v[0:1], s[8:9], s35, v60, 0
	v_mov_b32_e32 v59, 0
	v_lshl_add_u64 v[0:1], v[0:1], 2, v[58:59]
	v_lshl_add_u64 v[0:1], s[30:31], 0, v[0:1]
	v_add_u32_e32 v81, 0x2000, v65
	v_add_u32_e32 v123, 0x2400, v65
	v_lshl_add_u64 v[64:65], v[0:1], 0, 32
	v_add_u32_e32 v0, 8, v77
	v_mad_i64_i32 v[0:1], s[8:9], v0, s16, 0
	v_lshl_add_u64 v[68:69], v[0:1], 2, s[28:29]
	v_add_u32_e32 v0, 12, v77
	v_mad_i64_i32 v[0:1], s[8:9], v0, s16, 0
	v_add_u32_e32 v82, 0x2000, v76
	v_add_u32_e32 v83, 0x1000, v80
	s_add_i32 s23, s22, -8
	v_lshlrev_b64 v[66:67], 2, v[56:57]
	s_lshl_b64 s[10:11], s[16:17], 5
	v_lshl_add_u64 v[70:71], v[0:1], 2, s[28:29]
	s_mov_b32 s28, 0
	s_branch .LBB58_30
.LBB58_29:                              ;   in Loop: Header=BB58_30 Depth=1
	s_or_b64 exec, exec, s[8:9]
	v_pk_add_f32 v[72:73], v[28:29], v[60:61]
	s_add_i32 s28, s28, 8
	v_min3_f32 v148, v72, v73, v148
	v_pk_add_f32 v[72:73], v[24:25], v[60:61]
	v_lshl_add_u64 v[64:65], v[64:65], 0, 32
	v_min3_f32 v147, v72, v73, v147
	v_pk_add_f32 v[72:73], v[20:21], v[60:61]
	v_lshl_add_u64 v[68:69], v[68:69], 0, s[10:11]
	v_min3_f32 v146, v72, v73, v146
	v_pk_add_f32 v[72:73], v[16:17], v[60:61]
	s_cmp_ge_i32 s28, s23
	v_min3_f32 v145, v72, v73, v145
	v_pk_add_f32 v[72:73], v[12:13], v[60:61]
	v_lshl_add_u64 v[70:71], v[70:71], 0, s[10:11]
	v_min3_f32 v144, v72, v73, v144
	v_pk_add_f32 v[72:73], v[8:9], v[60:61]
	s_nop 0
	v_min3_f32 v143, v72, v73, v143
	v_pk_add_f32 v[72:73], v[4:5], v[60:61]
	v_pk_add_f32 v[60:61], v[0:1], v[60:61]
	v_min3_f32 v72, v72, v73, v142
	v_min3_f32 v73, v60, v61, v141
	v_pk_add_f32 v[60:61], v[28:29], v[56:57]
	s_nop 0
	v_min3_f32 v140, v60, v61, v140
	v_pk_add_f32 v[60:61], v[24:25], v[56:57]
	s_nop 0
	v_min3_f32 v139, v60, v61, v139
	v_pk_add_f32 v[60:61], v[20:21], v[56:57]
	s_nop 0
	v_min3_f32 v138, v60, v61, v138
	v_pk_add_f32 v[60:61], v[16:17], v[56:57]
	s_nop 0
	v_min3_f32 v137, v60, v61, v137
	v_pk_add_f32 v[60:61], v[12:13], v[56:57]
	s_nop 0
	v_min3_f32 v135, v60, v61, v135
	v_pk_add_f32 v[60:61], v[8:9], v[56:57]
	s_nop 0
	v_min3_f32 v133, v60, v61, v133
	v_pk_add_f32 v[60:61], v[4:5], v[56:57]
	v_pk_add_f32 v[56:57], v[0:1], v[56:57]
	v_min3_f32 v60, v60, v61, v131
	v_min3_f32 v61, v56, v57, v136
	v_pk_add_f32 v[56:57], v[28:29], v[52:53]
	s_nop 0
	v_min3_f32 v131, v56, v57, v134
	v_pk_add_f32 v[56:57], v[24:25], v[52:53]
	s_nop 0
	v_min3_f32 v132, v56, v57, v132
	v_pk_add_f32 v[56:57], v[20:21], v[52:53]
	s_nop 0
	v_min3_f32 v130, v56, v57, v130
	v_pk_add_f32 v[56:57], v[16:17], v[52:53]
	s_nop 0
	v_min3_f32 v129, v56, v57, v129
	v_pk_add_f32 v[56:57], v[12:13], v[52:53]
	s_nop 0
	;; [unrolled: 22-line block ×5, first 2 shown]
	v_min3_f32 v103, v44, v45, v103
	v_pk_add_f32 v[44:45], v[8:9], v[40:41]
	s_nop 0
	v_min3_f32 v102, v44, v45, v102
	v_pk_add_f32 v[44:45], v[4:5], v[40:41]
	v_pk_add_f32 v[40:41], v[0:1], v[40:41]
	v_min3_f32 v44, v44, v45, v101
	v_min3_f32 v45, v40, v41, v100
	v_pk_add_f32 v[40:41], v[28:29], v[36:37]
	v_pk_add_f32 v[28:29], v[28:29], v[32:33]
	v_min3_f32 v99, v40, v41, v99
	v_pk_add_f32 v[40:41], v[24:25], v[36:37]
	v_pk_add_f32 v[24:25], v[24:25], v[32:33]
	;; [unrolled: 3-line block ×7, first 2 shown]
	v_pk_add_f32 v[4:5], v[4:5], v[32:33]
	v_pk_add_f32 v[0:1], v[0:1], v[32:33]
	v_min3_f32 v4, v4, v5, v84
	v_min3_f32 v5, v0, v1, v88
	v_pk_add_f32 v[0:1], v[30:31], v[62:63]
	v_min3_f32 v8, v8, v9, v85
	v_min3_f32 v84, v0, v1, v148
	;; [unrolled: 3-line block ×9, first 2 shown]
	v_pk_add_f32 v[0:1], v[30:31], v[58:59]
	s_nop 0
	v_min3_f32 v92, v0, v1, v140
	v_pk_add_f32 v[0:1], v[26:27], v[58:59]
	s_nop 0
	v_min3_f32 v93, v0, v1, v139
	;; [unrolled: 3-line block ×56, first 2 shown]
	ds_read_b128 v[0:3], v78
	ds_read_b128 v[4:7], v78 offset:512
	ds_read_b128 v[8:11], v78 offset:1024
	;; [unrolled: 1-line block ×7, first 2 shown]
	ds_read_b128 v[36:39], v82
	ds_read_b128 v[40:43], v82 offset:128
	ds_read_b128 v[44:47], v82 offset:256
	;; [unrolled: 1-line block ×7, first 2 shown]
	s_waitcnt lgkmcnt(7)
	v_pk_add_f32 v[72:73], v[0:1], v[36:37]
	s_waitcnt vmcnt(0)
	ds_write2st64_b32 v83, v151, v153 offset1:4
	ds_write2st64_b32 v83, v152, v155 offset0:8 offset1:12
	ds_write_b32 v123, v154
	v_min3_f32 v84, v72, v73, v84
	v_pk_add_f32 v[72:73], v[4:5], v[36:37]
	s_waitcnt lgkmcnt(0)
	v_min3_f32 v85, v72, v73, v85
	v_pk_add_f32 v[72:73], v[8:9], v[36:37]
	s_barrier
	v_min3_f32 v86, v72, v73, v86
	v_pk_add_f32 v[72:73], v[12:13], v[36:37]
	s_nop 0
	v_min3_f32 v87, v72, v73, v87
	v_pk_add_f32 v[72:73], v[16:17], v[36:37]
	s_nop 0
	;; [unrolled: 3-line block ×3, first 2 shown]
	v_min3_f32 v89, v72, v73, v89
	v_pk_add_f32 v[72:73], v[24:25], v[36:37]
	v_pk_add_f32 v[36:37], v[28:29], v[36:37]
	v_min3_f32 v72, v72, v73, v90
	v_min3_f32 v73, v36, v37, v91
	v_pk_add_f32 v[36:37], v[0:1], v[40:41]
	s_nop 0
	v_min3_f32 v90, v36, v37, v92
	v_pk_add_f32 v[36:37], v[4:5], v[40:41]
	s_nop 0
	;; [unrolled: 3-line block ×40, first 2 shown]
	v_min3_f32 v56, v36, v37, v138
	v_pk_add_f32 v[36:37], v[0:1], v[60:61]
	v_pk_add_f32 v[0:1], v[0:1], v[32:33]
	v_min3_f32 v57, v36, v37, v99
	v_pk_add_f32 v[36:37], v[4:5], v[60:61]
	s_nop 0
	v_min3_f32 v98, v36, v37, v98
	v_pk_add_f32 v[36:37], v[8:9], v[60:61]
	s_nop 0
	;; [unrolled: 3-line block ×7, first 2 shown]
	v_min3_f32 v36, v36, v37, v140
	v_min3_f32 v37, v0, v1, v141
	v_pk_add_f32 v[0:1], v[4:5], v[32:33]
	s_nop 0
	v_min3_f32 v4, v0, v1, v142
	v_pk_add_f32 v[0:1], v[8:9], v[32:33]
	s_nop 0
	v_min3_f32 v5, v0, v1, v143
	v_pk_add_f32 v[0:1], v[12:13], v[32:33]
	s_nop 0
	v_min3_f32 v8, v0, v1, v144
	v_pk_add_f32 v[0:1], v[16:17], v[32:33]
	s_nop 0
	v_min3_f32 v9, v0, v1, v145
	v_pk_add_f32 v[0:1], v[20:21], v[32:33]
	s_nop 0
	v_min3_f32 v12, v0, v1, v146
	v_pk_add_f32 v[0:1], v[24:25], v[32:33]
	s_nop 0
	v_min3_f32 v13, v0, v1, v147
	v_pk_add_f32 v[0:1], v[28:29], v[32:33]
	s_nop 0
	v_min3_f32 v16, v0, v1, v148
	v_pk_add_f32 v[0:1], v[2:3], v[38:39]
	s_nop 0
	v_min3_f32 v148, v0, v1, v84
	v_pk_add_f32 v[0:1], v[6:7], v[38:39]
	s_nop 0
	v_min3_f32 v147, v0, v1, v85
	v_pk_add_f32 v[0:1], v[10:11], v[38:39]
	s_nop 0
	v_min3_f32 v146, v0, v1, v86
	v_pk_add_f32 v[0:1], v[14:15], v[38:39]
	s_nop 0
	v_min3_f32 v145, v0, v1, v87
	v_pk_add_f32 v[0:1], v[18:19], v[38:39]
	s_nop 0
	v_min3_f32 v144, v0, v1, v88
	v_pk_add_f32 v[0:1], v[22:23], v[38:39]
	s_nop 0
	v_min3_f32 v143, v0, v1, v89
	v_pk_add_f32 v[0:1], v[26:27], v[38:39]
	s_nop 0
	v_min3_f32 v142, v0, v1, v72
	v_pk_add_f32 v[0:1], v[30:31], v[38:39]
	s_nop 0
	v_min3_f32 v141, v0, v1, v73
	v_pk_add_f32 v[0:1], v[2:3], v[42:43]
	s_nop 0
	v_min3_f32 v140, v0, v1, v90
	v_pk_add_f32 v[0:1], v[6:7], v[42:43]
	s_nop 0
	v_min3_f32 v139, v0, v1, v91
	v_pk_add_f32 v[0:1], v[10:11], v[42:43]
	s_nop 0
	v_min3_f32 v138, v0, v1, v92
	v_pk_add_f32 v[0:1], v[14:15], v[42:43]
	s_nop 0
	v_min3_f32 v137, v0, v1, v93
	v_pk_add_f32 v[0:1], v[18:19], v[42:43]
	s_nop 0
	v_min3_f32 v135, v0, v1, v100
	v_pk_add_f32 v[0:1], v[22:23], v[42:43]
	s_nop 0
	v_min3_f32 v133, v0, v1, v101
	v_pk_add_f32 v[0:1], v[26:27], v[42:43]
	s_nop 0
	v_min3_f32 v131, v0, v1, v108
	v_pk_add_f32 v[0:1], v[30:31], v[42:43]
	s_nop 0
	v_min3_f32 v136, v0, v1, v40
	v_pk_add_f32 v[0:1], v[2:3], v[46:47]
	s_nop 0
	v_min3_f32 v134, v0, v1, v41
	v_pk_add_f32 v[0:1], v[6:7], v[46:47]
	s_nop 0
	v_min3_f32 v132, v0, v1, v109
	v_pk_add_f32 v[0:1], v[10:11], v[46:47]
	s_nop 0
	v_min3_f32 v130, v0, v1, v116
	v_pk_add_f32 v[0:1], v[14:15], v[46:47]
	s_nop 0
	v_min3_f32 v129, v0, v1, v117
	v_pk_add_f32 v[0:1], v[18:19], v[46:47]
	s_nop 0
	v_min3_f32 v128, v0, v1, v125
	v_pk_add_f32 v[0:1], v[22:23], v[46:47]
	s_nop 0
	v_min3_f32 v127, v0, v1, v126
	v_pk_add_f32 v[0:1], v[26:27], v[46:47]
	s_nop 0
	v_min3_f32 v126, v0, v1, v156
	v_pk_add_f32 v[0:1], v[30:31], v[46:47]
	s_nop 0
	v_min3_f32 v125, v0, v1, v44
	v_pk_add_f32 v[0:1], v[2:3], v[50:51]
	s_nop 0
	v_min3_f32 v124, v0, v1, v45
	v_pk_add_f32 v[0:1], v[6:7], v[50:51]
	s_nop 0
	v_min3_f32 v122, v0, v1, v122
	v_pk_add_f32 v[0:1], v[10:11], v[50:51]
	s_nop 0
	v_min3_f32 v121, v0, v1, v121
	v_pk_add_f32 v[0:1], v[14:15], v[50:51]
	s_nop 0
	v_min3_f32 v120, v0, v1, v120
	v_pk_add_f32 v[0:1], v[18:19], v[50:51]
	s_nop 0
	v_min3_f32 v119, v0, v1, v119
	v_pk_add_f32 v[0:1], v[22:23], v[50:51]
	s_nop 0
	v_min3_f32 v118, v0, v1, v118
	v_pk_add_f32 v[0:1], v[26:27], v[50:51]
	s_nop 0
	v_min3_f32 v117, v0, v1, v157
	v_pk_add_f32 v[0:1], v[30:31], v[50:51]
	s_nop 0
	v_min3_f32 v116, v0, v1, v48
	v_pk_add_f32 v[0:1], v[2:3], v[54:55]
	s_nop 0
	v_min3_f32 v115, v0, v1, v49
	v_pk_add_f32 v[0:1], v[6:7], v[54:55]
	s_nop 0
	v_min3_f32 v114, v0, v1, v114
	v_pk_add_f32 v[0:1], v[10:11], v[54:55]
	s_nop 0
	v_min3_f32 v113, v0, v1, v113
	v_pk_add_f32 v[0:1], v[14:15], v[54:55]
	s_nop 0
	v_min3_f32 v112, v0, v1, v112
	v_pk_add_f32 v[0:1], v[18:19], v[54:55]
	s_nop 0
	v_min3_f32 v111, v0, v1, v111
	v_pk_add_f32 v[0:1], v[22:23], v[54:55]
	s_nop 0
	v_min3_f32 v110, v0, v1, v110
	v_pk_add_f32 v[0:1], v[26:27], v[54:55]
	s_nop 0
	v_min3_f32 v109, v0, v1, v158
	v_pk_add_f32 v[0:1], v[30:31], v[54:55]
	s_nop 0
	v_min3_f32 v108, v0, v1, v52
	v_pk_add_f32 v[0:1], v[2:3], v[58:59]
	s_nop 0
	v_min3_f32 v107, v0, v1, v53
	v_pk_add_f32 v[0:1], v[6:7], v[58:59]
	s_nop 0
	v_min3_f32 v106, v0, v1, v106
	v_pk_add_f32 v[0:1], v[10:11], v[58:59]
	s_nop 0
	v_min3_f32 v105, v0, v1, v105
	v_pk_add_f32 v[0:1], v[14:15], v[58:59]
	s_nop 0
	v_min3_f32 v104, v0, v1, v104
	v_pk_add_f32 v[0:1], v[18:19], v[58:59]
	s_nop 0
	v_min3_f32 v103, v0, v1, v103
	v_pk_add_f32 v[0:1], v[22:23], v[58:59]
	s_nop 0
	v_min3_f32 v102, v0, v1, v102
	v_pk_add_f32 v[0:1], v[26:27], v[58:59]
	s_nop 0
	v_min3_f32 v101, v0, v1, v159
	v_pk_add_f32 v[0:1], v[30:31], v[58:59]
	s_nop 0
	v_min3_f32 v100, v0, v1, v56
	v_pk_add_f32 v[0:1], v[2:3], v[62:63]
	s_nop 0
	v_min3_f32 v99, v0, v1, v57
	v_pk_add_f32 v[0:1], v[6:7], v[62:63]
	s_nop 0
	v_min3_f32 v98, v0, v1, v98
	v_pk_add_f32 v[0:1], v[10:11], v[62:63]
	s_nop 0
	v_min3_f32 v97, v0, v1, v97
	v_pk_add_f32 v[0:1], v[14:15], v[62:63]
	s_nop 0
	v_min3_f32 v96, v0, v1, v96
	v_pk_add_f32 v[0:1], v[18:19], v[62:63]
	s_nop 0
	v_min3_f32 v95, v0, v1, v95
	v_pk_add_f32 v[0:1], v[22:23], v[62:63]
	s_nop 0
	v_min3_f32 v94, v0, v1, v94
	v_pk_add_f32 v[0:1], v[26:27], v[62:63]
	s_nop 0
	v_min3_f32 v93, v0, v1, v160
	v_pk_add_f32 v[0:1], v[30:31], v[62:63]
	s_nop 0
	v_min3_f32 v92, v0, v1, v36
	v_pk_add_f32 v[0:1], v[2:3], v[34:35]
	s_nop 0
	v_min3_f32 v91, v0, v1, v37
	v_pk_add_f32 v[0:1], v[6:7], v[34:35]
	s_nop 0
	v_min3_f32 v90, v0, v1, v4
	v_pk_add_f32 v[0:1], v[10:11], v[34:35]
	s_nop 0
	v_min3_f32 v89, v0, v1, v5
	v_pk_add_f32 v[0:1], v[14:15], v[34:35]
	s_nop 0
	v_min3_f32 v87, v0, v1, v8
	v_pk_add_f32 v[0:1], v[18:19], v[34:35]
	s_nop 0
	v_min3_f32 v86, v0, v1, v9
	v_pk_add_f32 v[0:1], v[22:23], v[34:35]
	s_nop 0
	v_min3_f32 v85, v0, v1, v12
	v_pk_add_f32 v[0:1], v[26:27], v[34:35]
	s_nop 0
	v_min3_f32 v84, v0, v1, v13
	v_pk_add_f32 v[0:1], v[30:31], v[34:35]
	s_nop 0
	v_min3_f32 v88, v0, v1, v16
	s_cbranch_scc1 .LBB58_50
.LBB58_30:                              ; =>This Inner Loop Header: Depth=1
	v_add_u32_e32 v72, s28, v77
	v_add_u32_e32 v0, 8, v72
	v_cmp_le_i32_e64 s[8:9], s22, v0
	s_nor_b64 s[30:31], vcc, s[8:9]
	v_mov_b32_e32 v73, 0x7f7fffff
	v_lshl_add_u64 v[0:1], v[68:69], 0, v[66:67]
	v_mov_b32_e32 v152, 0x7f7fffff
	s_and_saveexec_b64 s[16:17], s[30:31]
	s_cbranch_execz .LBB58_32
; %bb.31:                               ;   in Loop: Header=BB58_30 Depth=1
	global_load_dword v152, v[0:1], off
.LBB58_32:                              ;   in Loop: Header=BB58_30 Depth=1
	s_or_b64 exec, exec, s[16:17]
	s_nor_b64 s[30:31], s[12:13], s[8:9]
	s_and_saveexec_b64 s[16:17], s[30:31]
	s_cbranch_execz .LBB58_34
; %bb.33:                               ;   in Loop: Header=BB58_30 Depth=1
	global_load_dword v73, v[0:1], off offset:256
.LBB58_34:                              ;   in Loop: Header=BB58_30 Depth=1
	s_or_b64 exec, exec, s[16:17]
	s_nor_b64 s[30:31], s[4:5], s[8:9]
	v_mov_b32_e32 v153, 0x7f7fffff
	v_mov_b32_e32 v154, 0x7f7fffff
	s_and_saveexec_b64 s[16:17], s[30:31]
	s_cbranch_execz .LBB58_36
; %bb.35:                               ;   in Loop: Header=BB58_30 Depth=1
	global_load_dword v154, v[0:1], off offset:512
.LBB58_36:                              ;   in Loop: Header=BB58_30 Depth=1
	s_or_b64 exec, exec, s[16:17]
	s_nor_b64 s[16:17], s[6:7], s[8:9]
	s_and_saveexec_b64 s[8:9], s[16:17]
	s_cbranch_execz .LBB58_38
; %bb.37:                               ;   in Loop: Header=BB58_30 Depth=1
	global_load_dword v153, v[0:1], off offset:768
.LBB58_38:                              ;   in Loop: Header=BB58_30 Depth=1
	s_or_b64 exec, exec, s[8:9]
	v_add_u32_e32 v156, s28, v79
	v_add_u32_e32 v0, 8, v156
	v_cmp_gt_i32_e64 s[8:9], s22, v0
	s_and_b64 s[16:17], s[8:9], s[14:15]
	v_mov_b32_e32 v151, 0x7f7fffff
	v_mov_b32_e32 v155, 0x7f7fffff
	s_and_saveexec_b64 s[8:9], s[16:17]
	s_cbranch_execz .LBB58_40
; %bb.39:                               ;   in Loop: Header=BB58_30 Depth=1
	global_load_dword v155, v[64:65], off
.LBB58_40:                              ;   in Loop: Header=BB58_30 Depth=1
	s_or_b64 exec, exec, s[8:9]
	ds_read_b128 v[28:31], v149
	ds_read_b128 v[24:27], v149 offset:512
	ds_read_b128 v[20:23], v149 offset:1024
	;; [unrolled: 1-line block ×7, first 2 shown]
	ds_read_b128 v[60:63], v150
	ds_read_b128 v[56:59], v150 offset:128
	ds_read_b128 v[52:55], v150 offset:256
	;; [unrolled: 1-line block ×7, first 2 shown]
	v_add_u32_e32 v72, 12, v72
	v_cmp_le_i32_e64 s[8:9], s22, v72
	s_waitcnt vmcnt(0)
	ds_write2st64_b32 v80, v152, v73 offset1:4
	ds_write2st64_b32 v80, v154, v153 offset0:8 offset1:12
	ds_write_b32 v81, v155
	s_nor_b64 s[30:31], vcc, s[8:9]
	v_lshl_add_u64 v[72:73], v[70:71], 0, v[66:67]
	s_waitcnt lgkmcnt(0)
	s_barrier
	s_and_saveexec_b64 s[16:17], s[30:31]
	s_cbranch_execz .LBB58_42
; %bb.41:                               ;   in Loop: Header=BB58_30 Depth=1
	global_load_dword v151, v[72:73], off
.LBB58_42:                              ;   in Loop: Header=BB58_30 Depth=1
	s_or_b64 exec, exec, s[16:17]
	s_nor_b64 s[30:31], s[12:13], s[8:9]
	v_mov_b32_e32 v152, 0x7f7fffff
	v_mov_b32_e32 v153, 0x7f7fffff
	s_and_saveexec_b64 s[16:17], s[30:31]
	s_cbranch_execz .LBB58_44
; %bb.43:                               ;   in Loop: Header=BB58_30 Depth=1
	global_load_dword v153, v[72:73], off offset:256
.LBB58_44:                              ;   in Loop: Header=BB58_30 Depth=1
	s_or_b64 exec, exec, s[16:17]
	s_nor_b64 s[30:31], s[4:5], s[8:9]
	s_and_saveexec_b64 s[16:17], s[30:31]
	s_cbranch_execz .LBB58_46
; %bb.45:                               ;   in Loop: Header=BB58_30 Depth=1
	global_load_dword v152, v[72:73], off offset:512
.LBB58_46:                              ;   in Loop: Header=BB58_30 Depth=1
	s_or_b64 exec, exec, s[16:17]
	s_nor_b64 s[16:17], s[6:7], s[8:9]
	v_mov_b32_e32 v154, 0x7f7fffff
	v_mov_b32_e32 v155, 0x7f7fffff
	s_and_saveexec_b64 s[8:9], s[16:17]
	s_cbranch_execz .LBB58_48
; %bb.47:                               ;   in Loop: Header=BB58_30 Depth=1
	global_load_dword v155, v[72:73], off offset:768
.LBB58_48:                              ;   in Loop: Header=BB58_30 Depth=1
	s_or_b64 exec, exec, s[8:9]
	v_add_u32_e32 v72, 12, v156
	v_cmp_gt_i32_e64 s[8:9], s22, v72
	s_and_b64 s[16:17], s[8:9], s[14:15]
	s_and_saveexec_b64 s[8:9], s[16:17]
	s_cbranch_execz .LBB58_29
; %bb.49:                               ;   in Loop: Header=BB58_30 Depth=1
	global_load_dword v154, v[64:65], off offset:16
	s_branch .LBB58_29
.LBB58_50:
	s_load_dwordx2 s[4:5], s[0:1], 0x70
	s_load_dword s29, s[0:1], 0x50
	s_load_dword s28, s[0:1], 0x68
	ds_read_b128 v[32:35], v78 offset:4096
	ds_read_b128 v[28:31], v78 offset:4608
	;; [unrolled: 1-line block ×16, first 2 shown]
	v_add_u32_e32 v123, s34, v75
	s_waitcnt lgkmcnt(0)
	s_mul_i32 s1, s5, s3
	s_mul_hi_u32 s5, s4, s3
	s_mul_i32 s0, s4, s3
	s_add_i32 s1, s5, s1
	s_lshl_b64 s[0:1], s[0:1], 2
	s_add_u32 s22, s18, s0
	s_addc_u32 s23, s19, s1
	v_mad_i64_i32 v[66:67], s[0:1], v123, s29, 0
	v_add_u32_e32 v64, s2, v74
	v_lshl_add_u64 v[82:83], v[66:67], 2, s[24:25]
	v_mad_i64_i32 v[66:67], s[0:1], v123, s28, 0
	v_cmp_gt_i32_e64 s[18:19], s21, v123
	v_lshl_add_u64 v[80:81], v[66:67], 2, s[22:23]
	v_cmp_gt_i32_e64 s[2:3], s20, v64
	v_cndmask_b32_e64 v66, 0, 1, s[26:27]
	s_and_b64 s[6:7], s[2:3], s[18:19]
	v_ashrrev_i32_e32 v65, 31, v64
	v_cmp_ne_u32_e64 s[0:1], 1, v66
	s_and_saveexec_b64 s[4:5], s[6:7]
	s_cbranch_execz .LBB58_56
; %bb.51:
	s_and_b64 vcc, exec, s[0:1]
	s_cbranch_vccnz .LBB58_54
; %bb.52:
	v_lshl_add_u64 v[66:67], v[64:65], 2, v[82:83]
	global_load_dword v66, v[66:67], off
	s_waitcnt vmcnt(0)
	v_mul_f32_e32 v66, s33, v66
	s_branch .LBB58_55
.LBB58_53:
	s_mov_b64 s[28:29], 0
	s_andn2_b64 vcc, exec, s[8:9]
	s_mov_b64 s[4:5], -1
	s_cbranch_vccz .LBB58_2
	s_branch .LBB58_3
.LBB58_54:
	v_mov_b32_e32 v66, 0
.LBB58_55:
	v_pk_add_f32 v[68:69], v[32:33], v[60:61]
	s_nop 0
	v_min3_f32 v67, v68, v69, v148
	v_pk_add_f32 v[68:69], v[34:35], v[62:63]
	s_nop 0
	v_min_f32_e32 v68, v68, v69
	v_min3_f32 v68, v66, v68, v67
	v_lshl_add_u64 v[66:67], v[64:65], 2, v[80:81]
	global_store_dword v[66:67], v68, off
.LBB58_56:
	s_or_b64 exec, exec, s[4:5]
	v_add_u32_e32 v66, 32, v64
	v_cmp_gt_i32_e64 s[4:5], s20, v66
	s_and_b64 s[8:9], s[4:5], s[18:19]
	v_ashrrev_i32_e32 v67, 31, v66
	s_and_saveexec_b64 s[6:7], s[8:9]
	s_cbranch_execz .LBB58_61
; %bb.57:
	s_and_b64 vcc, exec, s[0:1]
	s_cbranch_vccnz .LBB58_59
; %bb.58:
	v_lshl_add_u64 v[68:69], v[66:67], 2, v[82:83]
	global_load_dword v68, v[68:69], off
	s_waitcnt vmcnt(0)
	v_mul_f32_e32 v68, s33, v68
	s_branch .LBB58_60
.LBB58_59:
	v_mov_b32_e32 v68, 0
.LBB58_60:
	v_pk_add_f32 v[70:71], v[28:29], v[60:61]
	s_nop 0
	v_min3_f32 v69, v70, v71, v147
	v_pk_add_f32 v[70:71], v[30:31], v[62:63]
	s_nop 0
	v_min_f32_e32 v70, v70, v71
	v_min3_f32 v70, v68, v70, v69
	v_lshl_add_u64 v[68:69], v[66:67], 2, v[80:81]
	global_store_dword v[68:69], v70, off
.LBB58_61:
	s_or_b64 exec, exec, s[6:7]
	v_add_u32_e32 v68, 64, v64
	v_cmp_gt_i32_e64 s[6:7], s20, v68
	s_and_b64 s[10:11], s[6:7], s[18:19]
	v_ashrrev_i32_e32 v69, 31, v68
	s_and_saveexec_b64 s[8:9], s[10:11]
	s_cbranch_execz .LBB58_66
; %bb.62:
	s_and_b64 vcc, exec, s[0:1]
	s_cbranch_vccnz .LBB58_64
; %bb.63:
	v_lshl_add_u64 v[70:71], v[68:69], 2, v[82:83]
	global_load_dword v70, v[70:71], off
	s_waitcnt vmcnt(0)
	v_mul_f32_e32 v70, s33, v70
	s_branch .LBB58_65
.LBB58_64:
	v_mov_b32_e32 v70, 0
.LBB58_65:
	v_pk_add_f32 v[72:73], v[24:25], v[60:61]
	s_nop 0
	v_min3_f32 v71, v72, v73, v146
	v_pk_add_f32 v[72:73], v[26:27], v[62:63]
	s_nop 0
	v_min_f32_e32 v72, v72, v73
	v_min3_f32 v72, v70, v72, v71
	v_lshl_add_u64 v[70:71], v[68:69], 2, v[80:81]
	global_store_dword v[70:71], v72, off
.LBB58_66:
	;; [unrolled: 29-line block ×7, first 2 shown]
	s_or_b64 exec, exec, s[18:19]
	v_add_u32_e32 v80, 8, v123
	v_mad_i64_i32 v[60:61], s[26:27], v80, s29, 0
	v_cmp_gt_i32_e64 s[18:19], s21, v80
	v_lshl_add_u64 v[62:63], v[60:61], 2, s[24:25]
	v_mad_i64_i32 v[60:61], s[26:27], v80, s28, 0
	v_lshl_add_u64 v[60:61], v[60:61], 2, s[22:23]
	s_and_b64 s[30:31], s[2:3], s[18:19]
	s_and_saveexec_b64 s[26:27], s[30:31]
	s_cbranch_execnz .LBB58_99
; %bb.92:
	s_or_b64 exec, exec, s[26:27]
	s_and_b64 s[30:31], s[4:5], s[18:19]
	s_and_saveexec_b64 s[26:27], s[30:31]
	s_cbranch_execnz .LBB58_103
.LBB58_93:
	s_or_b64 exec, exec, s[26:27]
	s_and_b64 s[30:31], s[6:7], s[18:19]
	s_and_saveexec_b64 s[26:27], s[30:31]
	s_cbranch_execnz .LBB58_107
.LBB58_94:
	s_or_b64 exec, exec, s[26:27]
	s_and_b64 s[30:31], s[8:9], s[18:19]
	s_and_saveexec_b64 s[26:27], s[30:31]
	s_cbranch_execnz .LBB58_111
.LBB58_95:
	s_or_b64 exec, exec, s[26:27]
	s_and_b64 s[30:31], s[10:11], s[18:19]
	s_and_saveexec_b64 s[26:27], s[30:31]
	s_cbranch_execnz .LBB58_115
.LBB58_96:
	s_or_b64 exec, exec, s[26:27]
	s_and_b64 s[30:31], s[12:13], s[18:19]
	s_and_saveexec_b64 s[26:27], s[30:31]
	s_cbranch_execnz .LBB58_119
.LBB58_97:
	s_or_b64 exec, exec, s[26:27]
	s_and_b64 s[30:31], s[14:15], s[18:19]
	s_and_saveexec_b64 s[26:27], s[30:31]
	s_cbranch_execnz .LBB58_123
.LBB58_98:
	s_or_b64 exec, exec, s[26:27]
	s_and_b64 s[26:27], s[16:17], s[18:19]
	s_and_saveexec_b64 s[18:19], s[26:27]
	s_cbranch_execnz .LBB58_127
	s_branch .LBB58_131
.LBB58_99:
	s_and_b64 vcc, exec, s[0:1]
	s_cbranch_vccnz .LBB58_101
; %bb.100:
	v_lshl_add_u64 v[80:81], v[64:65], 2, v[62:63]
	global_load_dword v80, v[80:81], off
	s_waitcnt vmcnt(0)
	v_mul_f32_e32 v80, s33, v80
	s_branch .LBB58_102
.LBB58_101:
	v_mov_b32_e32 v80, 0
.LBB58_102:
	v_pk_add_f32 v[82:83], v[32:33], v[56:57]
	s_nop 0
	v_min3_f32 v81, v82, v83, v140
	v_pk_add_f32 v[82:83], v[34:35], v[58:59]
	s_nop 0
	v_min_f32_e32 v82, v82, v83
	v_min3_f32 v82, v80, v82, v81
	v_lshl_add_u64 v[80:81], v[64:65], 2, v[60:61]
	global_store_dword v[80:81], v82, off
	s_or_b64 exec, exec, s[26:27]
	s_and_b64 s[30:31], s[4:5], s[18:19]
	s_and_saveexec_b64 s[26:27], s[30:31]
	s_cbranch_execz .LBB58_93
.LBB58_103:
	s_and_b64 vcc, exec, s[0:1]
	s_cbranch_vccnz .LBB58_105
; %bb.104:
	v_lshl_add_u64 v[80:81], v[66:67], 2, v[62:63]
	global_load_dword v80, v[80:81], off
	s_waitcnt vmcnt(0)
	v_mul_f32_e32 v80, s33, v80
	s_branch .LBB58_106
.LBB58_105:
	v_mov_b32_e32 v80, 0
.LBB58_106:
	v_pk_add_f32 v[82:83], v[28:29], v[56:57]
	s_nop 0
	v_min3_f32 v81, v82, v83, v139
	v_pk_add_f32 v[82:83], v[30:31], v[58:59]
	s_nop 0
	v_min_f32_e32 v82, v82, v83
	v_min3_f32 v82, v80, v82, v81
	v_lshl_add_u64 v[80:81], v[66:67], 2, v[60:61]
	global_store_dword v[80:81], v82, off
	s_or_b64 exec, exec, s[26:27]
	s_and_b64 s[30:31], s[6:7], s[18:19]
	s_and_saveexec_b64 s[26:27], s[30:31]
	s_cbranch_execz .LBB58_94
.LBB58_107:
	s_and_b64 vcc, exec, s[0:1]
	s_cbranch_vccnz .LBB58_109
; %bb.108:
	v_lshl_add_u64 v[80:81], v[68:69], 2, v[62:63]
	global_load_dword v80, v[80:81], off
	s_waitcnt vmcnt(0)
	v_mul_f32_e32 v80, s33, v80
	s_branch .LBB58_110
.LBB58_109:
	v_mov_b32_e32 v80, 0
.LBB58_110:
	v_pk_add_f32 v[82:83], v[24:25], v[56:57]
	s_nop 0
	v_min3_f32 v81, v82, v83, v138
	v_pk_add_f32 v[82:83], v[26:27], v[58:59]
	s_nop 0
	v_min_f32_e32 v82, v82, v83
	v_min3_f32 v82, v80, v82, v81
	v_lshl_add_u64 v[80:81], v[68:69], 2, v[60:61]
	global_store_dword v[80:81], v82, off
	s_or_b64 exec, exec, s[26:27]
	s_and_b64 s[30:31], s[8:9], s[18:19]
	s_and_saveexec_b64 s[26:27], s[30:31]
	s_cbranch_execz .LBB58_95
.LBB58_111:
	s_and_b64 vcc, exec, s[0:1]
	s_cbranch_vccnz .LBB58_113
; %bb.112:
	v_lshl_add_u64 v[80:81], v[70:71], 2, v[62:63]
	global_load_dword v80, v[80:81], off
	s_waitcnt vmcnt(0)
	v_mul_f32_e32 v80, s33, v80
	s_branch .LBB58_114
.LBB58_113:
	v_mov_b32_e32 v80, 0
.LBB58_114:
	v_pk_add_f32 v[82:83], v[20:21], v[56:57]
	s_nop 0
	v_min3_f32 v81, v82, v83, v137
	v_pk_add_f32 v[82:83], v[22:23], v[58:59]
	s_nop 0
	v_min_f32_e32 v82, v82, v83
	v_min3_f32 v82, v80, v82, v81
	v_lshl_add_u64 v[80:81], v[70:71], 2, v[60:61]
	global_store_dword v[80:81], v82, off
	s_or_b64 exec, exec, s[26:27]
	s_and_b64 s[30:31], s[10:11], s[18:19]
	s_and_saveexec_b64 s[26:27], s[30:31]
	s_cbranch_execz .LBB58_96
.LBB58_115:
	s_and_b64 vcc, exec, s[0:1]
	s_cbranch_vccnz .LBB58_117
; %bb.116:
	v_lshl_add_u64 v[80:81], v[72:73], 2, v[62:63]
	global_load_dword v80, v[80:81], off
	s_waitcnt vmcnt(0)
	v_mul_f32_e32 v80, s33, v80
	s_branch .LBB58_118
.LBB58_117:
	v_mov_b32_e32 v80, 0
.LBB58_118:
	v_pk_add_f32 v[82:83], v[16:17], v[56:57]
	s_nop 0
	v_min3_f32 v81, v82, v83, v135
	v_pk_add_f32 v[82:83], v[18:19], v[58:59]
	s_nop 0
	v_min_f32_e32 v82, v82, v83
	v_min3_f32 v82, v80, v82, v81
	v_lshl_add_u64 v[80:81], v[72:73], 2, v[60:61]
	global_store_dword v[80:81], v82, off
	s_or_b64 exec, exec, s[26:27]
	s_and_b64 s[30:31], s[12:13], s[18:19]
	s_and_saveexec_b64 s[26:27], s[30:31]
	s_cbranch_execz .LBB58_97
.LBB58_119:
	s_and_b64 vcc, exec, s[0:1]
	s_cbranch_vccnz .LBB58_121
; %bb.120:
	v_lshl_add_u64 v[80:81], v[74:75], 2, v[62:63]
	global_load_dword v80, v[80:81], off
	s_waitcnt vmcnt(0)
	v_mul_f32_e32 v80, s33, v80
	s_branch .LBB58_122
.LBB58_121:
	v_mov_b32_e32 v80, 0
.LBB58_122:
	v_pk_add_f32 v[82:83], v[12:13], v[56:57]
	s_nop 0
	v_min3_f32 v81, v82, v83, v133
	v_pk_add_f32 v[82:83], v[14:15], v[58:59]
	s_nop 0
	v_min_f32_e32 v82, v82, v83
	v_min3_f32 v82, v80, v82, v81
	v_lshl_add_u64 v[80:81], v[74:75], 2, v[60:61]
	global_store_dword v[80:81], v82, off
	s_or_b64 exec, exec, s[26:27]
	s_and_b64 s[30:31], s[14:15], s[18:19]
	s_and_saveexec_b64 s[26:27], s[30:31]
	s_cbranch_execz .LBB58_98
.LBB58_123:
	s_and_b64 vcc, exec, s[0:1]
	s_cbranch_vccnz .LBB58_125
; %bb.124:
	v_lshl_add_u64 v[80:81], v[76:77], 2, v[62:63]
	global_load_dword v80, v[80:81], off
	s_waitcnt vmcnt(0)
	v_mul_f32_e32 v80, s33, v80
	s_branch .LBB58_126
.LBB58_125:
	v_mov_b32_e32 v80, 0
.LBB58_126:
	v_pk_add_f32 v[82:83], v[8:9], v[56:57]
	s_nop 0
	v_min3_f32 v81, v82, v83, v131
	v_pk_add_f32 v[82:83], v[10:11], v[58:59]
	s_nop 0
	v_min_f32_e32 v82, v82, v83
	v_min3_f32 v82, v80, v82, v81
	v_lshl_add_u64 v[80:81], v[76:77], 2, v[60:61]
	global_store_dword v[80:81], v82, off
	s_or_b64 exec, exec, s[26:27]
	s_and_b64 s[26:27], s[16:17], s[18:19]
	s_and_saveexec_b64 s[18:19], s[26:27]
	s_cbranch_execz .LBB58_131
.LBB58_127:
	s_and_b64 vcc, exec, s[0:1]
	s_cbranch_vccnz .LBB58_129
; %bb.128:
	v_lshl_add_u64 v[62:63], v[78:79], 2, v[62:63]
	global_load_dword v62, v[62:63], off
	s_waitcnt vmcnt(0)
	v_mul_f32_e32 v62, s33, v62
	s_branch .LBB58_130
.LBB58_129:
	v_mov_b32_e32 v62, 0
.LBB58_130:
	v_pk_add_f32 v[56:57], v[0:1], v[56:57]
	s_nop 0
	v_min3_f32 v63, v56, v57, v136
	v_pk_add_f32 v[56:57], v[2:3], v[58:59]
	s_nop 0
	v_min_f32_e32 v56, v56, v57
	v_min3_f32 v58, v62, v56, v63
	v_lshl_add_u64 v[56:57], v[78:79], 2, v[60:61]
	global_store_dword v[56:57], v58, off
.LBB58_131:
	s_or_b64 exec, exec, s[18:19]
	v_add_u32_e32 v60, 16, v123
	v_mad_i64_i32 v[56:57], s[26:27], v60, s29, 0
	v_cmp_gt_i32_e64 s[18:19], s21, v60
	v_lshl_add_u64 v[58:59], v[56:57], 2, s[24:25]
	v_mad_i64_i32 v[56:57], s[26:27], v60, s28, 0
	v_lshl_add_u64 v[56:57], v[56:57], 2, s[22:23]
	s_and_b64 s[30:31], s[2:3], s[18:19]
	s_and_saveexec_b64 s[26:27], s[30:31]
	s_cbranch_execnz .LBB58_139
; %bb.132:
	s_or_b64 exec, exec, s[26:27]
	s_and_b64 s[30:31], s[4:5], s[18:19]
	s_and_saveexec_b64 s[26:27], s[30:31]
	s_cbranch_execnz .LBB58_143
.LBB58_133:
	s_or_b64 exec, exec, s[26:27]
	s_and_b64 s[30:31], s[6:7], s[18:19]
	s_and_saveexec_b64 s[26:27], s[30:31]
	s_cbranch_execnz .LBB58_147
.LBB58_134:
	s_or_b64 exec, exec, s[26:27]
	s_and_b64 s[30:31], s[8:9], s[18:19]
	s_and_saveexec_b64 s[26:27], s[30:31]
	s_cbranch_execnz .LBB58_151
.LBB58_135:
	s_or_b64 exec, exec, s[26:27]
	s_and_b64 s[30:31], s[10:11], s[18:19]
	s_and_saveexec_b64 s[26:27], s[30:31]
	s_cbranch_execnz .LBB58_155
.LBB58_136:
	s_or_b64 exec, exec, s[26:27]
	s_and_b64 s[30:31], s[12:13], s[18:19]
	s_and_saveexec_b64 s[26:27], s[30:31]
	s_cbranch_execnz .LBB58_159
.LBB58_137:
	s_or_b64 exec, exec, s[26:27]
	s_and_b64 s[30:31], s[14:15], s[18:19]
	s_and_saveexec_b64 s[26:27], s[30:31]
	s_cbranch_execnz .LBB58_163
.LBB58_138:
	s_or_b64 exec, exec, s[26:27]
	s_and_b64 s[26:27], s[16:17], s[18:19]
	s_and_saveexec_b64 s[18:19], s[26:27]
	s_cbranch_execnz .LBB58_167
	s_branch .LBB58_171
.LBB58_139:
	s_and_b64 vcc, exec, s[0:1]
	s_cbranch_vccnz .LBB58_141
; %bb.140:
	v_lshl_add_u64 v[60:61], v[64:65], 2, v[58:59]
	global_load_dword v60, v[60:61], off
	s_waitcnt vmcnt(0)
	v_mul_f32_e32 v60, s33, v60
	s_branch .LBB58_142
.LBB58_141:
	v_mov_b32_e32 v60, 0
.LBB58_142:
	v_pk_add_f32 v[62:63], v[32:33], v[52:53]
	s_nop 0
	v_min3_f32 v61, v62, v63, v134
	v_pk_add_f32 v[62:63], v[34:35], v[54:55]
	s_nop 0
	v_min_f32_e32 v62, v62, v63
	v_min3_f32 v62, v60, v62, v61
	v_lshl_add_u64 v[60:61], v[64:65], 2, v[56:57]
	global_store_dword v[60:61], v62, off
	s_or_b64 exec, exec, s[26:27]
	s_and_b64 s[30:31], s[4:5], s[18:19]
	s_and_saveexec_b64 s[26:27], s[30:31]
	s_cbranch_execz .LBB58_133
.LBB58_143:
	s_and_b64 vcc, exec, s[0:1]
	s_cbranch_vccnz .LBB58_145
; %bb.144:
	v_lshl_add_u64 v[60:61], v[66:67], 2, v[58:59]
	global_load_dword v60, v[60:61], off
	s_waitcnt vmcnt(0)
	v_mul_f32_e32 v60, s33, v60
	s_branch .LBB58_146
.LBB58_145:
	v_mov_b32_e32 v60, 0
.LBB58_146:
	v_pk_add_f32 v[62:63], v[28:29], v[52:53]
	s_nop 0
	v_min3_f32 v61, v62, v63, v132
	v_pk_add_f32 v[62:63], v[30:31], v[54:55]
	s_nop 0
	v_min_f32_e32 v62, v62, v63
	v_min3_f32 v62, v60, v62, v61
	v_lshl_add_u64 v[60:61], v[66:67], 2, v[56:57]
	global_store_dword v[60:61], v62, off
	s_or_b64 exec, exec, s[26:27]
	s_and_b64 s[30:31], s[6:7], s[18:19]
	s_and_saveexec_b64 s[26:27], s[30:31]
	s_cbranch_execz .LBB58_134
.LBB58_147:
	s_and_b64 vcc, exec, s[0:1]
	s_cbranch_vccnz .LBB58_149
; %bb.148:
	v_lshl_add_u64 v[60:61], v[68:69], 2, v[58:59]
	global_load_dword v60, v[60:61], off
	s_waitcnt vmcnt(0)
	v_mul_f32_e32 v60, s33, v60
	s_branch .LBB58_150
.LBB58_149:
	v_mov_b32_e32 v60, 0
.LBB58_150:
	v_pk_add_f32 v[62:63], v[24:25], v[52:53]
	s_nop 0
	v_min3_f32 v61, v62, v63, v130
	v_pk_add_f32 v[62:63], v[26:27], v[54:55]
	s_nop 0
	v_min_f32_e32 v62, v62, v63
	v_min3_f32 v62, v60, v62, v61
	v_lshl_add_u64 v[60:61], v[68:69], 2, v[56:57]
	global_store_dword v[60:61], v62, off
	s_or_b64 exec, exec, s[26:27]
	s_and_b64 s[30:31], s[8:9], s[18:19]
	s_and_saveexec_b64 s[26:27], s[30:31]
	s_cbranch_execz .LBB58_135
.LBB58_151:
	s_and_b64 vcc, exec, s[0:1]
	s_cbranch_vccnz .LBB58_153
; %bb.152:
	v_lshl_add_u64 v[60:61], v[70:71], 2, v[58:59]
	global_load_dword v60, v[60:61], off
	s_waitcnt vmcnt(0)
	v_mul_f32_e32 v60, s33, v60
	s_branch .LBB58_154
.LBB58_153:
	v_mov_b32_e32 v60, 0
.LBB58_154:
	v_pk_add_f32 v[62:63], v[20:21], v[52:53]
	s_nop 0
	v_min3_f32 v61, v62, v63, v129
	v_pk_add_f32 v[62:63], v[22:23], v[54:55]
	s_nop 0
	v_min_f32_e32 v62, v62, v63
	v_min3_f32 v62, v60, v62, v61
	v_lshl_add_u64 v[60:61], v[70:71], 2, v[56:57]
	global_store_dword v[60:61], v62, off
	s_or_b64 exec, exec, s[26:27]
	s_and_b64 s[30:31], s[10:11], s[18:19]
	s_and_saveexec_b64 s[26:27], s[30:31]
	s_cbranch_execz .LBB58_136
.LBB58_155:
	s_and_b64 vcc, exec, s[0:1]
	s_cbranch_vccnz .LBB58_157
; %bb.156:
	v_lshl_add_u64 v[60:61], v[72:73], 2, v[58:59]
	global_load_dword v60, v[60:61], off
	s_waitcnt vmcnt(0)
	v_mul_f32_e32 v60, s33, v60
	s_branch .LBB58_158
.LBB58_157:
	v_mov_b32_e32 v60, 0
.LBB58_158:
	v_pk_add_f32 v[62:63], v[16:17], v[52:53]
	s_nop 0
	v_min3_f32 v61, v62, v63, v128
	v_pk_add_f32 v[62:63], v[18:19], v[54:55]
	s_nop 0
	v_min_f32_e32 v62, v62, v63
	v_min3_f32 v62, v60, v62, v61
	v_lshl_add_u64 v[60:61], v[72:73], 2, v[56:57]
	global_store_dword v[60:61], v62, off
	s_or_b64 exec, exec, s[26:27]
	s_and_b64 s[30:31], s[12:13], s[18:19]
	s_and_saveexec_b64 s[26:27], s[30:31]
	s_cbranch_execz .LBB58_137
.LBB58_159:
	s_and_b64 vcc, exec, s[0:1]
	s_cbranch_vccnz .LBB58_161
; %bb.160:
	v_lshl_add_u64 v[60:61], v[74:75], 2, v[58:59]
	global_load_dword v60, v[60:61], off
	s_waitcnt vmcnt(0)
	v_mul_f32_e32 v60, s33, v60
	s_branch .LBB58_162
.LBB58_161:
	v_mov_b32_e32 v60, 0
.LBB58_162:
	v_pk_add_f32 v[62:63], v[12:13], v[52:53]
	s_nop 0
	v_min3_f32 v61, v62, v63, v127
	v_pk_add_f32 v[62:63], v[14:15], v[54:55]
	s_nop 0
	v_min_f32_e32 v62, v62, v63
	v_min3_f32 v62, v60, v62, v61
	v_lshl_add_u64 v[60:61], v[74:75], 2, v[56:57]
	global_store_dword v[60:61], v62, off
	s_or_b64 exec, exec, s[26:27]
	s_and_b64 s[30:31], s[14:15], s[18:19]
	s_and_saveexec_b64 s[26:27], s[30:31]
	s_cbranch_execz .LBB58_138
.LBB58_163:
	s_and_b64 vcc, exec, s[0:1]
	s_cbranch_vccnz .LBB58_165
; %bb.164:
	v_lshl_add_u64 v[60:61], v[76:77], 2, v[58:59]
	global_load_dword v60, v[60:61], off
	s_waitcnt vmcnt(0)
	v_mul_f32_e32 v60, s33, v60
	s_branch .LBB58_166
.LBB58_165:
	v_mov_b32_e32 v60, 0
.LBB58_166:
	v_pk_add_f32 v[62:63], v[8:9], v[52:53]
	s_nop 0
	v_min3_f32 v61, v62, v63, v126
	v_pk_add_f32 v[62:63], v[10:11], v[54:55]
	s_nop 0
	v_min_f32_e32 v62, v62, v63
	v_min3_f32 v62, v60, v62, v61
	v_lshl_add_u64 v[60:61], v[76:77], 2, v[56:57]
	global_store_dword v[60:61], v62, off
	s_or_b64 exec, exec, s[26:27]
	s_and_b64 s[26:27], s[16:17], s[18:19]
	s_and_saveexec_b64 s[18:19], s[26:27]
	s_cbranch_execz .LBB58_171
.LBB58_167:
	s_and_b64 vcc, exec, s[0:1]
	s_cbranch_vccnz .LBB58_169
; %bb.168:
	v_lshl_add_u64 v[58:59], v[78:79], 2, v[58:59]
	global_load_dword v58, v[58:59], off
	s_waitcnt vmcnt(0)
	v_mul_f32_e32 v58, s33, v58
	s_branch .LBB58_170
.LBB58_169:
	v_mov_b32_e32 v58, 0
.LBB58_170:
	v_pk_add_f32 v[52:53], v[0:1], v[52:53]
	s_nop 0
	v_min3_f32 v59, v52, v53, v125
	v_pk_add_f32 v[52:53], v[2:3], v[54:55]
	s_nop 0
	v_min_f32_e32 v52, v52, v53
	v_min3_f32 v54, v58, v52, v59
	v_lshl_add_u64 v[52:53], v[78:79], 2, v[56:57]
	global_store_dword v[52:53], v54, off
.LBB58_171:
	s_or_b64 exec, exec, s[18:19]
	v_add_u32_e32 v56, 24, v123
	v_mad_i64_i32 v[52:53], s[26:27], v56, s29, 0
	v_cmp_gt_i32_e64 s[18:19], s21, v56
	v_lshl_add_u64 v[54:55], v[52:53], 2, s[24:25]
	v_mad_i64_i32 v[52:53], s[26:27], v56, s28, 0
	v_lshl_add_u64 v[52:53], v[52:53], 2, s[22:23]
	s_and_b64 s[30:31], s[2:3], s[18:19]
	s_and_saveexec_b64 s[26:27], s[30:31]
	s_cbranch_execnz .LBB58_179
; %bb.172:
	s_or_b64 exec, exec, s[26:27]
	s_and_b64 s[30:31], s[4:5], s[18:19]
	s_and_saveexec_b64 s[26:27], s[30:31]
	s_cbranch_execnz .LBB58_183
.LBB58_173:
	s_or_b64 exec, exec, s[26:27]
	s_and_b64 s[30:31], s[6:7], s[18:19]
	s_and_saveexec_b64 s[26:27], s[30:31]
	s_cbranch_execnz .LBB58_187
.LBB58_174:
	s_or_b64 exec, exec, s[26:27]
	s_and_b64 s[30:31], s[8:9], s[18:19]
	s_and_saveexec_b64 s[26:27], s[30:31]
	s_cbranch_execnz .LBB58_191
.LBB58_175:
	s_or_b64 exec, exec, s[26:27]
	s_and_b64 s[30:31], s[10:11], s[18:19]
	s_and_saveexec_b64 s[26:27], s[30:31]
	s_cbranch_execnz .LBB58_195
.LBB58_176:
	s_or_b64 exec, exec, s[26:27]
	s_and_b64 s[30:31], s[12:13], s[18:19]
	s_and_saveexec_b64 s[26:27], s[30:31]
	s_cbranch_execnz .LBB58_199
.LBB58_177:
	s_or_b64 exec, exec, s[26:27]
	s_and_b64 s[30:31], s[14:15], s[18:19]
	s_and_saveexec_b64 s[26:27], s[30:31]
	s_cbranch_execnz .LBB58_203
.LBB58_178:
	s_or_b64 exec, exec, s[26:27]
	s_and_b64 s[26:27], s[16:17], s[18:19]
	s_and_saveexec_b64 s[18:19], s[26:27]
	s_cbranch_execnz .LBB58_207
	s_branch .LBB58_211
.LBB58_179:
	s_and_b64 vcc, exec, s[0:1]
	s_cbranch_vccnz .LBB58_181
; %bb.180:
	v_lshl_add_u64 v[56:57], v[64:65], 2, v[54:55]
	global_load_dword v56, v[56:57], off
	s_waitcnt vmcnt(0)
	v_mul_f32_e32 v56, s33, v56
	s_branch .LBB58_182
.LBB58_181:
	v_mov_b32_e32 v56, 0
.LBB58_182:
	v_pk_add_f32 v[58:59], v[32:33], v[48:49]
	s_nop 0
	v_min3_f32 v57, v58, v59, v124
	v_pk_add_f32 v[58:59], v[34:35], v[50:51]
	s_nop 0
	v_min_f32_e32 v58, v58, v59
	v_min3_f32 v58, v56, v58, v57
	v_lshl_add_u64 v[56:57], v[64:65], 2, v[52:53]
	global_store_dword v[56:57], v58, off
	s_or_b64 exec, exec, s[26:27]
	s_and_b64 s[30:31], s[4:5], s[18:19]
	s_and_saveexec_b64 s[26:27], s[30:31]
	s_cbranch_execz .LBB58_173
.LBB58_183:
	s_and_b64 vcc, exec, s[0:1]
	s_cbranch_vccnz .LBB58_185
; %bb.184:
	v_lshl_add_u64 v[56:57], v[66:67], 2, v[54:55]
	global_load_dword v56, v[56:57], off
	s_waitcnt vmcnt(0)
	v_mul_f32_e32 v56, s33, v56
	s_branch .LBB58_186
.LBB58_185:
	v_mov_b32_e32 v56, 0
.LBB58_186:
	v_pk_add_f32 v[58:59], v[28:29], v[48:49]
	s_nop 0
	v_min3_f32 v57, v58, v59, v122
	v_pk_add_f32 v[58:59], v[30:31], v[50:51]
	s_nop 0
	v_min_f32_e32 v58, v58, v59
	v_min3_f32 v58, v56, v58, v57
	v_lshl_add_u64 v[56:57], v[66:67], 2, v[52:53]
	global_store_dword v[56:57], v58, off
	s_or_b64 exec, exec, s[26:27]
	s_and_b64 s[30:31], s[6:7], s[18:19]
	s_and_saveexec_b64 s[26:27], s[30:31]
	s_cbranch_execz .LBB58_174
.LBB58_187:
	s_and_b64 vcc, exec, s[0:1]
	s_cbranch_vccnz .LBB58_189
; %bb.188:
	v_lshl_add_u64 v[56:57], v[68:69], 2, v[54:55]
	global_load_dword v56, v[56:57], off
	s_waitcnt vmcnt(0)
	v_mul_f32_e32 v56, s33, v56
	s_branch .LBB58_190
.LBB58_189:
	v_mov_b32_e32 v56, 0
.LBB58_190:
	v_pk_add_f32 v[58:59], v[24:25], v[48:49]
	s_nop 0
	v_min3_f32 v57, v58, v59, v121
	v_pk_add_f32 v[58:59], v[26:27], v[50:51]
	s_nop 0
	v_min_f32_e32 v58, v58, v59
	v_min3_f32 v58, v56, v58, v57
	v_lshl_add_u64 v[56:57], v[68:69], 2, v[52:53]
	global_store_dword v[56:57], v58, off
	s_or_b64 exec, exec, s[26:27]
	s_and_b64 s[30:31], s[8:9], s[18:19]
	s_and_saveexec_b64 s[26:27], s[30:31]
	s_cbranch_execz .LBB58_175
.LBB58_191:
	s_and_b64 vcc, exec, s[0:1]
	s_cbranch_vccnz .LBB58_193
; %bb.192:
	v_lshl_add_u64 v[56:57], v[70:71], 2, v[54:55]
	global_load_dword v56, v[56:57], off
	s_waitcnt vmcnt(0)
	v_mul_f32_e32 v56, s33, v56
	s_branch .LBB58_194
.LBB58_193:
	v_mov_b32_e32 v56, 0
.LBB58_194:
	v_pk_add_f32 v[58:59], v[20:21], v[48:49]
	s_nop 0
	v_min3_f32 v57, v58, v59, v120
	v_pk_add_f32 v[58:59], v[22:23], v[50:51]
	s_nop 0
	v_min_f32_e32 v58, v58, v59
	v_min3_f32 v58, v56, v58, v57
	v_lshl_add_u64 v[56:57], v[70:71], 2, v[52:53]
	global_store_dword v[56:57], v58, off
	s_or_b64 exec, exec, s[26:27]
	s_and_b64 s[30:31], s[10:11], s[18:19]
	s_and_saveexec_b64 s[26:27], s[30:31]
	s_cbranch_execz .LBB58_176
.LBB58_195:
	s_and_b64 vcc, exec, s[0:1]
	s_cbranch_vccnz .LBB58_197
; %bb.196:
	v_lshl_add_u64 v[56:57], v[72:73], 2, v[54:55]
	global_load_dword v56, v[56:57], off
	s_waitcnt vmcnt(0)
	v_mul_f32_e32 v56, s33, v56
	s_branch .LBB58_198
.LBB58_197:
	v_mov_b32_e32 v56, 0
.LBB58_198:
	v_pk_add_f32 v[58:59], v[16:17], v[48:49]
	s_nop 0
	v_min3_f32 v57, v58, v59, v119
	v_pk_add_f32 v[58:59], v[18:19], v[50:51]
	s_nop 0
	v_min_f32_e32 v58, v58, v59
	v_min3_f32 v58, v56, v58, v57
	v_lshl_add_u64 v[56:57], v[72:73], 2, v[52:53]
	global_store_dword v[56:57], v58, off
	s_or_b64 exec, exec, s[26:27]
	s_and_b64 s[30:31], s[12:13], s[18:19]
	s_and_saveexec_b64 s[26:27], s[30:31]
	s_cbranch_execz .LBB58_177
.LBB58_199:
	s_and_b64 vcc, exec, s[0:1]
	s_cbranch_vccnz .LBB58_201
; %bb.200:
	v_lshl_add_u64 v[56:57], v[74:75], 2, v[54:55]
	global_load_dword v56, v[56:57], off
	s_waitcnt vmcnt(0)
	v_mul_f32_e32 v56, s33, v56
	s_branch .LBB58_202
.LBB58_201:
	v_mov_b32_e32 v56, 0
.LBB58_202:
	v_pk_add_f32 v[58:59], v[12:13], v[48:49]
	s_nop 0
	v_min3_f32 v57, v58, v59, v118
	v_pk_add_f32 v[58:59], v[14:15], v[50:51]
	s_nop 0
	v_min_f32_e32 v58, v58, v59
	v_min3_f32 v58, v56, v58, v57
	v_lshl_add_u64 v[56:57], v[74:75], 2, v[52:53]
	global_store_dword v[56:57], v58, off
	s_or_b64 exec, exec, s[26:27]
	s_and_b64 s[30:31], s[14:15], s[18:19]
	s_and_saveexec_b64 s[26:27], s[30:31]
	s_cbranch_execz .LBB58_178
.LBB58_203:
	s_and_b64 vcc, exec, s[0:1]
	s_cbranch_vccnz .LBB58_205
; %bb.204:
	v_lshl_add_u64 v[56:57], v[76:77], 2, v[54:55]
	global_load_dword v56, v[56:57], off
	s_waitcnt vmcnt(0)
	v_mul_f32_e32 v56, s33, v56
	s_branch .LBB58_206
.LBB58_205:
	v_mov_b32_e32 v56, 0
.LBB58_206:
	v_pk_add_f32 v[58:59], v[8:9], v[48:49]
	s_nop 0
	v_min3_f32 v57, v58, v59, v117
	v_pk_add_f32 v[58:59], v[10:11], v[50:51]
	s_nop 0
	v_min_f32_e32 v58, v58, v59
	v_min3_f32 v58, v56, v58, v57
	v_lshl_add_u64 v[56:57], v[76:77], 2, v[52:53]
	global_store_dword v[56:57], v58, off
	s_or_b64 exec, exec, s[26:27]
	s_and_b64 s[26:27], s[16:17], s[18:19]
	s_and_saveexec_b64 s[18:19], s[26:27]
	s_cbranch_execz .LBB58_211
.LBB58_207:
	s_and_b64 vcc, exec, s[0:1]
	s_cbranch_vccnz .LBB58_209
; %bb.208:
	v_lshl_add_u64 v[54:55], v[78:79], 2, v[54:55]
	global_load_dword v54, v[54:55], off
	s_waitcnt vmcnt(0)
	v_mul_f32_e32 v54, s33, v54
	s_branch .LBB58_210
.LBB58_209:
	v_mov_b32_e32 v54, 0
.LBB58_210:
	v_pk_add_f32 v[48:49], v[0:1], v[48:49]
	s_nop 0
	v_min3_f32 v55, v48, v49, v116
	v_pk_add_f32 v[48:49], v[2:3], v[50:51]
	s_nop 0
	v_min_f32_e32 v48, v48, v49
	v_min3_f32 v50, v54, v48, v55
	v_lshl_add_u64 v[48:49], v[78:79], 2, v[52:53]
	global_store_dword v[48:49], v50, off
.LBB58_211:
	s_or_b64 exec, exec, s[18:19]
	v_add_u32_e32 v52, 32, v123
	v_mad_i64_i32 v[48:49], s[26:27], v52, s29, 0
	v_cmp_gt_i32_e64 s[18:19], s21, v52
	v_lshl_add_u64 v[50:51], v[48:49], 2, s[24:25]
	v_mad_i64_i32 v[48:49], s[26:27], v52, s28, 0
	v_lshl_add_u64 v[48:49], v[48:49], 2, s[22:23]
	s_and_b64 s[30:31], s[2:3], s[18:19]
	s_and_saveexec_b64 s[26:27], s[30:31]
	s_cbranch_execnz .LBB58_219
; %bb.212:
	s_or_b64 exec, exec, s[26:27]
	s_and_b64 s[30:31], s[4:5], s[18:19]
	s_and_saveexec_b64 s[26:27], s[30:31]
	s_cbranch_execnz .LBB58_223
.LBB58_213:
	s_or_b64 exec, exec, s[26:27]
	s_and_b64 s[30:31], s[6:7], s[18:19]
	s_and_saveexec_b64 s[26:27], s[30:31]
	s_cbranch_execnz .LBB58_227
.LBB58_214:
	s_or_b64 exec, exec, s[26:27]
	s_and_b64 s[30:31], s[8:9], s[18:19]
	s_and_saveexec_b64 s[26:27], s[30:31]
	s_cbranch_execnz .LBB58_231
.LBB58_215:
	s_or_b64 exec, exec, s[26:27]
	s_and_b64 s[30:31], s[10:11], s[18:19]
	s_and_saveexec_b64 s[26:27], s[30:31]
	s_cbranch_execnz .LBB58_235
.LBB58_216:
	s_or_b64 exec, exec, s[26:27]
	s_and_b64 s[30:31], s[12:13], s[18:19]
	s_and_saveexec_b64 s[26:27], s[30:31]
	s_cbranch_execnz .LBB58_239
.LBB58_217:
	s_or_b64 exec, exec, s[26:27]
	s_and_b64 s[30:31], s[14:15], s[18:19]
	s_and_saveexec_b64 s[26:27], s[30:31]
	s_cbranch_execnz .LBB58_243
.LBB58_218:
	s_or_b64 exec, exec, s[26:27]
	s_and_b64 s[26:27], s[16:17], s[18:19]
	s_and_saveexec_b64 s[18:19], s[26:27]
	s_cbranch_execnz .LBB58_247
	s_branch .LBB58_251
.LBB58_219:
	s_and_b64 vcc, exec, s[0:1]
	s_cbranch_vccnz .LBB58_221
; %bb.220:
	v_lshl_add_u64 v[52:53], v[64:65], 2, v[50:51]
	global_load_dword v52, v[52:53], off
	s_waitcnt vmcnt(0)
	v_mul_f32_e32 v52, s33, v52
	s_branch .LBB58_222
.LBB58_221:
	v_mov_b32_e32 v52, 0
.LBB58_222:
	v_pk_add_f32 v[54:55], v[32:33], v[44:45]
	s_nop 0
	v_min3_f32 v53, v54, v55, v115
	v_pk_add_f32 v[54:55], v[34:35], v[46:47]
	s_nop 0
	v_min_f32_e32 v54, v54, v55
	v_min3_f32 v54, v52, v54, v53
	v_lshl_add_u64 v[52:53], v[64:65], 2, v[48:49]
	global_store_dword v[52:53], v54, off
	s_or_b64 exec, exec, s[26:27]
	s_and_b64 s[30:31], s[4:5], s[18:19]
	s_and_saveexec_b64 s[26:27], s[30:31]
	s_cbranch_execz .LBB58_213
.LBB58_223:
	s_and_b64 vcc, exec, s[0:1]
	s_cbranch_vccnz .LBB58_225
; %bb.224:
	v_lshl_add_u64 v[52:53], v[66:67], 2, v[50:51]
	global_load_dword v52, v[52:53], off
	s_waitcnt vmcnt(0)
	v_mul_f32_e32 v52, s33, v52
	s_branch .LBB58_226
.LBB58_225:
	v_mov_b32_e32 v52, 0
.LBB58_226:
	v_pk_add_f32 v[54:55], v[28:29], v[44:45]
	s_nop 0
	v_min3_f32 v53, v54, v55, v114
	v_pk_add_f32 v[54:55], v[30:31], v[46:47]
	s_nop 0
	v_min_f32_e32 v54, v54, v55
	v_min3_f32 v54, v52, v54, v53
	v_lshl_add_u64 v[52:53], v[66:67], 2, v[48:49]
	global_store_dword v[52:53], v54, off
	s_or_b64 exec, exec, s[26:27]
	s_and_b64 s[30:31], s[6:7], s[18:19]
	s_and_saveexec_b64 s[26:27], s[30:31]
	s_cbranch_execz .LBB58_214
.LBB58_227:
	s_and_b64 vcc, exec, s[0:1]
	s_cbranch_vccnz .LBB58_229
; %bb.228:
	v_lshl_add_u64 v[52:53], v[68:69], 2, v[50:51]
	global_load_dword v52, v[52:53], off
	s_waitcnt vmcnt(0)
	v_mul_f32_e32 v52, s33, v52
	s_branch .LBB58_230
.LBB58_229:
	v_mov_b32_e32 v52, 0
.LBB58_230:
	v_pk_add_f32 v[54:55], v[24:25], v[44:45]
	s_nop 0
	v_min3_f32 v53, v54, v55, v113
	v_pk_add_f32 v[54:55], v[26:27], v[46:47]
	s_nop 0
	v_min_f32_e32 v54, v54, v55
	v_min3_f32 v54, v52, v54, v53
	v_lshl_add_u64 v[52:53], v[68:69], 2, v[48:49]
	global_store_dword v[52:53], v54, off
	s_or_b64 exec, exec, s[26:27]
	s_and_b64 s[30:31], s[8:9], s[18:19]
	s_and_saveexec_b64 s[26:27], s[30:31]
	s_cbranch_execz .LBB58_215
.LBB58_231:
	s_and_b64 vcc, exec, s[0:1]
	s_cbranch_vccnz .LBB58_233
; %bb.232:
	v_lshl_add_u64 v[52:53], v[70:71], 2, v[50:51]
	global_load_dword v52, v[52:53], off
	s_waitcnt vmcnt(0)
	v_mul_f32_e32 v52, s33, v52
	s_branch .LBB58_234
.LBB58_233:
	v_mov_b32_e32 v52, 0
.LBB58_234:
	v_pk_add_f32 v[54:55], v[20:21], v[44:45]
	s_nop 0
	v_min3_f32 v53, v54, v55, v112
	v_pk_add_f32 v[54:55], v[22:23], v[46:47]
	s_nop 0
	v_min_f32_e32 v54, v54, v55
	v_min3_f32 v54, v52, v54, v53
	v_lshl_add_u64 v[52:53], v[70:71], 2, v[48:49]
	global_store_dword v[52:53], v54, off
	s_or_b64 exec, exec, s[26:27]
	s_and_b64 s[30:31], s[10:11], s[18:19]
	s_and_saveexec_b64 s[26:27], s[30:31]
	s_cbranch_execz .LBB58_216
.LBB58_235:
	s_and_b64 vcc, exec, s[0:1]
	s_cbranch_vccnz .LBB58_237
; %bb.236:
	v_lshl_add_u64 v[52:53], v[72:73], 2, v[50:51]
	global_load_dword v52, v[52:53], off
	s_waitcnt vmcnt(0)
	v_mul_f32_e32 v52, s33, v52
	s_branch .LBB58_238
.LBB58_237:
	v_mov_b32_e32 v52, 0
.LBB58_238:
	v_pk_add_f32 v[54:55], v[16:17], v[44:45]
	s_nop 0
	v_min3_f32 v53, v54, v55, v111
	v_pk_add_f32 v[54:55], v[18:19], v[46:47]
	s_nop 0
	v_min_f32_e32 v54, v54, v55
	v_min3_f32 v54, v52, v54, v53
	v_lshl_add_u64 v[52:53], v[72:73], 2, v[48:49]
	global_store_dword v[52:53], v54, off
	s_or_b64 exec, exec, s[26:27]
	s_and_b64 s[30:31], s[12:13], s[18:19]
	s_and_saveexec_b64 s[26:27], s[30:31]
	s_cbranch_execz .LBB58_217
.LBB58_239:
	s_and_b64 vcc, exec, s[0:1]
	s_cbranch_vccnz .LBB58_241
; %bb.240:
	v_lshl_add_u64 v[52:53], v[74:75], 2, v[50:51]
	global_load_dword v52, v[52:53], off
	s_waitcnt vmcnt(0)
	v_mul_f32_e32 v52, s33, v52
	s_branch .LBB58_242
.LBB58_241:
	v_mov_b32_e32 v52, 0
.LBB58_242:
	v_pk_add_f32 v[54:55], v[12:13], v[44:45]
	s_nop 0
	v_min3_f32 v53, v54, v55, v110
	v_pk_add_f32 v[54:55], v[14:15], v[46:47]
	s_nop 0
	v_min_f32_e32 v54, v54, v55
	v_min3_f32 v54, v52, v54, v53
	v_lshl_add_u64 v[52:53], v[74:75], 2, v[48:49]
	global_store_dword v[52:53], v54, off
	s_or_b64 exec, exec, s[26:27]
	s_and_b64 s[30:31], s[14:15], s[18:19]
	s_and_saveexec_b64 s[26:27], s[30:31]
	s_cbranch_execz .LBB58_218
.LBB58_243:
	s_and_b64 vcc, exec, s[0:1]
	s_cbranch_vccnz .LBB58_245
; %bb.244:
	v_lshl_add_u64 v[52:53], v[76:77], 2, v[50:51]
	global_load_dword v52, v[52:53], off
	s_waitcnt vmcnt(0)
	v_mul_f32_e32 v52, s33, v52
	s_branch .LBB58_246
.LBB58_245:
	v_mov_b32_e32 v52, 0
.LBB58_246:
	v_pk_add_f32 v[54:55], v[8:9], v[44:45]
	s_nop 0
	v_min3_f32 v53, v54, v55, v109
	v_pk_add_f32 v[54:55], v[10:11], v[46:47]
	s_nop 0
	v_min_f32_e32 v54, v54, v55
	v_min3_f32 v54, v52, v54, v53
	v_lshl_add_u64 v[52:53], v[76:77], 2, v[48:49]
	global_store_dword v[52:53], v54, off
	s_or_b64 exec, exec, s[26:27]
	s_and_b64 s[26:27], s[16:17], s[18:19]
	s_and_saveexec_b64 s[18:19], s[26:27]
	s_cbranch_execz .LBB58_251
.LBB58_247:
	s_and_b64 vcc, exec, s[0:1]
	s_cbranch_vccnz .LBB58_249
; %bb.248:
	v_lshl_add_u64 v[50:51], v[78:79], 2, v[50:51]
	global_load_dword v50, v[50:51], off
	s_waitcnt vmcnt(0)
	v_mul_f32_e32 v50, s33, v50
	s_branch .LBB58_250
.LBB58_249:
	v_mov_b32_e32 v50, 0
.LBB58_250:
	v_pk_add_f32 v[44:45], v[0:1], v[44:45]
	s_nop 0
	v_min3_f32 v51, v44, v45, v108
	v_pk_add_f32 v[44:45], v[2:3], v[46:47]
	s_nop 0
	v_min_f32_e32 v44, v44, v45
	v_min3_f32 v46, v50, v44, v51
	v_lshl_add_u64 v[44:45], v[78:79], 2, v[48:49]
	global_store_dword v[44:45], v46, off
.LBB58_251:
	s_or_b64 exec, exec, s[18:19]
	v_add_u32_e32 v48, 40, v123
	v_mad_i64_i32 v[44:45], s[26:27], v48, s29, 0
	v_cmp_gt_i32_e64 s[18:19], s21, v48
	v_lshl_add_u64 v[46:47], v[44:45], 2, s[24:25]
	v_mad_i64_i32 v[44:45], s[26:27], v48, s28, 0
	v_lshl_add_u64 v[44:45], v[44:45], 2, s[22:23]
	s_and_b64 s[30:31], s[2:3], s[18:19]
	s_and_saveexec_b64 s[26:27], s[30:31]
	s_cbranch_execnz .LBB58_259
; %bb.252:
	s_or_b64 exec, exec, s[26:27]
	s_and_b64 s[30:31], s[4:5], s[18:19]
	s_and_saveexec_b64 s[26:27], s[30:31]
	s_cbranch_execnz .LBB58_263
.LBB58_253:
	s_or_b64 exec, exec, s[26:27]
	s_and_b64 s[30:31], s[6:7], s[18:19]
	s_and_saveexec_b64 s[26:27], s[30:31]
	s_cbranch_execnz .LBB58_267
.LBB58_254:
	s_or_b64 exec, exec, s[26:27]
	s_and_b64 s[30:31], s[8:9], s[18:19]
	s_and_saveexec_b64 s[26:27], s[30:31]
	s_cbranch_execnz .LBB58_271
.LBB58_255:
	s_or_b64 exec, exec, s[26:27]
	s_and_b64 s[30:31], s[10:11], s[18:19]
	s_and_saveexec_b64 s[26:27], s[30:31]
	s_cbranch_execnz .LBB58_275
.LBB58_256:
	s_or_b64 exec, exec, s[26:27]
	s_and_b64 s[30:31], s[12:13], s[18:19]
	s_and_saveexec_b64 s[26:27], s[30:31]
	s_cbranch_execnz .LBB58_279
.LBB58_257:
	s_or_b64 exec, exec, s[26:27]
	s_and_b64 s[30:31], s[14:15], s[18:19]
	s_and_saveexec_b64 s[26:27], s[30:31]
	s_cbranch_execnz .LBB58_283
.LBB58_258:
	s_or_b64 exec, exec, s[26:27]
	s_and_b64 s[26:27], s[16:17], s[18:19]
	s_and_saveexec_b64 s[18:19], s[26:27]
	s_cbranch_execnz .LBB58_287
	s_branch .LBB58_291
.LBB58_259:
	s_and_b64 vcc, exec, s[0:1]
	s_cbranch_vccnz .LBB58_261
; %bb.260:
	v_lshl_add_u64 v[48:49], v[64:65], 2, v[46:47]
	global_load_dword v48, v[48:49], off
	s_waitcnt vmcnt(0)
	v_mul_f32_e32 v48, s33, v48
	s_branch .LBB58_262
.LBB58_261:
	v_mov_b32_e32 v48, 0
.LBB58_262:
	v_pk_add_f32 v[50:51], v[32:33], v[40:41]
	s_nop 0
	v_min3_f32 v49, v50, v51, v107
	v_pk_add_f32 v[50:51], v[34:35], v[42:43]
	s_nop 0
	v_min_f32_e32 v50, v50, v51
	v_min3_f32 v50, v48, v50, v49
	v_lshl_add_u64 v[48:49], v[64:65], 2, v[44:45]
	global_store_dword v[48:49], v50, off
	s_or_b64 exec, exec, s[26:27]
	s_and_b64 s[30:31], s[4:5], s[18:19]
	s_and_saveexec_b64 s[26:27], s[30:31]
	s_cbranch_execz .LBB58_253
.LBB58_263:
	s_and_b64 vcc, exec, s[0:1]
	s_cbranch_vccnz .LBB58_265
; %bb.264:
	v_lshl_add_u64 v[48:49], v[66:67], 2, v[46:47]
	global_load_dword v48, v[48:49], off
	s_waitcnt vmcnt(0)
	v_mul_f32_e32 v48, s33, v48
	s_branch .LBB58_266
.LBB58_265:
	v_mov_b32_e32 v48, 0
.LBB58_266:
	v_pk_add_f32 v[50:51], v[28:29], v[40:41]
	s_nop 0
	v_min3_f32 v49, v50, v51, v106
	v_pk_add_f32 v[50:51], v[30:31], v[42:43]
	s_nop 0
	v_min_f32_e32 v50, v50, v51
	v_min3_f32 v50, v48, v50, v49
	v_lshl_add_u64 v[48:49], v[66:67], 2, v[44:45]
	global_store_dword v[48:49], v50, off
	s_or_b64 exec, exec, s[26:27]
	s_and_b64 s[30:31], s[6:7], s[18:19]
	s_and_saveexec_b64 s[26:27], s[30:31]
	s_cbranch_execz .LBB58_254
.LBB58_267:
	s_and_b64 vcc, exec, s[0:1]
	s_cbranch_vccnz .LBB58_269
; %bb.268:
	v_lshl_add_u64 v[48:49], v[68:69], 2, v[46:47]
	global_load_dword v48, v[48:49], off
	s_waitcnt vmcnt(0)
	v_mul_f32_e32 v48, s33, v48
	s_branch .LBB58_270
.LBB58_269:
	v_mov_b32_e32 v48, 0
.LBB58_270:
	v_pk_add_f32 v[50:51], v[24:25], v[40:41]
	s_nop 0
	v_min3_f32 v49, v50, v51, v105
	v_pk_add_f32 v[50:51], v[26:27], v[42:43]
	s_nop 0
	v_min_f32_e32 v50, v50, v51
	v_min3_f32 v50, v48, v50, v49
	v_lshl_add_u64 v[48:49], v[68:69], 2, v[44:45]
	global_store_dword v[48:49], v50, off
	s_or_b64 exec, exec, s[26:27]
	s_and_b64 s[30:31], s[8:9], s[18:19]
	s_and_saveexec_b64 s[26:27], s[30:31]
	s_cbranch_execz .LBB58_255
.LBB58_271:
	s_and_b64 vcc, exec, s[0:1]
	s_cbranch_vccnz .LBB58_273
; %bb.272:
	v_lshl_add_u64 v[48:49], v[70:71], 2, v[46:47]
	global_load_dword v48, v[48:49], off
	s_waitcnt vmcnt(0)
	v_mul_f32_e32 v48, s33, v48
	s_branch .LBB58_274
.LBB58_273:
	v_mov_b32_e32 v48, 0
.LBB58_274:
	v_pk_add_f32 v[50:51], v[20:21], v[40:41]
	s_nop 0
	v_min3_f32 v49, v50, v51, v104
	v_pk_add_f32 v[50:51], v[22:23], v[42:43]
	s_nop 0
	v_min_f32_e32 v50, v50, v51
	v_min3_f32 v50, v48, v50, v49
	v_lshl_add_u64 v[48:49], v[70:71], 2, v[44:45]
	global_store_dword v[48:49], v50, off
	s_or_b64 exec, exec, s[26:27]
	s_and_b64 s[30:31], s[10:11], s[18:19]
	s_and_saveexec_b64 s[26:27], s[30:31]
	s_cbranch_execz .LBB58_256
.LBB58_275:
	s_and_b64 vcc, exec, s[0:1]
	s_cbranch_vccnz .LBB58_277
; %bb.276:
	v_lshl_add_u64 v[48:49], v[72:73], 2, v[46:47]
	global_load_dword v48, v[48:49], off
	s_waitcnt vmcnt(0)
	v_mul_f32_e32 v48, s33, v48
	s_branch .LBB58_278
.LBB58_277:
	v_mov_b32_e32 v48, 0
.LBB58_278:
	v_pk_add_f32 v[50:51], v[16:17], v[40:41]
	s_nop 0
	v_min3_f32 v49, v50, v51, v103
	v_pk_add_f32 v[50:51], v[18:19], v[42:43]
	s_nop 0
	v_min_f32_e32 v50, v50, v51
	v_min3_f32 v50, v48, v50, v49
	v_lshl_add_u64 v[48:49], v[72:73], 2, v[44:45]
	global_store_dword v[48:49], v50, off
	s_or_b64 exec, exec, s[26:27]
	s_and_b64 s[30:31], s[12:13], s[18:19]
	s_and_saveexec_b64 s[26:27], s[30:31]
	s_cbranch_execz .LBB58_257
.LBB58_279:
	s_and_b64 vcc, exec, s[0:1]
	s_cbranch_vccnz .LBB58_281
; %bb.280:
	v_lshl_add_u64 v[48:49], v[74:75], 2, v[46:47]
	global_load_dword v48, v[48:49], off
	s_waitcnt vmcnt(0)
	v_mul_f32_e32 v48, s33, v48
	s_branch .LBB58_282
.LBB58_281:
	v_mov_b32_e32 v48, 0
.LBB58_282:
	v_pk_add_f32 v[50:51], v[12:13], v[40:41]
	s_nop 0
	v_min3_f32 v49, v50, v51, v102
	v_pk_add_f32 v[50:51], v[14:15], v[42:43]
	s_nop 0
	v_min_f32_e32 v50, v50, v51
	v_min3_f32 v50, v48, v50, v49
	v_lshl_add_u64 v[48:49], v[74:75], 2, v[44:45]
	global_store_dword v[48:49], v50, off
	s_or_b64 exec, exec, s[26:27]
	s_and_b64 s[30:31], s[14:15], s[18:19]
	s_and_saveexec_b64 s[26:27], s[30:31]
	s_cbranch_execz .LBB58_258
.LBB58_283:
	s_and_b64 vcc, exec, s[0:1]
	s_cbranch_vccnz .LBB58_285
; %bb.284:
	v_lshl_add_u64 v[48:49], v[76:77], 2, v[46:47]
	global_load_dword v48, v[48:49], off
	s_waitcnt vmcnt(0)
	v_mul_f32_e32 v48, s33, v48
	s_branch .LBB58_286
.LBB58_285:
	v_mov_b32_e32 v48, 0
.LBB58_286:
	v_pk_add_f32 v[50:51], v[8:9], v[40:41]
	s_nop 0
	v_min3_f32 v49, v50, v51, v101
	v_pk_add_f32 v[50:51], v[10:11], v[42:43]
	s_nop 0
	v_min_f32_e32 v50, v50, v51
	v_min3_f32 v50, v48, v50, v49
	v_lshl_add_u64 v[48:49], v[76:77], 2, v[44:45]
	global_store_dword v[48:49], v50, off
	s_or_b64 exec, exec, s[26:27]
	s_and_b64 s[26:27], s[16:17], s[18:19]
	s_and_saveexec_b64 s[18:19], s[26:27]
	s_cbranch_execz .LBB58_291
.LBB58_287:
	s_and_b64 vcc, exec, s[0:1]
	s_cbranch_vccnz .LBB58_289
; %bb.288:
	v_lshl_add_u64 v[46:47], v[78:79], 2, v[46:47]
	global_load_dword v46, v[46:47], off
	s_waitcnt vmcnt(0)
	v_mul_f32_e32 v46, s33, v46
	s_branch .LBB58_290
.LBB58_289:
	v_mov_b32_e32 v46, 0
.LBB58_290:
	v_pk_add_f32 v[40:41], v[0:1], v[40:41]
	s_nop 0
	v_min3_f32 v47, v40, v41, v100
	v_pk_add_f32 v[40:41], v[2:3], v[42:43]
	s_nop 0
	v_min_f32_e32 v40, v40, v41
	v_min3_f32 v42, v46, v40, v47
	v_lshl_add_u64 v[40:41], v[78:79], 2, v[44:45]
	global_store_dword v[40:41], v42, off
.LBB58_291:
	s_or_b64 exec, exec, s[18:19]
	v_add_u32_e32 v44, 48, v123
	v_mad_i64_i32 v[40:41], s[26:27], v44, s29, 0
	v_cmp_gt_i32_e64 s[18:19], s21, v44
	v_lshl_add_u64 v[42:43], v[40:41], 2, s[24:25]
	v_mad_i64_i32 v[40:41], s[26:27], v44, s28, 0
	v_lshl_add_u64 v[40:41], v[40:41], 2, s[22:23]
	s_and_b64 s[30:31], s[2:3], s[18:19]
	s_and_saveexec_b64 s[26:27], s[30:31]
	s_cbranch_execnz .LBB58_299
; %bb.292:
	s_or_b64 exec, exec, s[26:27]
	s_and_b64 s[30:31], s[4:5], s[18:19]
	s_and_saveexec_b64 s[26:27], s[30:31]
	s_cbranch_execnz .LBB58_303
.LBB58_293:
	s_or_b64 exec, exec, s[26:27]
	s_and_b64 s[30:31], s[6:7], s[18:19]
	s_and_saveexec_b64 s[26:27], s[30:31]
	s_cbranch_execnz .LBB58_307
.LBB58_294:
	s_or_b64 exec, exec, s[26:27]
	s_and_b64 s[30:31], s[8:9], s[18:19]
	s_and_saveexec_b64 s[26:27], s[30:31]
	s_cbranch_execnz .LBB58_311
.LBB58_295:
	s_or_b64 exec, exec, s[26:27]
	s_and_b64 s[30:31], s[10:11], s[18:19]
	s_and_saveexec_b64 s[26:27], s[30:31]
	s_cbranch_execnz .LBB58_315
.LBB58_296:
	s_or_b64 exec, exec, s[26:27]
	s_and_b64 s[30:31], s[12:13], s[18:19]
	s_and_saveexec_b64 s[26:27], s[30:31]
	s_cbranch_execnz .LBB58_319
.LBB58_297:
	s_or_b64 exec, exec, s[26:27]
	s_and_b64 s[30:31], s[14:15], s[18:19]
	s_and_saveexec_b64 s[26:27], s[30:31]
	s_cbranch_execnz .LBB58_323
.LBB58_298:
	s_or_b64 exec, exec, s[26:27]
	s_and_b64 s[26:27], s[16:17], s[18:19]
	s_and_saveexec_b64 s[18:19], s[26:27]
	s_cbranch_execnz .LBB58_327
	s_branch .LBB58_331
.LBB58_299:
	s_and_b64 vcc, exec, s[0:1]
	s_cbranch_vccnz .LBB58_301
; %bb.300:
	v_lshl_add_u64 v[44:45], v[64:65], 2, v[42:43]
	global_load_dword v44, v[44:45], off
	s_waitcnt vmcnt(0)
	v_mul_f32_e32 v44, s33, v44
	s_branch .LBB58_302
.LBB58_301:
	v_mov_b32_e32 v44, 0
.LBB58_302:
	v_pk_add_f32 v[46:47], v[32:33], v[36:37]
	s_nop 0
	v_min3_f32 v45, v46, v47, v99
	v_pk_add_f32 v[46:47], v[34:35], v[38:39]
	s_nop 0
	v_min_f32_e32 v46, v46, v47
	v_min3_f32 v46, v44, v46, v45
	v_lshl_add_u64 v[44:45], v[64:65], 2, v[40:41]
	global_store_dword v[44:45], v46, off
	s_or_b64 exec, exec, s[26:27]
	s_and_b64 s[30:31], s[4:5], s[18:19]
	s_and_saveexec_b64 s[26:27], s[30:31]
	s_cbranch_execz .LBB58_293
.LBB58_303:
	s_and_b64 vcc, exec, s[0:1]
	s_cbranch_vccnz .LBB58_305
; %bb.304:
	v_lshl_add_u64 v[44:45], v[66:67], 2, v[42:43]
	global_load_dword v44, v[44:45], off
	s_waitcnt vmcnt(0)
	v_mul_f32_e32 v44, s33, v44
	s_branch .LBB58_306
.LBB58_305:
	v_mov_b32_e32 v44, 0
.LBB58_306:
	v_pk_add_f32 v[46:47], v[28:29], v[36:37]
	s_nop 0
	v_min3_f32 v45, v46, v47, v98
	v_pk_add_f32 v[46:47], v[30:31], v[38:39]
	s_nop 0
	v_min_f32_e32 v46, v46, v47
	v_min3_f32 v46, v44, v46, v45
	v_lshl_add_u64 v[44:45], v[66:67], 2, v[40:41]
	global_store_dword v[44:45], v46, off
	s_or_b64 exec, exec, s[26:27]
	s_and_b64 s[30:31], s[6:7], s[18:19]
	s_and_saveexec_b64 s[26:27], s[30:31]
	s_cbranch_execz .LBB58_294
.LBB58_307:
	s_and_b64 vcc, exec, s[0:1]
	s_cbranch_vccnz .LBB58_309
; %bb.308:
	v_lshl_add_u64 v[44:45], v[68:69], 2, v[42:43]
	global_load_dword v44, v[44:45], off
	s_waitcnt vmcnt(0)
	v_mul_f32_e32 v44, s33, v44
	s_branch .LBB58_310
.LBB58_309:
	v_mov_b32_e32 v44, 0
.LBB58_310:
	v_pk_add_f32 v[46:47], v[24:25], v[36:37]
	s_nop 0
	v_min3_f32 v45, v46, v47, v97
	v_pk_add_f32 v[46:47], v[26:27], v[38:39]
	s_nop 0
	v_min_f32_e32 v46, v46, v47
	v_min3_f32 v46, v44, v46, v45
	v_lshl_add_u64 v[44:45], v[68:69], 2, v[40:41]
	global_store_dword v[44:45], v46, off
	s_or_b64 exec, exec, s[26:27]
	s_and_b64 s[30:31], s[8:9], s[18:19]
	s_and_saveexec_b64 s[26:27], s[30:31]
	s_cbranch_execz .LBB58_295
.LBB58_311:
	s_and_b64 vcc, exec, s[0:1]
	s_cbranch_vccnz .LBB58_313
; %bb.312:
	v_lshl_add_u64 v[44:45], v[70:71], 2, v[42:43]
	global_load_dword v44, v[44:45], off
	s_waitcnt vmcnt(0)
	v_mul_f32_e32 v44, s33, v44
	s_branch .LBB58_314
.LBB58_313:
	v_mov_b32_e32 v44, 0
.LBB58_314:
	v_pk_add_f32 v[46:47], v[20:21], v[36:37]
	s_nop 0
	v_min3_f32 v45, v46, v47, v96
	v_pk_add_f32 v[46:47], v[22:23], v[38:39]
	s_nop 0
	v_min_f32_e32 v46, v46, v47
	v_min3_f32 v46, v44, v46, v45
	v_lshl_add_u64 v[44:45], v[70:71], 2, v[40:41]
	global_store_dword v[44:45], v46, off
	s_or_b64 exec, exec, s[26:27]
	s_and_b64 s[30:31], s[10:11], s[18:19]
	s_and_saveexec_b64 s[26:27], s[30:31]
	s_cbranch_execz .LBB58_296
.LBB58_315:
	s_and_b64 vcc, exec, s[0:1]
	s_cbranch_vccnz .LBB58_317
; %bb.316:
	v_lshl_add_u64 v[44:45], v[72:73], 2, v[42:43]
	global_load_dword v44, v[44:45], off
	s_waitcnt vmcnt(0)
	v_mul_f32_e32 v44, s33, v44
	s_branch .LBB58_318
.LBB58_317:
	v_mov_b32_e32 v44, 0
.LBB58_318:
	v_pk_add_f32 v[46:47], v[16:17], v[36:37]
	s_nop 0
	v_min3_f32 v45, v46, v47, v95
	v_pk_add_f32 v[46:47], v[18:19], v[38:39]
	s_nop 0
	v_min_f32_e32 v46, v46, v47
	v_min3_f32 v46, v44, v46, v45
	v_lshl_add_u64 v[44:45], v[72:73], 2, v[40:41]
	global_store_dword v[44:45], v46, off
	s_or_b64 exec, exec, s[26:27]
	s_and_b64 s[30:31], s[12:13], s[18:19]
	s_and_saveexec_b64 s[26:27], s[30:31]
	s_cbranch_execz .LBB58_297
.LBB58_319:
	s_and_b64 vcc, exec, s[0:1]
	s_cbranch_vccnz .LBB58_321
; %bb.320:
	v_lshl_add_u64 v[44:45], v[74:75], 2, v[42:43]
	global_load_dword v44, v[44:45], off
	s_waitcnt vmcnt(0)
	v_mul_f32_e32 v44, s33, v44
	s_branch .LBB58_322
.LBB58_321:
	v_mov_b32_e32 v44, 0
.LBB58_322:
	v_pk_add_f32 v[46:47], v[12:13], v[36:37]
	s_nop 0
	v_min3_f32 v45, v46, v47, v94
	v_pk_add_f32 v[46:47], v[14:15], v[38:39]
	s_nop 0
	v_min_f32_e32 v46, v46, v47
	v_min3_f32 v46, v44, v46, v45
	v_lshl_add_u64 v[44:45], v[74:75], 2, v[40:41]
	global_store_dword v[44:45], v46, off
	s_or_b64 exec, exec, s[26:27]
	s_and_b64 s[30:31], s[14:15], s[18:19]
	s_and_saveexec_b64 s[26:27], s[30:31]
	s_cbranch_execz .LBB58_298
.LBB58_323:
	s_and_b64 vcc, exec, s[0:1]
	s_cbranch_vccnz .LBB58_325
; %bb.324:
	v_lshl_add_u64 v[44:45], v[76:77], 2, v[42:43]
	global_load_dword v44, v[44:45], off
	s_waitcnt vmcnt(0)
	v_mul_f32_e32 v44, s33, v44
	s_branch .LBB58_326
.LBB58_325:
	v_mov_b32_e32 v44, 0
.LBB58_326:
	v_pk_add_f32 v[46:47], v[8:9], v[36:37]
	s_nop 0
	v_min3_f32 v45, v46, v47, v93
	v_pk_add_f32 v[46:47], v[10:11], v[38:39]
	s_nop 0
	v_min_f32_e32 v46, v46, v47
	v_min3_f32 v46, v44, v46, v45
	v_lshl_add_u64 v[44:45], v[76:77], 2, v[40:41]
	global_store_dword v[44:45], v46, off
	s_or_b64 exec, exec, s[26:27]
	s_and_b64 s[26:27], s[16:17], s[18:19]
	s_and_saveexec_b64 s[18:19], s[26:27]
	s_cbranch_execz .LBB58_331
.LBB58_327:
	s_and_b64 vcc, exec, s[0:1]
	s_cbranch_vccnz .LBB58_329
; %bb.328:
	v_lshl_add_u64 v[42:43], v[78:79], 2, v[42:43]
	global_load_dword v42, v[42:43], off
	s_waitcnt vmcnt(0)
	v_mul_f32_e32 v42, s33, v42
	s_branch .LBB58_330
.LBB58_329:
	v_mov_b32_e32 v42, 0
.LBB58_330:
	v_pk_add_f32 v[36:37], v[0:1], v[36:37]
	s_nop 0
	v_min3_f32 v43, v36, v37, v92
	v_pk_add_f32 v[36:37], v[2:3], v[38:39]
	s_nop 0
	v_min_f32_e32 v36, v36, v37
	v_min3_f32 v38, v42, v36, v43
	v_lshl_add_u64 v[36:37], v[78:79], 2, v[40:41]
	global_store_dword v[36:37], v38, off
.LBB58_331:
	s_or_b64 exec, exec, s[18:19]
	v_add_u32_e32 v40, 56, v123
	v_cmp_gt_i32_e64 s[18:19], s21, v40
	v_mad_i64_i32 v[36:37], s[20:21], v40, s29, 0
	v_lshl_add_u64 v[38:39], v[36:37], 2, s[24:25]
	v_mad_i64_i32 v[36:37], s[20:21], v40, s28, 0
	v_lshl_add_u64 v[36:37], v[36:37], 2, s[22:23]
	s_and_b64 s[20:21], s[2:3], s[18:19]
	s_and_saveexec_b64 s[2:3], s[20:21]
	s_cbranch_execnz .LBB58_340
; %bb.332:
	s_or_b64 exec, exec, s[2:3]
	s_and_b64 s[4:5], s[4:5], s[18:19]
	s_and_saveexec_b64 s[2:3], s[4:5]
	s_cbranch_execnz .LBB58_344
.LBB58_333:
	s_or_b64 exec, exec, s[2:3]
	s_and_b64 s[4:5], s[6:7], s[18:19]
	s_and_saveexec_b64 s[2:3], s[4:5]
	s_cbranch_execnz .LBB58_348
.LBB58_334:
	s_or_b64 exec, exec, s[2:3]
	s_and_b64 s[4:5], s[8:9], s[18:19]
	s_and_saveexec_b64 s[2:3], s[4:5]
	s_cbranch_execnz .LBB58_352
.LBB58_335:
	s_or_b64 exec, exec, s[2:3]
	s_and_b64 s[4:5], s[10:11], s[18:19]
	s_and_saveexec_b64 s[2:3], s[4:5]
	s_cbranch_execnz .LBB58_356
.LBB58_336:
	s_or_b64 exec, exec, s[2:3]
	s_and_b64 s[4:5], s[12:13], s[18:19]
	s_and_saveexec_b64 s[2:3], s[4:5]
	s_cbranch_execnz .LBB58_360
.LBB58_337:
	s_or_b64 exec, exec, s[2:3]
	s_and_b64 s[4:5], s[14:15], s[18:19]
	s_and_saveexec_b64 s[2:3], s[4:5]
	s_cbranch_execnz .LBB58_364
.LBB58_338:
	s_or_b64 exec, exec, s[2:3]
	s_and_b64 s[2:3], s[16:17], s[18:19]
	s_and_saveexec_b64 s[4:5], s[2:3]
	s_cbranch_execnz .LBB58_368
.LBB58_339:
	s_endpgm
.LBB58_340:
	s_and_b64 vcc, exec, s[0:1]
	s_cbranch_vccnz .LBB58_342
; %bb.341:
	v_lshl_add_u64 v[40:41], v[64:65], 2, v[38:39]
	global_load_dword v40, v[40:41], off
	s_waitcnt vmcnt(0)
	v_mul_f32_e32 v40, s33, v40
	s_branch .LBB58_343
.LBB58_342:
	v_mov_b32_e32 v40, 0
.LBB58_343:
	v_pk_add_f32 v[32:33], v[32:33], v[4:5]
	s_nop 0
	v_min3_f32 v41, v32, v33, v91
	v_pk_add_f32 v[32:33], v[34:35], v[6:7]
	s_nop 0
	v_min_f32_e32 v32, v32, v33
	v_min3_f32 v34, v40, v32, v41
	v_lshl_add_u64 v[32:33], v[64:65], 2, v[36:37]
	global_store_dword v[32:33], v34, off
	s_or_b64 exec, exec, s[2:3]
	s_and_b64 s[4:5], s[4:5], s[18:19]
	s_and_saveexec_b64 s[2:3], s[4:5]
	s_cbranch_execz .LBB58_333
.LBB58_344:
	s_and_b64 vcc, exec, s[0:1]
	s_cbranch_vccnz .LBB58_346
; %bb.345:
	v_lshl_add_u64 v[32:33], v[66:67], 2, v[38:39]
	global_load_dword v32, v[32:33], off
	s_waitcnt vmcnt(0)
	v_mul_f32_e32 v32, s33, v32
	s_branch .LBB58_347
.LBB58_346:
	v_mov_b32_e32 v32, 0
.LBB58_347:
	v_pk_add_f32 v[28:29], v[28:29], v[4:5]
	s_nop 0
	v_min3_f32 v33, v28, v29, v90
	v_pk_add_f32 v[28:29], v[30:31], v[6:7]
	s_nop 0
	v_min_f32_e32 v28, v28, v29
	v_min3_f32 v30, v32, v28, v33
	v_lshl_add_u64 v[28:29], v[66:67], 2, v[36:37]
	global_store_dword v[28:29], v30, off
	s_or_b64 exec, exec, s[2:3]
	s_and_b64 s[4:5], s[6:7], s[18:19]
	s_and_saveexec_b64 s[2:3], s[4:5]
	s_cbranch_execz .LBB58_334
.LBB58_348:
	s_and_b64 vcc, exec, s[0:1]
	s_cbranch_vccnz .LBB58_350
; %bb.349:
	v_lshl_add_u64 v[28:29], v[68:69], 2, v[38:39]
	global_load_dword v28, v[28:29], off
	s_waitcnt vmcnt(0)
	v_mul_f32_e32 v28, s33, v28
	s_branch .LBB58_351
.LBB58_350:
	v_mov_b32_e32 v28, 0
.LBB58_351:
	v_pk_add_f32 v[24:25], v[24:25], v[4:5]
	s_nop 0
	v_min3_f32 v29, v24, v25, v89
	v_pk_add_f32 v[24:25], v[26:27], v[6:7]
	s_nop 0
	v_min_f32_e32 v24, v24, v25
	v_min3_f32 v26, v28, v24, v29
	v_lshl_add_u64 v[24:25], v[68:69], 2, v[36:37]
	global_store_dword v[24:25], v26, off
	s_or_b64 exec, exec, s[2:3]
	s_and_b64 s[4:5], s[8:9], s[18:19]
	s_and_saveexec_b64 s[2:3], s[4:5]
	s_cbranch_execz .LBB58_335
.LBB58_352:
	s_and_b64 vcc, exec, s[0:1]
	s_cbranch_vccnz .LBB58_354
; %bb.353:
	v_lshl_add_u64 v[24:25], v[70:71], 2, v[38:39]
	global_load_dword v24, v[24:25], off
	s_waitcnt vmcnt(0)
	v_mul_f32_e32 v24, s33, v24
	s_branch .LBB58_355
.LBB58_354:
	v_mov_b32_e32 v24, 0
.LBB58_355:
	v_pk_add_f32 v[20:21], v[20:21], v[4:5]
	s_nop 0
	v_min3_f32 v25, v20, v21, v87
	v_pk_add_f32 v[20:21], v[22:23], v[6:7]
	s_nop 0
	v_min_f32_e32 v20, v20, v21
	v_min3_f32 v22, v24, v20, v25
	v_lshl_add_u64 v[20:21], v[70:71], 2, v[36:37]
	global_store_dword v[20:21], v22, off
	s_or_b64 exec, exec, s[2:3]
	s_and_b64 s[4:5], s[10:11], s[18:19]
	s_and_saveexec_b64 s[2:3], s[4:5]
	s_cbranch_execz .LBB58_336
.LBB58_356:
	s_and_b64 vcc, exec, s[0:1]
	s_cbranch_vccnz .LBB58_358
; %bb.357:
	v_lshl_add_u64 v[20:21], v[72:73], 2, v[38:39]
	global_load_dword v20, v[20:21], off
	s_waitcnt vmcnt(0)
	v_mul_f32_e32 v20, s33, v20
	s_branch .LBB58_359
.LBB58_358:
	v_mov_b32_e32 v20, 0
.LBB58_359:
	v_pk_add_f32 v[16:17], v[16:17], v[4:5]
	s_nop 0
	v_min3_f32 v21, v16, v17, v86
	v_pk_add_f32 v[16:17], v[18:19], v[6:7]
	s_nop 0
	v_min_f32_e32 v16, v16, v17
	v_min3_f32 v18, v20, v16, v21
	v_lshl_add_u64 v[16:17], v[72:73], 2, v[36:37]
	global_store_dword v[16:17], v18, off
	s_or_b64 exec, exec, s[2:3]
	s_and_b64 s[4:5], s[12:13], s[18:19]
	s_and_saveexec_b64 s[2:3], s[4:5]
	s_cbranch_execz .LBB58_337
.LBB58_360:
	s_and_b64 vcc, exec, s[0:1]
	s_cbranch_vccnz .LBB58_362
; %bb.361:
	v_lshl_add_u64 v[16:17], v[74:75], 2, v[38:39]
	global_load_dword v16, v[16:17], off
	s_waitcnt vmcnt(0)
	v_mul_f32_e32 v16, s33, v16
	s_branch .LBB58_363
.LBB58_362:
	v_mov_b32_e32 v16, 0
.LBB58_363:
	v_pk_add_f32 v[12:13], v[12:13], v[4:5]
	s_nop 0
	v_min3_f32 v17, v12, v13, v85
	v_pk_add_f32 v[12:13], v[14:15], v[6:7]
	s_nop 0
	v_min_f32_e32 v12, v12, v13
	v_min3_f32 v14, v16, v12, v17
	v_lshl_add_u64 v[12:13], v[74:75], 2, v[36:37]
	global_store_dword v[12:13], v14, off
	s_or_b64 exec, exec, s[2:3]
	s_and_b64 s[4:5], s[14:15], s[18:19]
	s_and_saveexec_b64 s[2:3], s[4:5]
	s_cbranch_execz .LBB58_338
.LBB58_364:
	s_and_b64 vcc, exec, s[0:1]
	s_cbranch_vccnz .LBB58_366
; %bb.365:
	v_lshl_add_u64 v[12:13], v[76:77], 2, v[38:39]
	global_load_dword v12, v[12:13], off
	s_waitcnt vmcnt(0)
	v_mul_f32_e32 v12, s33, v12
	s_branch .LBB58_367
.LBB58_366:
	v_mov_b32_e32 v12, 0
.LBB58_367:
	v_pk_add_f32 v[8:9], v[8:9], v[4:5]
	s_nop 0
	v_min3_f32 v13, v8, v9, v84
	v_pk_add_f32 v[8:9], v[10:11], v[6:7]
	s_nop 0
	v_min_f32_e32 v8, v8, v9
	v_min3_f32 v10, v12, v8, v13
	v_lshl_add_u64 v[8:9], v[76:77], 2, v[36:37]
	global_store_dword v[8:9], v10, off
	s_or_b64 exec, exec, s[2:3]
	s_and_b64 s[2:3], s[16:17], s[18:19]
	s_and_saveexec_b64 s[4:5], s[2:3]
	s_cbranch_execz .LBB58_339
.LBB58_368:
	s_and_b64 vcc, exec, s[0:1]
	s_cbranch_vccnz .LBB58_370
; %bb.369:
	v_lshl_add_u64 v[8:9], v[78:79], 2, v[38:39]
	global_load_dword v8, v[8:9], off
	s_waitcnt vmcnt(0)
	v_mul_f32_e32 v8, s33, v8
	s_branch .LBB58_371
.LBB58_370:
	v_mov_b32_e32 v8, 0
.LBB58_371:
	v_pk_add_f32 v[0:1], v[0:1], v[4:5]
	s_nop 0
	v_min3_f32 v4, v0, v1, v88
	v_pk_add_f32 v[0:1], v[2:3], v[6:7]
	s_nop 0
	v_min_f32_e32 v0, v0, v1
	v_min3_f32 v2, v8, v0, v4
	v_lshl_add_u64 v[0:1], v[78:79], 2, v[36:37]
	global_store_dword v[0:1], v2, off
	s_endpgm
	.section	.rodata,"a",@progbits
	.p2align	6, 0x0
	.amdhsa_kernel _ZN12_GLOBAL__N_120geam_min_plus_kernelIf15HIP_vector_typeIfLj2EEfLi32ELi8ELi256ELi64ELi4ELi64ELi4ELi4ELi64ELc78ELc78ELb1ELb1ELb1EfKffEEviiiT16_PT17_ilS6_ilS4_S6_ilPT18_ili26rocblas_geam_ex_operation_
		.amdhsa_group_segment_fixed_size 10240
		.amdhsa_private_segment_fixed_size 0
		.amdhsa_kernarg_size 128
		.amdhsa_user_sgpr_count 2
		.amdhsa_user_sgpr_dispatch_ptr 0
		.amdhsa_user_sgpr_queue_ptr 0
		.amdhsa_user_sgpr_kernarg_segment_ptr 1
		.amdhsa_user_sgpr_dispatch_id 0
		.amdhsa_user_sgpr_kernarg_preload_length 0
		.amdhsa_user_sgpr_kernarg_preload_offset 0
		.amdhsa_user_sgpr_private_segment_size 0
		.amdhsa_uses_dynamic_stack 0
		.amdhsa_enable_private_segment 0
		.amdhsa_system_sgpr_workgroup_id_x 1
		.amdhsa_system_sgpr_workgroup_id_y 0
		.amdhsa_system_sgpr_workgroup_id_z 1
		.amdhsa_system_sgpr_workgroup_info 0
		.amdhsa_system_vgpr_workitem_id 1
		.amdhsa_next_free_vgpr 161
		.amdhsa_next_free_sgpr 38
		.amdhsa_accum_offset 164
		.amdhsa_reserve_vcc 1
		.amdhsa_float_round_mode_32 0
		.amdhsa_float_round_mode_16_64 0
		.amdhsa_float_denorm_mode_32 3
		.amdhsa_float_denorm_mode_16_64 3
		.amdhsa_dx10_clamp 1
		.amdhsa_ieee_mode 1
		.amdhsa_fp16_overflow 0
		.amdhsa_tg_split 0
		.amdhsa_exception_fp_ieee_invalid_op 0
		.amdhsa_exception_fp_denorm_src 0
		.amdhsa_exception_fp_ieee_div_zero 0
		.amdhsa_exception_fp_ieee_overflow 0
		.amdhsa_exception_fp_ieee_underflow 0
		.amdhsa_exception_fp_ieee_inexact 0
		.amdhsa_exception_int_div_zero 0
	.end_amdhsa_kernel
	.section	.text._ZN12_GLOBAL__N_120geam_min_plus_kernelIf15HIP_vector_typeIfLj2EEfLi32ELi8ELi256ELi64ELi4ELi64ELi4ELi4ELi64ELc78ELc78ELb1ELb1ELb1EfKffEEviiiT16_PT17_ilS6_ilS4_S6_ilPT18_ili26rocblas_geam_ex_operation_,"axG",@progbits,_ZN12_GLOBAL__N_120geam_min_plus_kernelIf15HIP_vector_typeIfLj2EEfLi32ELi8ELi256ELi64ELi4ELi64ELi4ELi4ELi64ELc78ELc78ELb1ELb1ELb1EfKffEEviiiT16_PT17_ilS6_ilS4_S6_ilPT18_ili26rocblas_geam_ex_operation_,comdat
.Lfunc_end58:
	.size	_ZN12_GLOBAL__N_120geam_min_plus_kernelIf15HIP_vector_typeIfLj2EEfLi32ELi8ELi256ELi64ELi4ELi64ELi4ELi4ELi64ELc78ELc78ELb1ELb1ELb1EfKffEEviiiT16_PT17_ilS6_ilS4_S6_ilPT18_ili26rocblas_geam_ex_operation_, .Lfunc_end58-_ZN12_GLOBAL__N_120geam_min_plus_kernelIf15HIP_vector_typeIfLj2EEfLi32ELi8ELi256ELi64ELi4ELi64ELi4ELi4ELi64ELc78ELc78ELb1ELb1ELb1EfKffEEviiiT16_PT17_ilS6_ilS4_S6_ilPT18_ili26rocblas_geam_ex_operation_
                                        ; -- End function
	.set _ZN12_GLOBAL__N_120geam_min_plus_kernelIf15HIP_vector_typeIfLj2EEfLi32ELi8ELi256ELi64ELi4ELi64ELi4ELi4ELi64ELc78ELc78ELb1ELb1ELb1EfKffEEviiiT16_PT17_ilS6_ilS4_S6_ilPT18_ili26rocblas_geam_ex_operation_.num_vgpr, 161
	.set _ZN12_GLOBAL__N_120geam_min_plus_kernelIf15HIP_vector_typeIfLj2EEfLi32ELi8ELi256ELi64ELi4ELi64ELi4ELi4ELi64ELc78ELc78ELb1ELb1ELb1EfKffEEviiiT16_PT17_ilS6_ilS4_S6_ilPT18_ili26rocblas_geam_ex_operation_.num_agpr, 0
	.set _ZN12_GLOBAL__N_120geam_min_plus_kernelIf15HIP_vector_typeIfLj2EEfLi32ELi8ELi256ELi64ELi4ELi64ELi4ELi4ELi64ELc78ELc78ELb1ELb1ELb1EfKffEEviiiT16_PT17_ilS6_ilS4_S6_ilPT18_ili26rocblas_geam_ex_operation_.numbered_sgpr, 38
	.set _ZN12_GLOBAL__N_120geam_min_plus_kernelIf15HIP_vector_typeIfLj2EEfLi32ELi8ELi256ELi64ELi4ELi64ELi4ELi4ELi64ELc78ELc78ELb1ELb1ELb1EfKffEEviiiT16_PT17_ilS6_ilS4_S6_ilPT18_ili26rocblas_geam_ex_operation_.num_named_barrier, 0
	.set _ZN12_GLOBAL__N_120geam_min_plus_kernelIf15HIP_vector_typeIfLj2EEfLi32ELi8ELi256ELi64ELi4ELi64ELi4ELi4ELi64ELc78ELc78ELb1ELb1ELb1EfKffEEviiiT16_PT17_ilS6_ilS4_S6_ilPT18_ili26rocblas_geam_ex_operation_.private_seg_size, 0
	.set _ZN12_GLOBAL__N_120geam_min_plus_kernelIf15HIP_vector_typeIfLj2EEfLi32ELi8ELi256ELi64ELi4ELi64ELi4ELi4ELi64ELc78ELc78ELb1ELb1ELb1EfKffEEviiiT16_PT17_ilS6_ilS4_S6_ilPT18_ili26rocblas_geam_ex_operation_.uses_vcc, 1
	.set _ZN12_GLOBAL__N_120geam_min_plus_kernelIf15HIP_vector_typeIfLj2EEfLi32ELi8ELi256ELi64ELi4ELi64ELi4ELi4ELi64ELc78ELc78ELb1ELb1ELb1EfKffEEviiiT16_PT17_ilS6_ilS4_S6_ilPT18_ili26rocblas_geam_ex_operation_.uses_flat_scratch, 0
	.set _ZN12_GLOBAL__N_120geam_min_plus_kernelIf15HIP_vector_typeIfLj2EEfLi32ELi8ELi256ELi64ELi4ELi64ELi4ELi4ELi64ELc78ELc78ELb1ELb1ELb1EfKffEEviiiT16_PT17_ilS6_ilS4_S6_ilPT18_ili26rocblas_geam_ex_operation_.has_dyn_sized_stack, 0
	.set _ZN12_GLOBAL__N_120geam_min_plus_kernelIf15HIP_vector_typeIfLj2EEfLi32ELi8ELi256ELi64ELi4ELi64ELi4ELi4ELi64ELc78ELc78ELb1ELb1ELb1EfKffEEviiiT16_PT17_ilS6_ilS4_S6_ilPT18_ili26rocblas_geam_ex_operation_.has_recursion, 0
	.set _ZN12_GLOBAL__N_120geam_min_plus_kernelIf15HIP_vector_typeIfLj2EEfLi32ELi8ELi256ELi64ELi4ELi64ELi4ELi4ELi64ELc78ELc78ELb1ELb1ELb1EfKffEEviiiT16_PT17_ilS6_ilS4_S6_ilPT18_ili26rocblas_geam_ex_operation_.has_indirect_call, 0
	.section	.AMDGPU.csdata,"",@progbits
; Kernel info:
; codeLenInByte = 18356
; TotalNumSgprs: 44
; NumVgprs: 161
; NumAgprs: 0
; TotalNumVgprs: 161
; ScratchSize: 0
; MemoryBound: 0
; FloatMode: 240
; IeeeMode: 1
; LDSByteSize: 10240 bytes/workgroup (compile time only)
; SGPRBlocks: 5
; VGPRBlocks: 20
; NumSGPRsForWavesPerEU: 44
; NumVGPRsForWavesPerEU: 161
; AccumOffset: 164
; Occupancy: 3
; WaveLimiterHint : 0
; COMPUTE_PGM_RSRC2:SCRATCH_EN: 0
; COMPUTE_PGM_RSRC2:USER_SGPR: 2
; COMPUTE_PGM_RSRC2:TRAP_HANDLER: 0
; COMPUTE_PGM_RSRC2:TGID_X_EN: 1
; COMPUTE_PGM_RSRC2:TGID_Y_EN: 0
; COMPUTE_PGM_RSRC2:TGID_Z_EN: 1
; COMPUTE_PGM_RSRC2:TIDIG_COMP_CNT: 1
; COMPUTE_PGM_RSRC3_GFX90A:ACCUM_OFFSET: 40
; COMPUTE_PGM_RSRC3_GFX90A:TG_SPLIT: 0
	.section	.text._ZN12_GLOBAL__N_120geam_min_plus_kernelIf15HIP_vector_typeIfLj2EEfLi32ELi8ELi256ELi64ELi4ELi64ELi4ELi4ELi64ELc78ELc78ELb0ELb1ELb1EfKffEEviiiT16_PT17_ilS6_ilS4_S6_ilPT18_ili26rocblas_geam_ex_operation_,"axG",@progbits,_ZN12_GLOBAL__N_120geam_min_plus_kernelIf15HIP_vector_typeIfLj2EEfLi32ELi8ELi256ELi64ELi4ELi64ELi4ELi4ELi64ELc78ELc78ELb0ELb1ELb1EfKffEEviiiT16_PT17_ilS6_ilS4_S6_ilPT18_ili26rocblas_geam_ex_operation_,comdat
	.globl	_ZN12_GLOBAL__N_120geam_min_plus_kernelIf15HIP_vector_typeIfLj2EEfLi32ELi8ELi256ELi64ELi4ELi64ELi4ELi4ELi64ELc78ELc78ELb0ELb1ELb1EfKffEEviiiT16_PT17_ilS6_ilS4_S6_ilPT18_ili26rocblas_geam_ex_operation_ ; -- Begin function _ZN12_GLOBAL__N_120geam_min_plus_kernelIf15HIP_vector_typeIfLj2EEfLi32ELi8ELi256ELi64ELi4ELi64ELi4ELi4ELi64ELc78ELc78ELb0ELb1ELb1EfKffEEviiiT16_PT17_ilS6_ilS4_S6_ilPT18_ili26rocblas_geam_ex_operation_
	.p2align	8
	.type	_ZN12_GLOBAL__N_120geam_min_plus_kernelIf15HIP_vector_typeIfLj2EEfLi32ELi8ELi256ELi64ELi4ELi64ELi4ELi4ELi64ELc78ELc78ELb0ELb1ELb1EfKffEEviiiT16_PT17_ilS6_ilS4_S6_ilPT18_ili26rocblas_geam_ex_operation_,@function
_ZN12_GLOBAL__N_120geam_min_plus_kernelIf15HIP_vector_typeIfLj2EEfLi32ELi8ELi256ELi64ELi4ELi64ELi4ELi4ELi64ELc78ELc78ELb0ELb1ELb1EfKffEEviiiT16_PT17_ilS6_ilS4_S6_ilPT18_ili26rocblas_geam_ex_operation_: ; @_ZN12_GLOBAL__N_120geam_min_plus_kernelIf15HIP_vector_typeIfLj2EEfLi32ELi8ELi256ELi64ELi4ELi64ELi4ELi4ELi64ELc78ELc78ELb0ELb1ELb1EfKffEEviiiT16_PT17_ilS6_ilS4_S6_ilPT18_ili26rocblas_geam_ex_operation_
; %bb.0:
	s_load_dwordx4 s[20:23], s[0:1], 0x0
	s_load_dwordx4 s[4:7], s[0:1], 0x20
	s_waitcnt lgkmcnt(0)
	v_cmp_eq_f32_e64 s[8:9], s23, 0
	s_and_b64 vcc, exec, s[8:9]
	s_cbranch_vccnz .LBB59_53
; %bb.1:
	s_load_dwordx2 s[10:11], s[0:1], 0x10
	s_mul_i32 s5, s5, s3
	s_mul_hi_u32 s12, s4, s3
	s_add_i32 s5, s12, s5
	s_mul_i32 s4, s4, s3
	s_lshl_b64 s[4:5], s[4:5], 2
	s_waitcnt lgkmcnt(0)
	s_add_u32 s28, s10, s4
	s_addc_u32 s29, s11, s5
	s_andn2_b64 vcc, exec, s[8:9]
	s_mov_b64 s[4:5], -1
	s_cbranch_vccnz .LBB59_3
.LBB59_2:
	s_mov_b64 s[4:5], 0
.LBB59_3:
	s_mov_b64 s[24:25], 0
	s_andn2_b64 vcc, exec, s[4:5]
	s_mov_b64 s[30:31], 0
	s_cbranch_vccnz .LBB59_5
; %bb.4:
	s_load_dwordx2 s[4:5], s[0:1], 0x38
	s_waitcnt lgkmcnt(0)
	s_mul_i32 s5, s5, s3
	s_mul_hi_u32 s8, s4, s3
	s_add_i32 s5, s8, s5
	s_mul_i32 s4, s4, s3
	s_lshl_b64 s[4:5], s[4:5], 2
	s_add_u32 s30, s6, s4
	s_addc_u32 s31, s7, s5
.LBB59_5:
	s_load_dword s33, s[0:1], 0x40
	s_load_dwordx4 s[16:19], s[0:1], 0x58
	s_waitcnt lgkmcnt(0)
	v_cmp_eq_f32_e64 s[4:5], s33, 0
	v_cmp_neq_f32_e64 s[26:27], s33, 0
	s_and_b64 vcc, exec, s[4:5]
	s_cbranch_vccnz .LBB59_7
; %bb.6:
	s_load_dwordx2 s[4:5], s[0:1], 0x48
	s_mul_i32 s6, s17, s3
	s_mul_hi_u32 s7, s16, s3
	s_add_i32 s7, s7, s6
	s_mul_i32 s6, s16, s3
	s_lshl_b64 s[6:7], s[6:7], 2
	s_waitcnt lgkmcnt(0)
	s_add_u32 s24, s4, s6
	s_addc_u32 s25, s5, s7
.LBB59_7:
	s_add_i32 s4, s20, -1
	s_ashr_i32 s5, s4, 31
	s_lshr_b32 s5, s5, 24
	s_add_i32 s4, s4, s5
	s_ashr_i32 s4, s4, 8
	s_add_i32 s5, s4, 1
	v_cvt_f32_u32_e32 v1, s5
	v_and_b32_e32 v70, 0x3ff, v0
	v_bfe_u32 v71, v0, 10, 10
	s_not_b32 s4, s4
	v_rcp_iflag_f32_e32 v1, v1
	s_load_dword s35, s[0:1], 0x18
	v_lshl_add_u32 v7, v71, 5, v70
	v_and_b32_e32 v2, 63, v7
	v_mul_f32_e32 v0, 0x4f7ffffe, v1
	v_cvt_u32_f32_e32 v0, v0
	v_lshrrev_b32_e32 v72, 6, v7
	v_cmp_eq_f32_e64 s[16:17], s23, 0
	v_mov_b32_e32 v4, 0x7f7fffff
	v_readfirstlane_b32 s6, v0
	s_mul_i32 s4, s4, s6
	s_mul_hi_u32 s4, s6, s4
	s_add_i32 s6, s6, s4
	s_mul_hi_u32 s4, s2, s6
	s_mul_i32 s6, s4, s5
	s_sub_i32 s6, s2, s6
	s_add_i32 s7, s4, 1
	s_sub_i32 s8, s6, s5
	s_cmp_ge_u32 s6, s5
	s_cselect_b32 s4, s7, s4
	s_cselect_b32 s6, s8, s6
	s_add_i32 s7, s4, 1
	s_cmp_ge_u32 s6, s5
	s_cselect_b32 s10, s7, s4
	s_mul_i32 s4, s10, s5
	s_sub_i32 s2, s2, s4
	s_lshl_b32 s2, s2, 8
	s_add_i32 s36, s22, -1
	v_or_b32_e32 v64, s2, v2
	v_min_i32_e32 v0, s36, v72
	v_cmp_le_i32_e64 s[8:9], s22, v72
	s_waitcnt lgkmcnt(0)
	v_mad_i64_i32 v[0:1], s[4:5], s35, v0, 0
	v_cmp_le_i32_e32 vcc, s20, v64
	s_or_b64 s[4:5], vcc, s[8:9]
	v_lshl_add_u64 v[0:1], v[0:1], 2, s[28:29]
	v_cndmask_b32_e64 v3, 0, v4, s[4:5]
	s_nor_b64 s[6:7], s[16:17], s[4:5]
	v_ashrrev_i32_e32 v65, 31, v64
	s_and_saveexec_b64 s[4:5], s[6:7]
	s_cbranch_execz .LBB59_9
; %bb.8:
	v_lshl_add_u64 v[8:9], v[64:65], 2, v[0:1]
	global_load_dword v3, v[8:9], off
	s_waitcnt vmcnt(0)
	v_mul_f32_e32 v3, s23, v3
.LBB59_9:
	s_or_b64 exec, exec, s[4:5]
	v_or_b32_e32 v5, 64, v64
	v_cmp_le_i32_e64 s[12:13], s20, v5
	s_or_b64 s[4:5], s[12:13], s[8:9]
	v_cndmask_b32_e64 v4, 0, v4, s[4:5]
	s_nor_b64 s[6:7], s[16:17], s[4:5]
	s_and_saveexec_b64 s[4:5], s[6:7]
	s_cbranch_execz .LBB59_11
; %bb.10:
	v_lshl_add_u64 v[4:5], v[64:65], 2, v[0:1]
	global_load_dword v4, v[4:5], off offset:256
	s_waitcnt vmcnt(0)
	v_mul_f32_e32 v4, s23, v4
.LBB59_11:
	s_or_b64 exec, exec, s[4:5]
	v_or_b32_e32 v5, 0x80, v64
	v_cmp_le_i32_e64 s[4:5], s20, v5
	v_mov_b32_e32 v6, 0x7f7fffff
	s_or_b64 s[6:7], s[4:5], s[8:9]
	v_cndmask_b32_e64 v5, 0, v6, s[6:7]
	s_nor_b64 s[14:15], s[16:17], s[6:7]
	s_and_saveexec_b64 s[6:7], s[14:15]
	s_cbranch_execz .LBB59_13
; %bb.12:
	v_lshl_add_u64 v[8:9], v[64:65], 2, v[0:1]
	global_load_dword v5, v[8:9], off offset:512
	s_waitcnt vmcnt(0)
	v_mul_f32_e32 v5, s23, v5
.LBB59_13:
	s_or_b64 exec, exec, s[6:7]
	v_or_b32_e32 v8, 0xc0, v64
	v_cmp_le_i32_e64 s[6:7], s20, v8
	s_or_b64 s[8:9], s[6:7], s[8:9]
	v_cndmask_b32_e64 v6, 0, v6, s[8:9]
	s_nor_b64 s[14:15], s[16:17], s[8:9]
	s_and_saveexec_b64 s[8:9], s[14:15]
	s_cbranch_execz .LBB59_15
; %bb.14:
	v_lshl_add_u64 v[0:1], v[64:65], 2, v[0:1]
	global_load_dword v0, v[0:1], off offset:768
	s_waitcnt vmcnt(0)
	v_mul_f32_e32 v6, s23, v0
.LBB59_15:
	s_or_b64 exec, exec, s[8:9]
	s_load_dword s38, s[0:1], 0x30
	v_lshrrev_b32_e32 v7, 2, v7
	s_lshl_b32 s34, s10, 6
	v_and_b32_e32 v75, 3, v70
	v_add_u32_e32 v57, s34, v7
	v_cmp_le_i32_e64 s[10:11], s22, v75
	v_cmp_le_i32_e64 s[8:9], s21, v57
	v_mov_b32_e32 v9, 0x7f7fffff
	s_or_b64 s[10:11], s[10:11], s[8:9]
	v_cndmask_b32_e64 v8, 0, v9, s[10:11]
	s_nor_b64 s[14:15], s[16:17], s[10:11]
	s_and_saveexec_b64 s[10:11], s[14:15]
	s_cbranch_execz .LBB59_17
; %bb.16:
	s_waitcnt lgkmcnt(0)
	v_mad_i64_i32 v[0:1], s[14:15], v57, s38, 0
	v_min_u32_e32 v8, s36, v75
	v_lshl_add_u64 v[0:1], v[0:1], 2, s[30:31]
	v_lshlrev_b32_e32 v10, 2, v8
	v_mov_b32_e32 v11, 0
	v_lshl_add_u64 v[0:1], v[0:1], 0, v[10:11]
	global_load_dword v0, v[0:1], off
	s_waitcnt vmcnt(0)
	v_mul_f32_e32 v8, s23, v0
.LBB59_17:
	s_or_b64 exec, exec, s[10:11]
	v_add_u32_e32 v0, 4, v72
	v_cmp_le_i32_e64 s[10:11], s22, v0
	v_min_i32_e32 v0, s36, v0
	v_mad_i64_i32 v[0:1], s[14:15], s35, v0, 0
	s_or_b64 s[14:15], vcc, s[10:11]
	v_lshl_add_u64 v[0:1], v[0:1], 2, s[28:29]
	v_cndmask_b32_e64 v58, 0, v9, s[14:15]
	s_nor_b64 s[40:41], s[16:17], s[14:15]
	s_and_saveexec_b64 s[14:15], s[40:41]
	s_cbranch_execz .LBB59_19
; %bb.18:
	v_lshl_add_u64 v[10:11], v[64:65], 2, v[0:1]
	global_load_dword v9, v[10:11], off
	s_waitcnt vmcnt(0)
	v_mul_f32_e32 v58, s23, v9
.LBB59_19:
	s_or_b64 exec, exec, s[14:15]
	v_mov_b32_e32 v9, 0x7f7fffff
	s_or_b64 s[14:15], s[12:13], s[10:11]
	v_cndmask_b32_e64 v59, 0, v9, s[14:15]
	s_nor_b64 s[40:41], s[16:17], s[14:15]
	s_and_saveexec_b64 s[14:15], s[40:41]
	s_cbranch_execz .LBB59_21
; %bb.20:
	v_lshl_add_u64 v[10:11], v[64:65], 2, v[0:1]
	global_load_dword v10, v[10:11], off offset:256
	s_waitcnt vmcnt(0)
	v_mul_f32_e32 v59, s23, v10
.LBB59_21:
	s_or_b64 exec, exec, s[14:15]
	s_or_b64 s[14:15], s[4:5], s[10:11]
	v_cndmask_b32_e64 v60, 0, v9, s[14:15]
	s_nor_b64 s[40:41], s[16:17], s[14:15]
	s_and_saveexec_b64 s[14:15], s[40:41]
	s_cbranch_execz .LBB59_23
; %bb.22:
	v_lshl_add_u64 v[10:11], v[64:65], 2, v[0:1]
	global_load_dword v9, v[10:11], off offset:512
	s_waitcnt vmcnt(0)
	v_mul_f32_e32 v60, s23, v9
.LBB59_23:
	s_or_b64 exec, exec, s[14:15]
	v_mov_b32_e32 v9, 0x7f7fffff
	s_or_b64 s[10:11], s[6:7], s[10:11]
	v_cndmask_b32_e64 v61, 0, v9, s[10:11]
	s_nor_b64 s[14:15], s[16:17], s[10:11]
	s_and_saveexec_b64 s[10:11], s[14:15]
	s_cbranch_execz .LBB59_25
; %bb.24:
	v_lshl_add_u64 v[0:1], v[64:65], 2, v[0:1]
	global_load_dword v0, v[0:1], off offset:768
	s_waitcnt vmcnt(0)
	v_mul_f32_e32 v61, s23, v0
.LBB59_25:
	s_or_b64 exec, exec, s[10:11]
	v_or_b32_e32 v0, 4, v75
	v_cmp_le_i32_e64 s[10:11], s22, v0
	s_or_b64 s[10:11], s[10:11], s[8:9]
	s_nor_b64 s[40:41], s[16:17], s[10:11]
	v_cndmask_b32_e64 v62, 0, v9, s[10:11]
	s_mov_b32 s14, 0x7f7fffff
	s_and_saveexec_b64 s[10:11], s[40:41]
	s_cbranch_execz .LBB59_27
; %bb.26:
	s_waitcnt lgkmcnt(0)
	v_mad_i64_i32 v[10:11], s[40:41], v57, s38, 0
	v_min_u32_e32 v0, s36, v0
	v_lshl_add_u64 v[10:11], v[10:11], 2, s[30:31]
	v_lshlrev_b32_e32 v0, 2, v0
	v_mov_b32_e32 v1, 0
	v_lshl_add_u64 v[0:1], v[10:11], 0, v[0:1]
	global_load_dword v0, v[0:1], off
	s_waitcnt vmcnt(0)
	v_mul_f32_e32 v62, s23, v0
.LBB59_27:
	s_or_b64 exec, exec, s[10:11]
	v_lshlrev_b32_e32 v0, 4, v2
	v_lshlrev_b32_e32 v56, 2, v75
	v_lshl_add_u32 v76, v72, 2, v0
	v_lshl_or_b32 v63, v7, 4, v56
	v_lshlrev_b32_e32 v74, 4, v70
	ds_write2st64_b32 v76, v3, v4 offset1:4
	ds_write2st64_b32 v76, v5, v6 offset0:8 offset1:12
	ds_write_b32 v63, v8 offset:8192
	s_waitcnt lgkmcnt(0)
	s_barrier
	v_lshlrev_b32_e32 v73, 4, v71
	ds_read_b128 v[28:31], v74
	ds_read_b128 v[24:27], v74 offset:512
	ds_read_b128 v[20:23], v74 offset:1024
	;; [unrolled: 1-line block ×13, first 2 shown]
	s_waitcnt lgkmcnt(5)
	v_pk_add_f32 v[66:67], v[28:29], v[52:53]
	s_cmp_lt_i32 s22, 9
	v_min3_f32 v68, v66, v67, s14
	v_pk_add_f32 v[66:67], v[24:25], v[52:53]
	s_nop 0
	v_min3_f32 v69, v66, v67, s14
	v_pk_add_f32 v[66:67], v[20:21], v[52:53]
	s_nop 0
	v_min3_f32 v77, v66, v67, s14
	v_pk_add_f32 v[66:67], v[16:17], v[52:53]
	s_nop 0
	v_min3_f32 v78, v66, v67, s14
	v_pk_add_f32 v[66:67], v[12:13], v[52:53]
	s_nop 0
	v_min3_f32 v79, v66, v67, s14
	v_pk_add_f32 v[66:67], v[8:9], v[52:53]
	s_nop 0
	v_min3_f32 v80, v66, v67, s14
	v_pk_add_f32 v[66:67], v[4:5], v[52:53]
	v_pk_add_f32 v[52:53], v[0:1], v[52:53]
	v_min3_f32 v66, v66, v67, s14
	v_min3_f32 v67, v52, v53, s14
	s_waitcnt lgkmcnt(4)
	v_pk_add_f32 v[52:53], v[28:29], v[48:49]
	s_nop 0
	v_min3_f32 v81, v52, v53, s14
	v_pk_add_f32 v[52:53], v[24:25], v[48:49]
	s_nop 0
	v_min3_f32 v82, v52, v53, s14
	v_pk_add_f32 v[52:53], v[20:21], v[48:49]
	s_nop 0
	v_min3_f32 v83, v52, v53, s14
	v_pk_add_f32 v[52:53], v[16:17], v[48:49]
	s_nop 0
	v_min3_f32 v84, v52, v53, s14
	v_pk_add_f32 v[52:53], v[12:13], v[48:49]
	s_nop 0
	v_min3_f32 v85, v52, v53, s14
	v_pk_add_f32 v[52:53], v[8:9], v[48:49]
	s_nop 0
	v_min3_f32 v86, v52, v53, s14
	v_pk_add_f32 v[52:53], v[4:5], v[48:49]
	v_pk_add_f32 v[48:49], v[0:1], v[48:49]
	v_min3_f32 v52, v52, v53, s14
	v_min3_f32 v53, v48, v49, s14
	s_waitcnt lgkmcnt(3)
	v_pk_add_f32 v[48:49], v[28:29], v[44:45]
	s_nop 0
	;; [unrolled: 23-line block ×4, first 2 shown]
	v_min3_f32 v101, v40, v41, s14
	v_pk_add_f32 v[40:41], v[24:25], v[36:37]
	s_nop 0
	v_min3_f32 v102, v40, v41, s14
	v_pk_add_f32 v[40:41], v[20:21], v[36:37]
	s_nop 0
	;; [unrolled: 3-line block ×5, first 2 shown]
	v_min3_f32 v106, v40, v41, s14
	v_pk_add_f32 v[40:41], v[4:5], v[36:37]
	v_pk_add_f32 v[36:37], v[0:1], v[36:37]
	v_min3_f32 v107, v40, v41, s14
	v_min3_f32 v108, v36, v37, s14
	s_waitcnt lgkmcnt(0)
	v_pk_add_f32 v[36:37], v[28:29], v[32:33]
	v_pk_add_f32 v[40:41], v[4:5], v[32:33]
	v_min3_f32 v125, v36, v37, s14
	v_pk_add_f32 v[36:37], v[24:25], v[32:33]
	v_min3_f32 v40, v40, v41, s14
	v_min3_f32 v146, v36, v37, s14
	v_pk_add_f32 v[36:37], v[20:21], v[32:33]
	s_nop 0
	v_min3_f32 v147, v36, v37, s14
	v_pk_add_f32 v[36:37], v[16:17], v[32:33]
	s_nop 0
	;; [unrolled: 3-line block ×10, first 2 shown]
	v_min3_f32 v66, v36, v37, s14
	v_pk_add_f32 v[36:37], v[8:9], v[32:33]
	v_pk_add_f32 v[32:33], v[0:1], v[32:33]
	v_min3_f32 v68, v36, v37, s14
	v_min3_f32 v41, v32, v33, s14
	v_pk_add_f32 v[32:33], v[30:31], v[50:51]
	v_pk_add_f32 v[36:37], v[2:3], v[54:55]
	v_min3_f32 v140, v32, v33, v81
	v_pk_add_f32 v[32:33], v[26:27], v[50:51]
	v_min3_f32 v141, v36, v37, v67
	v_min3_f32 v139, v32, v33, v82
	v_pk_add_f32 v[32:33], v[22:23], v[50:51]
	s_nop 0
	v_min3_f32 v138, v32, v33, v83
	v_pk_add_f32 v[32:33], v[18:19], v[50:51]
	s_nop 0
	v_min3_f32 v137, v32, v33, v84
	v_pk_add_f32 v[32:33], v[14:15], v[50:51]
	s_nop 0
	v_min3_f32 v136, v32, v33, v85
	v_pk_add_f32 v[32:33], v[10:11], v[50:51]
	s_nop 0
	v_min3_f32 v135, v32, v33, v86
	v_pk_add_f32 v[32:33], v[6:7], v[50:51]
	s_nop 0
	v_min3_f32 v134, v32, v33, v52
	v_pk_add_f32 v[32:33], v[2:3], v[50:51]
	ds_read_b128 v[48:51], v73 offset:8960
	v_min3_f32 v133, v32, v33, v53
	v_pk_add_f32 v[32:33], v[30:31], v[46:47]
	ds_read_b128 v[52:55], v73 offset:9088
	v_min3_f32 v132, v32, v33, v87
	v_pk_add_f32 v[32:33], v[26:27], v[46:47]
	s_waitcnt lgkmcnt(1)
	v_pk_add_f32 v[36:37], v[20:21], v[48:49]
	v_min3_f32 v131, v32, v33, v88
	v_pk_add_f32 v[32:33], v[22:23], v[46:47]
	s_waitcnt lgkmcnt(0)
	v_pk_add_f32 v[20:21], v[20:21], v[52:53]
	v_min3_f32 v130, v32, v33, v89
	v_pk_add_f32 v[32:33], v[18:19], v[46:47]
	v_min3_f32 v20, v20, v21, s14
	v_min3_f32 v129, v32, v33, v90
	v_pk_add_f32 v[32:33], v[14:15], v[46:47]
	ds_write2st64_b32 v76, v58, v59 offset0:16 offset1:20
	ds_write2st64_b32 v76, v60, v61 offset0:24 offset1:28
	ds_write_b32 v63, v62 offset:9216
	v_min3_f32 v128, v32, v33, v91
	v_pk_add_f32 v[32:33], v[10:11], v[46:47]
	s_waitcnt lgkmcnt(0)
	v_min3_f32 v126, v32, v33, v92
	v_pk_add_f32 v[32:33], v[6:7], v[46:47]
	s_barrier
	v_min3_f32 v123, v32, v33, v93
	v_pk_add_f32 v[32:33], v[28:29], v[48:49]
	v_pk_add_f32 v[28:29], v[28:29], v[52:53]
	v_min3_f32 v67, v32, v33, s14
	v_pk_add_f32 v[32:33], v[24:25], v[48:49]
	v_min3_f32 v28, v28, v29, s14
	v_min3_f32 v69, v32, v33, s14
	v_pk_add_f32 v[32:33], v[2:3], v[46:47]
	v_min3_f32 v46, v36, v37, s14
	v_min3_f32 v127, v32, v33, v94
	v_pk_add_f32 v[32:33], v[30:31], v[42:43]
	v_pk_add_f32 v[36:37], v[16:17], v[48:49]
	v_min3_f32 v124, v32, v33, v95
	v_pk_add_f32 v[32:33], v[26:27], v[42:43]
	v_min3_f32 v47, v36, v37, s14
	v_min3_f32 v122, v32, v33, v96
	v_pk_add_f32 v[32:33], v[22:23], v[42:43]
	v_pk_add_f32 v[36:37], v[4:5], v[48:49]
	v_min3_f32 v121, v32, v33, v97
	v_pk_add_f32 v[32:33], v[18:19], v[42:43]
	v_pk_add_f32 v[4:5], v[4:5], v[52:53]
	;; [unrolled: 3-line block ×4, first 2 shown]
	v_min3_f32 v118, v32, v33, v100
	v_pk_add_f32 v[32:33], v[6:7], v[42:43]
	v_min3_f32 v4, v4, v5, s14
	v_min3_f32 v117, v32, v33, v44
	v_pk_add_f32 v[32:33], v[12:13], v[48:49]
	v_min3_f32 v29, v24, v25, s14
	;; [unrolled: 3-line block ×4, first 2 shown]
	v_min3_f32 v116, v32, v33, v45
	v_pk_add_f32 v[32:33], v[30:31], v[38:39]
	v_pk_add_f32 v[36:37], v[0:1], v[48:49]
	v_min3_f32 v115, v32, v33, v101
	v_pk_add_f32 v[32:33], v[26:27], v[38:39]
	v_pk_add_f32 v[0:1], v[0:1], v[52:53]
	v_min3_f32 v114, v32, v33, v102
	v_pk_add_f32 v[32:33], v[22:23], v[38:39]
	v_min3_f32 v5, v0, v1, s14
	v_min3_f32 v113, v32, v33, v103
	v_pk_add_f32 v[32:33], v[18:19], v[38:39]
	v_pk_add_f32 v[0:1], v[30:31], v[54:55]
	v_min3_f32 v112, v32, v33, v104
	v_pk_add_f32 v[32:33], v[14:15], v[38:39]
	v_pk_add_f32 v[16:17], v[30:31], v[50:51]
	v_min3_f32 v111, v32, v33, v105
	v_pk_add_f32 v[32:33], v[10:11], v[38:39]
	v_min3_f32 v91, v0, v1, v28
	v_min3_f32 v110, v32, v33, v106
	v_pk_add_f32 v[32:33], v[6:7], v[38:39]
	v_pk_add_f32 v[0:1], v[26:27], v[54:55]
	v_min3_f32 v109, v32, v33, v107
	v_pk_add_f32 v[32:33], v[2:3], v[38:39]
	v_min3_f32 v99, v16, v17, v67
	;; [unrolled: 6-line block ×3, first 2 shown]
	v_pk_add_f32 v[0:1], v[22:23], v[54:55]
	v_min3_f32 v106, v32, v33, v146
	v_pk_add_f32 v[32:33], v[22:23], v[34:35]
	v_min3_f32 v98, v16, v17, v69
	v_pk_add_f32 v[16:17], v[22:23], v[50:51]
	v_pk_add_f32 v[12:13], v[12:13], v[52:53]
	v_min3_f32 v89, v0, v1, v20
	v_pk_add_f32 v[0:1], v[18:19], v[54:55]
	v_min3_f32 v105, v32, v33, v147
	;; [unrolled: 2-line block ×8, first 2 shown]
	v_min3_f32 v86, v0, v1, v12
	v_pk_add_f32 v[0:1], v[10:11], v[54:55]
	v_min3_f32 v103, v32, v33, v66
	v_pk_add_f32 v[32:33], v[10:11], v[34:35]
	;; [unrolled: 2-line block ×4, first 2 shown]
	v_min3_f32 v36, v36, v37, s14
	v_min3_f32 v102, v32, v33, v68
	v_pk_add_f32 v[32:33], v[6:7], v[34:35]
	v_pk_add_f32 v[24:25], v[2:3], v[34:35]
	v_min3_f32 v94, v16, v17, v80
	v_pk_add_f32 v[16:17], v[6:7], v[50:51]
	v_pk_add_f32 v[8:9], v[2:3], v[50:51]
	v_min3_f32 v84, v0, v1, v4
	v_pk_add_f32 v[0:1], v[2:3], v[54:55]
	v_min3_f32 v101, v32, v33, v40
	v_min3_f32 v100, v24, v25, v41
	;; [unrolled: 1-line block ×5, first 2 shown]
	s_cbranch_scc1 .LBB59_50
; %bb.28:
	v_mov_b32_e32 v0, 0x1000
	v_lshl_add_u32 v125, v70, 4, v0
	v_mov_b32_e32 v0, 0x2400
	v_lshl_add_u32 v146, v71, 4, v0
	v_mad_i64_i32 v[0:1], s[10:11], s38, v57, 0
	v_mov_b32_e32 v57, 0
	v_lshl_add_u64 v[0:1], v[0:1], 2, v[56:57]
	v_lshl_add_u64 v[0:1], s[30:31], 0, v[0:1]
	v_add_u32_e32 v80, 0x2000, v63
	v_add_u32_e32 v81, 0x2000, v73
	;; [unrolled: 1-line block ×4, first 2 shown]
	s_add_i32 s37, s22, -8
	v_lshl_add_u64 v[66:67], v[0:1], 0, 32
	s_mov_b32 s30, 0
	v_mov_b32_e32 v147, 0x7f7fffff
	s_branch .LBB59_30
.LBB59_29:                              ;   in Loop: Header=BB59_30 Depth=1
	s_or_b64 exec, exec, s[10:11]
	v_pk_add_f32 v[152:153], v[28:29], v[60:61]
	s_add_i32 s30, s30, 8
	v_min3_f32 v69, v152, v153, v145
	v_pk_add_f32 v[152:153], v[24:25], v[60:61]
	s_cmp_ge_i32 s30, s37
	v_min3_f32 v152, v152, v153, v144
	v_pk_add_f32 v[144:145], v[20:21], v[60:61]
	v_lshl_add_u64 v[66:67], v[66:67], 0, 32
	v_min3_f32 v153, v144, v145, v143
	v_pk_add_f32 v[144:145], v[16:17], v[60:61]
	s_nop 0
	v_min3_f32 v144, v144, v145, v142
	v_pk_add_f32 v[142:143], v[12:13], v[60:61]
	s_nop 0
	v_min3_f32 v79, v142, v143, v79
	v_pk_add_f32 v[142:143], v[8:9], v[60:61]
	s_nop 0
	v_min3_f32 v77, v142, v143, v77
	v_pk_add_f32 v[142:143], v[4:5], v[60:61]
	v_pk_add_f32 v[60:61], v[0:1], v[60:61]
	v_min3_f32 v78, v142, v143, v78
	v_min3_f32 v141, v60, v61, v141
	v_pk_add_f32 v[60:61], v[28:29], v[56:57]
	s_nop 0
	v_min3_f32 v140, v60, v61, v140
	v_pk_add_f32 v[60:61], v[24:25], v[56:57]
	s_nop 0
	v_min3_f32 v139, v60, v61, v139
	v_pk_add_f32 v[60:61], v[20:21], v[56:57]
	s_nop 0
	v_min3_f32 v138, v60, v61, v138
	v_pk_add_f32 v[60:61], v[16:17], v[56:57]
	s_nop 0
	v_min3_f32 v137, v60, v61, v137
	v_pk_add_f32 v[60:61], v[12:13], v[56:57]
	s_nop 0
	v_min3_f32 v136, v60, v61, v136
	v_pk_add_f32 v[60:61], v[8:9], v[56:57]
	s_nop 0
	v_min3_f32 v135, v60, v61, v135
	v_pk_add_f32 v[60:61], v[4:5], v[56:57]
	v_pk_add_f32 v[56:57], v[0:1], v[56:57]
	v_min3_f32 v60, v60, v61, v134
	v_min3_f32 v61, v56, v57, v133
	v_pk_add_f32 v[56:57], v[28:29], v[52:53]
	s_nop 0
	v_min3_f32 v132, v56, v57, v132
	v_pk_add_f32 v[56:57], v[24:25], v[52:53]
	s_nop 0
	v_min3_f32 v131, v56, v57, v131
	v_pk_add_f32 v[56:57], v[20:21], v[52:53]
	s_nop 0
	;; [unrolled: 22-line block ×5, first 2 shown]
	v_min3_f32 v105, v44, v45, v105
	v_pk_add_f32 v[44:45], v[16:17], v[40:41]
	s_nop 0
	v_min3_f32 v104, v44, v45, v104
	v_pk_add_f32 v[44:45], v[12:13], v[40:41]
	s_nop 0
	;; [unrolled: 3-line block ×3, first 2 shown]
	v_min3_f32 v102, v44, v45, v102
	v_pk_add_f32 v[44:45], v[4:5], v[40:41]
	v_pk_add_f32 v[40:41], v[0:1], v[40:41]
	v_min3_f32 v44, v44, v45, v101
	v_min3_f32 v45, v40, v41, v100
	v_pk_add_f32 v[40:41], v[28:29], v[36:37]
	v_pk_add_f32 v[28:29], v[28:29], v[32:33]
	v_min3_f32 v99, v40, v41, v99
	v_pk_add_f32 v[40:41], v[24:25], v[36:37]
	v_pk_add_f32 v[24:25], v[24:25], v[32:33]
	;; [unrolled: 3-line block ×7, first 2 shown]
	v_pk_add_f32 v[4:5], v[4:5], v[32:33]
	v_pk_add_f32 v[0:1], v[0:1], v[32:33]
	v_min3_f32 v4, v4, v5, v84
	v_min3_f32 v5, v0, v1, v88
	v_pk_add_f32 v[0:1], v[30:31], v[62:63]
	v_min3_f32 v8, v8, v9, v85
	v_min3_f32 v69, v0, v1, v69
	;; [unrolled: 3-line block ×9, first 2 shown]
	v_pk_add_f32 v[0:1], v[30:31], v[58:59]
	s_nop 0
	v_min3_f32 v90, v0, v1, v140
	v_pk_add_f32 v[0:1], v[26:27], v[58:59]
	s_nop 0
	v_min3_f32 v91, v0, v1, v139
	;; [unrolled: 3-line block ×56, first 2 shown]
	ds_read_b128 v[0:3], v74
	ds_read_b128 v[4:7], v74 offset:512
	ds_read_b128 v[8:11], v74 offset:1024
	;; [unrolled: 1-line block ×7, first 2 shown]
	ds_read_b128 v[36:39], v81
	ds_read_b128 v[40:43], v81 offset:128
	ds_read_b128 v[44:47], v81 offset:256
	;; [unrolled: 1-line block ×7, first 2 shown]
	s_waitcnt lgkmcnt(7)
	v_pk_add_f32 v[78:79], v[0:1], v[36:37]
	ds_write2st64_b32 v82, v148, v149 offset1:4
	ds_write2st64_b32 v82, v150, v151 offset0:8 offset1:12
	ds_write_b32 v83, v68
	v_min3_f32 v69, v78, v79, v69
	v_pk_add_f32 v[78:79], v[4:5], v[36:37]
	s_waitcnt lgkmcnt(0)
	v_min3_f32 v84, v78, v79, v84
	v_pk_add_f32 v[78:79], v[8:9], v[36:37]
	s_barrier
	v_min3_f32 v85, v78, v79, v85
	v_pk_add_f32 v[78:79], v[12:13], v[36:37]
	s_nop 0
	v_min3_f32 v86, v78, v79, v86
	v_pk_add_f32 v[78:79], v[16:17], v[36:37]
	s_nop 0
	;; [unrolled: 3-line block ×3, first 2 shown]
	v_min3_f32 v77, v78, v79, v77
	v_pk_add_f32 v[78:79], v[24:25], v[36:37]
	v_pk_add_f32 v[36:37], v[28:29], v[36:37]
	v_min3_f32 v78, v78, v79, v88
	v_min3_f32 v88, v36, v37, v89
	v_pk_add_f32 v[36:37], v[0:1], v[40:41]
	s_nop 0
	v_min3_f32 v89, v36, v37, v90
	v_pk_add_f32 v[36:37], v[4:5], v[40:41]
	s_nop 0
	;; [unrolled: 3-line block ×40, first 2 shown]
	v_min3_f32 v56, v36, v37, v136
	v_pk_add_f32 v[36:37], v[0:1], v[60:61]
	v_pk_add_f32 v[0:1], v[0:1], v[32:33]
	v_min3_f32 v57, v36, v37, v99
	v_pk_add_f32 v[36:37], v[4:5], v[60:61]
	s_nop 0
	v_min3_f32 v98, v36, v37, v98
	v_pk_add_f32 v[36:37], v[8:9], v[60:61]
	s_nop 0
	;; [unrolled: 3-line block ×7, first 2 shown]
	v_min3_f32 v36, v36, v37, v138
	v_min3_f32 v37, v0, v1, v139
	v_pk_add_f32 v[0:1], v[4:5], v[32:33]
	s_nop 0
	v_min3_f32 v4, v0, v1, v140
	v_pk_add_f32 v[0:1], v[8:9], v[32:33]
	s_nop 0
	;; [unrolled: 3-line block ×71, first 2 shown]
	v_min3_f32 v88, v0, v1, v16
	s_cbranch_scc1 .LBB59_50
.LBB59_30:                              ; =>This Inner Loop Header: Depth=1
	v_add_u32_e32 v68, s30, v72
	v_add_u32_e32 v0, 8, v68
	v_cmp_le_i32_e64 s[10:11], s22, v0
	v_min_i32_e32 v0, s36, v0
	v_mad_i64_i32 v[0:1], s[14:15], v0, s35, 0
	v_lshl_add_u64 v[0:1], v[0:1], 2, s[28:29]
	s_or_b64 s[14:15], vcc, s[10:11]
	v_cndmask_b32_e64 v69, 0, v147, s[14:15]
	s_nor_b64 s[38:39], s[16:17], s[14:15]
	v_lshl_add_u64 v[0:1], v[64:65], 2, v[0:1]
	s_and_saveexec_b64 s[14:15], s[38:39]
	s_cbranch_execz .LBB59_32
; %bb.31:                               ;   in Loop: Header=BB59_30 Depth=1
	global_load_dword v2, v[0:1], off
	s_waitcnt vmcnt(0)
	v_mul_f32_e32 v69, s23, v2
.LBB59_32:                              ;   in Loop: Header=BB59_30 Depth=1
	s_or_b64 exec, exec, s[14:15]
	s_or_b64 s[14:15], s[12:13], s[10:11]
	v_cndmask_b32_e64 v148, 0, v147, s[14:15]
	s_nor_b64 s[38:39], s[16:17], s[14:15]
	s_and_saveexec_b64 s[14:15], s[38:39]
	s_cbranch_execz .LBB59_34
; %bb.33:                               ;   in Loop: Header=BB59_30 Depth=1
	global_load_dword v2, v[0:1], off offset:256
	s_waitcnt vmcnt(0)
	v_mul_f32_e32 v148, s23, v2
.LBB59_34:                              ;   in Loop: Header=BB59_30 Depth=1
	s_or_b64 exec, exec, s[14:15]
	s_or_b64 s[14:15], s[4:5], s[10:11]
	v_cndmask_b32_e64 v149, 0, v147, s[14:15]
	s_nor_b64 s[38:39], s[16:17], s[14:15]
	s_and_saveexec_b64 s[14:15], s[38:39]
	s_cbranch_execz .LBB59_36
; %bb.35:                               ;   in Loop: Header=BB59_30 Depth=1
	global_load_dword v2, v[0:1], off offset:512
	s_waitcnt vmcnt(0)
	v_mul_f32_e32 v149, s23, v2
.LBB59_36:                              ;   in Loop: Header=BB59_30 Depth=1
	;; [unrolled: 11-line block ×3, first 2 shown]
	s_or_b64 exec, exec, s[10:11]
	v_add_u32_e32 v152, s30, v75
	v_add_u32_e32 v0, 8, v152
	v_cmp_le_i32_e64 s[10:11], s22, v0
	s_or_b64 s[10:11], s[10:11], s[8:9]
	s_nor_b64 s[14:15], s[16:17], s[10:11]
	v_cndmask_b32_e64 v151, 0, v147, s[10:11]
	s_and_saveexec_b64 s[10:11], s[14:15]
	s_cbranch_execz .LBB59_40
; %bb.39:                               ;   in Loop: Header=BB59_30 Depth=1
	global_load_dword v0, v[66:67], off
	s_waitcnt vmcnt(0)
	v_mul_f32_e32 v151, s23, v0
.LBB59_40:                              ;   in Loop: Header=BB59_30 Depth=1
	s_or_b64 exec, exec, s[10:11]
	ds_read_b128 v[28:31], v125
	ds_read_b128 v[24:27], v125 offset:512
	ds_read_b128 v[20:23], v125 offset:1024
	ds_read_b128 v[16:19], v125 offset:1536
	ds_read_b128 v[12:15], v125 offset:2048
	ds_read_b128 v[8:11], v125 offset:2560
	ds_read_b128 v[4:7], v125 offset:3072
	ds_read_b128 v[0:3], v125 offset:3584
	ds_read_b128 v[60:63], v146
	ds_read_b128 v[56:59], v146 offset:128
	ds_read_b128 v[52:55], v146 offset:256
	;; [unrolled: 1-line block ×7, first 2 shown]
	v_add_u32_e32 v68, 12, v68
	v_cmp_le_i32_e64 s[10:11], s22, v68
	v_min_i32_e32 v68, s36, v68
	ds_write2st64_b32 v76, v69, v148 offset1:4
	ds_write2st64_b32 v76, v149, v150 offset0:8 offset1:12
	ds_write_b32 v80, v151
	v_mad_i64_i32 v[68:69], s[14:15], v68, s35, 0
	v_lshl_add_u64 v[68:69], v[68:69], 2, s[28:29]
	s_or_b64 s[14:15], vcc, s[10:11]
	v_cndmask_b32_e64 v148, 0, v147, s[14:15]
	s_nor_b64 s[38:39], s[16:17], s[14:15]
	v_lshl_add_u64 v[68:69], v[64:65], 2, v[68:69]
	s_waitcnt lgkmcnt(0)
	s_barrier
	s_and_saveexec_b64 s[14:15], s[38:39]
	s_cbranch_execz .LBB59_42
; %bb.41:                               ;   in Loop: Header=BB59_30 Depth=1
	global_load_dword v148, v[68:69], off
	s_waitcnt vmcnt(0)
	v_mul_f32_e32 v148, s23, v148
.LBB59_42:                              ;   in Loop: Header=BB59_30 Depth=1
	s_or_b64 exec, exec, s[14:15]
	s_or_b64 s[14:15], s[12:13], s[10:11]
	v_cndmask_b32_e64 v149, 0, v147, s[14:15]
	s_nor_b64 s[38:39], s[16:17], s[14:15]
	s_and_saveexec_b64 s[14:15], s[38:39]
	s_cbranch_execz .LBB59_44
; %bb.43:                               ;   in Loop: Header=BB59_30 Depth=1
	global_load_dword v149, v[68:69], off offset:256
	s_waitcnt vmcnt(0)
	v_mul_f32_e32 v149, s23, v149
.LBB59_44:                              ;   in Loop: Header=BB59_30 Depth=1
	s_or_b64 exec, exec, s[14:15]
	s_or_b64 s[14:15], s[4:5], s[10:11]
	v_cndmask_b32_e64 v150, 0, v147, s[14:15]
	s_nor_b64 s[38:39], s[16:17], s[14:15]
	s_and_saveexec_b64 s[14:15], s[38:39]
	s_cbranch_execz .LBB59_46
; %bb.45:                               ;   in Loop: Header=BB59_30 Depth=1
	global_load_dword v150, v[68:69], off offset:512
	s_waitcnt vmcnt(0)
	v_mul_f32_e32 v150, s23, v150
.LBB59_46:                              ;   in Loop: Header=BB59_30 Depth=1
	;; [unrolled: 11-line block ×3, first 2 shown]
	s_or_b64 exec, exec, s[10:11]
	v_add_u32_e32 v68, 12, v152
	v_cmp_le_i32_e64 s[10:11], s22, v68
	s_or_b64 s[10:11], s[10:11], s[8:9]
	s_nor_b64 s[14:15], s[16:17], s[10:11]
	v_cndmask_b32_e64 v68, 0, v147, s[10:11]
	s_and_saveexec_b64 s[10:11], s[14:15]
	s_cbranch_execz .LBB59_29
; %bb.49:                               ;   in Loop: Header=BB59_30 Depth=1
	global_load_dword v68, v[66:67], off offset:16
	s_waitcnt vmcnt(0)
	v_mul_f32_e32 v68, s23, v68
	s_branch .LBB59_29
.LBB59_50:
	s_load_dwordx2 s[4:5], s[0:1], 0x70
	s_load_dword s29, s[0:1], 0x50
	s_load_dword s28, s[0:1], 0x68
	ds_read_b128 v[32:35], v74 offset:4096
	ds_read_b128 v[28:31], v74 offset:4608
	;; [unrolled: 1-line block ×16, first 2 shown]
	v_add_u32_e32 v125, s34, v71
	s_waitcnt lgkmcnt(0)
	s_mul_i32 s1, s5, s3
	s_mul_hi_u32 s5, s4, s3
	s_mul_i32 s0, s4, s3
	s_add_i32 s1, s5, s1
	s_lshl_b64 s[0:1], s[0:1], 2
	s_add_u32 s22, s18, s0
	s_addc_u32 s23, s19, s1
	v_mad_i64_i32 v[66:67], s[0:1], v125, s29, 0
	v_add_u32_e32 v64, s2, v70
	v_lshl_add_u64 v[82:83], v[66:67], 2, s[24:25]
	v_mad_i64_i32 v[66:67], s[0:1], v125, s28, 0
	v_cmp_gt_i32_e64 s[18:19], s21, v125
	v_lshl_add_u64 v[80:81], v[66:67], 2, s[22:23]
	v_cmp_gt_i32_e64 s[2:3], s20, v64
	v_cndmask_b32_e64 v66, 0, 1, s[26:27]
	s_and_b64 s[6:7], s[2:3], s[18:19]
	v_ashrrev_i32_e32 v65, 31, v64
	v_cmp_ne_u32_e64 s[0:1], 1, v66
	s_and_saveexec_b64 s[4:5], s[6:7]
	s_cbranch_execz .LBB59_56
; %bb.51:
	s_and_b64 vcc, exec, s[0:1]
	s_cbranch_vccnz .LBB59_54
; %bb.52:
	v_lshl_add_u64 v[66:67], v[64:65], 2, v[82:83]
	global_load_dword v66, v[66:67], off
	s_waitcnt vmcnt(0)
	v_mul_f32_e32 v66, s33, v66
	s_branch .LBB59_55
.LBB59_53:
	s_mov_b64 s[28:29], 0
	s_andn2_b64 vcc, exec, s[8:9]
	s_mov_b64 s[4:5], -1
	s_cbranch_vccz .LBB59_2
	s_branch .LBB59_3
.LBB59_54:
	v_mov_b32_e32 v66, 0
.LBB59_55:
	v_pk_add_f32 v[68:69], v[32:33], v[60:61]
	s_nop 0
	v_min3_f32 v67, v68, v69, v145
	v_pk_add_f32 v[68:69], v[34:35], v[62:63]
	s_nop 0
	v_min_f32_e32 v68, v68, v69
	v_min3_f32 v68, v66, v68, v67
	v_lshl_add_u64 v[66:67], v[64:65], 2, v[80:81]
	global_store_dword v[66:67], v68, off
.LBB59_56:
	s_or_b64 exec, exec, s[4:5]
	v_add_u32_e32 v66, 32, v64
	v_cmp_gt_i32_e64 s[4:5], s20, v66
	s_and_b64 s[8:9], s[4:5], s[18:19]
	v_ashrrev_i32_e32 v67, 31, v66
	s_and_saveexec_b64 s[6:7], s[8:9]
	s_cbranch_execz .LBB59_61
; %bb.57:
	s_and_b64 vcc, exec, s[0:1]
	s_cbranch_vccnz .LBB59_59
; %bb.58:
	v_lshl_add_u64 v[68:69], v[66:67], 2, v[82:83]
	global_load_dword v68, v[68:69], off
	s_waitcnt vmcnt(0)
	v_mul_f32_e32 v68, s33, v68
	s_branch .LBB59_60
.LBB59_59:
	v_mov_b32_e32 v68, 0
.LBB59_60:
	v_pk_add_f32 v[70:71], v[28:29], v[60:61]
	s_nop 0
	v_min3_f32 v69, v70, v71, v144
	v_pk_add_f32 v[70:71], v[30:31], v[62:63]
	s_nop 0
	v_min_f32_e32 v70, v70, v71
	v_min3_f32 v70, v68, v70, v69
	v_lshl_add_u64 v[68:69], v[66:67], 2, v[80:81]
	global_store_dword v[68:69], v70, off
.LBB59_61:
	s_or_b64 exec, exec, s[6:7]
	v_add_u32_e32 v68, 64, v64
	v_cmp_gt_i32_e64 s[6:7], s20, v68
	s_and_b64 s[10:11], s[6:7], s[18:19]
	v_ashrrev_i32_e32 v69, 31, v68
	s_and_saveexec_b64 s[8:9], s[10:11]
	s_cbranch_execz .LBB59_66
; %bb.62:
	s_and_b64 vcc, exec, s[0:1]
	s_cbranch_vccnz .LBB59_64
; %bb.63:
	v_lshl_add_u64 v[70:71], v[68:69], 2, v[82:83]
	global_load_dword v70, v[70:71], off
	s_waitcnt vmcnt(0)
	v_mul_f32_e32 v70, s33, v70
	s_branch .LBB59_65
.LBB59_64:
	v_mov_b32_e32 v70, 0
.LBB59_65:
	v_pk_add_f32 v[72:73], v[24:25], v[60:61]
	s_nop 0
	v_min3_f32 v71, v72, v73, v143
	v_pk_add_f32 v[72:73], v[26:27], v[62:63]
	s_nop 0
	v_min_f32_e32 v72, v72, v73
	v_min3_f32 v72, v70, v72, v71
	v_lshl_add_u64 v[70:71], v[68:69], 2, v[80:81]
	global_store_dword v[70:71], v72, off
.LBB59_66:
	;; [unrolled: 29-line block ×7, first 2 shown]
	s_or_b64 exec, exec, s[18:19]
	v_add_u32_e32 v80, 8, v125
	v_mad_i64_i32 v[60:61], s[26:27], v80, s29, 0
	v_cmp_gt_i32_e64 s[18:19], s21, v80
	v_lshl_add_u64 v[62:63], v[60:61], 2, s[24:25]
	v_mad_i64_i32 v[60:61], s[26:27], v80, s28, 0
	v_lshl_add_u64 v[60:61], v[60:61], 2, s[22:23]
	s_and_b64 s[30:31], s[2:3], s[18:19]
	s_and_saveexec_b64 s[26:27], s[30:31]
	s_cbranch_execnz .LBB59_99
; %bb.92:
	s_or_b64 exec, exec, s[26:27]
	s_and_b64 s[30:31], s[4:5], s[18:19]
	s_and_saveexec_b64 s[26:27], s[30:31]
	s_cbranch_execnz .LBB59_103
.LBB59_93:
	s_or_b64 exec, exec, s[26:27]
	s_and_b64 s[30:31], s[6:7], s[18:19]
	s_and_saveexec_b64 s[26:27], s[30:31]
	s_cbranch_execnz .LBB59_107
.LBB59_94:
	s_or_b64 exec, exec, s[26:27]
	s_and_b64 s[30:31], s[8:9], s[18:19]
	s_and_saveexec_b64 s[26:27], s[30:31]
	s_cbranch_execnz .LBB59_111
.LBB59_95:
	s_or_b64 exec, exec, s[26:27]
	s_and_b64 s[30:31], s[10:11], s[18:19]
	s_and_saveexec_b64 s[26:27], s[30:31]
	s_cbranch_execnz .LBB59_115
.LBB59_96:
	s_or_b64 exec, exec, s[26:27]
	s_and_b64 s[30:31], s[12:13], s[18:19]
	s_and_saveexec_b64 s[26:27], s[30:31]
	s_cbranch_execnz .LBB59_119
.LBB59_97:
	s_or_b64 exec, exec, s[26:27]
	s_and_b64 s[30:31], s[14:15], s[18:19]
	s_and_saveexec_b64 s[26:27], s[30:31]
	s_cbranch_execnz .LBB59_123
.LBB59_98:
	s_or_b64 exec, exec, s[26:27]
	s_and_b64 s[26:27], s[16:17], s[18:19]
	s_and_saveexec_b64 s[18:19], s[26:27]
	s_cbranch_execnz .LBB59_127
	s_branch .LBB59_131
.LBB59_99:
	s_and_b64 vcc, exec, s[0:1]
	s_cbranch_vccnz .LBB59_101
; %bb.100:
	v_lshl_add_u64 v[80:81], v[64:65], 2, v[62:63]
	global_load_dword v80, v[80:81], off
	s_waitcnt vmcnt(0)
	v_mul_f32_e32 v80, s33, v80
	s_branch .LBB59_102
.LBB59_101:
	v_mov_b32_e32 v80, 0
.LBB59_102:
	v_pk_add_f32 v[82:83], v[32:33], v[56:57]
	s_nop 0
	v_min3_f32 v81, v82, v83, v140
	v_pk_add_f32 v[82:83], v[34:35], v[58:59]
	s_nop 0
	v_min_f32_e32 v82, v82, v83
	v_min3_f32 v82, v80, v82, v81
	v_lshl_add_u64 v[80:81], v[64:65], 2, v[60:61]
	global_store_dword v[80:81], v82, off
	s_or_b64 exec, exec, s[26:27]
	s_and_b64 s[30:31], s[4:5], s[18:19]
	s_and_saveexec_b64 s[26:27], s[30:31]
	s_cbranch_execz .LBB59_93
.LBB59_103:
	s_and_b64 vcc, exec, s[0:1]
	s_cbranch_vccnz .LBB59_105
; %bb.104:
	v_lshl_add_u64 v[80:81], v[66:67], 2, v[62:63]
	global_load_dword v80, v[80:81], off
	s_waitcnt vmcnt(0)
	v_mul_f32_e32 v80, s33, v80
	s_branch .LBB59_106
.LBB59_105:
	v_mov_b32_e32 v80, 0
.LBB59_106:
	v_pk_add_f32 v[82:83], v[28:29], v[56:57]
	s_nop 0
	v_min3_f32 v81, v82, v83, v139
	v_pk_add_f32 v[82:83], v[30:31], v[58:59]
	s_nop 0
	v_min_f32_e32 v82, v82, v83
	v_min3_f32 v82, v80, v82, v81
	v_lshl_add_u64 v[80:81], v[66:67], 2, v[60:61]
	global_store_dword v[80:81], v82, off
	s_or_b64 exec, exec, s[26:27]
	s_and_b64 s[30:31], s[6:7], s[18:19]
	s_and_saveexec_b64 s[26:27], s[30:31]
	s_cbranch_execz .LBB59_94
.LBB59_107:
	s_and_b64 vcc, exec, s[0:1]
	s_cbranch_vccnz .LBB59_109
; %bb.108:
	v_lshl_add_u64 v[80:81], v[68:69], 2, v[62:63]
	global_load_dword v80, v[80:81], off
	s_waitcnt vmcnt(0)
	v_mul_f32_e32 v80, s33, v80
	s_branch .LBB59_110
.LBB59_109:
	v_mov_b32_e32 v80, 0
.LBB59_110:
	v_pk_add_f32 v[82:83], v[24:25], v[56:57]
	s_nop 0
	v_min3_f32 v81, v82, v83, v138
	v_pk_add_f32 v[82:83], v[26:27], v[58:59]
	s_nop 0
	v_min_f32_e32 v82, v82, v83
	v_min3_f32 v82, v80, v82, v81
	v_lshl_add_u64 v[80:81], v[68:69], 2, v[60:61]
	global_store_dword v[80:81], v82, off
	s_or_b64 exec, exec, s[26:27]
	s_and_b64 s[30:31], s[8:9], s[18:19]
	s_and_saveexec_b64 s[26:27], s[30:31]
	s_cbranch_execz .LBB59_95
.LBB59_111:
	s_and_b64 vcc, exec, s[0:1]
	s_cbranch_vccnz .LBB59_113
; %bb.112:
	v_lshl_add_u64 v[80:81], v[70:71], 2, v[62:63]
	global_load_dword v80, v[80:81], off
	s_waitcnt vmcnt(0)
	v_mul_f32_e32 v80, s33, v80
	s_branch .LBB59_114
.LBB59_113:
	v_mov_b32_e32 v80, 0
.LBB59_114:
	v_pk_add_f32 v[82:83], v[20:21], v[56:57]
	s_nop 0
	v_min3_f32 v81, v82, v83, v137
	v_pk_add_f32 v[82:83], v[22:23], v[58:59]
	s_nop 0
	v_min_f32_e32 v82, v82, v83
	v_min3_f32 v82, v80, v82, v81
	v_lshl_add_u64 v[80:81], v[70:71], 2, v[60:61]
	global_store_dword v[80:81], v82, off
	s_or_b64 exec, exec, s[26:27]
	s_and_b64 s[30:31], s[10:11], s[18:19]
	s_and_saveexec_b64 s[26:27], s[30:31]
	s_cbranch_execz .LBB59_96
.LBB59_115:
	s_and_b64 vcc, exec, s[0:1]
	s_cbranch_vccnz .LBB59_117
; %bb.116:
	v_lshl_add_u64 v[80:81], v[72:73], 2, v[62:63]
	global_load_dword v80, v[80:81], off
	s_waitcnt vmcnt(0)
	v_mul_f32_e32 v80, s33, v80
	s_branch .LBB59_118
.LBB59_117:
	v_mov_b32_e32 v80, 0
.LBB59_118:
	v_pk_add_f32 v[82:83], v[16:17], v[56:57]
	s_nop 0
	v_min3_f32 v81, v82, v83, v136
	v_pk_add_f32 v[82:83], v[18:19], v[58:59]
	s_nop 0
	v_min_f32_e32 v82, v82, v83
	v_min3_f32 v82, v80, v82, v81
	v_lshl_add_u64 v[80:81], v[72:73], 2, v[60:61]
	global_store_dword v[80:81], v82, off
	s_or_b64 exec, exec, s[26:27]
	s_and_b64 s[30:31], s[12:13], s[18:19]
	s_and_saveexec_b64 s[26:27], s[30:31]
	s_cbranch_execz .LBB59_97
.LBB59_119:
	s_and_b64 vcc, exec, s[0:1]
	s_cbranch_vccnz .LBB59_121
; %bb.120:
	v_lshl_add_u64 v[80:81], v[74:75], 2, v[62:63]
	global_load_dword v80, v[80:81], off
	s_waitcnt vmcnt(0)
	v_mul_f32_e32 v80, s33, v80
	s_branch .LBB59_122
.LBB59_121:
	v_mov_b32_e32 v80, 0
.LBB59_122:
	v_pk_add_f32 v[82:83], v[12:13], v[56:57]
	s_nop 0
	v_min3_f32 v81, v82, v83, v135
	v_pk_add_f32 v[82:83], v[14:15], v[58:59]
	s_nop 0
	v_min_f32_e32 v82, v82, v83
	v_min3_f32 v82, v80, v82, v81
	v_lshl_add_u64 v[80:81], v[74:75], 2, v[60:61]
	global_store_dword v[80:81], v82, off
	s_or_b64 exec, exec, s[26:27]
	s_and_b64 s[30:31], s[14:15], s[18:19]
	s_and_saveexec_b64 s[26:27], s[30:31]
	s_cbranch_execz .LBB59_98
.LBB59_123:
	s_and_b64 vcc, exec, s[0:1]
	s_cbranch_vccnz .LBB59_125
; %bb.124:
	v_lshl_add_u64 v[80:81], v[76:77], 2, v[62:63]
	global_load_dword v80, v[80:81], off
	s_waitcnt vmcnt(0)
	v_mul_f32_e32 v80, s33, v80
	s_branch .LBB59_126
.LBB59_125:
	v_mov_b32_e32 v80, 0
.LBB59_126:
	v_pk_add_f32 v[82:83], v[8:9], v[56:57]
	s_nop 0
	v_min3_f32 v81, v82, v83, v134
	v_pk_add_f32 v[82:83], v[10:11], v[58:59]
	s_nop 0
	v_min_f32_e32 v82, v82, v83
	v_min3_f32 v82, v80, v82, v81
	v_lshl_add_u64 v[80:81], v[76:77], 2, v[60:61]
	global_store_dword v[80:81], v82, off
	s_or_b64 exec, exec, s[26:27]
	s_and_b64 s[26:27], s[16:17], s[18:19]
	s_and_saveexec_b64 s[18:19], s[26:27]
	s_cbranch_execz .LBB59_131
.LBB59_127:
	s_and_b64 vcc, exec, s[0:1]
	s_cbranch_vccnz .LBB59_129
; %bb.128:
	v_lshl_add_u64 v[62:63], v[78:79], 2, v[62:63]
	global_load_dword v62, v[62:63], off
	s_waitcnt vmcnt(0)
	v_mul_f32_e32 v62, s33, v62
	s_branch .LBB59_130
.LBB59_129:
	v_mov_b32_e32 v62, 0
.LBB59_130:
	v_pk_add_f32 v[56:57], v[0:1], v[56:57]
	s_nop 0
	v_min3_f32 v63, v56, v57, v133
	v_pk_add_f32 v[56:57], v[2:3], v[58:59]
	s_nop 0
	v_min_f32_e32 v56, v56, v57
	v_min3_f32 v58, v62, v56, v63
	v_lshl_add_u64 v[56:57], v[78:79], 2, v[60:61]
	global_store_dword v[56:57], v58, off
.LBB59_131:
	s_or_b64 exec, exec, s[18:19]
	v_add_u32_e32 v60, 16, v125
	v_mad_i64_i32 v[56:57], s[26:27], v60, s29, 0
	v_cmp_gt_i32_e64 s[18:19], s21, v60
	v_lshl_add_u64 v[58:59], v[56:57], 2, s[24:25]
	v_mad_i64_i32 v[56:57], s[26:27], v60, s28, 0
	v_lshl_add_u64 v[56:57], v[56:57], 2, s[22:23]
	s_and_b64 s[30:31], s[2:3], s[18:19]
	s_and_saveexec_b64 s[26:27], s[30:31]
	s_cbranch_execnz .LBB59_139
; %bb.132:
	s_or_b64 exec, exec, s[26:27]
	s_and_b64 s[30:31], s[4:5], s[18:19]
	s_and_saveexec_b64 s[26:27], s[30:31]
	s_cbranch_execnz .LBB59_143
.LBB59_133:
	s_or_b64 exec, exec, s[26:27]
	s_and_b64 s[30:31], s[6:7], s[18:19]
	s_and_saveexec_b64 s[26:27], s[30:31]
	s_cbranch_execnz .LBB59_147
.LBB59_134:
	s_or_b64 exec, exec, s[26:27]
	s_and_b64 s[30:31], s[8:9], s[18:19]
	s_and_saveexec_b64 s[26:27], s[30:31]
	s_cbranch_execnz .LBB59_151
.LBB59_135:
	s_or_b64 exec, exec, s[26:27]
	s_and_b64 s[30:31], s[10:11], s[18:19]
	s_and_saveexec_b64 s[26:27], s[30:31]
	s_cbranch_execnz .LBB59_155
.LBB59_136:
	s_or_b64 exec, exec, s[26:27]
	s_and_b64 s[30:31], s[12:13], s[18:19]
	s_and_saveexec_b64 s[26:27], s[30:31]
	s_cbranch_execnz .LBB59_159
.LBB59_137:
	s_or_b64 exec, exec, s[26:27]
	s_and_b64 s[30:31], s[14:15], s[18:19]
	s_and_saveexec_b64 s[26:27], s[30:31]
	s_cbranch_execnz .LBB59_163
.LBB59_138:
	s_or_b64 exec, exec, s[26:27]
	s_and_b64 s[26:27], s[16:17], s[18:19]
	s_and_saveexec_b64 s[18:19], s[26:27]
	s_cbranch_execnz .LBB59_167
	s_branch .LBB59_171
.LBB59_139:
	s_and_b64 vcc, exec, s[0:1]
	s_cbranch_vccnz .LBB59_141
; %bb.140:
	v_lshl_add_u64 v[60:61], v[64:65], 2, v[58:59]
	global_load_dword v60, v[60:61], off
	s_waitcnt vmcnt(0)
	v_mul_f32_e32 v60, s33, v60
	s_branch .LBB59_142
.LBB59_141:
	v_mov_b32_e32 v60, 0
.LBB59_142:
	v_pk_add_f32 v[62:63], v[32:33], v[52:53]
	s_nop 0
	v_min3_f32 v61, v62, v63, v132
	v_pk_add_f32 v[62:63], v[34:35], v[54:55]
	s_nop 0
	v_min_f32_e32 v62, v62, v63
	v_min3_f32 v62, v60, v62, v61
	v_lshl_add_u64 v[60:61], v[64:65], 2, v[56:57]
	global_store_dword v[60:61], v62, off
	s_or_b64 exec, exec, s[26:27]
	s_and_b64 s[30:31], s[4:5], s[18:19]
	s_and_saveexec_b64 s[26:27], s[30:31]
	s_cbranch_execz .LBB59_133
.LBB59_143:
	s_and_b64 vcc, exec, s[0:1]
	s_cbranch_vccnz .LBB59_145
; %bb.144:
	v_lshl_add_u64 v[60:61], v[66:67], 2, v[58:59]
	global_load_dword v60, v[60:61], off
	s_waitcnt vmcnt(0)
	v_mul_f32_e32 v60, s33, v60
	s_branch .LBB59_146
.LBB59_145:
	v_mov_b32_e32 v60, 0
.LBB59_146:
	v_pk_add_f32 v[62:63], v[28:29], v[52:53]
	s_nop 0
	v_min3_f32 v61, v62, v63, v131
	v_pk_add_f32 v[62:63], v[30:31], v[54:55]
	s_nop 0
	v_min_f32_e32 v62, v62, v63
	v_min3_f32 v62, v60, v62, v61
	v_lshl_add_u64 v[60:61], v[66:67], 2, v[56:57]
	global_store_dword v[60:61], v62, off
	s_or_b64 exec, exec, s[26:27]
	s_and_b64 s[30:31], s[6:7], s[18:19]
	s_and_saveexec_b64 s[26:27], s[30:31]
	s_cbranch_execz .LBB59_134
.LBB59_147:
	s_and_b64 vcc, exec, s[0:1]
	s_cbranch_vccnz .LBB59_149
; %bb.148:
	v_lshl_add_u64 v[60:61], v[68:69], 2, v[58:59]
	global_load_dword v60, v[60:61], off
	s_waitcnt vmcnt(0)
	v_mul_f32_e32 v60, s33, v60
	s_branch .LBB59_150
.LBB59_149:
	v_mov_b32_e32 v60, 0
.LBB59_150:
	v_pk_add_f32 v[62:63], v[24:25], v[52:53]
	s_nop 0
	v_min3_f32 v61, v62, v63, v130
	v_pk_add_f32 v[62:63], v[26:27], v[54:55]
	s_nop 0
	v_min_f32_e32 v62, v62, v63
	v_min3_f32 v62, v60, v62, v61
	v_lshl_add_u64 v[60:61], v[68:69], 2, v[56:57]
	global_store_dword v[60:61], v62, off
	s_or_b64 exec, exec, s[26:27]
	s_and_b64 s[30:31], s[8:9], s[18:19]
	s_and_saveexec_b64 s[26:27], s[30:31]
	s_cbranch_execz .LBB59_135
.LBB59_151:
	s_and_b64 vcc, exec, s[0:1]
	s_cbranch_vccnz .LBB59_153
; %bb.152:
	v_lshl_add_u64 v[60:61], v[70:71], 2, v[58:59]
	global_load_dword v60, v[60:61], off
	s_waitcnt vmcnt(0)
	v_mul_f32_e32 v60, s33, v60
	s_branch .LBB59_154
.LBB59_153:
	v_mov_b32_e32 v60, 0
.LBB59_154:
	v_pk_add_f32 v[62:63], v[20:21], v[52:53]
	s_nop 0
	v_min3_f32 v61, v62, v63, v129
	v_pk_add_f32 v[62:63], v[22:23], v[54:55]
	s_nop 0
	v_min_f32_e32 v62, v62, v63
	v_min3_f32 v62, v60, v62, v61
	v_lshl_add_u64 v[60:61], v[70:71], 2, v[56:57]
	global_store_dword v[60:61], v62, off
	s_or_b64 exec, exec, s[26:27]
	s_and_b64 s[30:31], s[10:11], s[18:19]
	s_and_saveexec_b64 s[26:27], s[30:31]
	s_cbranch_execz .LBB59_136
.LBB59_155:
	s_and_b64 vcc, exec, s[0:1]
	s_cbranch_vccnz .LBB59_157
; %bb.156:
	v_lshl_add_u64 v[60:61], v[72:73], 2, v[58:59]
	global_load_dword v60, v[60:61], off
	s_waitcnt vmcnt(0)
	v_mul_f32_e32 v60, s33, v60
	s_branch .LBB59_158
.LBB59_157:
	v_mov_b32_e32 v60, 0
.LBB59_158:
	v_pk_add_f32 v[62:63], v[16:17], v[52:53]
	s_nop 0
	v_min3_f32 v61, v62, v63, v128
	v_pk_add_f32 v[62:63], v[18:19], v[54:55]
	s_nop 0
	v_min_f32_e32 v62, v62, v63
	v_min3_f32 v62, v60, v62, v61
	v_lshl_add_u64 v[60:61], v[72:73], 2, v[56:57]
	global_store_dword v[60:61], v62, off
	s_or_b64 exec, exec, s[26:27]
	s_and_b64 s[30:31], s[12:13], s[18:19]
	s_and_saveexec_b64 s[26:27], s[30:31]
	s_cbranch_execz .LBB59_137
.LBB59_159:
	s_and_b64 vcc, exec, s[0:1]
	s_cbranch_vccnz .LBB59_161
; %bb.160:
	v_lshl_add_u64 v[60:61], v[74:75], 2, v[58:59]
	global_load_dword v60, v[60:61], off
	s_waitcnt vmcnt(0)
	v_mul_f32_e32 v60, s33, v60
	s_branch .LBB59_162
.LBB59_161:
	v_mov_b32_e32 v60, 0
.LBB59_162:
	v_pk_add_f32 v[62:63], v[12:13], v[52:53]
	s_nop 0
	v_min3_f32 v61, v62, v63, v126
	v_pk_add_f32 v[62:63], v[14:15], v[54:55]
	s_nop 0
	v_min_f32_e32 v62, v62, v63
	v_min3_f32 v62, v60, v62, v61
	v_lshl_add_u64 v[60:61], v[74:75], 2, v[56:57]
	global_store_dword v[60:61], v62, off
	s_or_b64 exec, exec, s[26:27]
	s_and_b64 s[30:31], s[14:15], s[18:19]
	s_and_saveexec_b64 s[26:27], s[30:31]
	s_cbranch_execz .LBB59_138
.LBB59_163:
	s_and_b64 vcc, exec, s[0:1]
	s_cbranch_vccnz .LBB59_165
; %bb.164:
	v_lshl_add_u64 v[60:61], v[76:77], 2, v[58:59]
	global_load_dword v60, v[60:61], off
	s_waitcnt vmcnt(0)
	v_mul_f32_e32 v60, s33, v60
	s_branch .LBB59_166
.LBB59_165:
	v_mov_b32_e32 v60, 0
.LBB59_166:
	v_pk_add_f32 v[62:63], v[8:9], v[52:53]
	s_nop 0
	v_min3_f32 v61, v62, v63, v123
	v_pk_add_f32 v[62:63], v[10:11], v[54:55]
	s_nop 0
	v_min_f32_e32 v62, v62, v63
	v_min3_f32 v62, v60, v62, v61
	v_lshl_add_u64 v[60:61], v[76:77], 2, v[56:57]
	global_store_dword v[60:61], v62, off
	s_or_b64 exec, exec, s[26:27]
	s_and_b64 s[26:27], s[16:17], s[18:19]
	s_and_saveexec_b64 s[18:19], s[26:27]
	s_cbranch_execz .LBB59_171
.LBB59_167:
	s_and_b64 vcc, exec, s[0:1]
	s_cbranch_vccnz .LBB59_169
; %bb.168:
	v_lshl_add_u64 v[58:59], v[78:79], 2, v[58:59]
	global_load_dword v58, v[58:59], off
	s_waitcnt vmcnt(0)
	v_mul_f32_e32 v58, s33, v58
	s_branch .LBB59_170
.LBB59_169:
	v_mov_b32_e32 v58, 0
.LBB59_170:
	v_pk_add_f32 v[52:53], v[0:1], v[52:53]
	s_nop 0
	v_min3_f32 v59, v52, v53, v127
	v_pk_add_f32 v[52:53], v[2:3], v[54:55]
	s_nop 0
	v_min_f32_e32 v52, v52, v53
	v_min3_f32 v54, v58, v52, v59
	v_lshl_add_u64 v[52:53], v[78:79], 2, v[56:57]
	global_store_dword v[52:53], v54, off
.LBB59_171:
	s_or_b64 exec, exec, s[18:19]
	v_add_u32_e32 v56, 24, v125
	v_mad_i64_i32 v[52:53], s[26:27], v56, s29, 0
	v_cmp_gt_i32_e64 s[18:19], s21, v56
	v_lshl_add_u64 v[54:55], v[52:53], 2, s[24:25]
	v_mad_i64_i32 v[52:53], s[26:27], v56, s28, 0
	v_lshl_add_u64 v[52:53], v[52:53], 2, s[22:23]
	s_and_b64 s[30:31], s[2:3], s[18:19]
	s_and_saveexec_b64 s[26:27], s[30:31]
	s_cbranch_execnz .LBB59_179
; %bb.172:
	s_or_b64 exec, exec, s[26:27]
	s_and_b64 s[30:31], s[4:5], s[18:19]
	s_and_saveexec_b64 s[26:27], s[30:31]
	s_cbranch_execnz .LBB59_183
.LBB59_173:
	s_or_b64 exec, exec, s[26:27]
	s_and_b64 s[30:31], s[6:7], s[18:19]
	s_and_saveexec_b64 s[26:27], s[30:31]
	s_cbranch_execnz .LBB59_187
.LBB59_174:
	s_or_b64 exec, exec, s[26:27]
	s_and_b64 s[30:31], s[8:9], s[18:19]
	s_and_saveexec_b64 s[26:27], s[30:31]
	s_cbranch_execnz .LBB59_191
.LBB59_175:
	s_or_b64 exec, exec, s[26:27]
	s_and_b64 s[30:31], s[10:11], s[18:19]
	s_and_saveexec_b64 s[26:27], s[30:31]
	s_cbranch_execnz .LBB59_195
.LBB59_176:
	s_or_b64 exec, exec, s[26:27]
	s_and_b64 s[30:31], s[12:13], s[18:19]
	s_and_saveexec_b64 s[26:27], s[30:31]
	s_cbranch_execnz .LBB59_199
.LBB59_177:
	s_or_b64 exec, exec, s[26:27]
	s_and_b64 s[30:31], s[14:15], s[18:19]
	s_and_saveexec_b64 s[26:27], s[30:31]
	s_cbranch_execnz .LBB59_203
.LBB59_178:
	s_or_b64 exec, exec, s[26:27]
	s_and_b64 s[26:27], s[16:17], s[18:19]
	s_and_saveexec_b64 s[18:19], s[26:27]
	s_cbranch_execnz .LBB59_207
	s_branch .LBB59_211
.LBB59_179:
	s_and_b64 vcc, exec, s[0:1]
	s_cbranch_vccnz .LBB59_181
; %bb.180:
	v_lshl_add_u64 v[56:57], v[64:65], 2, v[54:55]
	global_load_dword v56, v[56:57], off
	s_waitcnt vmcnt(0)
	v_mul_f32_e32 v56, s33, v56
	s_branch .LBB59_182
.LBB59_181:
	v_mov_b32_e32 v56, 0
.LBB59_182:
	v_pk_add_f32 v[58:59], v[32:33], v[48:49]
	s_nop 0
	v_min3_f32 v57, v58, v59, v124
	v_pk_add_f32 v[58:59], v[34:35], v[50:51]
	s_nop 0
	v_min_f32_e32 v58, v58, v59
	v_min3_f32 v58, v56, v58, v57
	v_lshl_add_u64 v[56:57], v[64:65], 2, v[52:53]
	global_store_dword v[56:57], v58, off
	s_or_b64 exec, exec, s[26:27]
	s_and_b64 s[30:31], s[4:5], s[18:19]
	s_and_saveexec_b64 s[26:27], s[30:31]
	s_cbranch_execz .LBB59_173
.LBB59_183:
	s_and_b64 vcc, exec, s[0:1]
	s_cbranch_vccnz .LBB59_185
; %bb.184:
	v_lshl_add_u64 v[56:57], v[66:67], 2, v[54:55]
	global_load_dword v56, v[56:57], off
	s_waitcnt vmcnt(0)
	v_mul_f32_e32 v56, s33, v56
	s_branch .LBB59_186
.LBB59_185:
	v_mov_b32_e32 v56, 0
.LBB59_186:
	v_pk_add_f32 v[58:59], v[28:29], v[48:49]
	s_nop 0
	v_min3_f32 v57, v58, v59, v122
	v_pk_add_f32 v[58:59], v[30:31], v[50:51]
	s_nop 0
	v_min_f32_e32 v58, v58, v59
	v_min3_f32 v58, v56, v58, v57
	v_lshl_add_u64 v[56:57], v[66:67], 2, v[52:53]
	global_store_dword v[56:57], v58, off
	s_or_b64 exec, exec, s[26:27]
	s_and_b64 s[30:31], s[6:7], s[18:19]
	s_and_saveexec_b64 s[26:27], s[30:31]
	s_cbranch_execz .LBB59_174
.LBB59_187:
	s_and_b64 vcc, exec, s[0:1]
	s_cbranch_vccnz .LBB59_189
; %bb.188:
	v_lshl_add_u64 v[56:57], v[68:69], 2, v[54:55]
	global_load_dword v56, v[56:57], off
	s_waitcnt vmcnt(0)
	v_mul_f32_e32 v56, s33, v56
	s_branch .LBB59_190
.LBB59_189:
	v_mov_b32_e32 v56, 0
.LBB59_190:
	v_pk_add_f32 v[58:59], v[24:25], v[48:49]
	s_nop 0
	v_min3_f32 v57, v58, v59, v121
	v_pk_add_f32 v[58:59], v[26:27], v[50:51]
	s_nop 0
	v_min_f32_e32 v58, v58, v59
	v_min3_f32 v58, v56, v58, v57
	v_lshl_add_u64 v[56:57], v[68:69], 2, v[52:53]
	global_store_dword v[56:57], v58, off
	s_or_b64 exec, exec, s[26:27]
	s_and_b64 s[30:31], s[8:9], s[18:19]
	s_and_saveexec_b64 s[26:27], s[30:31]
	s_cbranch_execz .LBB59_175
.LBB59_191:
	s_and_b64 vcc, exec, s[0:1]
	s_cbranch_vccnz .LBB59_193
; %bb.192:
	v_lshl_add_u64 v[56:57], v[70:71], 2, v[54:55]
	global_load_dword v56, v[56:57], off
	s_waitcnt vmcnt(0)
	v_mul_f32_e32 v56, s33, v56
	s_branch .LBB59_194
.LBB59_193:
	v_mov_b32_e32 v56, 0
.LBB59_194:
	v_pk_add_f32 v[58:59], v[20:21], v[48:49]
	s_nop 0
	v_min3_f32 v57, v58, v59, v120
	v_pk_add_f32 v[58:59], v[22:23], v[50:51]
	s_nop 0
	v_min_f32_e32 v58, v58, v59
	v_min3_f32 v58, v56, v58, v57
	v_lshl_add_u64 v[56:57], v[70:71], 2, v[52:53]
	global_store_dword v[56:57], v58, off
	s_or_b64 exec, exec, s[26:27]
	s_and_b64 s[30:31], s[10:11], s[18:19]
	s_and_saveexec_b64 s[26:27], s[30:31]
	s_cbranch_execz .LBB59_176
.LBB59_195:
	s_and_b64 vcc, exec, s[0:1]
	s_cbranch_vccnz .LBB59_197
; %bb.196:
	v_lshl_add_u64 v[56:57], v[72:73], 2, v[54:55]
	global_load_dword v56, v[56:57], off
	s_waitcnt vmcnt(0)
	v_mul_f32_e32 v56, s33, v56
	s_branch .LBB59_198
.LBB59_197:
	v_mov_b32_e32 v56, 0
.LBB59_198:
	v_pk_add_f32 v[58:59], v[16:17], v[48:49]
	s_nop 0
	v_min3_f32 v57, v58, v59, v119
	v_pk_add_f32 v[58:59], v[18:19], v[50:51]
	s_nop 0
	v_min_f32_e32 v58, v58, v59
	v_min3_f32 v58, v56, v58, v57
	v_lshl_add_u64 v[56:57], v[72:73], 2, v[52:53]
	global_store_dword v[56:57], v58, off
	s_or_b64 exec, exec, s[26:27]
	s_and_b64 s[30:31], s[12:13], s[18:19]
	s_and_saveexec_b64 s[26:27], s[30:31]
	s_cbranch_execz .LBB59_177
.LBB59_199:
	s_and_b64 vcc, exec, s[0:1]
	s_cbranch_vccnz .LBB59_201
; %bb.200:
	v_lshl_add_u64 v[56:57], v[74:75], 2, v[54:55]
	global_load_dword v56, v[56:57], off
	s_waitcnt vmcnt(0)
	v_mul_f32_e32 v56, s33, v56
	s_branch .LBB59_202
.LBB59_201:
	v_mov_b32_e32 v56, 0
.LBB59_202:
	v_pk_add_f32 v[58:59], v[12:13], v[48:49]
	s_nop 0
	v_min3_f32 v57, v58, v59, v118
	v_pk_add_f32 v[58:59], v[14:15], v[50:51]
	s_nop 0
	v_min_f32_e32 v58, v58, v59
	v_min3_f32 v58, v56, v58, v57
	v_lshl_add_u64 v[56:57], v[74:75], 2, v[52:53]
	global_store_dword v[56:57], v58, off
	s_or_b64 exec, exec, s[26:27]
	s_and_b64 s[30:31], s[14:15], s[18:19]
	s_and_saveexec_b64 s[26:27], s[30:31]
	s_cbranch_execz .LBB59_178
.LBB59_203:
	s_and_b64 vcc, exec, s[0:1]
	s_cbranch_vccnz .LBB59_205
; %bb.204:
	v_lshl_add_u64 v[56:57], v[76:77], 2, v[54:55]
	global_load_dword v56, v[56:57], off
	s_waitcnt vmcnt(0)
	v_mul_f32_e32 v56, s33, v56
	s_branch .LBB59_206
.LBB59_205:
	v_mov_b32_e32 v56, 0
.LBB59_206:
	v_pk_add_f32 v[58:59], v[8:9], v[48:49]
	s_nop 0
	v_min3_f32 v57, v58, v59, v117
	v_pk_add_f32 v[58:59], v[10:11], v[50:51]
	s_nop 0
	v_min_f32_e32 v58, v58, v59
	v_min3_f32 v58, v56, v58, v57
	v_lshl_add_u64 v[56:57], v[76:77], 2, v[52:53]
	global_store_dword v[56:57], v58, off
	s_or_b64 exec, exec, s[26:27]
	s_and_b64 s[26:27], s[16:17], s[18:19]
	s_and_saveexec_b64 s[18:19], s[26:27]
	s_cbranch_execz .LBB59_211
.LBB59_207:
	s_and_b64 vcc, exec, s[0:1]
	s_cbranch_vccnz .LBB59_209
; %bb.208:
	v_lshl_add_u64 v[54:55], v[78:79], 2, v[54:55]
	global_load_dword v54, v[54:55], off
	s_waitcnt vmcnt(0)
	v_mul_f32_e32 v54, s33, v54
	s_branch .LBB59_210
.LBB59_209:
	v_mov_b32_e32 v54, 0
.LBB59_210:
	v_pk_add_f32 v[48:49], v[0:1], v[48:49]
	s_nop 0
	v_min3_f32 v55, v48, v49, v116
	v_pk_add_f32 v[48:49], v[2:3], v[50:51]
	s_nop 0
	v_min_f32_e32 v48, v48, v49
	v_min3_f32 v50, v54, v48, v55
	v_lshl_add_u64 v[48:49], v[78:79], 2, v[52:53]
	global_store_dword v[48:49], v50, off
.LBB59_211:
	s_or_b64 exec, exec, s[18:19]
	v_add_u32_e32 v52, 32, v125
	v_mad_i64_i32 v[48:49], s[26:27], v52, s29, 0
	v_cmp_gt_i32_e64 s[18:19], s21, v52
	v_lshl_add_u64 v[50:51], v[48:49], 2, s[24:25]
	v_mad_i64_i32 v[48:49], s[26:27], v52, s28, 0
	v_lshl_add_u64 v[48:49], v[48:49], 2, s[22:23]
	s_and_b64 s[30:31], s[2:3], s[18:19]
	s_and_saveexec_b64 s[26:27], s[30:31]
	s_cbranch_execnz .LBB59_219
; %bb.212:
	s_or_b64 exec, exec, s[26:27]
	s_and_b64 s[30:31], s[4:5], s[18:19]
	s_and_saveexec_b64 s[26:27], s[30:31]
	s_cbranch_execnz .LBB59_223
.LBB59_213:
	s_or_b64 exec, exec, s[26:27]
	s_and_b64 s[30:31], s[6:7], s[18:19]
	s_and_saveexec_b64 s[26:27], s[30:31]
	s_cbranch_execnz .LBB59_227
.LBB59_214:
	s_or_b64 exec, exec, s[26:27]
	s_and_b64 s[30:31], s[8:9], s[18:19]
	s_and_saveexec_b64 s[26:27], s[30:31]
	s_cbranch_execnz .LBB59_231
.LBB59_215:
	s_or_b64 exec, exec, s[26:27]
	s_and_b64 s[30:31], s[10:11], s[18:19]
	s_and_saveexec_b64 s[26:27], s[30:31]
	s_cbranch_execnz .LBB59_235
.LBB59_216:
	s_or_b64 exec, exec, s[26:27]
	s_and_b64 s[30:31], s[12:13], s[18:19]
	s_and_saveexec_b64 s[26:27], s[30:31]
	s_cbranch_execnz .LBB59_239
.LBB59_217:
	s_or_b64 exec, exec, s[26:27]
	s_and_b64 s[30:31], s[14:15], s[18:19]
	s_and_saveexec_b64 s[26:27], s[30:31]
	s_cbranch_execnz .LBB59_243
.LBB59_218:
	s_or_b64 exec, exec, s[26:27]
	s_and_b64 s[26:27], s[16:17], s[18:19]
	s_and_saveexec_b64 s[18:19], s[26:27]
	s_cbranch_execnz .LBB59_247
	s_branch .LBB59_251
.LBB59_219:
	s_and_b64 vcc, exec, s[0:1]
	s_cbranch_vccnz .LBB59_221
; %bb.220:
	v_lshl_add_u64 v[52:53], v[64:65], 2, v[50:51]
	global_load_dword v52, v[52:53], off
	s_waitcnt vmcnt(0)
	v_mul_f32_e32 v52, s33, v52
	s_branch .LBB59_222
.LBB59_221:
	v_mov_b32_e32 v52, 0
.LBB59_222:
	v_pk_add_f32 v[54:55], v[32:33], v[44:45]
	s_nop 0
	v_min3_f32 v53, v54, v55, v115
	v_pk_add_f32 v[54:55], v[34:35], v[46:47]
	s_nop 0
	v_min_f32_e32 v54, v54, v55
	v_min3_f32 v54, v52, v54, v53
	v_lshl_add_u64 v[52:53], v[64:65], 2, v[48:49]
	global_store_dword v[52:53], v54, off
	s_or_b64 exec, exec, s[26:27]
	s_and_b64 s[30:31], s[4:5], s[18:19]
	s_and_saveexec_b64 s[26:27], s[30:31]
	s_cbranch_execz .LBB59_213
.LBB59_223:
	s_and_b64 vcc, exec, s[0:1]
	s_cbranch_vccnz .LBB59_225
; %bb.224:
	v_lshl_add_u64 v[52:53], v[66:67], 2, v[50:51]
	global_load_dword v52, v[52:53], off
	s_waitcnt vmcnt(0)
	v_mul_f32_e32 v52, s33, v52
	s_branch .LBB59_226
.LBB59_225:
	v_mov_b32_e32 v52, 0
.LBB59_226:
	v_pk_add_f32 v[54:55], v[28:29], v[44:45]
	s_nop 0
	v_min3_f32 v53, v54, v55, v114
	v_pk_add_f32 v[54:55], v[30:31], v[46:47]
	s_nop 0
	v_min_f32_e32 v54, v54, v55
	v_min3_f32 v54, v52, v54, v53
	v_lshl_add_u64 v[52:53], v[66:67], 2, v[48:49]
	global_store_dword v[52:53], v54, off
	s_or_b64 exec, exec, s[26:27]
	s_and_b64 s[30:31], s[6:7], s[18:19]
	s_and_saveexec_b64 s[26:27], s[30:31]
	s_cbranch_execz .LBB59_214
.LBB59_227:
	s_and_b64 vcc, exec, s[0:1]
	s_cbranch_vccnz .LBB59_229
; %bb.228:
	v_lshl_add_u64 v[52:53], v[68:69], 2, v[50:51]
	global_load_dword v52, v[52:53], off
	s_waitcnt vmcnt(0)
	v_mul_f32_e32 v52, s33, v52
	s_branch .LBB59_230
.LBB59_229:
	v_mov_b32_e32 v52, 0
.LBB59_230:
	v_pk_add_f32 v[54:55], v[24:25], v[44:45]
	s_nop 0
	v_min3_f32 v53, v54, v55, v113
	v_pk_add_f32 v[54:55], v[26:27], v[46:47]
	s_nop 0
	v_min_f32_e32 v54, v54, v55
	v_min3_f32 v54, v52, v54, v53
	v_lshl_add_u64 v[52:53], v[68:69], 2, v[48:49]
	global_store_dword v[52:53], v54, off
	s_or_b64 exec, exec, s[26:27]
	s_and_b64 s[30:31], s[8:9], s[18:19]
	s_and_saveexec_b64 s[26:27], s[30:31]
	s_cbranch_execz .LBB59_215
.LBB59_231:
	s_and_b64 vcc, exec, s[0:1]
	s_cbranch_vccnz .LBB59_233
; %bb.232:
	v_lshl_add_u64 v[52:53], v[70:71], 2, v[50:51]
	global_load_dword v52, v[52:53], off
	s_waitcnt vmcnt(0)
	v_mul_f32_e32 v52, s33, v52
	s_branch .LBB59_234
.LBB59_233:
	v_mov_b32_e32 v52, 0
.LBB59_234:
	v_pk_add_f32 v[54:55], v[20:21], v[44:45]
	s_nop 0
	v_min3_f32 v53, v54, v55, v112
	v_pk_add_f32 v[54:55], v[22:23], v[46:47]
	s_nop 0
	v_min_f32_e32 v54, v54, v55
	v_min3_f32 v54, v52, v54, v53
	v_lshl_add_u64 v[52:53], v[70:71], 2, v[48:49]
	global_store_dword v[52:53], v54, off
	s_or_b64 exec, exec, s[26:27]
	s_and_b64 s[30:31], s[10:11], s[18:19]
	s_and_saveexec_b64 s[26:27], s[30:31]
	s_cbranch_execz .LBB59_216
.LBB59_235:
	s_and_b64 vcc, exec, s[0:1]
	s_cbranch_vccnz .LBB59_237
; %bb.236:
	v_lshl_add_u64 v[52:53], v[72:73], 2, v[50:51]
	global_load_dword v52, v[52:53], off
	s_waitcnt vmcnt(0)
	v_mul_f32_e32 v52, s33, v52
	s_branch .LBB59_238
.LBB59_237:
	v_mov_b32_e32 v52, 0
.LBB59_238:
	v_pk_add_f32 v[54:55], v[16:17], v[44:45]
	s_nop 0
	v_min3_f32 v53, v54, v55, v111
	v_pk_add_f32 v[54:55], v[18:19], v[46:47]
	s_nop 0
	v_min_f32_e32 v54, v54, v55
	v_min3_f32 v54, v52, v54, v53
	v_lshl_add_u64 v[52:53], v[72:73], 2, v[48:49]
	global_store_dword v[52:53], v54, off
	s_or_b64 exec, exec, s[26:27]
	s_and_b64 s[30:31], s[12:13], s[18:19]
	s_and_saveexec_b64 s[26:27], s[30:31]
	s_cbranch_execz .LBB59_217
.LBB59_239:
	s_and_b64 vcc, exec, s[0:1]
	s_cbranch_vccnz .LBB59_241
; %bb.240:
	v_lshl_add_u64 v[52:53], v[74:75], 2, v[50:51]
	global_load_dword v52, v[52:53], off
	s_waitcnt vmcnt(0)
	v_mul_f32_e32 v52, s33, v52
	s_branch .LBB59_242
.LBB59_241:
	v_mov_b32_e32 v52, 0
.LBB59_242:
	v_pk_add_f32 v[54:55], v[12:13], v[44:45]
	s_nop 0
	v_min3_f32 v53, v54, v55, v110
	v_pk_add_f32 v[54:55], v[14:15], v[46:47]
	s_nop 0
	v_min_f32_e32 v54, v54, v55
	v_min3_f32 v54, v52, v54, v53
	v_lshl_add_u64 v[52:53], v[74:75], 2, v[48:49]
	global_store_dword v[52:53], v54, off
	s_or_b64 exec, exec, s[26:27]
	s_and_b64 s[30:31], s[14:15], s[18:19]
	s_and_saveexec_b64 s[26:27], s[30:31]
	s_cbranch_execz .LBB59_218
.LBB59_243:
	s_and_b64 vcc, exec, s[0:1]
	s_cbranch_vccnz .LBB59_245
; %bb.244:
	v_lshl_add_u64 v[52:53], v[76:77], 2, v[50:51]
	global_load_dword v52, v[52:53], off
	s_waitcnt vmcnt(0)
	v_mul_f32_e32 v52, s33, v52
	s_branch .LBB59_246
.LBB59_245:
	v_mov_b32_e32 v52, 0
.LBB59_246:
	v_pk_add_f32 v[54:55], v[8:9], v[44:45]
	s_nop 0
	v_min3_f32 v53, v54, v55, v109
	v_pk_add_f32 v[54:55], v[10:11], v[46:47]
	s_nop 0
	v_min_f32_e32 v54, v54, v55
	v_min3_f32 v54, v52, v54, v53
	v_lshl_add_u64 v[52:53], v[76:77], 2, v[48:49]
	global_store_dword v[52:53], v54, off
	s_or_b64 exec, exec, s[26:27]
	s_and_b64 s[26:27], s[16:17], s[18:19]
	s_and_saveexec_b64 s[18:19], s[26:27]
	s_cbranch_execz .LBB59_251
.LBB59_247:
	s_and_b64 vcc, exec, s[0:1]
	s_cbranch_vccnz .LBB59_249
; %bb.248:
	v_lshl_add_u64 v[50:51], v[78:79], 2, v[50:51]
	global_load_dword v50, v[50:51], off
	s_waitcnt vmcnt(0)
	v_mul_f32_e32 v50, s33, v50
	s_branch .LBB59_250
.LBB59_249:
	v_mov_b32_e32 v50, 0
.LBB59_250:
	v_pk_add_f32 v[44:45], v[0:1], v[44:45]
	s_nop 0
	v_min3_f32 v51, v44, v45, v108
	v_pk_add_f32 v[44:45], v[2:3], v[46:47]
	s_nop 0
	v_min_f32_e32 v44, v44, v45
	v_min3_f32 v46, v50, v44, v51
	v_lshl_add_u64 v[44:45], v[78:79], 2, v[48:49]
	global_store_dword v[44:45], v46, off
.LBB59_251:
	s_or_b64 exec, exec, s[18:19]
	v_add_u32_e32 v48, 40, v125
	v_mad_i64_i32 v[44:45], s[26:27], v48, s29, 0
	v_cmp_gt_i32_e64 s[18:19], s21, v48
	v_lshl_add_u64 v[46:47], v[44:45], 2, s[24:25]
	v_mad_i64_i32 v[44:45], s[26:27], v48, s28, 0
	v_lshl_add_u64 v[44:45], v[44:45], 2, s[22:23]
	s_and_b64 s[30:31], s[2:3], s[18:19]
	s_and_saveexec_b64 s[26:27], s[30:31]
	s_cbranch_execnz .LBB59_259
; %bb.252:
	s_or_b64 exec, exec, s[26:27]
	s_and_b64 s[30:31], s[4:5], s[18:19]
	s_and_saveexec_b64 s[26:27], s[30:31]
	s_cbranch_execnz .LBB59_263
.LBB59_253:
	s_or_b64 exec, exec, s[26:27]
	s_and_b64 s[30:31], s[6:7], s[18:19]
	s_and_saveexec_b64 s[26:27], s[30:31]
	s_cbranch_execnz .LBB59_267
.LBB59_254:
	s_or_b64 exec, exec, s[26:27]
	s_and_b64 s[30:31], s[8:9], s[18:19]
	s_and_saveexec_b64 s[26:27], s[30:31]
	s_cbranch_execnz .LBB59_271
.LBB59_255:
	s_or_b64 exec, exec, s[26:27]
	s_and_b64 s[30:31], s[10:11], s[18:19]
	s_and_saveexec_b64 s[26:27], s[30:31]
	s_cbranch_execnz .LBB59_275
.LBB59_256:
	s_or_b64 exec, exec, s[26:27]
	s_and_b64 s[30:31], s[12:13], s[18:19]
	s_and_saveexec_b64 s[26:27], s[30:31]
	s_cbranch_execnz .LBB59_279
.LBB59_257:
	s_or_b64 exec, exec, s[26:27]
	s_and_b64 s[30:31], s[14:15], s[18:19]
	s_and_saveexec_b64 s[26:27], s[30:31]
	s_cbranch_execnz .LBB59_283
.LBB59_258:
	s_or_b64 exec, exec, s[26:27]
	s_and_b64 s[26:27], s[16:17], s[18:19]
	s_and_saveexec_b64 s[18:19], s[26:27]
	s_cbranch_execnz .LBB59_287
	s_branch .LBB59_291
.LBB59_259:
	s_and_b64 vcc, exec, s[0:1]
	s_cbranch_vccnz .LBB59_261
; %bb.260:
	v_lshl_add_u64 v[48:49], v[64:65], 2, v[46:47]
	global_load_dword v48, v[48:49], off
	s_waitcnt vmcnt(0)
	v_mul_f32_e32 v48, s33, v48
	s_branch .LBB59_262
.LBB59_261:
	v_mov_b32_e32 v48, 0
.LBB59_262:
	v_pk_add_f32 v[50:51], v[32:33], v[40:41]
	s_nop 0
	v_min3_f32 v49, v50, v51, v107
	v_pk_add_f32 v[50:51], v[34:35], v[42:43]
	s_nop 0
	v_min_f32_e32 v50, v50, v51
	v_min3_f32 v50, v48, v50, v49
	v_lshl_add_u64 v[48:49], v[64:65], 2, v[44:45]
	global_store_dword v[48:49], v50, off
	s_or_b64 exec, exec, s[26:27]
	s_and_b64 s[30:31], s[4:5], s[18:19]
	s_and_saveexec_b64 s[26:27], s[30:31]
	s_cbranch_execz .LBB59_253
.LBB59_263:
	s_and_b64 vcc, exec, s[0:1]
	s_cbranch_vccnz .LBB59_265
; %bb.264:
	v_lshl_add_u64 v[48:49], v[66:67], 2, v[46:47]
	global_load_dword v48, v[48:49], off
	s_waitcnt vmcnt(0)
	v_mul_f32_e32 v48, s33, v48
	s_branch .LBB59_266
.LBB59_265:
	v_mov_b32_e32 v48, 0
.LBB59_266:
	v_pk_add_f32 v[50:51], v[28:29], v[40:41]
	s_nop 0
	v_min3_f32 v49, v50, v51, v106
	v_pk_add_f32 v[50:51], v[30:31], v[42:43]
	s_nop 0
	v_min_f32_e32 v50, v50, v51
	v_min3_f32 v50, v48, v50, v49
	v_lshl_add_u64 v[48:49], v[66:67], 2, v[44:45]
	global_store_dword v[48:49], v50, off
	s_or_b64 exec, exec, s[26:27]
	s_and_b64 s[30:31], s[6:7], s[18:19]
	s_and_saveexec_b64 s[26:27], s[30:31]
	s_cbranch_execz .LBB59_254
.LBB59_267:
	s_and_b64 vcc, exec, s[0:1]
	s_cbranch_vccnz .LBB59_269
; %bb.268:
	v_lshl_add_u64 v[48:49], v[68:69], 2, v[46:47]
	global_load_dword v48, v[48:49], off
	s_waitcnt vmcnt(0)
	v_mul_f32_e32 v48, s33, v48
	s_branch .LBB59_270
.LBB59_269:
	v_mov_b32_e32 v48, 0
.LBB59_270:
	v_pk_add_f32 v[50:51], v[24:25], v[40:41]
	s_nop 0
	v_min3_f32 v49, v50, v51, v105
	v_pk_add_f32 v[50:51], v[26:27], v[42:43]
	s_nop 0
	v_min_f32_e32 v50, v50, v51
	v_min3_f32 v50, v48, v50, v49
	v_lshl_add_u64 v[48:49], v[68:69], 2, v[44:45]
	global_store_dword v[48:49], v50, off
	s_or_b64 exec, exec, s[26:27]
	s_and_b64 s[30:31], s[8:9], s[18:19]
	s_and_saveexec_b64 s[26:27], s[30:31]
	s_cbranch_execz .LBB59_255
.LBB59_271:
	s_and_b64 vcc, exec, s[0:1]
	s_cbranch_vccnz .LBB59_273
; %bb.272:
	v_lshl_add_u64 v[48:49], v[70:71], 2, v[46:47]
	global_load_dword v48, v[48:49], off
	s_waitcnt vmcnt(0)
	v_mul_f32_e32 v48, s33, v48
	s_branch .LBB59_274
.LBB59_273:
	v_mov_b32_e32 v48, 0
.LBB59_274:
	v_pk_add_f32 v[50:51], v[20:21], v[40:41]
	s_nop 0
	v_min3_f32 v49, v50, v51, v104
	v_pk_add_f32 v[50:51], v[22:23], v[42:43]
	s_nop 0
	v_min_f32_e32 v50, v50, v51
	v_min3_f32 v50, v48, v50, v49
	v_lshl_add_u64 v[48:49], v[70:71], 2, v[44:45]
	global_store_dword v[48:49], v50, off
	s_or_b64 exec, exec, s[26:27]
	s_and_b64 s[30:31], s[10:11], s[18:19]
	s_and_saveexec_b64 s[26:27], s[30:31]
	s_cbranch_execz .LBB59_256
.LBB59_275:
	s_and_b64 vcc, exec, s[0:1]
	s_cbranch_vccnz .LBB59_277
; %bb.276:
	v_lshl_add_u64 v[48:49], v[72:73], 2, v[46:47]
	global_load_dword v48, v[48:49], off
	s_waitcnt vmcnt(0)
	v_mul_f32_e32 v48, s33, v48
	s_branch .LBB59_278
.LBB59_277:
	v_mov_b32_e32 v48, 0
.LBB59_278:
	v_pk_add_f32 v[50:51], v[16:17], v[40:41]
	s_nop 0
	v_min3_f32 v49, v50, v51, v103
	v_pk_add_f32 v[50:51], v[18:19], v[42:43]
	s_nop 0
	v_min_f32_e32 v50, v50, v51
	v_min3_f32 v50, v48, v50, v49
	v_lshl_add_u64 v[48:49], v[72:73], 2, v[44:45]
	global_store_dword v[48:49], v50, off
	s_or_b64 exec, exec, s[26:27]
	s_and_b64 s[30:31], s[12:13], s[18:19]
	s_and_saveexec_b64 s[26:27], s[30:31]
	s_cbranch_execz .LBB59_257
.LBB59_279:
	s_and_b64 vcc, exec, s[0:1]
	s_cbranch_vccnz .LBB59_281
; %bb.280:
	v_lshl_add_u64 v[48:49], v[74:75], 2, v[46:47]
	global_load_dword v48, v[48:49], off
	s_waitcnt vmcnt(0)
	v_mul_f32_e32 v48, s33, v48
	s_branch .LBB59_282
.LBB59_281:
	v_mov_b32_e32 v48, 0
.LBB59_282:
	v_pk_add_f32 v[50:51], v[12:13], v[40:41]
	s_nop 0
	v_min3_f32 v49, v50, v51, v102
	v_pk_add_f32 v[50:51], v[14:15], v[42:43]
	s_nop 0
	v_min_f32_e32 v50, v50, v51
	v_min3_f32 v50, v48, v50, v49
	v_lshl_add_u64 v[48:49], v[74:75], 2, v[44:45]
	global_store_dword v[48:49], v50, off
	s_or_b64 exec, exec, s[26:27]
	s_and_b64 s[30:31], s[14:15], s[18:19]
	s_and_saveexec_b64 s[26:27], s[30:31]
	s_cbranch_execz .LBB59_258
.LBB59_283:
	s_and_b64 vcc, exec, s[0:1]
	s_cbranch_vccnz .LBB59_285
; %bb.284:
	v_lshl_add_u64 v[48:49], v[76:77], 2, v[46:47]
	global_load_dword v48, v[48:49], off
	s_waitcnt vmcnt(0)
	v_mul_f32_e32 v48, s33, v48
	s_branch .LBB59_286
.LBB59_285:
	v_mov_b32_e32 v48, 0
.LBB59_286:
	v_pk_add_f32 v[50:51], v[8:9], v[40:41]
	s_nop 0
	v_min3_f32 v49, v50, v51, v101
	v_pk_add_f32 v[50:51], v[10:11], v[42:43]
	s_nop 0
	v_min_f32_e32 v50, v50, v51
	v_min3_f32 v50, v48, v50, v49
	v_lshl_add_u64 v[48:49], v[76:77], 2, v[44:45]
	global_store_dword v[48:49], v50, off
	s_or_b64 exec, exec, s[26:27]
	s_and_b64 s[26:27], s[16:17], s[18:19]
	s_and_saveexec_b64 s[18:19], s[26:27]
	s_cbranch_execz .LBB59_291
.LBB59_287:
	s_and_b64 vcc, exec, s[0:1]
	s_cbranch_vccnz .LBB59_289
; %bb.288:
	v_lshl_add_u64 v[46:47], v[78:79], 2, v[46:47]
	global_load_dword v46, v[46:47], off
	s_waitcnt vmcnt(0)
	v_mul_f32_e32 v46, s33, v46
	s_branch .LBB59_290
.LBB59_289:
	v_mov_b32_e32 v46, 0
.LBB59_290:
	v_pk_add_f32 v[40:41], v[0:1], v[40:41]
	s_nop 0
	v_min3_f32 v47, v40, v41, v100
	v_pk_add_f32 v[40:41], v[2:3], v[42:43]
	s_nop 0
	v_min_f32_e32 v40, v40, v41
	v_min3_f32 v42, v46, v40, v47
	v_lshl_add_u64 v[40:41], v[78:79], 2, v[44:45]
	global_store_dword v[40:41], v42, off
.LBB59_291:
	s_or_b64 exec, exec, s[18:19]
	v_add_u32_e32 v44, 48, v125
	v_mad_i64_i32 v[40:41], s[26:27], v44, s29, 0
	v_cmp_gt_i32_e64 s[18:19], s21, v44
	v_lshl_add_u64 v[42:43], v[40:41], 2, s[24:25]
	v_mad_i64_i32 v[40:41], s[26:27], v44, s28, 0
	v_lshl_add_u64 v[40:41], v[40:41], 2, s[22:23]
	s_and_b64 s[30:31], s[2:3], s[18:19]
	s_and_saveexec_b64 s[26:27], s[30:31]
	s_cbranch_execnz .LBB59_299
; %bb.292:
	s_or_b64 exec, exec, s[26:27]
	s_and_b64 s[30:31], s[4:5], s[18:19]
	s_and_saveexec_b64 s[26:27], s[30:31]
	s_cbranch_execnz .LBB59_303
.LBB59_293:
	s_or_b64 exec, exec, s[26:27]
	s_and_b64 s[30:31], s[6:7], s[18:19]
	s_and_saveexec_b64 s[26:27], s[30:31]
	s_cbranch_execnz .LBB59_307
.LBB59_294:
	s_or_b64 exec, exec, s[26:27]
	s_and_b64 s[30:31], s[8:9], s[18:19]
	s_and_saveexec_b64 s[26:27], s[30:31]
	s_cbranch_execnz .LBB59_311
.LBB59_295:
	s_or_b64 exec, exec, s[26:27]
	s_and_b64 s[30:31], s[10:11], s[18:19]
	s_and_saveexec_b64 s[26:27], s[30:31]
	s_cbranch_execnz .LBB59_315
.LBB59_296:
	s_or_b64 exec, exec, s[26:27]
	s_and_b64 s[30:31], s[12:13], s[18:19]
	s_and_saveexec_b64 s[26:27], s[30:31]
	s_cbranch_execnz .LBB59_319
.LBB59_297:
	s_or_b64 exec, exec, s[26:27]
	s_and_b64 s[30:31], s[14:15], s[18:19]
	s_and_saveexec_b64 s[26:27], s[30:31]
	s_cbranch_execnz .LBB59_323
.LBB59_298:
	s_or_b64 exec, exec, s[26:27]
	s_and_b64 s[26:27], s[16:17], s[18:19]
	s_and_saveexec_b64 s[18:19], s[26:27]
	s_cbranch_execnz .LBB59_327
	s_branch .LBB59_331
.LBB59_299:
	s_and_b64 vcc, exec, s[0:1]
	s_cbranch_vccnz .LBB59_301
; %bb.300:
	v_lshl_add_u64 v[44:45], v[64:65], 2, v[42:43]
	global_load_dword v44, v[44:45], off
	s_waitcnt vmcnt(0)
	v_mul_f32_e32 v44, s33, v44
	s_branch .LBB59_302
.LBB59_301:
	v_mov_b32_e32 v44, 0
.LBB59_302:
	v_pk_add_f32 v[46:47], v[32:33], v[36:37]
	s_nop 0
	v_min3_f32 v45, v46, v47, v99
	v_pk_add_f32 v[46:47], v[34:35], v[38:39]
	s_nop 0
	v_min_f32_e32 v46, v46, v47
	v_min3_f32 v46, v44, v46, v45
	v_lshl_add_u64 v[44:45], v[64:65], 2, v[40:41]
	global_store_dword v[44:45], v46, off
	s_or_b64 exec, exec, s[26:27]
	s_and_b64 s[30:31], s[4:5], s[18:19]
	s_and_saveexec_b64 s[26:27], s[30:31]
	s_cbranch_execz .LBB59_293
.LBB59_303:
	s_and_b64 vcc, exec, s[0:1]
	s_cbranch_vccnz .LBB59_305
; %bb.304:
	v_lshl_add_u64 v[44:45], v[66:67], 2, v[42:43]
	global_load_dword v44, v[44:45], off
	s_waitcnt vmcnt(0)
	v_mul_f32_e32 v44, s33, v44
	s_branch .LBB59_306
.LBB59_305:
	v_mov_b32_e32 v44, 0
.LBB59_306:
	v_pk_add_f32 v[46:47], v[28:29], v[36:37]
	s_nop 0
	v_min3_f32 v45, v46, v47, v98
	v_pk_add_f32 v[46:47], v[30:31], v[38:39]
	s_nop 0
	v_min_f32_e32 v46, v46, v47
	v_min3_f32 v46, v44, v46, v45
	v_lshl_add_u64 v[44:45], v[66:67], 2, v[40:41]
	global_store_dword v[44:45], v46, off
	s_or_b64 exec, exec, s[26:27]
	s_and_b64 s[30:31], s[6:7], s[18:19]
	s_and_saveexec_b64 s[26:27], s[30:31]
	s_cbranch_execz .LBB59_294
.LBB59_307:
	s_and_b64 vcc, exec, s[0:1]
	s_cbranch_vccnz .LBB59_309
; %bb.308:
	v_lshl_add_u64 v[44:45], v[68:69], 2, v[42:43]
	global_load_dword v44, v[44:45], off
	s_waitcnt vmcnt(0)
	v_mul_f32_e32 v44, s33, v44
	s_branch .LBB59_310
.LBB59_309:
	v_mov_b32_e32 v44, 0
.LBB59_310:
	v_pk_add_f32 v[46:47], v[24:25], v[36:37]
	s_nop 0
	v_min3_f32 v45, v46, v47, v97
	v_pk_add_f32 v[46:47], v[26:27], v[38:39]
	s_nop 0
	v_min_f32_e32 v46, v46, v47
	v_min3_f32 v46, v44, v46, v45
	v_lshl_add_u64 v[44:45], v[68:69], 2, v[40:41]
	global_store_dword v[44:45], v46, off
	s_or_b64 exec, exec, s[26:27]
	s_and_b64 s[30:31], s[8:9], s[18:19]
	s_and_saveexec_b64 s[26:27], s[30:31]
	s_cbranch_execz .LBB59_295
.LBB59_311:
	s_and_b64 vcc, exec, s[0:1]
	s_cbranch_vccnz .LBB59_313
; %bb.312:
	v_lshl_add_u64 v[44:45], v[70:71], 2, v[42:43]
	global_load_dword v44, v[44:45], off
	s_waitcnt vmcnt(0)
	v_mul_f32_e32 v44, s33, v44
	s_branch .LBB59_314
.LBB59_313:
	v_mov_b32_e32 v44, 0
.LBB59_314:
	v_pk_add_f32 v[46:47], v[20:21], v[36:37]
	s_nop 0
	v_min3_f32 v45, v46, v47, v96
	v_pk_add_f32 v[46:47], v[22:23], v[38:39]
	s_nop 0
	v_min_f32_e32 v46, v46, v47
	v_min3_f32 v46, v44, v46, v45
	v_lshl_add_u64 v[44:45], v[70:71], 2, v[40:41]
	global_store_dword v[44:45], v46, off
	s_or_b64 exec, exec, s[26:27]
	s_and_b64 s[30:31], s[10:11], s[18:19]
	s_and_saveexec_b64 s[26:27], s[30:31]
	s_cbranch_execz .LBB59_296
.LBB59_315:
	s_and_b64 vcc, exec, s[0:1]
	s_cbranch_vccnz .LBB59_317
; %bb.316:
	v_lshl_add_u64 v[44:45], v[72:73], 2, v[42:43]
	global_load_dword v44, v[44:45], off
	s_waitcnt vmcnt(0)
	v_mul_f32_e32 v44, s33, v44
	s_branch .LBB59_318
.LBB59_317:
	v_mov_b32_e32 v44, 0
.LBB59_318:
	v_pk_add_f32 v[46:47], v[16:17], v[36:37]
	s_nop 0
	v_min3_f32 v45, v46, v47, v95
	v_pk_add_f32 v[46:47], v[18:19], v[38:39]
	s_nop 0
	v_min_f32_e32 v46, v46, v47
	v_min3_f32 v46, v44, v46, v45
	v_lshl_add_u64 v[44:45], v[72:73], 2, v[40:41]
	global_store_dword v[44:45], v46, off
	s_or_b64 exec, exec, s[26:27]
	s_and_b64 s[30:31], s[12:13], s[18:19]
	s_and_saveexec_b64 s[26:27], s[30:31]
	s_cbranch_execz .LBB59_297
.LBB59_319:
	s_and_b64 vcc, exec, s[0:1]
	s_cbranch_vccnz .LBB59_321
; %bb.320:
	v_lshl_add_u64 v[44:45], v[74:75], 2, v[42:43]
	global_load_dword v44, v[44:45], off
	s_waitcnt vmcnt(0)
	v_mul_f32_e32 v44, s33, v44
	s_branch .LBB59_322
.LBB59_321:
	v_mov_b32_e32 v44, 0
.LBB59_322:
	v_pk_add_f32 v[46:47], v[12:13], v[36:37]
	s_nop 0
	v_min3_f32 v45, v46, v47, v94
	v_pk_add_f32 v[46:47], v[14:15], v[38:39]
	s_nop 0
	v_min_f32_e32 v46, v46, v47
	v_min3_f32 v46, v44, v46, v45
	v_lshl_add_u64 v[44:45], v[74:75], 2, v[40:41]
	global_store_dword v[44:45], v46, off
	s_or_b64 exec, exec, s[26:27]
	s_and_b64 s[30:31], s[14:15], s[18:19]
	s_and_saveexec_b64 s[26:27], s[30:31]
	s_cbranch_execz .LBB59_298
.LBB59_323:
	s_and_b64 vcc, exec, s[0:1]
	s_cbranch_vccnz .LBB59_325
; %bb.324:
	v_lshl_add_u64 v[44:45], v[76:77], 2, v[42:43]
	global_load_dword v44, v[44:45], off
	s_waitcnt vmcnt(0)
	v_mul_f32_e32 v44, s33, v44
	s_branch .LBB59_326
.LBB59_325:
	v_mov_b32_e32 v44, 0
.LBB59_326:
	v_pk_add_f32 v[46:47], v[8:9], v[36:37]
	s_nop 0
	v_min3_f32 v45, v46, v47, v93
	v_pk_add_f32 v[46:47], v[10:11], v[38:39]
	s_nop 0
	v_min_f32_e32 v46, v46, v47
	v_min3_f32 v46, v44, v46, v45
	v_lshl_add_u64 v[44:45], v[76:77], 2, v[40:41]
	global_store_dword v[44:45], v46, off
	s_or_b64 exec, exec, s[26:27]
	s_and_b64 s[26:27], s[16:17], s[18:19]
	s_and_saveexec_b64 s[18:19], s[26:27]
	s_cbranch_execz .LBB59_331
.LBB59_327:
	s_and_b64 vcc, exec, s[0:1]
	s_cbranch_vccnz .LBB59_329
; %bb.328:
	v_lshl_add_u64 v[42:43], v[78:79], 2, v[42:43]
	global_load_dword v42, v[42:43], off
	s_waitcnt vmcnt(0)
	v_mul_f32_e32 v42, s33, v42
	s_branch .LBB59_330
.LBB59_329:
	v_mov_b32_e32 v42, 0
.LBB59_330:
	v_pk_add_f32 v[36:37], v[0:1], v[36:37]
	s_nop 0
	v_min3_f32 v43, v36, v37, v92
	v_pk_add_f32 v[36:37], v[2:3], v[38:39]
	s_nop 0
	v_min_f32_e32 v36, v36, v37
	v_min3_f32 v38, v42, v36, v43
	v_lshl_add_u64 v[36:37], v[78:79], 2, v[40:41]
	global_store_dword v[36:37], v38, off
.LBB59_331:
	s_or_b64 exec, exec, s[18:19]
	v_add_u32_e32 v40, 56, v125
	v_cmp_gt_i32_e64 s[18:19], s21, v40
	v_mad_i64_i32 v[36:37], s[20:21], v40, s29, 0
	v_lshl_add_u64 v[38:39], v[36:37], 2, s[24:25]
	v_mad_i64_i32 v[36:37], s[20:21], v40, s28, 0
	v_lshl_add_u64 v[36:37], v[36:37], 2, s[22:23]
	s_and_b64 s[20:21], s[2:3], s[18:19]
	s_and_saveexec_b64 s[2:3], s[20:21]
	s_cbranch_execnz .LBB59_340
; %bb.332:
	s_or_b64 exec, exec, s[2:3]
	s_and_b64 s[4:5], s[4:5], s[18:19]
	s_and_saveexec_b64 s[2:3], s[4:5]
	s_cbranch_execnz .LBB59_344
.LBB59_333:
	s_or_b64 exec, exec, s[2:3]
	s_and_b64 s[4:5], s[6:7], s[18:19]
	s_and_saveexec_b64 s[2:3], s[4:5]
	s_cbranch_execnz .LBB59_348
.LBB59_334:
	s_or_b64 exec, exec, s[2:3]
	s_and_b64 s[4:5], s[8:9], s[18:19]
	s_and_saveexec_b64 s[2:3], s[4:5]
	s_cbranch_execnz .LBB59_352
.LBB59_335:
	s_or_b64 exec, exec, s[2:3]
	s_and_b64 s[4:5], s[10:11], s[18:19]
	s_and_saveexec_b64 s[2:3], s[4:5]
	s_cbranch_execnz .LBB59_356
.LBB59_336:
	s_or_b64 exec, exec, s[2:3]
	s_and_b64 s[4:5], s[12:13], s[18:19]
	s_and_saveexec_b64 s[2:3], s[4:5]
	s_cbranch_execnz .LBB59_360
.LBB59_337:
	s_or_b64 exec, exec, s[2:3]
	s_and_b64 s[4:5], s[14:15], s[18:19]
	s_and_saveexec_b64 s[2:3], s[4:5]
	s_cbranch_execnz .LBB59_364
.LBB59_338:
	s_or_b64 exec, exec, s[2:3]
	s_and_b64 s[2:3], s[16:17], s[18:19]
	s_and_saveexec_b64 s[4:5], s[2:3]
	s_cbranch_execnz .LBB59_368
.LBB59_339:
	s_endpgm
.LBB59_340:
	s_and_b64 vcc, exec, s[0:1]
	s_cbranch_vccnz .LBB59_342
; %bb.341:
	v_lshl_add_u64 v[40:41], v[64:65], 2, v[38:39]
	global_load_dword v40, v[40:41], off
	s_waitcnt vmcnt(0)
	v_mul_f32_e32 v40, s33, v40
	s_branch .LBB59_343
.LBB59_342:
	v_mov_b32_e32 v40, 0
.LBB59_343:
	v_pk_add_f32 v[32:33], v[32:33], v[4:5]
	s_nop 0
	v_min3_f32 v41, v32, v33, v91
	v_pk_add_f32 v[32:33], v[34:35], v[6:7]
	s_nop 0
	v_min_f32_e32 v32, v32, v33
	v_min3_f32 v34, v40, v32, v41
	v_lshl_add_u64 v[32:33], v[64:65], 2, v[36:37]
	global_store_dword v[32:33], v34, off
	s_or_b64 exec, exec, s[2:3]
	s_and_b64 s[4:5], s[4:5], s[18:19]
	s_and_saveexec_b64 s[2:3], s[4:5]
	s_cbranch_execz .LBB59_333
.LBB59_344:
	s_and_b64 vcc, exec, s[0:1]
	s_cbranch_vccnz .LBB59_346
; %bb.345:
	v_lshl_add_u64 v[32:33], v[66:67], 2, v[38:39]
	global_load_dword v32, v[32:33], off
	s_waitcnt vmcnt(0)
	v_mul_f32_e32 v32, s33, v32
	s_branch .LBB59_347
.LBB59_346:
	v_mov_b32_e32 v32, 0
.LBB59_347:
	v_pk_add_f32 v[28:29], v[28:29], v[4:5]
	s_nop 0
	v_min3_f32 v33, v28, v29, v90
	v_pk_add_f32 v[28:29], v[30:31], v[6:7]
	s_nop 0
	v_min_f32_e32 v28, v28, v29
	v_min3_f32 v30, v32, v28, v33
	v_lshl_add_u64 v[28:29], v[66:67], 2, v[36:37]
	global_store_dword v[28:29], v30, off
	s_or_b64 exec, exec, s[2:3]
	s_and_b64 s[4:5], s[6:7], s[18:19]
	s_and_saveexec_b64 s[2:3], s[4:5]
	s_cbranch_execz .LBB59_334
.LBB59_348:
	s_and_b64 vcc, exec, s[0:1]
	s_cbranch_vccnz .LBB59_350
; %bb.349:
	v_lshl_add_u64 v[28:29], v[68:69], 2, v[38:39]
	global_load_dword v28, v[28:29], off
	s_waitcnt vmcnt(0)
	v_mul_f32_e32 v28, s33, v28
	s_branch .LBB59_351
.LBB59_350:
	v_mov_b32_e32 v28, 0
.LBB59_351:
	v_pk_add_f32 v[24:25], v[24:25], v[4:5]
	s_nop 0
	v_min3_f32 v29, v24, v25, v89
	v_pk_add_f32 v[24:25], v[26:27], v[6:7]
	s_nop 0
	v_min_f32_e32 v24, v24, v25
	v_min3_f32 v26, v28, v24, v29
	v_lshl_add_u64 v[24:25], v[68:69], 2, v[36:37]
	global_store_dword v[24:25], v26, off
	s_or_b64 exec, exec, s[2:3]
	s_and_b64 s[4:5], s[8:9], s[18:19]
	s_and_saveexec_b64 s[2:3], s[4:5]
	s_cbranch_execz .LBB59_335
.LBB59_352:
	s_and_b64 vcc, exec, s[0:1]
	s_cbranch_vccnz .LBB59_354
; %bb.353:
	v_lshl_add_u64 v[24:25], v[70:71], 2, v[38:39]
	global_load_dword v24, v[24:25], off
	s_waitcnt vmcnt(0)
	v_mul_f32_e32 v24, s33, v24
	s_branch .LBB59_355
.LBB59_354:
	v_mov_b32_e32 v24, 0
.LBB59_355:
	v_pk_add_f32 v[20:21], v[20:21], v[4:5]
	s_nop 0
	v_min3_f32 v25, v20, v21, v87
	v_pk_add_f32 v[20:21], v[22:23], v[6:7]
	s_nop 0
	v_min_f32_e32 v20, v20, v21
	v_min3_f32 v22, v24, v20, v25
	v_lshl_add_u64 v[20:21], v[70:71], 2, v[36:37]
	global_store_dword v[20:21], v22, off
	s_or_b64 exec, exec, s[2:3]
	s_and_b64 s[4:5], s[10:11], s[18:19]
	s_and_saveexec_b64 s[2:3], s[4:5]
	s_cbranch_execz .LBB59_336
.LBB59_356:
	s_and_b64 vcc, exec, s[0:1]
	s_cbranch_vccnz .LBB59_358
; %bb.357:
	v_lshl_add_u64 v[20:21], v[72:73], 2, v[38:39]
	global_load_dword v20, v[20:21], off
	s_waitcnt vmcnt(0)
	v_mul_f32_e32 v20, s33, v20
	s_branch .LBB59_359
.LBB59_358:
	v_mov_b32_e32 v20, 0
.LBB59_359:
	v_pk_add_f32 v[16:17], v[16:17], v[4:5]
	s_nop 0
	v_min3_f32 v21, v16, v17, v86
	v_pk_add_f32 v[16:17], v[18:19], v[6:7]
	s_nop 0
	v_min_f32_e32 v16, v16, v17
	v_min3_f32 v18, v20, v16, v21
	v_lshl_add_u64 v[16:17], v[72:73], 2, v[36:37]
	global_store_dword v[16:17], v18, off
	s_or_b64 exec, exec, s[2:3]
	s_and_b64 s[4:5], s[12:13], s[18:19]
	s_and_saveexec_b64 s[2:3], s[4:5]
	s_cbranch_execz .LBB59_337
.LBB59_360:
	s_and_b64 vcc, exec, s[0:1]
	s_cbranch_vccnz .LBB59_362
; %bb.361:
	v_lshl_add_u64 v[16:17], v[74:75], 2, v[38:39]
	global_load_dword v16, v[16:17], off
	s_waitcnt vmcnt(0)
	v_mul_f32_e32 v16, s33, v16
	s_branch .LBB59_363
.LBB59_362:
	v_mov_b32_e32 v16, 0
.LBB59_363:
	v_pk_add_f32 v[12:13], v[12:13], v[4:5]
	s_nop 0
	v_min3_f32 v17, v12, v13, v85
	v_pk_add_f32 v[12:13], v[14:15], v[6:7]
	s_nop 0
	v_min_f32_e32 v12, v12, v13
	v_min3_f32 v14, v16, v12, v17
	v_lshl_add_u64 v[12:13], v[74:75], 2, v[36:37]
	global_store_dword v[12:13], v14, off
	s_or_b64 exec, exec, s[2:3]
	s_and_b64 s[4:5], s[14:15], s[18:19]
	s_and_saveexec_b64 s[2:3], s[4:5]
	s_cbranch_execz .LBB59_338
.LBB59_364:
	s_and_b64 vcc, exec, s[0:1]
	s_cbranch_vccnz .LBB59_366
; %bb.365:
	v_lshl_add_u64 v[12:13], v[76:77], 2, v[38:39]
	global_load_dword v12, v[12:13], off
	s_waitcnt vmcnt(0)
	v_mul_f32_e32 v12, s33, v12
	s_branch .LBB59_367
.LBB59_366:
	v_mov_b32_e32 v12, 0
.LBB59_367:
	v_pk_add_f32 v[8:9], v[8:9], v[4:5]
	s_nop 0
	v_min3_f32 v13, v8, v9, v84
	v_pk_add_f32 v[8:9], v[10:11], v[6:7]
	s_nop 0
	v_min_f32_e32 v8, v8, v9
	v_min3_f32 v10, v12, v8, v13
	v_lshl_add_u64 v[8:9], v[76:77], 2, v[36:37]
	global_store_dword v[8:9], v10, off
	s_or_b64 exec, exec, s[2:3]
	s_and_b64 s[2:3], s[16:17], s[18:19]
	s_and_saveexec_b64 s[4:5], s[2:3]
	s_cbranch_execz .LBB59_339
.LBB59_368:
	s_and_b64 vcc, exec, s[0:1]
	s_cbranch_vccnz .LBB59_370
; %bb.369:
	v_lshl_add_u64 v[8:9], v[78:79], 2, v[38:39]
	global_load_dword v8, v[8:9], off
	s_waitcnt vmcnt(0)
	v_mul_f32_e32 v8, s33, v8
	s_branch .LBB59_371
.LBB59_370:
	v_mov_b32_e32 v8, 0
.LBB59_371:
	v_pk_add_f32 v[0:1], v[0:1], v[4:5]
	s_nop 0
	v_min3_f32 v4, v0, v1, v88
	v_pk_add_f32 v[0:1], v[2:3], v[6:7]
	s_nop 0
	v_min_f32_e32 v0, v0, v1
	v_min3_f32 v2, v8, v0, v4
	v_lshl_add_u64 v[0:1], v[78:79], 2, v[36:37]
	global_store_dword v[0:1], v2, off
	s_endpgm
	.section	.rodata,"a",@progbits
	.p2align	6, 0x0
	.amdhsa_kernel _ZN12_GLOBAL__N_120geam_min_plus_kernelIf15HIP_vector_typeIfLj2EEfLi32ELi8ELi256ELi64ELi4ELi64ELi4ELi4ELi64ELc78ELc78ELb0ELb1ELb1EfKffEEviiiT16_PT17_ilS6_ilS4_S6_ilPT18_ili26rocblas_geam_ex_operation_
		.amdhsa_group_segment_fixed_size 10240
		.amdhsa_private_segment_fixed_size 0
		.amdhsa_kernarg_size 128
		.amdhsa_user_sgpr_count 2
		.amdhsa_user_sgpr_dispatch_ptr 0
		.amdhsa_user_sgpr_queue_ptr 0
		.amdhsa_user_sgpr_kernarg_segment_ptr 1
		.amdhsa_user_sgpr_dispatch_id 0
		.amdhsa_user_sgpr_kernarg_preload_length 0
		.amdhsa_user_sgpr_kernarg_preload_offset 0
		.amdhsa_user_sgpr_private_segment_size 0
		.amdhsa_uses_dynamic_stack 0
		.amdhsa_enable_private_segment 0
		.amdhsa_system_sgpr_workgroup_id_x 1
		.amdhsa_system_sgpr_workgroup_id_y 0
		.amdhsa_system_sgpr_workgroup_id_z 1
		.amdhsa_system_sgpr_workgroup_info 0
		.amdhsa_system_vgpr_workitem_id 1
		.amdhsa_next_free_vgpr 157
		.amdhsa_next_free_sgpr 42
		.amdhsa_accum_offset 160
		.amdhsa_reserve_vcc 1
		.amdhsa_float_round_mode_32 0
		.amdhsa_float_round_mode_16_64 0
		.amdhsa_float_denorm_mode_32 3
		.amdhsa_float_denorm_mode_16_64 3
		.amdhsa_dx10_clamp 1
		.amdhsa_ieee_mode 1
		.amdhsa_fp16_overflow 0
		.amdhsa_tg_split 0
		.amdhsa_exception_fp_ieee_invalid_op 0
		.amdhsa_exception_fp_denorm_src 0
		.amdhsa_exception_fp_ieee_div_zero 0
		.amdhsa_exception_fp_ieee_overflow 0
		.amdhsa_exception_fp_ieee_underflow 0
		.amdhsa_exception_fp_ieee_inexact 0
		.amdhsa_exception_int_div_zero 0
	.end_amdhsa_kernel
	.section	.text._ZN12_GLOBAL__N_120geam_min_plus_kernelIf15HIP_vector_typeIfLj2EEfLi32ELi8ELi256ELi64ELi4ELi64ELi4ELi4ELi64ELc78ELc78ELb0ELb1ELb1EfKffEEviiiT16_PT17_ilS6_ilS4_S6_ilPT18_ili26rocblas_geam_ex_operation_,"axG",@progbits,_ZN12_GLOBAL__N_120geam_min_plus_kernelIf15HIP_vector_typeIfLj2EEfLi32ELi8ELi256ELi64ELi4ELi64ELi4ELi4ELi64ELc78ELc78ELb0ELb1ELb1EfKffEEviiiT16_PT17_ilS6_ilS4_S6_ilPT18_ili26rocblas_geam_ex_operation_,comdat
.Lfunc_end59:
	.size	_ZN12_GLOBAL__N_120geam_min_plus_kernelIf15HIP_vector_typeIfLj2EEfLi32ELi8ELi256ELi64ELi4ELi64ELi4ELi4ELi64ELc78ELc78ELb0ELb1ELb1EfKffEEviiiT16_PT17_ilS6_ilS4_S6_ilPT18_ili26rocblas_geam_ex_operation_, .Lfunc_end59-_ZN12_GLOBAL__N_120geam_min_plus_kernelIf15HIP_vector_typeIfLj2EEfLi32ELi8ELi256ELi64ELi4ELi64ELi4ELi4ELi64ELc78ELc78ELb0ELb1ELb1EfKffEEviiiT16_PT17_ilS6_ilS4_S6_ilPT18_ili26rocblas_geam_ex_operation_
                                        ; -- End function
	.set _ZN12_GLOBAL__N_120geam_min_plus_kernelIf15HIP_vector_typeIfLj2EEfLi32ELi8ELi256ELi64ELi4ELi64ELi4ELi4ELi64ELc78ELc78ELb0ELb1ELb1EfKffEEviiiT16_PT17_ilS6_ilS4_S6_ilPT18_ili26rocblas_geam_ex_operation_.num_vgpr, 157
	.set _ZN12_GLOBAL__N_120geam_min_plus_kernelIf15HIP_vector_typeIfLj2EEfLi32ELi8ELi256ELi64ELi4ELi64ELi4ELi4ELi64ELc78ELc78ELb0ELb1ELb1EfKffEEviiiT16_PT17_ilS6_ilS4_S6_ilPT18_ili26rocblas_geam_ex_operation_.num_agpr, 0
	.set _ZN12_GLOBAL__N_120geam_min_plus_kernelIf15HIP_vector_typeIfLj2EEfLi32ELi8ELi256ELi64ELi4ELi64ELi4ELi4ELi64ELc78ELc78ELb0ELb1ELb1EfKffEEviiiT16_PT17_ilS6_ilS4_S6_ilPT18_ili26rocblas_geam_ex_operation_.numbered_sgpr, 42
	.set _ZN12_GLOBAL__N_120geam_min_plus_kernelIf15HIP_vector_typeIfLj2EEfLi32ELi8ELi256ELi64ELi4ELi64ELi4ELi4ELi64ELc78ELc78ELb0ELb1ELb1EfKffEEviiiT16_PT17_ilS6_ilS4_S6_ilPT18_ili26rocblas_geam_ex_operation_.num_named_barrier, 0
	.set _ZN12_GLOBAL__N_120geam_min_plus_kernelIf15HIP_vector_typeIfLj2EEfLi32ELi8ELi256ELi64ELi4ELi64ELi4ELi4ELi64ELc78ELc78ELb0ELb1ELb1EfKffEEviiiT16_PT17_ilS6_ilS4_S6_ilPT18_ili26rocblas_geam_ex_operation_.private_seg_size, 0
	.set _ZN12_GLOBAL__N_120geam_min_plus_kernelIf15HIP_vector_typeIfLj2EEfLi32ELi8ELi256ELi64ELi4ELi64ELi4ELi4ELi64ELc78ELc78ELb0ELb1ELb1EfKffEEviiiT16_PT17_ilS6_ilS4_S6_ilPT18_ili26rocblas_geam_ex_operation_.uses_vcc, 1
	.set _ZN12_GLOBAL__N_120geam_min_plus_kernelIf15HIP_vector_typeIfLj2EEfLi32ELi8ELi256ELi64ELi4ELi64ELi4ELi4ELi64ELc78ELc78ELb0ELb1ELb1EfKffEEviiiT16_PT17_ilS6_ilS4_S6_ilPT18_ili26rocblas_geam_ex_operation_.uses_flat_scratch, 0
	.set _ZN12_GLOBAL__N_120geam_min_plus_kernelIf15HIP_vector_typeIfLj2EEfLi32ELi8ELi256ELi64ELi4ELi64ELi4ELi4ELi64ELc78ELc78ELb0ELb1ELb1EfKffEEviiiT16_PT17_ilS6_ilS4_S6_ilPT18_ili26rocblas_geam_ex_operation_.has_dyn_sized_stack, 0
	.set _ZN12_GLOBAL__N_120geam_min_plus_kernelIf15HIP_vector_typeIfLj2EEfLi32ELi8ELi256ELi64ELi4ELi64ELi4ELi4ELi64ELc78ELc78ELb0ELb1ELb1EfKffEEviiiT16_PT17_ilS6_ilS4_S6_ilPT18_ili26rocblas_geam_ex_operation_.has_recursion, 0
	.set _ZN12_GLOBAL__N_120geam_min_plus_kernelIf15HIP_vector_typeIfLj2EEfLi32ELi8ELi256ELi64ELi4ELi64ELi4ELi4ELi64ELc78ELc78ELb0ELb1ELb1EfKffEEviiiT16_PT17_ilS6_ilS4_S6_ilPT18_ili26rocblas_geam_ex_operation_.has_indirect_call, 0
	.section	.AMDGPU.csdata,"",@progbits
; Kernel info:
; codeLenInByte = 18608
; TotalNumSgprs: 48
; NumVgprs: 157
; NumAgprs: 0
; TotalNumVgprs: 157
; ScratchSize: 0
; MemoryBound: 0
; FloatMode: 240
; IeeeMode: 1
; LDSByteSize: 10240 bytes/workgroup (compile time only)
; SGPRBlocks: 5
; VGPRBlocks: 19
; NumSGPRsForWavesPerEU: 48
; NumVGPRsForWavesPerEU: 157
; AccumOffset: 160
; Occupancy: 3
; WaveLimiterHint : 0
; COMPUTE_PGM_RSRC2:SCRATCH_EN: 0
; COMPUTE_PGM_RSRC2:USER_SGPR: 2
; COMPUTE_PGM_RSRC2:TRAP_HANDLER: 0
; COMPUTE_PGM_RSRC2:TGID_X_EN: 1
; COMPUTE_PGM_RSRC2:TGID_Y_EN: 0
; COMPUTE_PGM_RSRC2:TGID_Z_EN: 1
; COMPUTE_PGM_RSRC2:TIDIG_COMP_CNT: 1
; COMPUTE_PGM_RSRC3_GFX90A:ACCUM_OFFSET: 39
; COMPUTE_PGM_RSRC3_GFX90A:TG_SPLIT: 0
	.section	.text._ZN12_GLOBAL__N_120geam_min_plus_kernelIf15HIP_vector_typeIfLj2EEfLi32ELi8ELi128ELi128ELi4ELi4ELi64ELi4ELi64ELc84ELc78ELb0ELb0ELb1EPKfS3_fEEviiiT16_PT17_ilS7_ilS5_S7_ilPT18_ili26rocblas_geam_ex_operation_,"axG",@progbits,_ZN12_GLOBAL__N_120geam_min_plus_kernelIf15HIP_vector_typeIfLj2EEfLi32ELi8ELi128ELi128ELi4ELi4ELi64ELi4ELi64ELc84ELc78ELb0ELb0ELb1EPKfS3_fEEviiiT16_PT17_ilS7_ilS5_S7_ilPT18_ili26rocblas_geam_ex_operation_,comdat
	.globl	_ZN12_GLOBAL__N_120geam_min_plus_kernelIf15HIP_vector_typeIfLj2EEfLi32ELi8ELi128ELi128ELi4ELi4ELi64ELi4ELi64ELc84ELc78ELb0ELb0ELb1EPKfS3_fEEviiiT16_PT17_ilS7_ilS5_S7_ilPT18_ili26rocblas_geam_ex_operation_ ; -- Begin function _ZN12_GLOBAL__N_120geam_min_plus_kernelIf15HIP_vector_typeIfLj2EEfLi32ELi8ELi128ELi128ELi4ELi4ELi64ELi4ELi64ELc84ELc78ELb0ELb0ELb1EPKfS3_fEEviiiT16_PT17_ilS7_ilS5_S7_ilPT18_ili26rocblas_geam_ex_operation_
	.p2align	8
	.type	_ZN12_GLOBAL__N_120geam_min_plus_kernelIf15HIP_vector_typeIfLj2EEfLi32ELi8ELi128ELi128ELi4ELi4ELi64ELi4ELi64ELc84ELc78ELb0ELb0ELb1EPKfS3_fEEviiiT16_PT17_ilS7_ilS5_S7_ilPT18_ili26rocblas_geam_ex_operation_,@function
_ZN12_GLOBAL__N_120geam_min_plus_kernelIf15HIP_vector_typeIfLj2EEfLi32ELi8ELi128ELi128ELi4ELi4ELi64ELi4ELi64ELc84ELc78ELb0ELb0ELb1EPKfS3_fEEviiiT16_PT17_ilS7_ilS5_S7_ilPT18_ili26rocblas_geam_ex_operation_: ; @_ZN12_GLOBAL__N_120geam_min_plus_kernelIf15HIP_vector_typeIfLj2EEfLi32ELi8ELi128ELi128ELi4ELi4ELi64ELi4ELi64ELc84ELc78ELb0ELb0ELb1EPKfS3_fEEviiiT16_PT17_ilS7_ilS5_S7_ilPT18_ili26rocblas_geam_ex_operation_
; %bb.0:
	s_load_dwordx4 s[4:7], s[0:1], 0x10
	s_load_dwordx4 s[8:11], s[0:1], 0x28
	;; [unrolled: 1-line block ×3, first 2 shown]
	s_mov_b32 s16, s3
	s_mov_b32 s17, 0
	s_lshl_b64 s[18:19], s[16:17], 2
	s_waitcnt lgkmcnt(0)
	s_add_u32 s4, s4, s18
	s_addc_u32 s5, s5, s19
	s_load_dword s26, s[4:5], 0x0
	s_load_dwordx2 s[22:23], s[0:1], 0x50
	s_add_u32 s14, s14, s18
	s_addc_u32 s15, s15, s19
	s_mov_b64 s[18:19], 0
	s_waitcnt lgkmcnt(0)
	v_cmp_eq_f32_e64 s[4:5], s26, 0
	s_and_b64 s[4:5], exec, s[4:5]
	v_cmp_neq_f32_e64 s[24:25], s26, 0
	s_mov_b64 s[20:21], 0
	s_mov_b64 vcc, s[4:5]
	s_cbranch_vccnz .LBB60_2
; %bb.1:
	s_mul_i32 s3, s9, s16
	s_mul_hi_u32 s9, s8, s16
	s_add_i32 s9, s9, s3
	s_mul_i32 s8, s8, s16
	s_lshl_b64 s[8:9], s[8:9], 2
	s_add_u32 s20, s6, s8
	s_addc_u32 s21, s7, s9
.LBB60_2:
	s_load_dword s17, s[14:15], 0x0
	v_cndmask_b32_e64 v1, 0, 1, s[24:25]
	v_cmp_ne_u32_e64 s[6:7], 1, v1
	s_andn2_b64 vcc, exec, s[24:25]
	s_cbranch_vccnz .LBB60_4
; %bb.3:
	s_mul_i32 s3, s13, s16
	s_mul_hi_u32 s8, s12, s16
	s_add_i32 s9, s8, s3
	s_mul_i32 s8, s12, s16
	s_lshl_b64 s[8:9], s[8:9], 2
	s_add_u32 s18, s10, s8
	s_addc_u32 s19, s11, s9
.LBB60_4:
	s_load_dwordx4 s[12:15], s[0:1], 0x60
	s_waitcnt lgkmcnt(0)
	v_cmp_eq_f32_e64 s[8:9], s17, 0
	s_and_b64 s[8:9], exec, s[8:9]
	s_mov_b64 vcc, s[8:9]
	s_cbranch_vccnz .LBB60_6
; %bb.5:
	s_mul_i32 s3, s13, s16
	s_mul_hi_u32 s10, s12, s16
	s_add_i32 s11, s10, s3
	s_mul_i32 s10, s12, s16
	s_lshl_b64 s[10:11], s[10:11], 2
	s_add_u32 s10, s22, s10
	s_addc_u32 s11, s23, s11
	s_branch .LBB60_7
.LBB60_6:
	s_mov_b64 s[10:11], 0
.LBB60_7:
	s_load_dword s3, s[0:1], 0x0
	s_load_dword s23, s[0:1], 0x20
	v_and_b32_e32 v95, 0x3ff, v0
	v_bfe_u32 v96, v0, 10, 10
	v_and_b32_e32 v106, 3, v0
	s_waitcnt lgkmcnt(0)
	s_add_i32 s3, s3, -1
	s_ashr_i32 s12, s3, 31
	s_lshr_b32 s12, s12, 25
	s_add_i32 s3, s3, s12
	s_ashr_i32 s3, s3, 7
	s_add_i32 s12, s3, 1
	v_cvt_f32_u32_e32 v1, s12
	s_not_b32 s3, s3
	v_lshl_add_u32 v0, v96, 5, v95
	v_mov_b32_e32 v13, 0
	v_rcp_iflag_f32_e32 v1, v1
	v_lshlrev_b32_e32 v12, 2, v106
	v_lshrrev_b32_e32 v15, 2, v0
	v_lshl_add_u64 v[2:3], s[20:21], 0, v[12:13]
	v_mul_f32_e32 v1, 0x4f7ffffe, v1
	v_cvt_u32_f32_e32 v1, v1
	s_nop 0
	v_readfirstlane_b32 s13, v1
	s_mul_i32 s3, s3, s13
	s_mul_hi_u32 s3, s13, s3
	s_add_i32 s13, s13, s3
	s_mul_hi_u32 s3, s2, s13
	s_mul_i32 s13, s3, s12
	s_sub_i32 s13, s2, s13
	s_add_i32 s22, s3, 1
	s_sub_i32 s24, s13, s12
	s_cmp_ge_u32 s13, s12
	s_cselect_b32 s3, s22, s3
	s_cselect_b32 s13, s24, s13
	s_add_i32 s22, s3, 1
	s_cmp_ge_u32 s13, s12
	s_cselect_b32 s3, s22, s3
	s_mul_i32 s12, s3, s12
	s_sub_i32 s2, s2, s12
	s_lshl_b32 s12, s2, 7
	s_and_b64 vcc, exec, s[6:7]
	v_add_u32_e32 v16, s12, v15
	s_cbranch_vccnz .LBB60_9
; %bb.8:
	v_mad_i64_i32 v[0:1], s[24:25], v16, s23, 0
	v_lshl_add_u64 v[0:1], v[0:1], 2, v[2:3]
	global_load_dword v0, v[0:1], off
	s_waitcnt vmcnt(0)
	v_mul_f32_e32 v13, s26, v0
.LBB60_9:
	s_load_dword s24, s[0:1], 0x38
	s_lshl_b32 s13, s3, 7
	s_mov_b64 vcc, s[4:5]
	s_cbranch_vccz .LBB60_11
; %bb.10:
	v_mov_b32_e32 v1, 0
	v_mov_b32_e32 v0, v13
	s_mov_b64 s[2:3], 0
	s_branch .LBB60_12
.LBB60_11:
	s_mov_b64 s[2:3], -1
                                        ; implicit-def: $vgpr0_vgpr1
.LBB60_12:
	v_add_u32_e32 v18, s13, v15
	v_mov_b32_e32 v14, 0
	s_andn2_b64 vcc, exec, s[2:3]
	v_add_u32_e32 v19, 64, v16
	v_add_u32_e32 v17, 64, v18
	v_mov_b32_e32 v4, 0
	v_mov_b32_e32 v5, 0
	s_cbranch_vccnz .LBB60_14
; %bb.13:
	v_mad_i64_i32 v[0:1], s[2:3], v19, s23, 0
	v_lshl_add_u64 v[0:1], v[0:1], 2, v[2:3]
	global_load_dword v1, v[0:1], off
	v_mov_b32_e32 v0, v13
	v_mov_b32_e32 v13, 0
	v_lshl_add_u64 v[4:5], s[18:19], 0, v[12:13]
	s_waitcnt lgkmcnt(0)
	v_mad_i64_i32 v[6:7], s[2:3], v18, s24, 0
	v_lshl_add_u64 v[6:7], v[6:7], 2, v[4:5]
	v_mad_i64_i32 v[8:9], s[2:3], v17, s24, 0
	v_lshl_add_u64 v[4:5], v[8:9], 2, v[4:5]
	global_load_dword v8, v[6:7], off
	global_load_dword v9, v[4:5], off
	s_waitcnt vmcnt(2)
	v_mul_f32_e32 v1, s26, v1
	s_waitcnt vmcnt(1)
	v_mul_f32_e32 v5, s26, v8
	;; [unrolled: 2-line block ×3, first 2 shown]
.LBB60_14:
	s_and_b64 vcc, exec, s[6:7]
	s_cbranch_vccnz .LBB60_16
; %bb.15:
	v_mad_i64_i32 v[6:7], s[2:3], v16, s23, 0
	v_lshl_add_u64 v[6:7], v[6:7], 2, v[2:3]
	global_load_dword v6, v[6:7], off offset:16
	s_waitcnt vmcnt(0)
	v_mul_f32_e32 v14, s26, v6
.LBB60_16:
	v_mov_b32_e32 v20, 0
	s_mov_b64 vcc, s[4:5]
	s_cbranch_vccz .LBB60_18
; %bb.17:
	v_mov_b32_e32 v13, 0
	v_mov_b32_e32 v21, 0
	s_cbranch_execz .LBB60_19
	s_branch .LBB60_20
.LBB60_18:
                                        ; implicit-def: $vgpr13
	v_mov_b32_e32 v21, 0
.LBB60_19:
	v_mad_i64_i32 v[6:7], s[2:3], v19, s23, 0
	v_lshl_add_u64 v[2:3], v[6:7], 2, v[2:3]
	v_mov_b32_e32 v13, 0
	global_load_dword v10, v[2:3], off offset:16
	v_lshl_add_u64 v[2:3], s[18:19], 0, v[12:13]
	s_waitcnt lgkmcnt(0)
	v_mad_i64_i32 v[6:7], s[2:3], v18, s24, 0
	v_lshl_add_u64 v[6:7], v[6:7], 2, v[2:3]
	v_mad_i64_i32 v[8:9], s[2:3], v17, s24, 0
	v_lshl_add_u64 v[2:3], v[8:9], 2, v[2:3]
	global_load_dword v8, v[6:7], off offset:16
	global_load_dword v9, v[2:3], off offset:16
	s_waitcnt vmcnt(2)
	v_mul_f32_e32 v13, s26, v10
	s_waitcnt vmcnt(1)
	v_mul_f32_e32 v21, s26, v8
	;; [unrolled: 2-line block ×3, first 2 shown]
.LBB60_20:
	v_lshlrev_b32_e32 v2, 4, v15
	v_lshl_or_b32 v107, v106, 2, v2
	ds_write2st64_b32 v107, v0, v1 offset1:4
	v_mov_b32_e32 v0, 0x1000
	v_add_u32_e32 v108, 0x1000, v107
	v_lshlrev_b32_e32 v109, 4, v95
	v_lshl_add_u32 v110, v96, 4, v0
	v_mov_b32_e32 v105, 0x7f7fffff
	s_mov_b32 s22, 0
	s_mov_b64 s[2:3], -1
	v_mov_b32_e32 v104, 0x7f7fffff
	v_mov_b32_e32 v103, 0x7f7fffff
	;; [unrolled: 1-line block ×63, first 2 shown]
	ds_write2st64_b32 v107, v5, v4 offset0:16 offset1:20
	s_waitcnt lgkmcnt(0)
	s_barrier
.LBB60_21:                              ; =>This Inner Loop Header: Depth=1
	v_cndmask_b32_e64 v0, 0, 1, s[2:3]
	s_lshl_b32 s2, s22, 2
	v_cmp_ne_u32_e32 vcc, 1, v0
	v_add_u32_e32 v0, s2, v109
	ds_read2st64_b64 v[4:7], v0 offset1:1
	ds_read2st64_b64 v[0:3], v0 offset0:2 offset1:3
	v_add_u32_e32 v8, s2, v110
	ds_read2_b64 v[22:25], v8 offset1:16
	ds_read2_b64 v[26:29], v8 offset0:32 offset1:48
	ds_read2_b64 v[30:33], v8 offset0:64 offset1:80
	;; [unrolled: 1-line block ×7, first 2 shown]
	s_mov_b64 s[2:3], 0
	s_waitcnt lgkmcnt(7)
	v_pk_add_f32 v[38:39], v[4:5], v[22:23]
	s_and_b64 vcc, exec, vcc
	v_min3_f32 v105, v38, v39, v105
	v_pk_add_f32 v[38:39], v[6:7], v[22:23]
	s_mov_b32 s22, 2
	v_min3_f32 v104, v38, v39, v104
	v_pk_add_f32 v[38:39], v[0:1], v[22:23]
	v_pk_add_f32 v[22:23], v[2:3], v[22:23]
	v_min3_f32 v103, v38, v39, v103
	v_min3_f32 v102, v22, v23, v102
	v_pk_add_f32 v[22:23], v[4:5], v[24:25]
	s_nop 0
	v_min3_f32 v101, v22, v23, v101
	v_pk_add_f32 v[22:23], v[6:7], v[24:25]
	s_nop 0
	v_min3_f32 v100, v22, v23, v100
	v_pk_add_f32 v[22:23], v[0:1], v[24:25]
	s_nop 0
	v_min3_f32 v99, v22, v23, v99
	v_pk_add_f32 v[22:23], v[2:3], v[24:25]
	s_nop 0
	v_min3_f32 v98, v22, v23, v98
	s_waitcnt lgkmcnt(6)
	v_pk_add_f32 v[22:23], v[4:5], v[26:27]
	s_nop 0
	v_min3_f32 v97, v22, v23, v97
	v_pk_add_f32 v[22:23], v[6:7], v[26:27]
	s_nop 0
	v_min3_f32 v94, v22, v23, v94
	v_pk_add_f32 v[22:23], v[0:1], v[26:27]
	s_nop 0
	v_min3_f32 v93, v22, v23, v93
	v_pk_add_f32 v[22:23], v[2:3], v[26:27]
	s_nop 0
	v_min3_f32 v92, v22, v23, v92
	v_pk_add_f32 v[22:23], v[4:5], v[28:29]
	s_nop 0
	v_min3_f32 v91, v22, v23, v91
	v_pk_add_f32 v[22:23], v[6:7], v[28:29]
	s_nop 0
	v_min3_f32 v90, v22, v23, v90
	v_pk_add_f32 v[22:23], v[0:1], v[28:29]
	s_nop 0
	v_min3_f32 v89, v22, v23, v89
	v_pk_add_f32 v[22:23], v[2:3], v[28:29]
	s_nop 0
	v_min3_f32 v88, v22, v23, v88
	s_waitcnt lgkmcnt(5)
	v_pk_add_f32 v[22:23], v[4:5], v[30:31]
	s_nop 0
	v_min3_f32 v87, v22, v23, v87
	v_pk_add_f32 v[22:23], v[6:7], v[30:31]
	s_nop 0
	v_min3_f32 v86, v22, v23, v86
	v_pk_add_f32 v[22:23], v[0:1], v[30:31]
	s_nop 0
	v_min3_f32 v85, v22, v23, v85
	v_pk_add_f32 v[22:23], v[2:3], v[30:31]
	s_nop 0
	v_min3_f32 v84, v22, v23, v84
	v_pk_add_f32 v[22:23], v[4:5], v[32:33]
	s_nop 0
	v_min3_f32 v83, v22, v23, v83
	v_pk_add_f32 v[22:23], v[6:7], v[32:33]
	s_nop 0
	v_min3_f32 v82, v22, v23, v82
	v_pk_add_f32 v[22:23], v[0:1], v[32:33]
	s_nop 0
	v_min3_f32 v81, v22, v23, v81
	v_pk_add_f32 v[22:23], v[2:3], v[32:33]
	s_nop 0
	v_min3_f32 v80, v22, v23, v80
	s_waitcnt lgkmcnt(4)
	v_pk_add_f32 v[22:23], v[4:5], v[34:35]
	s_nop 0
	v_min3_f32 v79, v22, v23, v79
	v_pk_add_f32 v[22:23], v[6:7], v[34:35]
	s_nop 0
	v_min3_f32 v78, v22, v23, v78
	v_pk_add_f32 v[22:23], v[0:1], v[34:35]
	s_nop 0
	v_min3_f32 v77, v22, v23, v77
	v_pk_add_f32 v[22:23], v[2:3], v[34:35]
	s_nop 0
	v_min3_f32 v76, v22, v23, v76
	v_pk_add_f32 v[22:23], v[4:5], v[36:37]
	s_nop 0
	v_min3_f32 v75, v22, v23, v75
	v_pk_add_f32 v[22:23], v[6:7], v[36:37]
	s_nop 0
	v_min3_f32 v74, v22, v23, v74
	v_pk_add_f32 v[22:23], v[0:1], v[36:37]
	s_nop 0
	v_min3_f32 v73, v22, v23, v73
	v_pk_add_f32 v[22:23], v[2:3], v[36:37]
	s_nop 0
	v_min3_f32 v72, v22, v23, v72
	s_waitcnt lgkmcnt(3)
	v_pk_add_f32 v[22:23], v[4:5], v[112:113]
	s_nop 0
	v_min3_f32 v71, v22, v23, v71
	v_pk_add_f32 v[22:23], v[6:7], v[112:113]
	s_nop 0
	v_min3_f32 v70, v22, v23, v70
	v_pk_add_f32 v[22:23], v[0:1], v[112:113]
	s_nop 0
	v_min3_f32 v69, v22, v23, v69
	v_pk_add_f32 v[22:23], v[2:3], v[112:113]
	s_nop 0
	v_min3_f32 v68, v22, v23, v68
	v_pk_add_f32 v[22:23], v[4:5], v[114:115]
	s_nop 0
	v_min3_f32 v67, v22, v23, v67
	v_pk_add_f32 v[22:23], v[6:7], v[114:115]
	s_nop 0
	v_min3_f32 v66, v22, v23, v66
	v_pk_add_f32 v[22:23], v[0:1], v[114:115]
	s_nop 0
	v_min3_f32 v65, v22, v23, v65
	v_pk_add_f32 v[22:23], v[2:3], v[114:115]
	s_nop 0
	v_min3_f32 v64, v22, v23, v64
	s_waitcnt lgkmcnt(2)
	v_pk_add_f32 v[22:23], v[4:5], v[116:117]
	s_nop 0
	v_min3_f32 v63, v22, v23, v63
	v_pk_add_f32 v[22:23], v[6:7], v[116:117]
	s_nop 0
	v_min3_f32 v62, v22, v23, v62
	v_pk_add_f32 v[22:23], v[0:1], v[116:117]
	s_nop 0
	v_min3_f32 v61, v22, v23, v61
	v_pk_add_f32 v[22:23], v[2:3], v[116:117]
	s_nop 0
	v_min3_f32 v60, v22, v23, v60
	v_pk_add_f32 v[22:23], v[4:5], v[118:119]
	s_nop 0
	v_min3_f32 v59, v22, v23, v59
	v_pk_add_f32 v[22:23], v[6:7], v[118:119]
	s_nop 0
	v_min3_f32 v58, v22, v23, v58
	v_pk_add_f32 v[22:23], v[0:1], v[118:119]
	s_nop 0
	v_min3_f32 v57, v22, v23, v57
	v_pk_add_f32 v[22:23], v[2:3], v[118:119]
	s_nop 0
	v_min3_f32 v56, v22, v23, v56
	s_waitcnt lgkmcnt(1)
	v_pk_add_f32 v[22:23], v[4:5], v[120:121]
	s_nop 0
	v_min3_f32 v55, v22, v23, v55
	v_pk_add_f32 v[22:23], v[6:7], v[120:121]
	s_nop 0
	v_min3_f32 v54, v22, v23, v54
	v_pk_add_f32 v[22:23], v[0:1], v[120:121]
	s_nop 0
	v_min3_f32 v53, v22, v23, v53
	v_pk_add_f32 v[22:23], v[2:3], v[120:121]
	s_nop 0
	v_min3_f32 v52, v22, v23, v52
	v_pk_add_f32 v[22:23], v[4:5], v[122:123]
	s_nop 0
	v_min3_f32 v51, v22, v23, v51
	v_pk_add_f32 v[22:23], v[6:7], v[122:123]
	s_nop 0
	;; [unrolled: 3-line block ×4, first 2 shown]
	v_min3_f32 v48, v22, v23, v48
	s_waitcnt lgkmcnt(0)
	v_pk_add_f32 v[22:23], v[4:5], v[8:9]
	v_pk_add_f32 v[4:5], v[4:5], v[10:11]
	v_min3_f32 v47, v22, v23, v47
	v_pk_add_f32 v[22:23], v[6:7], v[8:9]
	v_min3_f32 v43, v4, v5, v43
	v_min3_f32 v46, v22, v23, v46
	v_pk_add_f32 v[22:23], v[0:1], v[8:9]
	v_pk_add_f32 v[0:1], v[0:1], v[10:11]
	;; [unrolled: 1-line block ×4, first 2 shown]
	v_min3_f32 v41, v0, v1, v41
	v_pk_add_f32 v[0:1], v[2:3], v[10:11]
	v_min3_f32 v45, v22, v23, v45
	v_min3_f32 v44, v8, v9, v44
	;; [unrolled: 1-line block ×4, first 2 shown]
	s_cbranch_vccz .LBB60_21
; %bb.22:
	s_load_dword s22, s[0:1], 0x8
	v_lshl_or_b32 v0, v15, 4, v12
	ds_write2st64_b32 v0, v14, v13 offset0:8 offset1:12
	ds_write2st64_b32 v0, v21, v20 offset0:24 offset1:28
	s_waitcnt lgkmcnt(0)
	s_barrier
	s_cmp_lt_i32 s22, 9
	s_cbranch_scc1 .LBB60_41
; %bb.23:
	v_add_u32_e32 v111, 0x800, v0
	v_add_u32_e32 v112, 0x1800, v0
	v_mov_b32_e32 v0, 0x800
	v_lshl_add_u32 v113, v95, 4, v0
	v_mov_b32_e32 v0, 0x1800
	s_add_i32 s22, s22, -8
	v_mad_i64_i32 v[20:21], s[2:3], v16, s23, 0
	v_mad_i64_i32 v[22:23], s[2:3], v19, s23, 0
	;; [unrolled: 1-line block ×4, first 2 shown]
	v_lshl_add_u32 v114, v96, 4, v0
	s_mov_b32 s23, 8
	s_mov_b32 s24, 0
	v_mov_b32_e32 v29, 0
.LBB60_24:                              ; =>This Loop Header: Depth=1
                                        ;     Child Loop BB60_31 Depth 2
                                        ;     Child Loop BB60_38 Depth 2
	v_or_b32_e32 v28, s23, v106
	v_lshl_add_u64 v[0:1], v[28:29], 2, s[20:21]
	s_and_b64 vcc, exec, s[6:7]
	v_lshl_add_u64 v[34:35], v[20:21], 2, v[0:1]
	v_mov_b32_e32 v36, v29
	s_cbranch_vccnz .LBB60_26
; %bb.25:                               ;   in Loop: Header=BB60_24 Depth=1
	global_load_dword v2, v[34:35], off
	s_waitcnt vmcnt(0)
	v_mul_f32_e32 v36, s26, v2
.LBB60_26:                              ;   in Loop: Header=BB60_24 Depth=1
	s_mov_b64 s[2:3], -1
	s_mov_b64 vcc, s[4:5]
                                        ; implicit-def: $vgpr38_vgpr39
                                        ; implicit-def: $vgpr37
	s_cbranch_vccz .LBB60_28
; %bb.27:                               ;   in Loop: Header=BB60_24 Depth=1
	v_mov_b32_e32 v37, v29
	v_mov_b32_e32 v38, v29
	s_mov_b64 s[2:3], 0
.LBB60_28:                              ;   in Loop: Header=BB60_24 Depth=1
	v_mov_b32_e32 v39, 0
	s_andn2_b64 vcc, exec, s[2:3]
	v_lshl_add_u64 v[32:33], v[22:23], 2, v[0:1]
	v_lshl_add_u64 v[30:31], v[28:29], 2, s[18:19]
	s_cbranch_vccnz .LBB60_30
; %bb.29:                               ;   in Loop: Header=BB60_24 Depth=1
	v_lshl_add_u64 v[0:1], v[24:25], 2, v[30:31]
	global_load_dword v4, v[32:33], off
	v_lshl_add_u64 v[2:3], v[26:27], 2, v[30:31]
	global_load_dword v5, v[0:1], off
	global_load_dword v6, v[2:3], off
	s_waitcnt vmcnt(2)
	v_mul_f32_e32 v37, s26, v4
	s_waitcnt vmcnt(1)
	v_mul_f32_e32 v38, s26, v5
	;; [unrolled: 2-line block ×3, first 2 shown]
.LBB60_30:                              ;   in Loop: Header=BB60_24 Depth=1
	s_mov_b32 s25, 0
	s_mov_b64 s[2:3], -1
.LBB60_31:                              ;   Parent Loop BB60_24 Depth=1
                                        ; =>  This Inner Loop Header: Depth=2
	v_cndmask_b32_e64 v0, 0, 1, s[2:3]
	s_lshl_b32 s2, s25, 2
	v_cmp_ne_u32_e32 vcc, 1, v0
	v_add_u32_e32 v0, s2, v113
	ds_read2st64_b64 v[4:7], v0 offset1:1
	ds_read2st64_b64 v[0:3], v0 offset0:2 offset1:3
	v_add_u32_e32 v8, s2, v114
	ds_read2_b64 v[116:119], v8 offset1:16
	ds_read2_b64 v[120:123], v8 offset0:32 offset1:48
	ds_read2_b64 v[124:127], v8 offset0:64 offset1:80
	;; [unrolled: 1-line block ×7, first 2 shown]
	s_mov_b64 s[2:3], 0
	s_waitcnt lgkmcnt(7)
	v_pk_add_f32 v[136:137], v[4:5], v[116:117]
	s_and_b64 vcc, exec, vcc
	v_min3_f32 v105, v136, v137, v105
	v_pk_add_f32 v[136:137], v[6:7], v[116:117]
	s_mov_b32 s25, 2
	v_min3_f32 v104, v136, v137, v104
	v_pk_add_f32 v[136:137], v[0:1], v[116:117]
	v_pk_add_f32 v[116:117], v[2:3], v[116:117]
	v_min3_f32 v103, v136, v137, v103
	v_min3_f32 v102, v116, v117, v102
	v_pk_add_f32 v[116:117], v[4:5], v[118:119]
	s_nop 0
	v_min3_f32 v101, v116, v117, v101
	v_pk_add_f32 v[116:117], v[6:7], v[118:119]
	s_nop 0
	v_min3_f32 v100, v116, v117, v100
	v_pk_add_f32 v[116:117], v[0:1], v[118:119]
	s_nop 0
	v_min3_f32 v99, v116, v117, v99
	v_pk_add_f32 v[116:117], v[2:3], v[118:119]
	s_nop 0
	v_min3_f32 v98, v116, v117, v98
	s_waitcnt lgkmcnt(6)
	v_pk_add_f32 v[116:117], v[4:5], v[120:121]
	s_nop 0
	v_min3_f32 v97, v116, v117, v97
	v_pk_add_f32 v[116:117], v[6:7], v[120:121]
	s_nop 0
	v_min3_f32 v94, v116, v117, v94
	v_pk_add_f32 v[116:117], v[0:1], v[120:121]
	s_nop 0
	v_min3_f32 v93, v116, v117, v93
	v_pk_add_f32 v[116:117], v[2:3], v[120:121]
	s_nop 0
	v_min3_f32 v92, v116, v117, v92
	v_pk_add_f32 v[116:117], v[4:5], v[122:123]
	s_nop 0
	v_min3_f32 v91, v116, v117, v91
	v_pk_add_f32 v[116:117], v[6:7], v[122:123]
	s_nop 0
	v_min3_f32 v90, v116, v117, v90
	v_pk_add_f32 v[116:117], v[0:1], v[122:123]
	s_nop 0
	v_min3_f32 v89, v116, v117, v89
	v_pk_add_f32 v[116:117], v[2:3], v[122:123]
	s_nop 0
	v_min3_f32 v88, v116, v117, v88
	s_waitcnt lgkmcnt(5)
	v_pk_add_f32 v[116:117], v[4:5], v[124:125]
	s_nop 0
	v_min3_f32 v87, v116, v117, v87
	v_pk_add_f32 v[116:117], v[6:7], v[124:125]
	s_nop 0
	v_min3_f32 v86, v116, v117, v86
	v_pk_add_f32 v[116:117], v[0:1], v[124:125]
	s_nop 0
	v_min3_f32 v85, v116, v117, v85
	v_pk_add_f32 v[116:117], v[2:3], v[124:125]
	s_nop 0
	;; [unrolled: 25-line block ×4, first 2 shown]
	v_min3_f32 v68, v116, v117, v68
	v_pk_add_f32 v[116:117], v[4:5], v[134:135]
	s_nop 0
	v_min3_f32 v67, v116, v117, v67
	v_pk_add_f32 v[116:117], v[6:7], v[134:135]
	s_nop 0
	;; [unrolled: 3-line block ×4, first 2 shown]
	v_min3_f32 v64, v116, v117, v64
	s_waitcnt lgkmcnt(2)
	v_pk_add_f32 v[116:117], v[4:5], v[16:17]
	s_nop 0
	v_min3_f32 v63, v116, v117, v63
	v_pk_add_f32 v[116:117], v[6:7], v[16:17]
	s_nop 0
	v_min3_f32 v62, v116, v117, v62
	v_pk_add_f32 v[116:117], v[0:1], v[16:17]
	v_pk_add_f32 v[16:17], v[2:3], v[16:17]
	v_min3_f32 v61, v116, v117, v61
	v_min3_f32 v60, v16, v17, v60
	v_pk_add_f32 v[16:17], v[4:5], v[18:19]
	s_nop 0
	v_min3_f32 v59, v16, v17, v59
	v_pk_add_f32 v[16:17], v[6:7], v[18:19]
	s_nop 0
	;; [unrolled: 3-line block ×4, first 2 shown]
	v_min3_f32 v56, v16, v17, v56
	s_waitcnt lgkmcnt(1)
	v_pk_add_f32 v[16:17], v[4:5], v[12:13]
	s_nop 0
	v_min3_f32 v55, v16, v17, v55
	v_pk_add_f32 v[16:17], v[6:7], v[12:13]
	s_nop 0
	v_min3_f32 v54, v16, v17, v54
	v_pk_add_f32 v[16:17], v[0:1], v[12:13]
	v_pk_add_f32 v[12:13], v[2:3], v[12:13]
	v_min3_f32 v53, v16, v17, v53
	v_min3_f32 v52, v12, v13, v52
	v_pk_add_f32 v[12:13], v[4:5], v[14:15]
	s_nop 0
	v_min3_f32 v51, v12, v13, v51
	v_pk_add_f32 v[12:13], v[6:7], v[14:15]
	s_nop 0
	;; [unrolled: 3-line block ×4, first 2 shown]
	v_min3_f32 v48, v12, v13, v48
	s_waitcnt lgkmcnt(0)
	v_pk_add_f32 v[12:13], v[4:5], v[8:9]
	v_pk_add_f32 v[4:5], v[4:5], v[10:11]
	v_min3_f32 v47, v12, v13, v47
	v_pk_add_f32 v[12:13], v[6:7], v[8:9]
	v_min3_f32 v43, v4, v5, v43
	v_min3_f32 v46, v12, v13, v46
	v_pk_add_f32 v[12:13], v[0:1], v[8:9]
	v_pk_add_f32 v[0:1], v[0:1], v[10:11]
	;; [unrolled: 1-line block ×4, first 2 shown]
	v_min3_f32 v41, v0, v1, v41
	v_pk_add_f32 v[0:1], v[2:3], v[10:11]
	v_min3_f32 v45, v12, v13, v45
	v_min3_f32 v44, v8, v9, v44
	;; [unrolled: 1-line block ×4, first 2 shown]
	s_cbranch_vccz .LBB60_31
; %bb.32:                               ;   in Loop: Header=BB60_24 Depth=1
	s_and_b64 vcc, exec, s[6:7]
	ds_write2st64_b32 v107, v36, v37 offset1:4
	ds_write2st64_b32 v108, v38, v39 offset1:4
	s_waitcnt lgkmcnt(0)
	s_barrier
	s_cbranch_vccnz .LBB60_40
; %bb.33:                               ;   in Loop: Header=BB60_24 Depth=1
	global_load_dword v0, v[34:35], off offset:16
	s_waitcnt vmcnt(0)
	v_mul_f32_e32 v12, s26, v0
	s_mov_b64 s[2:3], -1
	s_mov_b64 vcc, s[4:5]
                                        ; implicit-def: $vgpr14_vgpr15
                                        ; implicit-def: $vgpr13
	s_cbranch_vccz .LBB60_35
.LBB60_34:                              ;   in Loop: Header=BB60_24 Depth=1
	v_mov_b32_e32 v13, v29
	v_mov_b32_e32 v14, v29
	s_mov_b64 s[2:3], 0
.LBB60_35:                              ;   in Loop: Header=BB60_24 Depth=1
	s_andn2_b64 vcc, exec, s[2:3]
	v_mov_b32_e32 v15, 0
	s_cbranch_vccnz .LBB60_37
; %bb.36:                               ;   in Loop: Header=BB60_24 Depth=1
	v_lshl_add_u64 v[0:1], v[24:25], 2, v[30:31]
	global_load_dword v4, v[32:33], off offset:16
	v_lshl_add_u64 v[2:3], v[26:27], 2, v[30:31]
	global_load_dword v5, v[0:1], off offset:16
	global_load_dword v6, v[2:3], off offset:16
	s_waitcnt vmcnt(2)
	v_mul_f32_e32 v13, s26, v4
	s_waitcnt vmcnt(1)
	v_mul_f32_e32 v14, s26, v5
	;; [unrolled: 2-line block ×3, first 2 shown]
.LBB60_37:                              ;   in Loop: Header=BB60_24 Depth=1
	s_mov_b32 s25, 0
	s_mov_b64 s[2:3], -1
.LBB60_38:                              ;   Parent Loop BB60_24 Depth=1
                                        ; =>  This Inner Loop Header: Depth=2
	v_cndmask_b32_e64 v0, 0, 1, s[2:3]
	s_lshl_b32 s2, s25, 2
	v_cmp_ne_u32_e32 vcc, 1, v0
	v_add_u32_e32 v0, s2, v109
	ds_read2st64_b64 v[4:7], v0 offset1:1
	ds_read2st64_b64 v[0:3], v0 offset0:2 offset1:3
	v_add_u32_e32 v8, s2, v110
	ds_read2_b64 v[16:19], v8 offset1:16
	ds_read2_b64 v[30:33], v8 offset0:32 offset1:48
	ds_read2_b64 v[34:37], v8 offset0:64 offset1:80
	ds_read2_b64 v[116:119], v8 offset0:96 offset1:112
	ds_read2_b64 v[120:123], v8 offset0:128 offset1:144
	ds_read2_b64 v[124:127], v8 offset0:160 offset1:176
	ds_read2_b64 v[128:131], v8 offset0:192 offset1:208
	ds_read2_b64 v[8:11], v8 offset0:224 offset1:240
	s_mov_b64 s[2:3], 0
	s_waitcnt lgkmcnt(7)
	v_pk_add_f32 v[38:39], v[4:5], v[16:17]
	s_and_b64 vcc, exec, vcc
	v_min3_f32 v105, v38, v39, v105
	v_pk_add_f32 v[38:39], v[6:7], v[16:17]
	s_mov_b32 s25, 2
	v_min3_f32 v104, v38, v39, v104
	v_pk_add_f32 v[38:39], v[0:1], v[16:17]
	v_pk_add_f32 v[16:17], v[2:3], v[16:17]
	v_min3_f32 v103, v38, v39, v103
	v_min3_f32 v102, v16, v17, v102
	v_pk_add_f32 v[16:17], v[4:5], v[18:19]
	s_nop 0
	v_min3_f32 v101, v16, v17, v101
	v_pk_add_f32 v[16:17], v[6:7], v[18:19]
	s_nop 0
	v_min3_f32 v100, v16, v17, v100
	v_pk_add_f32 v[16:17], v[0:1], v[18:19]
	s_nop 0
	v_min3_f32 v99, v16, v17, v99
	v_pk_add_f32 v[16:17], v[2:3], v[18:19]
	s_nop 0
	v_min3_f32 v98, v16, v17, v98
	s_waitcnt lgkmcnt(6)
	v_pk_add_f32 v[16:17], v[4:5], v[30:31]
	s_nop 0
	v_min3_f32 v97, v16, v17, v97
	v_pk_add_f32 v[16:17], v[6:7], v[30:31]
	s_nop 0
	v_min3_f32 v94, v16, v17, v94
	v_pk_add_f32 v[16:17], v[0:1], v[30:31]
	s_nop 0
	v_min3_f32 v93, v16, v17, v93
	v_pk_add_f32 v[16:17], v[2:3], v[30:31]
	s_nop 0
	v_min3_f32 v92, v16, v17, v92
	v_pk_add_f32 v[16:17], v[4:5], v[32:33]
	s_nop 0
	v_min3_f32 v91, v16, v17, v91
	v_pk_add_f32 v[16:17], v[6:7], v[32:33]
	s_nop 0
	v_min3_f32 v90, v16, v17, v90
	v_pk_add_f32 v[16:17], v[0:1], v[32:33]
	s_nop 0
	v_min3_f32 v89, v16, v17, v89
	v_pk_add_f32 v[16:17], v[2:3], v[32:33]
	s_nop 0
	v_min3_f32 v88, v16, v17, v88
	s_waitcnt lgkmcnt(5)
	v_pk_add_f32 v[16:17], v[4:5], v[34:35]
	s_nop 0
	v_min3_f32 v87, v16, v17, v87
	v_pk_add_f32 v[16:17], v[6:7], v[34:35]
	s_nop 0
	v_min3_f32 v86, v16, v17, v86
	v_pk_add_f32 v[16:17], v[0:1], v[34:35]
	s_nop 0
	v_min3_f32 v85, v16, v17, v85
	v_pk_add_f32 v[16:17], v[2:3], v[34:35]
	s_nop 0
	;; [unrolled: 25-line block ×6, first 2 shown]
	v_min3_f32 v52, v16, v17, v52
	v_pk_add_f32 v[16:17], v[4:5], v[130:131]
	s_nop 0
	v_min3_f32 v51, v16, v17, v51
	v_pk_add_f32 v[16:17], v[6:7], v[130:131]
	s_nop 0
	;; [unrolled: 3-line block ×4, first 2 shown]
	v_min3_f32 v48, v16, v17, v48
	s_waitcnt lgkmcnt(0)
	v_pk_add_f32 v[16:17], v[4:5], v[8:9]
	v_pk_add_f32 v[4:5], v[4:5], v[10:11]
	v_min3_f32 v47, v16, v17, v47
	v_pk_add_f32 v[16:17], v[6:7], v[8:9]
	v_min3_f32 v43, v4, v5, v43
	v_min3_f32 v46, v16, v17, v46
	v_pk_add_f32 v[16:17], v[0:1], v[8:9]
	v_pk_add_f32 v[0:1], v[0:1], v[10:11]
	;; [unrolled: 1-line block ×4, first 2 shown]
	v_min3_f32 v41, v0, v1, v41
	v_pk_add_f32 v[0:1], v[2:3], v[10:11]
	v_min3_f32 v45, v16, v17, v45
	v_min3_f32 v44, v8, v9, v44
	;; [unrolled: 1-line block ×4, first 2 shown]
	s_cbranch_vccz .LBB60_38
; %bb.39:                               ;   in Loop: Header=BB60_24 Depth=1
	s_add_i32 s23, s23, 8
	s_add_i32 s24, s24, 8
	s_cmp_ge_i32 s24, s22
	ds_write2st64_b32 v111, v12, v13 offset1:4
	ds_write2st64_b32 v112, v14, v15 offset1:4
	s_waitcnt lgkmcnt(0)
	s_barrier
	s_cbranch_scc0 .LBB60_24
	s_branch .LBB60_41
.LBB60_40:                              ;   in Loop: Header=BB60_24 Depth=1
	v_mov_b32_e32 v12, 0
	s_mov_b64 s[2:3], -1
	s_mov_b64 vcc, s[4:5]
                                        ; implicit-def: $vgpr14_vgpr15
                                        ; implicit-def: $vgpr13
	s_cbranch_vccz .LBB60_35
	s_branch .LBB60_34
.LBB60_41:
	v_mov_b32_e32 v0, 0x800
	v_lshl_add_u32 v12, v95, 4, v0
	v_mov_b32_e32 v0, 0x1800
	v_lshl_add_u32 v13, v96, 4, v0
	s_mov_b32 s4, 0
	s_mov_b64 s[2:3], -1
.LBB60_42:                              ; =>This Inner Loop Header: Depth=1
	v_cndmask_b32_e64 v0, 0, 1, s[2:3]
	s_lshl_b32 s2, s4, 2
	v_cmp_ne_u32_e32 vcc, 1, v0
	v_add_u32_e32 v0, s2, v12
	ds_read2st64_b64 v[4:7], v0 offset1:1
	ds_read2st64_b64 v[0:3], v0 offset0:2 offset1:3
	v_add_u32_e32 v8, s2, v13
	ds_read2_b64 v[14:17], v8 offset1:16
	ds_read2_b64 v[18:21], v8 offset0:32 offset1:48
	ds_read2_b64 v[22:25], v8 offset0:64 offset1:80
	;; [unrolled: 1-line block ×7, first 2 shown]
	s_mov_b64 s[2:3], 0
	s_waitcnt lgkmcnt(7)
	v_pk_add_f32 v[38:39], v[4:5], v[14:15]
	s_and_b64 vcc, exec, vcc
	v_min3_f32 v105, v38, v39, v105
	v_pk_add_f32 v[38:39], v[6:7], v[14:15]
	s_mov_b32 s4, 2
	v_min3_f32 v104, v38, v39, v104
	v_pk_add_f32 v[38:39], v[0:1], v[14:15]
	v_pk_add_f32 v[14:15], v[2:3], v[14:15]
	v_min3_f32 v103, v38, v39, v103
	v_min3_f32 v102, v14, v15, v102
	v_pk_add_f32 v[14:15], v[4:5], v[16:17]
	s_nop 0
	v_min3_f32 v101, v14, v15, v101
	v_pk_add_f32 v[14:15], v[6:7], v[16:17]
	s_nop 0
	v_min3_f32 v100, v14, v15, v100
	v_pk_add_f32 v[14:15], v[0:1], v[16:17]
	s_nop 0
	v_min3_f32 v99, v14, v15, v99
	v_pk_add_f32 v[14:15], v[2:3], v[16:17]
	s_nop 0
	v_min3_f32 v98, v14, v15, v98
	s_waitcnt lgkmcnt(6)
	v_pk_add_f32 v[14:15], v[4:5], v[18:19]
	s_nop 0
	v_min3_f32 v97, v14, v15, v97
	v_pk_add_f32 v[14:15], v[6:7], v[18:19]
	s_nop 0
	v_min3_f32 v94, v14, v15, v94
	v_pk_add_f32 v[14:15], v[0:1], v[18:19]
	s_nop 0
	v_min3_f32 v93, v14, v15, v93
	v_pk_add_f32 v[14:15], v[2:3], v[18:19]
	s_nop 0
	v_min3_f32 v92, v14, v15, v92
	v_pk_add_f32 v[14:15], v[4:5], v[20:21]
	s_nop 0
	v_min3_f32 v91, v14, v15, v91
	v_pk_add_f32 v[14:15], v[6:7], v[20:21]
	s_nop 0
	v_min3_f32 v90, v14, v15, v90
	v_pk_add_f32 v[14:15], v[0:1], v[20:21]
	s_nop 0
	v_min3_f32 v89, v14, v15, v89
	v_pk_add_f32 v[14:15], v[2:3], v[20:21]
	s_nop 0
	v_min3_f32 v88, v14, v15, v88
	s_waitcnt lgkmcnt(5)
	v_pk_add_f32 v[14:15], v[4:5], v[22:23]
	s_nop 0
	v_min3_f32 v87, v14, v15, v87
	v_pk_add_f32 v[14:15], v[6:7], v[22:23]
	s_nop 0
	v_min3_f32 v86, v14, v15, v86
	v_pk_add_f32 v[14:15], v[0:1], v[22:23]
	s_nop 0
	v_min3_f32 v85, v14, v15, v85
	v_pk_add_f32 v[14:15], v[2:3], v[22:23]
	s_nop 0
	;; [unrolled: 25-line block ×6, first 2 shown]
	v_min3_f32 v52, v14, v15, v52
	v_pk_add_f32 v[14:15], v[4:5], v[108:109]
	s_nop 0
	v_min3_f32 v51, v14, v15, v51
	v_pk_add_f32 v[14:15], v[6:7], v[108:109]
	s_nop 0
	;; [unrolled: 3-line block ×4, first 2 shown]
	v_min3_f32 v48, v14, v15, v48
	s_waitcnt lgkmcnt(0)
	v_pk_add_f32 v[14:15], v[4:5], v[8:9]
	v_pk_add_f32 v[4:5], v[4:5], v[10:11]
	v_min3_f32 v47, v14, v15, v47
	v_pk_add_f32 v[14:15], v[6:7], v[8:9]
	v_min3_f32 v43, v4, v5, v43
	v_min3_f32 v46, v14, v15, v46
	v_pk_add_f32 v[14:15], v[0:1], v[8:9]
	v_pk_add_f32 v[0:1], v[0:1], v[10:11]
	;; [unrolled: 1-line block ×4, first 2 shown]
	v_min3_f32 v41, v0, v1, v41
	v_pk_add_f32 v[0:1], v[2:3], v[10:11]
	v_min3_f32 v45, v14, v15, v45
	v_min3_f32 v44, v8, v9, v44
	;; [unrolled: 1-line block ×4, first 2 shown]
	s_cbranch_vccz .LBB60_42
; %bb.43:
	s_load_dwordx2 s[2:3], s[0:1], 0x78
	s_load_dword s4, s[0:1], 0x58
	s_load_dword s5, s[0:1], 0x70
	v_add_u32_e32 v16, s13, v96
	v_add_u32_e32 v4, s12, v95
	s_waitcnt lgkmcnt(0)
	s_mul_i32 s1, s3, s16
	s_mul_hi_u32 s3, s2, s16
	s_mul_i32 s0, s2, s16
	s_add_i32 s1, s3, s1
	s_lshl_b64 s[0:1], s[0:1], 2
	s_add_u32 s0, s14, s0
	s_addc_u32 s1, s15, s1
	v_mad_i64_i32 v[2:3], s[2:3], v16, s5, 0
	v_add_u32_e32 v0, 32, v4
	v_lshl_add_u64 v[12:13], v[2:3], 2, s[0:1]
	v_mad_i64_i32 v[2:3], s[2:3], v16, s4, 0
	v_ashrrev_i32_e32 v5, 31, v4
	v_ashrrev_i32_e32 v1, 31, v0
	s_mov_b64 s[2:3], -1
	v_max_f32_e32 v6, v105, v105
	s_mov_b64 vcc, s[8:9]
	s_cbranch_vccz .LBB60_45
; %bb.44:
	v_min_f32_e32 v7, 0, v6
	v_lshl_add_u64 v[8:9], v[4:5], 2, v[12:13]
	global_store_dword v[8:9], v7, off
	s_mov_b64 s[2:3], 0
.LBB60_45:
	v_lshl_add_u64 v[14:15], v[2:3], 2, s[10:11]
	v_mov_b32_e32 v10, 0
	s_andn2_b64 vcc, exec, s[2:3]
	v_lshlrev_b64 v[8:9], 2, v[4:5]
	s_cbranch_vccnz .LBB60_47
; %bb.46:
	v_lshl_add_u64 v[2:3], v[14:15], 0, v[8:9]
	global_load_dword v7, v[2:3], off
	v_lshl_add_u64 v[2:3], v[12:13], 0, v[8:9]
	s_waitcnt vmcnt(0)
	v_mul_f32_e32 v7, s17, v7
	v_min_f32_e32 v6, v7, v6
	global_store_dword v[2:3], v6, off
	v_lshl_add_u64 v[2:3], v[0:1], 2, v[14:15]
	global_load_dword v2, v[2:3], off
	s_waitcnt vmcnt(0)
	v_mul_f32_e32 v10, s17, v2
.LBB60_47:
	v_max_f32_e32 v11, v104, v104
	v_max_f32_e32 v10, v10, v10
	v_add_u32_e32 v6, 64, v4
	v_add_u32_e32 v2, 0x60, v4
	v_min_f32_e32 v17, v10, v11
	v_lshl_add_u64 v[10:11], v[0:1], 2, v[12:13]
	v_ashrrev_i32_e32 v7, 31, v6
	v_ashrrev_i32_e32 v3, 31, v2
	global_store_dword v[10:11], v17, off
	s_mov_b64 s[2:3], -1
	v_max_f32_e32 v17, v103, v103
	s_mov_b64 vcc, s[8:9]
	s_cbranch_vccz .LBB60_49
; %bb.48:
	v_min_f32_e32 v18, 0, v17
	v_lshl_add_u64 v[10:11], v[6:7], 2, v[12:13]
	global_store_dword v[10:11], v18, off
	s_mov_b64 s[2:3], 0
.LBB60_49:
	v_mov_b32_e32 v18, 0
	s_andn2_b64 vcc, exec, s[2:3]
	v_lshlrev_b64 v[10:11], 2, v[6:7]
	s_cbranch_vccnz .LBB60_51
; %bb.50:
	v_lshl_add_u64 v[18:19], v[14:15], 0, v[10:11]
	global_load_dword v20, v[18:19], off
	v_lshl_add_u64 v[18:19], v[12:13], 0, v[10:11]
	v_lshl_add_u64 v[14:15], v[2:3], 2, v[14:15]
	s_waitcnt vmcnt(0)
	v_mul_f32_e32 v20, s17, v20
	v_min_f32_e32 v17, v20, v17
	global_store_dword v[18:19], v17, off
	global_load_dword v14, v[14:15], off
	s_waitcnt vmcnt(0)
	v_mul_f32_e32 v18, s17, v14
.LBB60_51:
	v_max_f32_e32 v14, v102, v102
	v_max_f32_e32 v15, v18, v18
	v_min_f32_e32 v14, v15, v14
	v_lshl_add_u64 v[12:13], v[2:3], 2, v[12:13]
	global_store_dword v[12:13], v14, off
	v_add_u32_e32 v14, 8, v16
	v_mad_i64_i32 v[12:13], s[2:3], v14, s5, 0
	v_mad_i64_i32 v[14:15], s[2:3], v14, s4, 0
	v_lshl_add_u64 v[12:13], v[12:13], 2, s[0:1]
	s_mov_b64 s[2:3], -1
	v_max_f32_e32 v17, v101, v101
	s_mov_b64 vcc, s[8:9]
	s_cbranch_vccz .LBB60_53
; %bb.52:
	v_min_f32_e32 v20, 0, v17
	v_lshl_add_u64 v[18:19], v[4:5], 2, v[12:13]
	global_store_dword v[18:19], v20, off
	s_mov_b64 s[2:3], 0
.LBB60_53:
	v_lshl_add_u64 v[14:15], v[14:15], 2, s[10:11]
	s_andn2_b64 vcc, exec, s[2:3]
	v_mov_b32_e32 v18, 0
	s_cbranch_vccnz .LBB60_55
; %bb.54:
	v_lshl_add_u64 v[18:19], v[14:15], 0, v[8:9]
	global_load_dword v20, v[18:19], off
	v_lshl_add_u64 v[18:19], v[12:13], 0, v[8:9]
	s_waitcnt vmcnt(0)
	v_mul_f32_e32 v20, s17, v20
	v_min_f32_e32 v17, v20, v17
	global_store_dword v[18:19], v17, off
	v_lshl_add_u64 v[18:19], v[0:1], 2, v[14:15]
	global_load_dword v17, v[18:19], off
	s_waitcnt vmcnt(0)
	v_mul_f32_e32 v18, s17, v17
.LBB60_55:
	v_max_f32_e32 v17, v100, v100
	v_max_f32_e32 v18, v18, v18
	v_min_f32_e32 v17, v18, v17
	v_lshl_add_u64 v[18:19], v[0:1], 2, v[12:13]
	global_store_dword v[18:19], v17, off
	s_mov_b64 s[2:3], -1
	v_max_f32_e32 v17, v99, v99
	s_mov_b64 vcc, s[8:9]
	s_cbranch_vccz .LBB60_57
; %bb.56:
	v_min_f32_e32 v20, 0, v17
	v_lshl_add_u64 v[18:19], v[6:7], 2, v[12:13]
	global_store_dword v[18:19], v20, off
	s_mov_b64 s[2:3], 0
.LBB60_57:
	s_andn2_b64 vcc, exec, s[2:3]
	v_mov_b32_e32 v18, 0
	s_cbranch_vccnz .LBB60_59
; %bb.58:
	v_lshl_add_u64 v[18:19], v[14:15], 0, v[10:11]
	global_load_dword v20, v[18:19], off
	v_lshl_add_u64 v[18:19], v[12:13], 0, v[10:11]
	v_lshl_add_u64 v[14:15], v[2:3], 2, v[14:15]
	s_waitcnt vmcnt(0)
	v_mul_f32_e32 v20, s17, v20
	v_min_f32_e32 v17, v20, v17
	global_store_dword v[18:19], v17, off
	global_load_dword v14, v[14:15], off
	s_waitcnt vmcnt(0)
	v_mul_f32_e32 v18, s17, v14
.LBB60_59:
	v_max_f32_e32 v14, v98, v98
	v_max_f32_e32 v15, v18, v18
	v_min_f32_e32 v14, v15, v14
	v_lshl_add_u64 v[12:13], v[2:3], 2, v[12:13]
	global_store_dword v[12:13], v14, off
	v_add_u32_e32 v14, 16, v16
	v_mad_i64_i32 v[12:13], s[2:3], v14, s5, 0
	v_mad_i64_i32 v[14:15], s[2:3], v14, s4, 0
	v_lshl_add_u64 v[12:13], v[12:13], 2, s[0:1]
	s_mov_b64 s[2:3], -1
	v_max_f32_e32 v17, v97, v97
	s_mov_b64 vcc, s[8:9]
	s_cbranch_vccz .LBB60_61
; %bb.60:
	v_min_f32_e32 v20, 0, v17
	v_lshl_add_u64 v[18:19], v[4:5], 2, v[12:13]
	global_store_dword v[18:19], v20, off
	s_mov_b64 s[2:3], 0
.LBB60_61:
	v_lshl_add_u64 v[14:15], v[14:15], 2, s[10:11]
	s_andn2_b64 vcc, exec, s[2:3]
	v_mov_b32_e32 v18, 0
	s_cbranch_vccnz .LBB60_63
; %bb.62:
	v_lshl_add_u64 v[18:19], v[14:15], 0, v[8:9]
	global_load_dword v20, v[18:19], off
	v_lshl_add_u64 v[18:19], v[12:13], 0, v[8:9]
	s_waitcnt vmcnt(0)
	v_mul_f32_e32 v20, s17, v20
	v_min_f32_e32 v17, v20, v17
	global_store_dword v[18:19], v17, off
	v_lshl_add_u64 v[18:19], v[0:1], 2, v[14:15]
	global_load_dword v17, v[18:19], off
	s_waitcnt vmcnt(0)
	v_mul_f32_e32 v18, s17, v17
.LBB60_63:
	v_max_f32_e32 v17, v94, v94
	v_max_f32_e32 v18, v18, v18
	v_min_f32_e32 v17, v18, v17
	v_lshl_add_u64 v[18:19], v[0:1], 2, v[12:13]
	global_store_dword v[18:19], v17, off
	s_mov_b64 s[2:3], -1
	v_max_f32_e32 v17, v93, v93
	s_mov_b64 vcc, s[8:9]
	s_cbranch_vccz .LBB60_65
; %bb.64:
	v_min_f32_e32 v20, 0, v17
	v_lshl_add_u64 v[18:19], v[6:7], 2, v[12:13]
	global_store_dword v[18:19], v20, off
	s_mov_b64 s[2:3], 0
.LBB60_65:
	s_andn2_b64 vcc, exec, s[2:3]
	v_mov_b32_e32 v18, 0
	s_cbranch_vccnz .LBB60_67
; %bb.66:
	v_lshl_add_u64 v[18:19], v[14:15], 0, v[10:11]
	global_load_dword v20, v[18:19], off
	v_lshl_add_u64 v[18:19], v[12:13], 0, v[10:11]
	v_lshl_add_u64 v[14:15], v[2:3], 2, v[14:15]
	s_waitcnt vmcnt(0)
	v_mul_f32_e32 v20, s17, v20
	v_min_f32_e32 v17, v20, v17
	global_store_dword v[18:19], v17, off
	global_load_dword v14, v[14:15], off
	s_waitcnt vmcnt(0)
	v_mul_f32_e32 v18, s17, v14
.LBB60_67:
	v_max_f32_e32 v14, v92, v92
	v_max_f32_e32 v15, v18, v18
	v_min_f32_e32 v14, v15, v14
	v_lshl_add_u64 v[12:13], v[2:3], 2, v[12:13]
	global_store_dword v[12:13], v14, off
	v_add_u32_e32 v14, 24, v16
	v_mad_i64_i32 v[12:13], s[2:3], v14, s5, 0
	v_mad_i64_i32 v[14:15], s[2:3], v14, s4, 0
	v_lshl_add_u64 v[12:13], v[12:13], 2, s[0:1]
	s_mov_b64 s[2:3], -1
	v_max_f32_e32 v17, v91, v91
	s_mov_b64 vcc, s[8:9]
	s_cbranch_vccz .LBB60_69
; %bb.68:
	v_min_f32_e32 v20, 0, v17
	v_lshl_add_u64 v[18:19], v[4:5], 2, v[12:13]
	global_store_dword v[18:19], v20, off
	s_mov_b64 s[2:3], 0
.LBB60_69:
	v_lshl_add_u64 v[14:15], v[14:15], 2, s[10:11]
	s_andn2_b64 vcc, exec, s[2:3]
	v_mov_b32_e32 v18, 0
	s_cbranch_vccnz .LBB60_71
; %bb.70:
	v_lshl_add_u64 v[18:19], v[14:15], 0, v[8:9]
	global_load_dword v20, v[18:19], off
	v_lshl_add_u64 v[18:19], v[12:13], 0, v[8:9]
	s_waitcnt vmcnt(0)
	v_mul_f32_e32 v20, s17, v20
	v_min_f32_e32 v17, v20, v17
	global_store_dword v[18:19], v17, off
	v_lshl_add_u64 v[18:19], v[0:1], 2, v[14:15]
	global_load_dword v17, v[18:19], off
	s_waitcnt vmcnt(0)
	v_mul_f32_e32 v18, s17, v17
.LBB60_71:
	v_max_f32_e32 v17, v90, v90
	v_max_f32_e32 v18, v18, v18
	v_min_f32_e32 v17, v18, v17
	v_lshl_add_u64 v[18:19], v[0:1], 2, v[12:13]
	global_store_dword v[18:19], v17, off
	s_mov_b64 s[2:3], -1
	v_max_f32_e32 v17, v89, v89
	s_mov_b64 vcc, s[8:9]
	s_cbranch_vccz .LBB60_73
; %bb.72:
	v_min_f32_e32 v20, 0, v17
	v_lshl_add_u64 v[18:19], v[6:7], 2, v[12:13]
	global_store_dword v[18:19], v20, off
	s_mov_b64 s[2:3], 0
.LBB60_73:
	s_andn2_b64 vcc, exec, s[2:3]
	v_mov_b32_e32 v18, 0
	s_cbranch_vccnz .LBB60_75
; %bb.74:
	v_lshl_add_u64 v[18:19], v[14:15], 0, v[10:11]
	global_load_dword v20, v[18:19], off
	v_lshl_add_u64 v[18:19], v[12:13], 0, v[10:11]
	v_lshl_add_u64 v[14:15], v[2:3], 2, v[14:15]
	s_waitcnt vmcnt(0)
	v_mul_f32_e32 v20, s17, v20
	v_min_f32_e32 v17, v20, v17
	global_store_dword v[18:19], v17, off
	global_load_dword v14, v[14:15], off
	s_waitcnt vmcnt(0)
	v_mul_f32_e32 v18, s17, v14
.LBB60_75:
	v_max_f32_e32 v14, v88, v88
	v_max_f32_e32 v15, v18, v18
	v_min_f32_e32 v14, v15, v14
	v_lshl_add_u64 v[12:13], v[2:3], 2, v[12:13]
	global_store_dword v[12:13], v14, off
	v_add_u32_e32 v14, 32, v16
	v_mad_i64_i32 v[12:13], s[2:3], v14, s5, 0
	v_mad_i64_i32 v[14:15], s[2:3], v14, s4, 0
	v_lshl_add_u64 v[12:13], v[12:13], 2, s[0:1]
	s_mov_b64 s[2:3], -1
	v_max_f32_e32 v17, v87, v87
	s_mov_b64 vcc, s[8:9]
	s_cbranch_vccz .LBB60_77
; %bb.76:
	v_min_f32_e32 v20, 0, v17
	v_lshl_add_u64 v[18:19], v[4:5], 2, v[12:13]
	global_store_dword v[18:19], v20, off
	s_mov_b64 s[2:3], 0
.LBB60_77:
	v_lshl_add_u64 v[14:15], v[14:15], 2, s[10:11]
	s_andn2_b64 vcc, exec, s[2:3]
	v_mov_b32_e32 v18, 0
	s_cbranch_vccnz .LBB60_79
; %bb.78:
	v_lshl_add_u64 v[18:19], v[14:15], 0, v[8:9]
	global_load_dword v20, v[18:19], off
	v_lshl_add_u64 v[18:19], v[12:13], 0, v[8:9]
	s_waitcnt vmcnt(0)
	v_mul_f32_e32 v20, s17, v20
	v_min_f32_e32 v17, v20, v17
	global_store_dword v[18:19], v17, off
	v_lshl_add_u64 v[18:19], v[0:1], 2, v[14:15]
	global_load_dword v17, v[18:19], off
	s_waitcnt vmcnt(0)
	v_mul_f32_e32 v18, s17, v17
.LBB60_79:
	v_max_f32_e32 v17, v86, v86
	v_max_f32_e32 v18, v18, v18
	v_min_f32_e32 v17, v18, v17
	v_lshl_add_u64 v[18:19], v[0:1], 2, v[12:13]
	global_store_dword v[18:19], v17, off
	s_mov_b64 s[2:3], -1
	v_max_f32_e32 v17, v85, v85
	s_mov_b64 vcc, s[8:9]
	s_cbranch_vccz .LBB60_81
; %bb.80:
	v_min_f32_e32 v20, 0, v17
	v_lshl_add_u64 v[18:19], v[6:7], 2, v[12:13]
	global_store_dword v[18:19], v20, off
	s_mov_b64 s[2:3], 0
.LBB60_81:
	s_andn2_b64 vcc, exec, s[2:3]
	v_mov_b32_e32 v18, 0
	s_cbranch_vccnz .LBB60_83
; %bb.82:
	v_lshl_add_u64 v[18:19], v[14:15], 0, v[10:11]
	global_load_dword v20, v[18:19], off
	v_lshl_add_u64 v[18:19], v[12:13], 0, v[10:11]
	v_lshl_add_u64 v[14:15], v[2:3], 2, v[14:15]
	s_waitcnt vmcnt(0)
	v_mul_f32_e32 v20, s17, v20
	v_min_f32_e32 v17, v20, v17
	global_store_dword v[18:19], v17, off
	global_load_dword v14, v[14:15], off
	s_waitcnt vmcnt(0)
	v_mul_f32_e32 v18, s17, v14
.LBB60_83:
	v_max_f32_e32 v14, v84, v84
	v_max_f32_e32 v15, v18, v18
	v_min_f32_e32 v14, v15, v14
	v_lshl_add_u64 v[12:13], v[2:3], 2, v[12:13]
	global_store_dword v[12:13], v14, off
	v_add_u32_e32 v14, 40, v16
	v_mad_i64_i32 v[12:13], s[2:3], v14, s5, 0
	v_mad_i64_i32 v[14:15], s[2:3], v14, s4, 0
	v_lshl_add_u64 v[12:13], v[12:13], 2, s[0:1]
	s_mov_b64 s[2:3], -1
	v_max_f32_e32 v17, v83, v83
	s_mov_b64 vcc, s[8:9]
	s_cbranch_vccz .LBB60_85
; %bb.84:
	v_min_f32_e32 v20, 0, v17
	v_lshl_add_u64 v[18:19], v[4:5], 2, v[12:13]
	global_store_dword v[18:19], v20, off
	s_mov_b64 s[2:3], 0
.LBB60_85:
	v_lshl_add_u64 v[14:15], v[14:15], 2, s[10:11]
	s_andn2_b64 vcc, exec, s[2:3]
	v_mov_b32_e32 v18, 0
	s_cbranch_vccnz .LBB60_87
; %bb.86:
	v_lshl_add_u64 v[18:19], v[14:15], 0, v[8:9]
	global_load_dword v20, v[18:19], off
	v_lshl_add_u64 v[18:19], v[12:13], 0, v[8:9]
	s_waitcnt vmcnt(0)
	v_mul_f32_e32 v20, s17, v20
	v_min_f32_e32 v17, v20, v17
	global_store_dword v[18:19], v17, off
	v_lshl_add_u64 v[18:19], v[0:1], 2, v[14:15]
	global_load_dword v17, v[18:19], off
	s_waitcnt vmcnt(0)
	v_mul_f32_e32 v18, s17, v17
.LBB60_87:
	v_max_f32_e32 v17, v82, v82
	v_max_f32_e32 v18, v18, v18
	v_min_f32_e32 v17, v18, v17
	v_lshl_add_u64 v[18:19], v[0:1], 2, v[12:13]
	global_store_dword v[18:19], v17, off
	s_mov_b64 s[2:3], -1
	v_max_f32_e32 v17, v81, v81
	s_mov_b64 vcc, s[8:9]
	s_cbranch_vccz .LBB60_89
; %bb.88:
	v_min_f32_e32 v20, 0, v17
	v_lshl_add_u64 v[18:19], v[6:7], 2, v[12:13]
	global_store_dword v[18:19], v20, off
	s_mov_b64 s[2:3], 0
.LBB60_89:
	s_andn2_b64 vcc, exec, s[2:3]
	v_mov_b32_e32 v18, 0
	s_cbranch_vccnz .LBB60_91
; %bb.90:
	v_lshl_add_u64 v[18:19], v[14:15], 0, v[10:11]
	global_load_dword v20, v[18:19], off
	v_lshl_add_u64 v[18:19], v[12:13], 0, v[10:11]
	v_lshl_add_u64 v[14:15], v[2:3], 2, v[14:15]
	s_waitcnt vmcnt(0)
	v_mul_f32_e32 v20, s17, v20
	v_min_f32_e32 v17, v20, v17
	global_store_dword v[18:19], v17, off
	global_load_dword v14, v[14:15], off
	s_waitcnt vmcnt(0)
	v_mul_f32_e32 v18, s17, v14
.LBB60_91:
	v_max_f32_e32 v14, v80, v80
	v_max_f32_e32 v15, v18, v18
	v_min_f32_e32 v14, v15, v14
	v_lshl_add_u64 v[12:13], v[2:3], 2, v[12:13]
	global_store_dword v[12:13], v14, off
	v_add_u32_e32 v14, 48, v16
	v_mad_i64_i32 v[12:13], s[2:3], v14, s5, 0
	v_mad_i64_i32 v[14:15], s[2:3], v14, s4, 0
	v_lshl_add_u64 v[12:13], v[12:13], 2, s[0:1]
	s_mov_b64 s[2:3], -1
	v_max_f32_e32 v17, v79, v79
	s_mov_b64 vcc, s[8:9]
	s_cbranch_vccz .LBB60_93
; %bb.92:
	v_min_f32_e32 v20, 0, v17
	v_lshl_add_u64 v[18:19], v[4:5], 2, v[12:13]
	global_store_dword v[18:19], v20, off
	s_mov_b64 s[2:3], 0
.LBB60_93:
	v_lshl_add_u64 v[14:15], v[14:15], 2, s[10:11]
	s_andn2_b64 vcc, exec, s[2:3]
	v_mov_b32_e32 v18, 0
	s_cbranch_vccnz .LBB60_95
; %bb.94:
	v_lshl_add_u64 v[18:19], v[14:15], 0, v[8:9]
	global_load_dword v20, v[18:19], off
	v_lshl_add_u64 v[18:19], v[12:13], 0, v[8:9]
	s_waitcnt vmcnt(0)
	v_mul_f32_e32 v20, s17, v20
	v_min_f32_e32 v17, v20, v17
	global_store_dword v[18:19], v17, off
	v_lshl_add_u64 v[18:19], v[0:1], 2, v[14:15]
	global_load_dword v17, v[18:19], off
	s_waitcnt vmcnt(0)
	v_mul_f32_e32 v18, s17, v17
.LBB60_95:
	v_max_f32_e32 v17, v78, v78
	v_max_f32_e32 v18, v18, v18
	v_min_f32_e32 v17, v18, v17
	v_lshl_add_u64 v[18:19], v[0:1], 2, v[12:13]
	global_store_dword v[18:19], v17, off
	s_mov_b64 s[2:3], -1
	v_max_f32_e32 v17, v77, v77
	s_mov_b64 vcc, s[8:9]
	s_cbranch_vccz .LBB60_97
; %bb.96:
	v_min_f32_e32 v20, 0, v17
	v_lshl_add_u64 v[18:19], v[6:7], 2, v[12:13]
	global_store_dword v[18:19], v20, off
	s_mov_b64 s[2:3], 0
.LBB60_97:
	s_andn2_b64 vcc, exec, s[2:3]
	v_mov_b32_e32 v18, 0
	s_cbranch_vccnz .LBB60_99
; %bb.98:
	v_lshl_add_u64 v[18:19], v[14:15], 0, v[10:11]
	global_load_dword v20, v[18:19], off
	v_lshl_add_u64 v[18:19], v[12:13], 0, v[10:11]
	v_lshl_add_u64 v[14:15], v[2:3], 2, v[14:15]
	s_waitcnt vmcnt(0)
	v_mul_f32_e32 v20, s17, v20
	v_min_f32_e32 v17, v20, v17
	global_store_dword v[18:19], v17, off
	global_load_dword v14, v[14:15], off
	s_waitcnt vmcnt(0)
	v_mul_f32_e32 v18, s17, v14
.LBB60_99:
	v_max_f32_e32 v14, v76, v76
	v_max_f32_e32 v15, v18, v18
	v_min_f32_e32 v14, v15, v14
	v_lshl_add_u64 v[12:13], v[2:3], 2, v[12:13]
	global_store_dword v[12:13], v14, off
	v_add_u32_e32 v14, 56, v16
	v_mad_i64_i32 v[12:13], s[2:3], v14, s5, 0
	v_mad_i64_i32 v[14:15], s[2:3], v14, s4, 0
	v_lshl_add_u64 v[12:13], v[12:13], 2, s[0:1]
	s_mov_b64 s[2:3], -1
	v_max_f32_e32 v17, v75, v75
	s_mov_b64 vcc, s[8:9]
	s_cbranch_vccz .LBB60_101
; %bb.100:
	v_min_f32_e32 v20, 0, v17
	v_lshl_add_u64 v[18:19], v[4:5], 2, v[12:13]
	global_store_dword v[18:19], v20, off
	s_mov_b64 s[2:3], 0
.LBB60_101:
	v_lshl_add_u64 v[14:15], v[14:15], 2, s[10:11]
	s_andn2_b64 vcc, exec, s[2:3]
	v_mov_b32_e32 v18, 0
	s_cbranch_vccnz .LBB60_103
; %bb.102:
	v_lshl_add_u64 v[18:19], v[14:15], 0, v[8:9]
	global_load_dword v20, v[18:19], off
	v_lshl_add_u64 v[18:19], v[12:13], 0, v[8:9]
	s_waitcnt vmcnt(0)
	v_mul_f32_e32 v20, s17, v20
	v_min_f32_e32 v17, v20, v17
	global_store_dword v[18:19], v17, off
	v_lshl_add_u64 v[18:19], v[0:1], 2, v[14:15]
	global_load_dword v17, v[18:19], off
	s_waitcnt vmcnt(0)
	v_mul_f32_e32 v18, s17, v17
.LBB60_103:
	v_max_f32_e32 v17, v74, v74
	v_max_f32_e32 v18, v18, v18
	v_min_f32_e32 v17, v18, v17
	v_lshl_add_u64 v[18:19], v[0:1], 2, v[12:13]
	global_store_dword v[18:19], v17, off
	s_mov_b64 s[2:3], -1
	v_max_f32_e32 v17, v73, v73
	s_mov_b64 vcc, s[8:9]
	s_cbranch_vccz .LBB60_105
; %bb.104:
	v_min_f32_e32 v20, 0, v17
	v_lshl_add_u64 v[18:19], v[6:7], 2, v[12:13]
	global_store_dword v[18:19], v20, off
	s_mov_b64 s[2:3], 0
.LBB60_105:
	s_andn2_b64 vcc, exec, s[2:3]
	v_mov_b32_e32 v18, 0
	s_cbranch_vccnz .LBB60_107
; %bb.106:
	v_lshl_add_u64 v[18:19], v[14:15], 0, v[10:11]
	global_load_dword v20, v[18:19], off
	v_lshl_add_u64 v[18:19], v[12:13], 0, v[10:11]
	v_lshl_add_u64 v[14:15], v[2:3], 2, v[14:15]
	s_waitcnt vmcnt(0)
	v_mul_f32_e32 v20, s17, v20
	v_min_f32_e32 v17, v20, v17
	global_store_dword v[18:19], v17, off
	global_load_dword v14, v[14:15], off
	s_waitcnt vmcnt(0)
	v_mul_f32_e32 v18, s17, v14
.LBB60_107:
	v_max_f32_e32 v14, v72, v72
	v_max_f32_e32 v15, v18, v18
	v_min_f32_e32 v14, v15, v14
	v_lshl_add_u64 v[12:13], v[2:3], 2, v[12:13]
	global_store_dword v[12:13], v14, off
	v_add_u32_e32 v14, 64, v16
	v_mad_i64_i32 v[12:13], s[2:3], v14, s5, 0
	v_mad_i64_i32 v[14:15], s[2:3], v14, s4, 0
	v_lshl_add_u64 v[12:13], v[12:13], 2, s[0:1]
	s_mov_b64 s[2:3], -1
	v_max_f32_e32 v17, v71, v71
	s_mov_b64 vcc, s[8:9]
	s_cbranch_vccz .LBB60_109
; %bb.108:
	v_min_f32_e32 v20, 0, v17
	v_lshl_add_u64 v[18:19], v[4:5], 2, v[12:13]
	global_store_dword v[18:19], v20, off
	s_mov_b64 s[2:3], 0
.LBB60_109:
	v_lshl_add_u64 v[14:15], v[14:15], 2, s[10:11]
	s_andn2_b64 vcc, exec, s[2:3]
	v_mov_b32_e32 v18, 0
	s_cbranch_vccnz .LBB60_111
; %bb.110:
	v_lshl_add_u64 v[18:19], v[14:15], 0, v[8:9]
	global_load_dword v20, v[18:19], off
	v_lshl_add_u64 v[18:19], v[12:13], 0, v[8:9]
	s_waitcnt vmcnt(0)
	v_mul_f32_e32 v20, s17, v20
	v_min_f32_e32 v17, v20, v17
	global_store_dword v[18:19], v17, off
	v_lshl_add_u64 v[18:19], v[0:1], 2, v[14:15]
	global_load_dword v17, v[18:19], off
	s_waitcnt vmcnt(0)
	v_mul_f32_e32 v18, s17, v17
.LBB60_111:
	v_max_f32_e32 v17, v70, v70
	v_max_f32_e32 v18, v18, v18
	v_min_f32_e32 v17, v18, v17
	v_lshl_add_u64 v[18:19], v[0:1], 2, v[12:13]
	global_store_dword v[18:19], v17, off
	s_mov_b64 s[2:3], -1
	v_max_f32_e32 v17, v69, v69
	s_mov_b64 vcc, s[8:9]
	s_cbranch_vccz .LBB60_113
; %bb.112:
	v_min_f32_e32 v20, 0, v17
	v_lshl_add_u64 v[18:19], v[6:7], 2, v[12:13]
	global_store_dword v[18:19], v20, off
	s_mov_b64 s[2:3], 0
.LBB60_113:
	s_andn2_b64 vcc, exec, s[2:3]
	v_mov_b32_e32 v18, 0
	s_cbranch_vccnz .LBB60_115
; %bb.114:
	v_lshl_add_u64 v[18:19], v[14:15], 0, v[10:11]
	global_load_dword v20, v[18:19], off
	v_lshl_add_u64 v[18:19], v[12:13], 0, v[10:11]
	v_lshl_add_u64 v[14:15], v[2:3], 2, v[14:15]
	s_waitcnt vmcnt(0)
	v_mul_f32_e32 v20, s17, v20
	v_min_f32_e32 v17, v20, v17
	global_store_dword v[18:19], v17, off
	global_load_dword v14, v[14:15], off
	s_waitcnt vmcnt(0)
	v_mul_f32_e32 v18, s17, v14
.LBB60_115:
	v_max_f32_e32 v14, v68, v68
	v_max_f32_e32 v15, v18, v18
	v_min_f32_e32 v14, v15, v14
	v_lshl_add_u64 v[12:13], v[2:3], 2, v[12:13]
	global_store_dword v[12:13], v14, off
	v_add_u32_e32 v14, 0x48, v16
	v_mad_i64_i32 v[12:13], s[2:3], v14, s5, 0
	v_mad_i64_i32 v[14:15], s[2:3], v14, s4, 0
	v_lshl_add_u64 v[12:13], v[12:13], 2, s[0:1]
	s_mov_b64 s[2:3], -1
	v_max_f32_e32 v17, v67, v67
	s_mov_b64 vcc, s[8:9]
	s_cbranch_vccz .LBB60_117
; %bb.116:
	v_min_f32_e32 v20, 0, v17
	v_lshl_add_u64 v[18:19], v[4:5], 2, v[12:13]
	global_store_dword v[18:19], v20, off
	s_mov_b64 s[2:3], 0
.LBB60_117:
	v_lshl_add_u64 v[14:15], v[14:15], 2, s[10:11]
	s_andn2_b64 vcc, exec, s[2:3]
	v_mov_b32_e32 v18, 0
	s_cbranch_vccnz .LBB60_119
; %bb.118:
	v_lshl_add_u64 v[18:19], v[14:15], 0, v[8:9]
	global_load_dword v20, v[18:19], off
	v_lshl_add_u64 v[18:19], v[12:13], 0, v[8:9]
	s_waitcnt vmcnt(0)
	v_mul_f32_e32 v20, s17, v20
	v_min_f32_e32 v17, v20, v17
	global_store_dword v[18:19], v17, off
	v_lshl_add_u64 v[18:19], v[0:1], 2, v[14:15]
	global_load_dword v17, v[18:19], off
	s_waitcnt vmcnt(0)
	v_mul_f32_e32 v18, s17, v17
.LBB60_119:
	v_max_f32_e32 v17, v66, v66
	v_max_f32_e32 v18, v18, v18
	v_min_f32_e32 v17, v18, v17
	v_lshl_add_u64 v[18:19], v[0:1], 2, v[12:13]
	global_store_dword v[18:19], v17, off
	s_mov_b64 s[2:3], -1
	v_max_f32_e32 v17, v65, v65
	s_mov_b64 vcc, s[8:9]
	s_cbranch_vccz .LBB60_121
; %bb.120:
	v_min_f32_e32 v20, 0, v17
	v_lshl_add_u64 v[18:19], v[6:7], 2, v[12:13]
	global_store_dword v[18:19], v20, off
	s_mov_b64 s[2:3], 0
.LBB60_121:
	s_andn2_b64 vcc, exec, s[2:3]
	v_mov_b32_e32 v18, 0
	s_cbranch_vccnz .LBB60_123
; %bb.122:
	v_lshl_add_u64 v[18:19], v[14:15], 0, v[10:11]
	global_load_dword v20, v[18:19], off
	v_lshl_add_u64 v[18:19], v[12:13], 0, v[10:11]
	v_lshl_add_u64 v[14:15], v[2:3], 2, v[14:15]
	s_waitcnt vmcnt(0)
	v_mul_f32_e32 v20, s17, v20
	v_min_f32_e32 v17, v20, v17
	global_store_dword v[18:19], v17, off
	global_load_dword v14, v[14:15], off
	s_waitcnt vmcnt(0)
	v_mul_f32_e32 v18, s17, v14
.LBB60_123:
	v_max_f32_e32 v14, v64, v64
	v_max_f32_e32 v15, v18, v18
	v_min_f32_e32 v14, v15, v14
	v_lshl_add_u64 v[12:13], v[2:3], 2, v[12:13]
	global_store_dword v[12:13], v14, off
	v_add_u32_e32 v14, 0x50, v16
	v_mad_i64_i32 v[12:13], s[2:3], v14, s5, 0
	v_mad_i64_i32 v[14:15], s[2:3], v14, s4, 0
	v_lshl_add_u64 v[12:13], v[12:13], 2, s[0:1]
	s_mov_b64 s[2:3], -1
	v_max_f32_e32 v17, v63, v63
	s_mov_b64 vcc, s[8:9]
	s_cbranch_vccz .LBB60_125
; %bb.124:
	v_min_f32_e32 v20, 0, v17
	v_lshl_add_u64 v[18:19], v[4:5], 2, v[12:13]
	global_store_dword v[18:19], v20, off
	s_mov_b64 s[2:3], 0
.LBB60_125:
	v_lshl_add_u64 v[14:15], v[14:15], 2, s[10:11]
	s_andn2_b64 vcc, exec, s[2:3]
	v_mov_b32_e32 v18, 0
	s_cbranch_vccnz .LBB60_127
; %bb.126:
	v_lshl_add_u64 v[18:19], v[14:15], 0, v[8:9]
	global_load_dword v20, v[18:19], off
	v_lshl_add_u64 v[18:19], v[12:13], 0, v[8:9]
	s_waitcnt vmcnt(0)
	v_mul_f32_e32 v20, s17, v20
	v_min_f32_e32 v17, v20, v17
	global_store_dword v[18:19], v17, off
	v_lshl_add_u64 v[18:19], v[0:1], 2, v[14:15]
	global_load_dword v17, v[18:19], off
	s_waitcnt vmcnt(0)
	v_mul_f32_e32 v18, s17, v17
.LBB60_127:
	v_max_f32_e32 v17, v62, v62
	v_max_f32_e32 v18, v18, v18
	v_min_f32_e32 v17, v18, v17
	v_lshl_add_u64 v[18:19], v[0:1], 2, v[12:13]
	global_store_dword v[18:19], v17, off
	s_mov_b64 s[2:3], -1
	v_max_f32_e32 v17, v61, v61
	s_mov_b64 vcc, s[8:9]
	s_cbranch_vccz .LBB60_129
; %bb.128:
	v_min_f32_e32 v20, 0, v17
	v_lshl_add_u64 v[18:19], v[6:7], 2, v[12:13]
	global_store_dword v[18:19], v20, off
	s_mov_b64 s[2:3], 0
.LBB60_129:
	s_andn2_b64 vcc, exec, s[2:3]
	v_mov_b32_e32 v18, 0
	s_cbranch_vccnz .LBB60_131
; %bb.130:
	v_lshl_add_u64 v[18:19], v[14:15], 0, v[10:11]
	global_load_dword v20, v[18:19], off
	v_lshl_add_u64 v[18:19], v[12:13], 0, v[10:11]
	v_lshl_add_u64 v[14:15], v[2:3], 2, v[14:15]
	s_waitcnt vmcnt(0)
	v_mul_f32_e32 v20, s17, v20
	v_min_f32_e32 v17, v20, v17
	global_store_dword v[18:19], v17, off
	global_load_dword v14, v[14:15], off
	s_waitcnt vmcnt(0)
	v_mul_f32_e32 v18, s17, v14
.LBB60_131:
	v_max_f32_e32 v14, v60, v60
	v_max_f32_e32 v15, v18, v18
	v_min_f32_e32 v14, v15, v14
	v_lshl_add_u64 v[12:13], v[2:3], 2, v[12:13]
	global_store_dword v[12:13], v14, off
	v_add_u32_e32 v14, 0x58, v16
	v_mad_i64_i32 v[12:13], s[2:3], v14, s5, 0
	v_mad_i64_i32 v[14:15], s[2:3], v14, s4, 0
	v_lshl_add_u64 v[12:13], v[12:13], 2, s[0:1]
	s_mov_b64 s[2:3], -1
	v_max_f32_e32 v17, v59, v59
	s_mov_b64 vcc, s[8:9]
	s_cbranch_vccz .LBB60_133
; %bb.132:
	v_min_f32_e32 v20, 0, v17
	v_lshl_add_u64 v[18:19], v[4:5], 2, v[12:13]
	global_store_dword v[18:19], v20, off
	s_mov_b64 s[2:3], 0
.LBB60_133:
	v_lshl_add_u64 v[14:15], v[14:15], 2, s[10:11]
	s_andn2_b64 vcc, exec, s[2:3]
	v_mov_b32_e32 v18, 0
	s_cbranch_vccnz .LBB60_135
; %bb.134:
	v_lshl_add_u64 v[18:19], v[14:15], 0, v[8:9]
	global_load_dword v20, v[18:19], off
	v_lshl_add_u64 v[18:19], v[12:13], 0, v[8:9]
	s_waitcnt vmcnt(0)
	v_mul_f32_e32 v20, s17, v20
	v_min_f32_e32 v17, v20, v17
	global_store_dword v[18:19], v17, off
	v_lshl_add_u64 v[18:19], v[0:1], 2, v[14:15]
	global_load_dword v17, v[18:19], off
	s_waitcnt vmcnt(0)
	v_mul_f32_e32 v18, s17, v17
.LBB60_135:
	v_max_f32_e32 v17, v58, v58
	v_max_f32_e32 v18, v18, v18
	v_min_f32_e32 v17, v18, v17
	v_lshl_add_u64 v[18:19], v[0:1], 2, v[12:13]
	global_store_dword v[18:19], v17, off
	s_mov_b64 s[2:3], -1
	v_max_f32_e32 v17, v57, v57
	s_mov_b64 vcc, s[8:9]
	s_cbranch_vccz .LBB60_137
; %bb.136:
	v_min_f32_e32 v20, 0, v17
	v_lshl_add_u64 v[18:19], v[6:7], 2, v[12:13]
	global_store_dword v[18:19], v20, off
	s_mov_b64 s[2:3], 0
.LBB60_137:
	s_andn2_b64 vcc, exec, s[2:3]
	v_mov_b32_e32 v18, 0
	s_cbranch_vccnz .LBB60_139
; %bb.138:
	v_lshl_add_u64 v[18:19], v[14:15], 0, v[10:11]
	global_load_dword v20, v[18:19], off
	v_lshl_add_u64 v[18:19], v[12:13], 0, v[10:11]
	v_lshl_add_u64 v[14:15], v[2:3], 2, v[14:15]
	s_waitcnt vmcnt(0)
	v_mul_f32_e32 v20, s17, v20
	v_min_f32_e32 v17, v20, v17
	global_store_dword v[18:19], v17, off
	global_load_dword v14, v[14:15], off
	s_waitcnt vmcnt(0)
	v_mul_f32_e32 v18, s17, v14
.LBB60_139:
	v_max_f32_e32 v14, v56, v56
	v_max_f32_e32 v15, v18, v18
	v_min_f32_e32 v14, v15, v14
	v_lshl_add_u64 v[12:13], v[2:3], 2, v[12:13]
	global_store_dword v[12:13], v14, off
	v_add_u32_e32 v14, 0x60, v16
	v_mad_i64_i32 v[12:13], s[2:3], v14, s5, 0
	v_mad_i64_i32 v[14:15], s[2:3], v14, s4, 0
	v_lshl_add_u64 v[12:13], v[12:13], 2, s[0:1]
	s_mov_b64 s[2:3], -1
	v_max_f32_e32 v17, v55, v55
	s_mov_b64 vcc, s[8:9]
	s_cbranch_vccz .LBB60_141
; %bb.140:
	v_min_f32_e32 v20, 0, v17
	v_lshl_add_u64 v[18:19], v[4:5], 2, v[12:13]
	global_store_dword v[18:19], v20, off
	s_mov_b64 s[2:3], 0
.LBB60_141:
	v_lshl_add_u64 v[14:15], v[14:15], 2, s[10:11]
	s_andn2_b64 vcc, exec, s[2:3]
	v_mov_b32_e32 v18, 0
	s_cbranch_vccnz .LBB60_143
; %bb.142:
	v_lshl_add_u64 v[18:19], v[14:15], 0, v[8:9]
	global_load_dword v20, v[18:19], off
	v_lshl_add_u64 v[18:19], v[12:13], 0, v[8:9]
	s_waitcnt vmcnt(0)
	v_mul_f32_e32 v20, s17, v20
	v_min_f32_e32 v17, v20, v17
	global_store_dword v[18:19], v17, off
	v_lshl_add_u64 v[18:19], v[0:1], 2, v[14:15]
	global_load_dword v17, v[18:19], off
	s_waitcnt vmcnt(0)
	v_mul_f32_e32 v18, s17, v17
.LBB60_143:
	v_max_f32_e32 v17, v54, v54
	v_max_f32_e32 v18, v18, v18
	v_min_f32_e32 v17, v18, v17
	v_lshl_add_u64 v[18:19], v[0:1], 2, v[12:13]
	global_store_dword v[18:19], v17, off
	s_mov_b64 s[2:3], -1
	v_max_f32_e32 v17, v53, v53
	s_mov_b64 vcc, s[8:9]
	s_cbranch_vccz .LBB60_145
; %bb.144:
	v_min_f32_e32 v20, 0, v17
	v_lshl_add_u64 v[18:19], v[6:7], 2, v[12:13]
	global_store_dword v[18:19], v20, off
	s_mov_b64 s[2:3], 0
.LBB60_145:
	s_andn2_b64 vcc, exec, s[2:3]
	v_mov_b32_e32 v18, 0
	s_cbranch_vccnz .LBB60_147
; %bb.146:
	v_lshl_add_u64 v[18:19], v[14:15], 0, v[10:11]
	global_load_dword v20, v[18:19], off
	v_lshl_add_u64 v[18:19], v[12:13], 0, v[10:11]
	v_lshl_add_u64 v[14:15], v[2:3], 2, v[14:15]
	s_waitcnt vmcnt(0)
	v_mul_f32_e32 v20, s17, v20
	v_min_f32_e32 v17, v20, v17
	global_store_dword v[18:19], v17, off
	global_load_dword v14, v[14:15], off
	s_waitcnt vmcnt(0)
	v_mul_f32_e32 v18, s17, v14
.LBB60_147:
	v_max_f32_e32 v14, v52, v52
	v_max_f32_e32 v15, v18, v18
	v_min_f32_e32 v14, v15, v14
	v_lshl_add_u64 v[12:13], v[2:3], 2, v[12:13]
	global_store_dword v[12:13], v14, off
	v_add_u32_e32 v14, 0x68, v16
	v_mad_i64_i32 v[12:13], s[2:3], v14, s5, 0
	v_mad_i64_i32 v[14:15], s[2:3], v14, s4, 0
	v_lshl_add_u64 v[12:13], v[12:13], 2, s[0:1]
	s_mov_b64 s[2:3], -1
	v_max_f32_e32 v17, v51, v51
	s_mov_b64 vcc, s[8:9]
	s_cbranch_vccz .LBB60_149
; %bb.148:
	v_min_f32_e32 v20, 0, v17
	v_lshl_add_u64 v[18:19], v[4:5], 2, v[12:13]
	global_store_dword v[18:19], v20, off
	s_mov_b64 s[2:3], 0
.LBB60_149:
	v_lshl_add_u64 v[14:15], v[14:15], 2, s[10:11]
	s_andn2_b64 vcc, exec, s[2:3]
	v_mov_b32_e32 v18, 0
	s_cbranch_vccnz .LBB60_151
; %bb.150:
	v_lshl_add_u64 v[18:19], v[14:15], 0, v[8:9]
	global_load_dword v20, v[18:19], off
	v_lshl_add_u64 v[18:19], v[12:13], 0, v[8:9]
	s_waitcnt vmcnt(0)
	v_mul_f32_e32 v20, s17, v20
	v_min_f32_e32 v17, v20, v17
	global_store_dword v[18:19], v17, off
	v_lshl_add_u64 v[18:19], v[0:1], 2, v[14:15]
	global_load_dword v17, v[18:19], off
	s_waitcnt vmcnt(0)
	v_mul_f32_e32 v18, s17, v17
.LBB60_151:
	v_max_f32_e32 v17, v50, v50
	v_max_f32_e32 v18, v18, v18
	v_min_f32_e32 v17, v18, v17
	v_lshl_add_u64 v[18:19], v[0:1], 2, v[12:13]
	global_store_dword v[18:19], v17, off
	s_mov_b64 s[2:3], -1
	v_max_f32_e32 v17, v49, v49
	s_mov_b64 vcc, s[8:9]
	s_cbranch_vccz .LBB60_153
; %bb.152:
	v_min_f32_e32 v20, 0, v17
	v_lshl_add_u64 v[18:19], v[6:7], 2, v[12:13]
	global_store_dword v[18:19], v20, off
	s_mov_b64 s[2:3], 0
.LBB60_153:
	s_andn2_b64 vcc, exec, s[2:3]
	v_mov_b32_e32 v18, 0
	s_cbranch_vccnz .LBB60_155
; %bb.154:
	v_lshl_add_u64 v[18:19], v[14:15], 0, v[10:11]
	global_load_dword v20, v[18:19], off
	v_lshl_add_u64 v[18:19], v[12:13], 0, v[10:11]
	v_lshl_add_u64 v[14:15], v[2:3], 2, v[14:15]
	s_waitcnt vmcnt(0)
	v_mul_f32_e32 v20, s17, v20
	v_min_f32_e32 v17, v20, v17
	global_store_dword v[18:19], v17, off
	global_load_dword v14, v[14:15], off
	s_waitcnt vmcnt(0)
	v_mul_f32_e32 v18, s17, v14
.LBB60_155:
	v_max_f32_e32 v14, v48, v48
	v_max_f32_e32 v15, v18, v18
	v_min_f32_e32 v14, v15, v14
	v_lshl_add_u64 v[12:13], v[2:3], 2, v[12:13]
	global_store_dword v[12:13], v14, off
	v_add_u32_e32 v14, 0x70, v16
	v_mad_i64_i32 v[12:13], s[2:3], v14, s5, 0
	v_mad_i64_i32 v[14:15], s[2:3], v14, s4, 0
	v_lshl_add_u64 v[12:13], v[12:13], 2, s[0:1]
	s_mov_b64 s[2:3], -1
	v_max_f32_e32 v17, v47, v47
	s_mov_b64 vcc, s[8:9]
	s_cbranch_vccz .LBB60_157
; %bb.156:
	v_min_f32_e32 v20, 0, v17
	v_lshl_add_u64 v[18:19], v[4:5], 2, v[12:13]
	global_store_dword v[18:19], v20, off
	s_mov_b64 s[2:3], 0
.LBB60_157:
	v_lshl_add_u64 v[14:15], v[14:15], 2, s[10:11]
	s_andn2_b64 vcc, exec, s[2:3]
	v_mov_b32_e32 v18, 0
	s_cbranch_vccnz .LBB60_159
; %bb.158:
	v_lshl_add_u64 v[18:19], v[14:15], 0, v[8:9]
	global_load_dword v20, v[18:19], off
	v_lshl_add_u64 v[18:19], v[12:13], 0, v[8:9]
	s_waitcnt vmcnt(0)
	v_mul_f32_e32 v20, s17, v20
	v_min_f32_e32 v17, v20, v17
	global_store_dword v[18:19], v17, off
	v_lshl_add_u64 v[18:19], v[0:1], 2, v[14:15]
	global_load_dword v17, v[18:19], off
	s_waitcnt vmcnt(0)
	v_mul_f32_e32 v18, s17, v17
.LBB60_159:
	v_max_f32_e32 v17, v46, v46
	v_max_f32_e32 v18, v18, v18
	v_min_f32_e32 v17, v18, v17
	v_lshl_add_u64 v[18:19], v[0:1], 2, v[12:13]
	global_store_dword v[18:19], v17, off
	s_mov_b64 s[2:3], -1
	v_max_f32_e32 v17, v45, v45
	s_mov_b64 vcc, s[8:9]
	s_cbranch_vccz .LBB60_161
; %bb.160:
	v_min_f32_e32 v20, 0, v17
	v_lshl_add_u64 v[18:19], v[6:7], 2, v[12:13]
	global_store_dword v[18:19], v20, off
	s_mov_b64 s[2:3], 0
.LBB60_161:
	s_andn2_b64 vcc, exec, s[2:3]
	v_mov_b32_e32 v18, 0
	s_cbranch_vccnz .LBB60_163
; %bb.162:
	v_lshl_add_u64 v[18:19], v[14:15], 0, v[10:11]
	global_load_dword v20, v[18:19], off
	v_lshl_add_u64 v[18:19], v[12:13], 0, v[10:11]
	v_lshl_add_u64 v[14:15], v[2:3], 2, v[14:15]
	s_waitcnt vmcnt(0)
	v_mul_f32_e32 v20, s17, v20
	v_min_f32_e32 v17, v20, v17
	global_store_dword v[18:19], v17, off
	global_load_dword v14, v[14:15], off
	s_waitcnt vmcnt(0)
	v_mul_f32_e32 v18, s17, v14
.LBB60_163:
	v_max_f32_e32 v14, v44, v44
	v_max_f32_e32 v15, v18, v18
	v_min_f32_e32 v14, v15, v14
	v_lshl_add_u64 v[12:13], v[2:3], 2, v[12:13]
	global_store_dword v[12:13], v14, off
	v_add_u32_e32 v14, 0x78, v16
	v_mad_i64_i32 v[12:13], s[2:3], v14, s5, 0
	v_lshl_add_u64 v[12:13], v[12:13], 2, s[0:1]
	v_mad_i64_i32 v[14:15], s[0:1], v14, s4, 0
	s_mov_b64 s[0:1], -1
	v_max_f32_e32 v16, v43, v43
	s_mov_b64 vcc, s[8:9]
	s_cbranch_vccz .LBB60_165
; %bb.164:
	v_min_f32_e32 v17, 0, v16
	v_lshl_add_u64 v[4:5], v[4:5], 2, v[12:13]
	global_store_dword v[4:5], v17, off
	s_mov_b64 s[0:1], 0
.LBB60_165:
	v_lshl_add_u64 v[4:5], v[14:15], 2, s[10:11]
	s_andn2_b64 vcc, exec, s[0:1]
	v_mov_b32_e32 v14, 0
	s_cbranch_vccnz .LBB60_167
; %bb.166:
	v_lshl_add_u64 v[14:15], v[4:5], 0, v[8:9]
	global_load_dword v14, v[14:15], off
	v_lshl_add_u64 v[8:9], v[12:13], 0, v[8:9]
	s_waitcnt vmcnt(0)
	v_mul_f32_e32 v14, s17, v14
	v_min_f32_e32 v14, v14, v16
	global_store_dword v[8:9], v14, off
	v_lshl_add_u64 v[8:9], v[0:1], 2, v[4:5]
	global_load_dword v8, v[8:9], off
	s_waitcnt vmcnt(0)
	v_mul_f32_e32 v14, s17, v8
.LBB60_167:
	v_max_f32_e32 v8, v42, v42
	v_max_f32_e32 v9, v14, v14
	v_min_f32_e32 v8, v9, v8
	v_lshl_add_u64 v[0:1], v[0:1], 2, v[12:13]
	global_store_dword v[0:1], v8, off
	s_mov_b64 s[0:1], -1
	v_max_f32_e32 v0, v41, v41
	s_mov_b64 vcc, s[8:9]
	s_cbranch_vccz .LBB60_169
; %bb.168:
	v_min_f32_e32 v1, 0, v0
	v_lshl_add_u64 v[6:7], v[6:7], 2, v[12:13]
	global_store_dword v[6:7], v1, off
	s_mov_b64 s[0:1], 0
.LBB60_169:
	s_andn2_b64 vcc, exec, s[0:1]
	v_mov_b32_e32 v1, 0
	s_cbranch_vccnz .LBB60_171
; %bb.170:
	v_lshl_add_u64 v[6:7], v[4:5], 0, v[10:11]
	global_load_dword v1, v[6:7], off
	v_lshl_add_u64 v[6:7], v[12:13], 0, v[10:11]
	s_waitcnt vmcnt(0)
	v_mul_f32_e32 v1, s17, v1
	v_min_f32_e32 v0, v1, v0
	global_store_dword v[6:7], v0, off
	v_lshl_add_u64 v[0:1], v[2:3], 2, v[4:5]
	global_load_dword v0, v[0:1], off
	s_waitcnt vmcnt(0)
	v_mul_f32_e32 v1, s17, v0
.LBB60_171:
	v_max_f32_e32 v0, v40, v40
	v_max_f32_e32 v1, v1, v1
	v_min_f32_e32 v4, v1, v0
	v_lshl_add_u64 v[0:1], v[2:3], 2, v[12:13]
	global_store_dword v[0:1], v4, off
	s_endpgm
	.section	.rodata,"a",@progbits
	.p2align	6, 0x0
	.amdhsa_kernel _ZN12_GLOBAL__N_120geam_min_plus_kernelIf15HIP_vector_typeIfLj2EEfLi32ELi8ELi128ELi128ELi4ELi4ELi64ELi4ELi64ELc84ELc78ELb0ELb0ELb1EPKfS3_fEEviiiT16_PT17_ilS7_ilS5_S7_ilPT18_ili26rocblas_geam_ex_operation_
		.amdhsa_group_segment_fixed_size 8192
		.amdhsa_private_segment_fixed_size 0
		.amdhsa_kernarg_size 136
		.amdhsa_user_sgpr_count 2
		.amdhsa_user_sgpr_dispatch_ptr 0
		.amdhsa_user_sgpr_queue_ptr 0
		.amdhsa_user_sgpr_kernarg_segment_ptr 1
		.amdhsa_user_sgpr_dispatch_id 0
		.amdhsa_user_sgpr_kernarg_preload_length 0
		.amdhsa_user_sgpr_kernarg_preload_offset 0
		.amdhsa_user_sgpr_private_segment_size 0
		.amdhsa_uses_dynamic_stack 0
		.amdhsa_enable_private_segment 0
		.amdhsa_system_sgpr_workgroup_id_x 1
		.amdhsa_system_sgpr_workgroup_id_y 0
		.amdhsa_system_sgpr_workgroup_id_z 1
		.amdhsa_system_sgpr_workgroup_info 0
		.amdhsa_system_vgpr_workitem_id 1
		.amdhsa_next_free_vgpr 138
		.amdhsa_next_free_sgpr 27
		.amdhsa_accum_offset 140
		.amdhsa_reserve_vcc 1
		.amdhsa_float_round_mode_32 0
		.amdhsa_float_round_mode_16_64 0
		.amdhsa_float_denorm_mode_32 3
		.amdhsa_float_denorm_mode_16_64 3
		.amdhsa_dx10_clamp 1
		.amdhsa_ieee_mode 1
		.amdhsa_fp16_overflow 0
		.amdhsa_tg_split 0
		.amdhsa_exception_fp_ieee_invalid_op 0
		.amdhsa_exception_fp_denorm_src 0
		.amdhsa_exception_fp_ieee_div_zero 0
		.amdhsa_exception_fp_ieee_overflow 0
		.amdhsa_exception_fp_ieee_underflow 0
		.amdhsa_exception_fp_ieee_inexact 0
		.amdhsa_exception_int_div_zero 0
	.end_amdhsa_kernel
	.section	.text._ZN12_GLOBAL__N_120geam_min_plus_kernelIf15HIP_vector_typeIfLj2EEfLi32ELi8ELi128ELi128ELi4ELi4ELi64ELi4ELi64ELc84ELc78ELb0ELb0ELb1EPKfS3_fEEviiiT16_PT17_ilS7_ilS5_S7_ilPT18_ili26rocblas_geam_ex_operation_,"axG",@progbits,_ZN12_GLOBAL__N_120geam_min_plus_kernelIf15HIP_vector_typeIfLj2EEfLi32ELi8ELi128ELi128ELi4ELi4ELi64ELi4ELi64ELc84ELc78ELb0ELb0ELb1EPKfS3_fEEviiiT16_PT17_ilS7_ilS5_S7_ilPT18_ili26rocblas_geam_ex_operation_,comdat
.Lfunc_end60:
	.size	_ZN12_GLOBAL__N_120geam_min_plus_kernelIf15HIP_vector_typeIfLj2EEfLi32ELi8ELi128ELi128ELi4ELi4ELi64ELi4ELi64ELc84ELc78ELb0ELb0ELb1EPKfS3_fEEviiiT16_PT17_ilS7_ilS5_S7_ilPT18_ili26rocblas_geam_ex_operation_, .Lfunc_end60-_ZN12_GLOBAL__N_120geam_min_plus_kernelIf15HIP_vector_typeIfLj2EEfLi32ELi8ELi128ELi128ELi4ELi4ELi64ELi4ELi64ELc84ELc78ELb0ELb0ELb1EPKfS3_fEEviiiT16_PT17_ilS7_ilS5_S7_ilPT18_ili26rocblas_geam_ex_operation_
                                        ; -- End function
	.set _ZN12_GLOBAL__N_120geam_min_plus_kernelIf15HIP_vector_typeIfLj2EEfLi32ELi8ELi128ELi128ELi4ELi4ELi64ELi4ELi64ELc84ELc78ELb0ELb0ELb1EPKfS3_fEEviiiT16_PT17_ilS7_ilS5_S7_ilPT18_ili26rocblas_geam_ex_operation_.num_vgpr, 138
	.set _ZN12_GLOBAL__N_120geam_min_plus_kernelIf15HIP_vector_typeIfLj2EEfLi32ELi8ELi128ELi128ELi4ELi4ELi64ELi4ELi64ELc84ELc78ELb0ELb0ELb1EPKfS3_fEEviiiT16_PT17_ilS7_ilS5_S7_ilPT18_ili26rocblas_geam_ex_operation_.num_agpr, 0
	.set _ZN12_GLOBAL__N_120geam_min_plus_kernelIf15HIP_vector_typeIfLj2EEfLi32ELi8ELi128ELi128ELi4ELi4ELi64ELi4ELi64ELc84ELc78ELb0ELb0ELb1EPKfS3_fEEviiiT16_PT17_ilS7_ilS5_S7_ilPT18_ili26rocblas_geam_ex_operation_.numbered_sgpr, 27
	.set _ZN12_GLOBAL__N_120geam_min_plus_kernelIf15HIP_vector_typeIfLj2EEfLi32ELi8ELi128ELi128ELi4ELi4ELi64ELi4ELi64ELc84ELc78ELb0ELb0ELb1EPKfS3_fEEviiiT16_PT17_ilS7_ilS5_S7_ilPT18_ili26rocblas_geam_ex_operation_.num_named_barrier, 0
	.set _ZN12_GLOBAL__N_120geam_min_plus_kernelIf15HIP_vector_typeIfLj2EEfLi32ELi8ELi128ELi128ELi4ELi4ELi64ELi4ELi64ELc84ELc78ELb0ELb0ELb1EPKfS3_fEEviiiT16_PT17_ilS7_ilS5_S7_ilPT18_ili26rocblas_geam_ex_operation_.private_seg_size, 0
	.set _ZN12_GLOBAL__N_120geam_min_plus_kernelIf15HIP_vector_typeIfLj2EEfLi32ELi8ELi128ELi128ELi4ELi4ELi64ELi4ELi64ELc84ELc78ELb0ELb0ELb1EPKfS3_fEEviiiT16_PT17_ilS7_ilS5_S7_ilPT18_ili26rocblas_geam_ex_operation_.uses_vcc, 1
	.set _ZN12_GLOBAL__N_120geam_min_plus_kernelIf15HIP_vector_typeIfLj2EEfLi32ELi8ELi128ELi128ELi4ELi4ELi64ELi4ELi64ELc84ELc78ELb0ELb0ELb1EPKfS3_fEEviiiT16_PT17_ilS7_ilS5_S7_ilPT18_ili26rocblas_geam_ex_operation_.uses_flat_scratch, 0
	.set _ZN12_GLOBAL__N_120geam_min_plus_kernelIf15HIP_vector_typeIfLj2EEfLi32ELi8ELi128ELi128ELi4ELi4ELi64ELi4ELi64ELc84ELc78ELb0ELb0ELb1EPKfS3_fEEviiiT16_PT17_ilS7_ilS5_S7_ilPT18_ili26rocblas_geam_ex_operation_.has_dyn_sized_stack, 0
	.set _ZN12_GLOBAL__N_120geam_min_plus_kernelIf15HIP_vector_typeIfLj2EEfLi32ELi8ELi128ELi128ELi4ELi4ELi64ELi4ELi64ELc84ELc78ELb0ELb0ELb1EPKfS3_fEEviiiT16_PT17_ilS7_ilS5_S7_ilPT18_ili26rocblas_geam_ex_operation_.has_recursion, 0
	.set _ZN12_GLOBAL__N_120geam_min_plus_kernelIf15HIP_vector_typeIfLj2EEfLi32ELi8ELi128ELi128ELi4ELi4ELi64ELi4ELi64ELc84ELc78ELb0ELb0ELb1EPKfS3_fEEviiiT16_PT17_ilS7_ilS5_S7_ilPT18_ili26rocblas_geam_ex_operation_.has_indirect_call, 0
	.section	.AMDGPU.csdata,"",@progbits
; Kernel info:
; codeLenInByte = 13008
; TotalNumSgprs: 33
; NumVgprs: 138
; NumAgprs: 0
; TotalNumVgprs: 138
; ScratchSize: 0
; MemoryBound: 0
; FloatMode: 240
; IeeeMode: 1
; LDSByteSize: 8192 bytes/workgroup (compile time only)
; SGPRBlocks: 4
; VGPRBlocks: 17
; NumSGPRsForWavesPerEU: 33
; NumVGPRsForWavesPerEU: 138
; AccumOffset: 140
; Occupancy: 3
; WaveLimiterHint : 0
; COMPUTE_PGM_RSRC2:SCRATCH_EN: 0
; COMPUTE_PGM_RSRC2:USER_SGPR: 2
; COMPUTE_PGM_RSRC2:TRAP_HANDLER: 0
; COMPUTE_PGM_RSRC2:TGID_X_EN: 1
; COMPUTE_PGM_RSRC2:TGID_Y_EN: 0
; COMPUTE_PGM_RSRC2:TGID_Z_EN: 1
; COMPUTE_PGM_RSRC2:TIDIG_COMP_CNT: 1
; COMPUTE_PGM_RSRC3_GFX90A:ACCUM_OFFSET: 34
; COMPUTE_PGM_RSRC3_GFX90A:TG_SPLIT: 0
	.section	.text._ZN12_GLOBAL__N_120geam_min_plus_kernelIf15HIP_vector_typeIfLj2EEfLi32ELi8ELi128ELi128ELi4ELi4ELi64ELi4ELi64ELc84ELc78ELb1ELb0ELb1EfKffEEviiiT16_PT17_ilS6_ilS4_S6_ilPT18_ili26rocblas_geam_ex_operation_,"axG",@progbits,_ZN12_GLOBAL__N_120geam_min_plus_kernelIf15HIP_vector_typeIfLj2EEfLi32ELi8ELi128ELi128ELi4ELi4ELi64ELi4ELi64ELc84ELc78ELb1ELb0ELb1EfKffEEviiiT16_PT17_ilS6_ilS4_S6_ilPT18_ili26rocblas_geam_ex_operation_,comdat
	.globl	_ZN12_GLOBAL__N_120geam_min_plus_kernelIf15HIP_vector_typeIfLj2EEfLi32ELi8ELi128ELi128ELi4ELi4ELi64ELi4ELi64ELc84ELc78ELb1ELb0ELb1EfKffEEviiiT16_PT17_ilS6_ilS4_S6_ilPT18_ili26rocblas_geam_ex_operation_ ; -- Begin function _ZN12_GLOBAL__N_120geam_min_plus_kernelIf15HIP_vector_typeIfLj2EEfLi32ELi8ELi128ELi128ELi4ELi4ELi64ELi4ELi64ELc84ELc78ELb1ELb0ELb1EfKffEEviiiT16_PT17_ilS6_ilS4_S6_ilPT18_ili26rocblas_geam_ex_operation_
	.p2align	8
	.type	_ZN12_GLOBAL__N_120geam_min_plus_kernelIf15HIP_vector_typeIfLj2EEfLi32ELi8ELi128ELi128ELi4ELi4ELi64ELi4ELi64ELc84ELc78ELb1ELb0ELb1EfKffEEviiiT16_PT17_ilS6_ilS4_S6_ilPT18_ili26rocblas_geam_ex_operation_,@function
_ZN12_GLOBAL__N_120geam_min_plus_kernelIf15HIP_vector_typeIfLj2EEfLi32ELi8ELi128ELi128ELi4ELi4ELi64ELi4ELi64ELc84ELc78ELb1ELb0ELb1EfKffEEviiiT16_PT17_ilS6_ilS4_S6_ilPT18_ili26rocblas_geam_ex_operation_: ; @_ZN12_GLOBAL__N_120geam_min_plus_kernelIf15HIP_vector_typeIfLj2EEfLi32ELi8ELi128ELi128ELi4ELi4ELi64ELi4ELi64ELc84ELc78ELb1ELb0ELb1EfKffEEviiiT16_PT17_ilS6_ilS4_S6_ilPT18_ili26rocblas_geam_ex_operation_
; %bb.0:
	s_load_dwordx2 s[18:19], s[0:1], 0x8
	s_load_dwordx4 s[4:7], s[0:1], 0x20
	s_waitcnt lgkmcnt(0)
	v_cmp_eq_f32_e64 s[8:9], s19, 0
	s_and_b64 vcc, exec, s[8:9]
	s_cbranch_vccnz .LBB61_147
; %bb.1:
	s_load_dwordx2 s[10:11], s[0:1], 0x10
	s_mul_i32 s5, s5, s3
	s_mul_hi_u32 s12, s4, s3
	s_add_i32 s5, s12, s5
	s_mul_i32 s4, s4, s3
	s_lshl_b64 s[4:5], s[4:5], 2
	s_waitcnt lgkmcnt(0)
	s_add_u32 s14, s10, s4
	s_addc_u32 s15, s11, s5
	s_andn2_b64 vcc, exec, s[8:9]
	s_mov_b64 s[4:5], -1
	s_cbranch_vccnz .LBB61_3
.LBB61_2:
	s_mov_b64 s[4:5], 0
.LBB61_3:
	s_mov_b64 s[12:13], 0
	s_andn2_b64 vcc, exec, s[4:5]
	s_mov_b64 s[16:17], 0
	s_cbranch_vccnz .LBB61_5
; %bb.4:
	s_load_dwordx2 s[4:5], s[0:1], 0x38
	s_waitcnt lgkmcnt(0)
	s_mul_i32 s5, s5, s3
	s_mul_hi_u32 s8, s4, s3
	s_add_i32 s5, s8, s5
	s_mul_i32 s4, s4, s3
	s_lshl_b64 s[4:5], s[4:5], 2
	s_add_u32 s16, s6, s4
	s_addc_u32 s17, s7, s5
.LBB61_5:
	s_load_dword s19, s[0:1], 0x40
	s_load_dwordx4 s[8:11], s[0:1], 0x58
	s_mov_b32 s20, 0
	s_waitcnt lgkmcnt(0)
	v_cmp_eq_f32_e64 s[4:5], s19, 0
	s_and_b64 s[4:5], exec, s[4:5]
	s_mov_b64 vcc, s[4:5]
	s_cbranch_vccnz .LBB61_7
; %bb.6:
	s_load_dwordx2 s[6:7], s[0:1], 0x48
	s_mul_i32 s9, s9, s3
	s_mul_hi_u32 s12, s8, s3
	s_add_i32 s9, s12, s9
	s_mul_i32 s8, s8, s3
	s_lshl_b64 s[8:9], s[8:9], 2
	s_waitcnt lgkmcnt(0)
	s_add_u32 s12, s6, s8
	s_addc_u32 s13, s7, s9
.LBB61_7:
	s_load_dword s6, s[0:1], 0x0
	s_load_dword s9, s[0:1], 0x18
	;; [unrolled: 1-line block ×3, first 2 shown]
	v_and_b32_e32 v99, 0x3ff, v0
	v_bfe_u32 v100, v0, 10, 10
	s_waitcnt lgkmcnt(0)
	s_add_i32 s6, s6, -1
	s_ashr_i32 s7, s6, 31
	s_lshr_b32 s7, s7, 25
	s_add_i32 s6, s6, s7
	s_ashr_i32 s6, s6, 7
	s_add_i32 s7, s6, 1
	v_cvt_f32_u32_e32 v1, s7
	v_and_b32_e32 v104, 3, v0
	s_not_b32 s6, s6
	v_lshl_add_u32 v3, v100, 5, v99
	v_rcp_iflag_f32_e32 v2, v1
	v_lshrrev_b32_e32 v10, 2, v3
	v_mov_b32_e32 v1, 0
	v_mov_b32_e32 v103, 0x7f7fffff
	v_mul_f32_e32 v0, 0x4f7ffffe, v2
	v_cvt_u32_f32_e32 v2, v0
	v_lshlrev_b32_e32 v0, 2, v104
	v_lshl_or_b32 v107, v10, 4, v0
	v_mov_b32_e32 v102, 0x7f7fffff
	v_readfirstlane_b32 s8, v2
	s_mul_i32 s6, s6, s8
	s_mul_hi_u32 s6, s8, s6
	s_add_i32 s8, s8, s6
	s_mul_hi_u32 s6, s2, s8
	s_mul_i32 s8, s6, s7
	s_sub_i32 s8, s2, s8
	s_add_i32 s22, s6, 1
	s_sub_i32 s23, s8, s7
	s_cmp_ge_u32 s8, s7
	s_cselect_b32 s6, s22, s6
	s_cselect_b32 s8, s23, s8
	s_add_i32 s22, s6, 1
	s_cmp_ge_u32 s8, s7
	s_cselect_b32 s6, s22, s6
	s_mul_i32 s7, s6, s7
	s_sub_i32 s2, s2, s7
	s_lshl_b32 s2, s2, 7
	s_lshl_b32 s8, s6, 7
	v_add_u32_e32 v6, s2, v10
	v_mad_i64_i32 v[20:21], s[6:7], v6, s9, 0
	v_add_u32_e32 v6, 64, v6
	v_add_u32_e32 v11, s8, v10
	v_lshl_add_u64 v[2:3], s[14:15], 0, v[0:1]
	v_mad_i64_i32 v[22:23], s[6:7], v6, s9, 0
	v_lshl_add_u64 v[6:7], s[16:17], 0, v[0:1]
	v_mad_i64_i32 v[24:25], s[6:7], v11, s21, 0
	v_add_u32_e32 v1, 64, v11
	v_lshl_add_u64 v[8:9], v[24:25], 2, v[6:7]
	v_mad_i64_i32 v[26:27], s[6:7], v1, s21, 0
	v_lshl_add_u64 v[6:7], v[26:27], 2, v[6:7]
	global_load_dword v1, v[8:9], off
	global_load_dword v11, v[6:7], off
	v_lshl_add_u64 v[4:5], v[20:21], 2, v[2:3]
	v_lshl_add_u64 v[2:3], v[22:23], 2, v[2:3]
	global_load_dword v16, v[4:5], off
	global_load_dword v17, v[2:3], off
	global_load_dword v12, v[6:7], off offset:16
	global_load_dword v13, v[8:9], off offset:16
	;; [unrolled: 1-line block ×4, first 2 shown]
	v_mov_b32_e32 v2, 0x1000
	s_mov_b64 s[6:7], -1
	v_mov_b32_e32 v101, 0x7f7fffff
	v_mov_b32_e32 v98, 0x7f7fffff
	;; [unrolled: 1-line block ×46, first 2 shown]
	v_lshl_add_u32 v105, v100, 4, v2
	v_lshlrev_b32_e32 v106, 4, v99
	v_add_u32_e32 v108, 0x1000, v107
	v_mov_b32_e32 v53, 0x7f7fffff
	v_mov_b32_e32 v52, 0x7f7fffff
	;; [unrolled: 1-line block ×16, first 2 shown]
	s_waitcnt vmcnt(6)
	ds_write2st64_b32 v107, v1, v11 offset0:16 offset1:20
	s_waitcnt vmcnt(4)
	ds_write2st64_b32 v107, v16, v17 offset1:4
	s_waitcnt lgkmcnt(0)
	s_barrier
.LBB61_8:                               ; =>This Inner Loop Header: Depth=1
	v_cndmask_b32_e64 v0, 0, 1, s[6:7]
	s_lshl_b32 s6, s20, 2
	v_cmp_ne_u32_e32 vcc, 1, v0
	v_add_u32_e32 v0, s6, v106
	ds_read2st64_b64 v[4:7], v0 offset1:1
	ds_read2st64_b64 v[0:3], v0 offset0:2 offset1:3
	v_add_u32_e32 v8, s6, v105
	ds_read2_b64 v[16:19], v8 offset1:16
	ds_read2_b64 v[28:31], v8 offset0:32 offset1:48
	ds_read2_b64 v[32:35], v8 offset0:64 offset1:80
	;; [unrolled: 1-line block ×7, first 2 shown]
	s_mov_b64 s[6:7], 0
	s_waitcnt lgkmcnt(7)
	v_pk_add_f32 v[36:37], v[4:5], v[16:17]
	s_and_b64 vcc, exec, vcc
	v_min3_f32 v103, v36, v37, v103
	v_pk_add_f32 v[36:37], v[6:7], v[16:17]
	s_mov_b32 s20, 2
	v_min3_f32 v102, v36, v37, v102
	v_pk_add_f32 v[36:37], v[0:1], v[16:17]
	v_pk_add_f32 v[16:17], v[2:3], v[16:17]
	v_min3_f32 v101, v36, v37, v101
	v_min3_f32 v98, v16, v17, v98
	v_pk_add_f32 v[16:17], v[4:5], v[18:19]
	s_nop 0
	v_min3_f32 v97, v16, v17, v97
	v_pk_add_f32 v[16:17], v[6:7], v[18:19]
	s_nop 0
	v_min3_f32 v96, v16, v17, v96
	v_pk_add_f32 v[16:17], v[0:1], v[18:19]
	s_nop 0
	v_min3_f32 v95, v16, v17, v95
	v_pk_add_f32 v[16:17], v[2:3], v[18:19]
	s_nop 0
	v_min3_f32 v94, v16, v17, v94
	s_waitcnt lgkmcnt(6)
	v_pk_add_f32 v[16:17], v[4:5], v[28:29]
	s_nop 0
	v_min3_f32 v93, v16, v17, v93
	v_pk_add_f32 v[16:17], v[6:7], v[28:29]
	s_nop 0
	v_min3_f32 v92, v16, v17, v92
	v_pk_add_f32 v[16:17], v[0:1], v[28:29]
	s_nop 0
	v_min3_f32 v91, v16, v17, v91
	v_pk_add_f32 v[16:17], v[2:3], v[28:29]
	s_nop 0
	v_min3_f32 v90, v16, v17, v90
	v_pk_add_f32 v[16:17], v[4:5], v[30:31]
	s_nop 0
	v_min3_f32 v89, v16, v17, v89
	v_pk_add_f32 v[16:17], v[6:7], v[30:31]
	s_nop 0
	v_min3_f32 v88, v16, v17, v88
	v_pk_add_f32 v[16:17], v[0:1], v[30:31]
	s_nop 0
	v_min3_f32 v87, v16, v17, v87
	v_pk_add_f32 v[16:17], v[2:3], v[30:31]
	s_nop 0
	v_min3_f32 v86, v16, v17, v86
	s_waitcnt lgkmcnt(5)
	v_pk_add_f32 v[16:17], v[4:5], v[32:33]
	s_nop 0
	v_min3_f32 v85, v16, v17, v85
	v_pk_add_f32 v[16:17], v[6:7], v[32:33]
	s_nop 0
	v_min3_f32 v84, v16, v17, v84
	v_pk_add_f32 v[16:17], v[0:1], v[32:33]
	s_nop 0
	v_min3_f32 v83, v16, v17, v83
	v_pk_add_f32 v[16:17], v[2:3], v[32:33]
	s_nop 0
	;; [unrolled: 25-line block ×6, first 2 shown]
	v_min3_f32 v50, v16, v17, v50
	v_pk_add_f32 v[16:17], v[4:5], v[124:125]
	s_nop 0
	v_min3_f32 v49, v16, v17, v49
	v_pk_add_f32 v[16:17], v[6:7], v[124:125]
	s_nop 0
	;; [unrolled: 3-line block ×4, first 2 shown]
	v_min3_f32 v46, v16, v17, v46
	s_waitcnt lgkmcnt(0)
	v_pk_add_f32 v[16:17], v[4:5], v[8:9]
	v_pk_add_f32 v[4:5], v[4:5], v[10:11]
	v_min3_f32 v45, v16, v17, v45
	v_pk_add_f32 v[16:17], v[6:7], v[8:9]
	v_min3_f32 v41, v4, v5, v41
	v_min3_f32 v44, v16, v17, v44
	v_pk_add_f32 v[16:17], v[0:1], v[8:9]
	v_pk_add_f32 v[0:1], v[0:1], v[10:11]
	;; [unrolled: 1-line block ×4, first 2 shown]
	v_min3_f32 v39, v0, v1, v39
	v_pk_add_f32 v[0:1], v[2:3], v[10:11]
	v_min3_f32 v43, v16, v17, v43
	v_min3_f32 v42, v8, v9, v42
	;; [unrolled: 1-line block ×4, first 2 shown]
	s_cbranch_vccz .LBB61_8
; %bb.9:
	s_cmp_lt_i32 s18, 9
	s_waitcnt vmcnt(0)
	ds_write2st64_b32 v107, v15, v14 offset0:8 offset1:12
	ds_write2st64_b32 v107, v13, v12 offset0:24 offset1:28
	s_waitcnt lgkmcnt(0)
	s_barrier
	s_cbranch_scc1 .LBB61_16
; %bb.10:
	v_mov_b32_e32 v0, 0x800
	v_lshl_add_u32 v111, v99, 4, v0
	v_mov_b32_e32 v0, 0x1800
	v_add_u32_e32 v109, 0x800, v107
	v_add_u32_e32 v110, 0x1800, v107
	s_add_i32 s9, s18, -8
	v_lshl_add_u32 v112, v100, 4, v0
	s_mov_b32 s18, 8
	s_mov_b32 s20, 0
	v_mov_b32_e32 v29, 0
.LBB61_11:                              ; =>This Loop Header: Depth=1
                                        ;     Child Loop BB61_12 Depth 2
                                        ;     Child Loop BB61_14 Depth 2
	v_or_b32_e32 v28, s18, v104
	v_lshlrev_b64 v[0:1], 2, v[28:29]
	v_lshl_add_u64 v[2:3], s[14:15], 0, v[0:1]
	v_lshl_add_u64 v[0:1], s[16:17], 0, v[0:1]
	;; [unrolled: 1-line block ×5, first 2 shown]
	global_load_dword v28, v[30:31], off
	global_load_dword v113, v[32:33], off
	v_lshl_add_u64 v[36:37], v[26:27], 2, v[0:1]
	global_load_dword v114, v[34:35], off
	global_load_dword v115, v[36:37], off
	s_mov_b64 s[6:7], -1
	s_mov_b32 s21, 0
.LBB61_12:                              ;   Parent Loop BB61_11 Depth=1
                                        ; =>  This Inner Loop Header: Depth=2
	v_cndmask_b32_e64 v0, 0, 1, s[6:7]
	s_lshl_b32 s6, s21, 2
	v_cmp_ne_u32_e32 vcc, 1, v0
	v_add_u32_e32 v0, s6, v111
	ds_read2st64_b64 v[4:7], v0 offset1:1
	ds_read2st64_b64 v[0:3], v0 offset0:2 offset1:3
	v_add_u32_e32 v8, s6, v112
	ds_read2_b64 v[116:119], v8 offset1:16
	ds_read2_b64 v[120:123], v8 offset0:32 offset1:48
	ds_read2_b64 v[124:127], v8 offset0:64 offset1:80
	;; [unrolled: 1-line block ×7, first 2 shown]
	s_mov_b64 s[6:7], 0
	s_waitcnt lgkmcnt(7)
	v_pk_add_f32 v[136:137], v[4:5], v[116:117]
	s_and_b64 vcc, exec, vcc
	v_min3_f32 v103, v136, v137, v103
	v_pk_add_f32 v[136:137], v[6:7], v[116:117]
	s_mov_b32 s21, 2
	v_min3_f32 v102, v136, v137, v102
	v_pk_add_f32 v[136:137], v[0:1], v[116:117]
	v_pk_add_f32 v[116:117], v[2:3], v[116:117]
	v_min3_f32 v101, v136, v137, v101
	v_min3_f32 v98, v116, v117, v98
	v_pk_add_f32 v[116:117], v[4:5], v[118:119]
	s_nop 0
	v_min3_f32 v97, v116, v117, v97
	v_pk_add_f32 v[116:117], v[6:7], v[118:119]
	s_nop 0
	v_min3_f32 v96, v116, v117, v96
	v_pk_add_f32 v[116:117], v[0:1], v[118:119]
	s_nop 0
	v_min3_f32 v95, v116, v117, v95
	v_pk_add_f32 v[116:117], v[2:3], v[118:119]
	s_nop 0
	v_min3_f32 v94, v116, v117, v94
	s_waitcnt lgkmcnt(6)
	v_pk_add_f32 v[116:117], v[4:5], v[120:121]
	s_nop 0
	v_min3_f32 v93, v116, v117, v93
	v_pk_add_f32 v[116:117], v[6:7], v[120:121]
	s_nop 0
	v_min3_f32 v92, v116, v117, v92
	v_pk_add_f32 v[116:117], v[0:1], v[120:121]
	s_nop 0
	v_min3_f32 v91, v116, v117, v91
	v_pk_add_f32 v[116:117], v[2:3], v[120:121]
	s_nop 0
	v_min3_f32 v90, v116, v117, v90
	v_pk_add_f32 v[116:117], v[4:5], v[122:123]
	s_nop 0
	v_min3_f32 v89, v116, v117, v89
	v_pk_add_f32 v[116:117], v[6:7], v[122:123]
	s_nop 0
	v_min3_f32 v88, v116, v117, v88
	v_pk_add_f32 v[116:117], v[0:1], v[122:123]
	s_nop 0
	v_min3_f32 v87, v116, v117, v87
	v_pk_add_f32 v[116:117], v[2:3], v[122:123]
	s_nop 0
	v_min3_f32 v86, v116, v117, v86
	s_waitcnt lgkmcnt(5)
	v_pk_add_f32 v[116:117], v[4:5], v[124:125]
	s_nop 0
	v_min3_f32 v85, v116, v117, v85
	v_pk_add_f32 v[116:117], v[6:7], v[124:125]
	s_nop 0
	v_min3_f32 v84, v116, v117, v84
	v_pk_add_f32 v[116:117], v[0:1], v[124:125]
	s_nop 0
	v_min3_f32 v83, v116, v117, v83
	v_pk_add_f32 v[116:117], v[2:3], v[124:125]
	s_nop 0
	;; [unrolled: 25-line block ×4, first 2 shown]
	v_min3_f32 v66, v116, v117, v66
	v_pk_add_f32 v[116:117], v[4:5], v[134:135]
	s_nop 0
	v_min3_f32 v65, v116, v117, v65
	v_pk_add_f32 v[116:117], v[6:7], v[134:135]
	s_nop 0
	;; [unrolled: 3-line block ×4, first 2 shown]
	v_min3_f32 v62, v116, v117, v62
	s_waitcnt lgkmcnt(2)
	v_pk_add_f32 v[116:117], v[4:5], v[16:17]
	s_nop 0
	v_min3_f32 v61, v116, v117, v61
	v_pk_add_f32 v[116:117], v[6:7], v[16:17]
	s_nop 0
	v_min3_f32 v60, v116, v117, v60
	v_pk_add_f32 v[116:117], v[0:1], v[16:17]
	v_pk_add_f32 v[16:17], v[2:3], v[16:17]
	v_min3_f32 v59, v116, v117, v59
	v_min3_f32 v58, v16, v17, v58
	v_pk_add_f32 v[16:17], v[4:5], v[18:19]
	s_nop 0
	v_min3_f32 v57, v16, v17, v57
	v_pk_add_f32 v[16:17], v[6:7], v[18:19]
	s_nop 0
	;; [unrolled: 3-line block ×4, first 2 shown]
	v_min3_f32 v54, v16, v17, v54
	s_waitcnt lgkmcnt(1)
	v_pk_add_f32 v[16:17], v[4:5], v[12:13]
	s_nop 0
	v_min3_f32 v53, v16, v17, v53
	v_pk_add_f32 v[16:17], v[6:7], v[12:13]
	s_nop 0
	v_min3_f32 v52, v16, v17, v52
	v_pk_add_f32 v[16:17], v[0:1], v[12:13]
	v_pk_add_f32 v[12:13], v[2:3], v[12:13]
	v_min3_f32 v51, v16, v17, v51
	v_min3_f32 v50, v12, v13, v50
	v_pk_add_f32 v[12:13], v[4:5], v[14:15]
	s_nop 0
	v_min3_f32 v49, v12, v13, v49
	v_pk_add_f32 v[12:13], v[6:7], v[14:15]
	s_nop 0
	;; [unrolled: 3-line block ×4, first 2 shown]
	v_min3_f32 v46, v12, v13, v46
	s_waitcnt lgkmcnt(0)
	v_pk_add_f32 v[12:13], v[4:5], v[8:9]
	v_pk_add_f32 v[4:5], v[4:5], v[10:11]
	v_min3_f32 v45, v12, v13, v45
	v_pk_add_f32 v[12:13], v[6:7], v[8:9]
	v_min3_f32 v41, v4, v5, v41
	v_min3_f32 v44, v12, v13, v44
	v_pk_add_f32 v[12:13], v[0:1], v[8:9]
	v_pk_add_f32 v[0:1], v[0:1], v[10:11]
	;; [unrolled: 1-line block ×4, first 2 shown]
	v_min3_f32 v39, v0, v1, v39
	v_pk_add_f32 v[0:1], v[2:3], v[10:11]
	v_min3_f32 v43, v12, v13, v43
	v_min3_f32 v42, v8, v9, v42
	;; [unrolled: 1-line block ×4, first 2 shown]
	s_cbranch_vccz .LBB61_12
; %bb.13:                               ;   in Loop: Header=BB61_11 Depth=1
	s_waitcnt vmcnt(2)
	ds_write2st64_b32 v107, v28, v113 offset1:4
	s_waitcnt vmcnt(0)
	ds_write2st64_b32 v108, v114, v115 offset1:4
	s_waitcnt lgkmcnt(0)
	s_barrier
	global_load_dword v12, v[30:31], off offset:16
	global_load_dword v13, v[32:33], off offset:16
	;; [unrolled: 1-line block ×4, first 2 shown]
	s_mov_b32 s21, 0
	s_mov_b64 s[6:7], -1
.LBB61_14:                              ;   Parent Loop BB61_11 Depth=1
                                        ; =>  This Inner Loop Header: Depth=2
	v_cndmask_b32_e64 v0, 0, 1, s[6:7]
	s_lshl_b32 s6, s21, 2
	v_cmp_ne_u32_e32 vcc, 1, v0
	v_add_u32_e32 v0, s6, v106
	ds_read2st64_b64 v[4:7], v0 offset1:1
	ds_read2st64_b64 v[0:3], v0 offset0:2 offset1:3
	v_add_u32_e32 v8, s6, v105
	ds_read2_b64 v[16:19], v8 offset1:16
	ds_read2_b64 v[30:33], v8 offset0:32 offset1:48
	ds_read2_b64 v[34:37], v8 offset0:64 offset1:80
	;; [unrolled: 1-line block ×7, first 2 shown]
	s_mov_b64 s[6:7], 0
	s_waitcnt lgkmcnt(7)
	v_pk_add_f32 v[130:131], v[4:5], v[16:17]
	s_and_b64 vcc, exec, vcc
	v_min3_f32 v103, v130, v131, v103
	v_pk_add_f32 v[130:131], v[6:7], v[16:17]
	s_mov_b32 s21, 2
	v_min3_f32 v102, v130, v131, v102
	v_pk_add_f32 v[130:131], v[0:1], v[16:17]
	v_pk_add_f32 v[16:17], v[2:3], v[16:17]
	v_min3_f32 v101, v130, v131, v101
	v_min3_f32 v98, v16, v17, v98
	v_pk_add_f32 v[16:17], v[4:5], v[18:19]
	s_nop 0
	v_min3_f32 v97, v16, v17, v97
	v_pk_add_f32 v[16:17], v[6:7], v[18:19]
	s_nop 0
	v_min3_f32 v96, v16, v17, v96
	v_pk_add_f32 v[16:17], v[0:1], v[18:19]
	s_nop 0
	v_min3_f32 v95, v16, v17, v95
	v_pk_add_f32 v[16:17], v[2:3], v[18:19]
	s_nop 0
	v_min3_f32 v94, v16, v17, v94
	s_waitcnt lgkmcnt(6)
	v_pk_add_f32 v[16:17], v[4:5], v[30:31]
	s_nop 0
	v_min3_f32 v93, v16, v17, v93
	v_pk_add_f32 v[16:17], v[6:7], v[30:31]
	s_nop 0
	v_min3_f32 v92, v16, v17, v92
	v_pk_add_f32 v[16:17], v[0:1], v[30:31]
	s_nop 0
	v_min3_f32 v91, v16, v17, v91
	v_pk_add_f32 v[16:17], v[2:3], v[30:31]
	s_nop 0
	v_min3_f32 v90, v16, v17, v90
	v_pk_add_f32 v[16:17], v[4:5], v[32:33]
	s_nop 0
	v_min3_f32 v89, v16, v17, v89
	v_pk_add_f32 v[16:17], v[6:7], v[32:33]
	s_nop 0
	v_min3_f32 v88, v16, v17, v88
	v_pk_add_f32 v[16:17], v[0:1], v[32:33]
	s_nop 0
	v_min3_f32 v87, v16, v17, v87
	v_pk_add_f32 v[16:17], v[2:3], v[32:33]
	s_nop 0
	v_min3_f32 v86, v16, v17, v86
	s_waitcnt lgkmcnt(5)
	v_pk_add_f32 v[16:17], v[4:5], v[34:35]
	s_nop 0
	v_min3_f32 v85, v16, v17, v85
	v_pk_add_f32 v[16:17], v[6:7], v[34:35]
	s_nop 0
	v_min3_f32 v84, v16, v17, v84
	v_pk_add_f32 v[16:17], v[0:1], v[34:35]
	s_nop 0
	v_min3_f32 v83, v16, v17, v83
	v_pk_add_f32 v[16:17], v[2:3], v[34:35]
	s_nop 0
	v_min3_f32 v82, v16, v17, v82
	v_pk_add_f32 v[16:17], v[4:5], v[36:37]
	s_nop 0
	v_min3_f32 v81, v16, v17, v81
	v_pk_add_f32 v[16:17], v[6:7], v[36:37]
	s_nop 0
	v_min3_f32 v80, v16, v17, v80
	v_pk_add_f32 v[16:17], v[0:1], v[36:37]
	s_nop 0
	v_min3_f32 v79, v16, v17, v79
	v_pk_add_f32 v[16:17], v[2:3], v[36:37]
	s_nop 0
	v_min3_f32 v78, v16, v17, v78
	s_waitcnt lgkmcnt(4)
	v_pk_add_f32 v[16:17], v[4:5], v[114:115]
	s_nop 0
	v_min3_f32 v77, v16, v17, v77
	v_pk_add_f32 v[16:17], v[6:7], v[114:115]
	s_nop 0
	v_min3_f32 v76, v16, v17, v76
	v_pk_add_f32 v[16:17], v[0:1], v[114:115]
	s_nop 0
	v_min3_f32 v75, v16, v17, v75
	v_pk_add_f32 v[16:17], v[2:3], v[114:115]
	s_nop 0
	v_min3_f32 v74, v16, v17, v74
	v_pk_add_f32 v[16:17], v[4:5], v[116:117]
	s_nop 0
	v_min3_f32 v73, v16, v17, v73
	v_pk_add_f32 v[16:17], v[6:7], v[116:117]
	s_nop 0
	v_min3_f32 v72, v16, v17, v72
	v_pk_add_f32 v[16:17], v[0:1], v[116:117]
	s_nop 0
	v_min3_f32 v71, v16, v17, v71
	v_pk_add_f32 v[16:17], v[2:3], v[116:117]
	s_nop 0
	v_min3_f32 v70, v16, v17, v70
	s_waitcnt lgkmcnt(3)
	v_pk_add_f32 v[16:17], v[4:5], v[118:119]
	s_nop 0
	v_min3_f32 v69, v16, v17, v69
	v_pk_add_f32 v[16:17], v[6:7], v[118:119]
	s_nop 0
	v_min3_f32 v68, v16, v17, v68
	v_pk_add_f32 v[16:17], v[0:1], v[118:119]
	s_nop 0
	v_min3_f32 v67, v16, v17, v67
	v_pk_add_f32 v[16:17], v[2:3], v[118:119]
	s_nop 0
	v_min3_f32 v66, v16, v17, v66
	v_pk_add_f32 v[16:17], v[4:5], v[120:121]
	s_nop 0
	v_min3_f32 v65, v16, v17, v65
	v_pk_add_f32 v[16:17], v[6:7], v[120:121]
	s_nop 0
	v_min3_f32 v64, v16, v17, v64
	v_pk_add_f32 v[16:17], v[0:1], v[120:121]
	s_nop 0
	v_min3_f32 v63, v16, v17, v63
	v_pk_add_f32 v[16:17], v[2:3], v[120:121]
	s_nop 0
	v_min3_f32 v62, v16, v17, v62
	s_waitcnt lgkmcnt(2)
	v_pk_add_f32 v[16:17], v[4:5], v[122:123]
	s_nop 0
	v_min3_f32 v61, v16, v17, v61
	v_pk_add_f32 v[16:17], v[6:7], v[122:123]
	s_nop 0
	v_min3_f32 v60, v16, v17, v60
	v_pk_add_f32 v[16:17], v[0:1], v[122:123]
	s_nop 0
	v_min3_f32 v59, v16, v17, v59
	v_pk_add_f32 v[16:17], v[2:3], v[122:123]
	s_nop 0
	v_min3_f32 v58, v16, v17, v58
	v_pk_add_f32 v[16:17], v[4:5], v[124:125]
	s_nop 0
	v_min3_f32 v57, v16, v17, v57
	v_pk_add_f32 v[16:17], v[6:7], v[124:125]
	s_nop 0
	v_min3_f32 v56, v16, v17, v56
	v_pk_add_f32 v[16:17], v[0:1], v[124:125]
	s_nop 0
	v_min3_f32 v55, v16, v17, v55
	v_pk_add_f32 v[16:17], v[2:3], v[124:125]
	s_nop 0
	v_min3_f32 v54, v16, v17, v54
	s_waitcnt lgkmcnt(1)
	v_pk_add_f32 v[16:17], v[4:5], v[126:127]
	s_nop 0
	v_min3_f32 v53, v16, v17, v53
	v_pk_add_f32 v[16:17], v[6:7], v[126:127]
	s_nop 0
	v_min3_f32 v52, v16, v17, v52
	v_pk_add_f32 v[16:17], v[0:1], v[126:127]
	s_nop 0
	v_min3_f32 v51, v16, v17, v51
	v_pk_add_f32 v[16:17], v[2:3], v[126:127]
	s_nop 0
	v_min3_f32 v50, v16, v17, v50
	v_pk_add_f32 v[16:17], v[4:5], v[128:129]
	s_nop 0
	v_min3_f32 v49, v16, v17, v49
	v_pk_add_f32 v[16:17], v[6:7], v[128:129]
	s_nop 0
	;; [unrolled: 3-line block ×4, first 2 shown]
	v_min3_f32 v46, v16, v17, v46
	s_waitcnt lgkmcnt(0)
	v_pk_add_f32 v[16:17], v[4:5], v[8:9]
	v_pk_add_f32 v[4:5], v[4:5], v[10:11]
	v_min3_f32 v45, v16, v17, v45
	v_pk_add_f32 v[16:17], v[6:7], v[8:9]
	v_min3_f32 v41, v4, v5, v41
	v_min3_f32 v44, v16, v17, v44
	v_pk_add_f32 v[16:17], v[0:1], v[8:9]
	v_pk_add_f32 v[0:1], v[0:1], v[10:11]
	;; [unrolled: 1-line block ×4, first 2 shown]
	v_min3_f32 v39, v0, v1, v39
	v_pk_add_f32 v[0:1], v[2:3], v[10:11]
	v_min3_f32 v43, v16, v17, v43
	v_min3_f32 v42, v8, v9, v42
	v_min3_f32 v40, v4, v5, v40
	v_min3_f32 v38, v0, v1, v38
	s_cbranch_vccz .LBB61_14
; %bb.15:                               ;   in Loop: Header=BB61_11 Depth=1
	s_add_i32 s18, s18, 8
	s_add_i32 s20, s20, 8
	s_cmp_ge_i32 s20, s9
	s_waitcnt vmcnt(2)
	ds_write2st64_b32 v109, v12, v13 offset1:4
	s_waitcnt vmcnt(0)
	ds_write2st64_b32 v110, v14, v15 offset1:4
	s_waitcnt lgkmcnt(0)
	s_barrier
	s_cbranch_scc0 .LBB61_11
.LBB61_16:
	v_mov_b32_e32 v0, 0x800
	v_lshl_add_u32 v12, v99, 4, v0
	v_mov_b32_e32 v0, 0x1800
	v_lshl_add_u32 v13, v100, 4, v0
	s_mov_b32 s9, 0
	s_mov_b64 s[6:7], -1
.LBB61_17:                              ; =>This Inner Loop Header: Depth=1
	v_cndmask_b32_e64 v0, 0, 1, s[6:7]
	s_lshl_b32 s6, s9, 2
	v_cmp_ne_u32_e32 vcc, 1, v0
	v_add_u32_e32 v0, s6, v12
	ds_read2st64_b64 v[4:7], v0 offset1:1
	ds_read2st64_b64 v[0:3], v0 offset0:2 offset1:3
	v_add_u32_e32 v8, s6, v13
	ds_read2_b64 v[14:17], v8 offset1:16
	ds_read2_b64 v[18:21], v8 offset0:32 offset1:48
	ds_read2_b64 v[22:25], v8 offset0:64 offset1:80
	;; [unrolled: 1-line block ×7, first 2 shown]
	s_mov_b64 s[6:7], 0
	s_waitcnt lgkmcnt(7)
	v_pk_add_f32 v[108:109], v[4:5], v[14:15]
	s_and_b64 vcc, exec, vcc
	v_min3_f32 v103, v108, v109, v103
	v_pk_add_f32 v[108:109], v[6:7], v[14:15]
	s_mov_b32 s9, 2
	v_min3_f32 v102, v108, v109, v102
	v_pk_add_f32 v[108:109], v[0:1], v[14:15]
	v_pk_add_f32 v[14:15], v[2:3], v[14:15]
	v_min3_f32 v101, v108, v109, v101
	v_min3_f32 v98, v14, v15, v98
	v_pk_add_f32 v[14:15], v[4:5], v[16:17]
	s_nop 0
	v_min3_f32 v97, v14, v15, v97
	v_pk_add_f32 v[14:15], v[6:7], v[16:17]
	s_nop 0
	v_min3_f32 v96, v14, v15, v96
	v_pk_add_f32 v[14:15], v[0:1], v[16:17]
	s_nop 0
	v_min3_f32 v95, v14, v15, v95
	v_pk_add_f32 v[14:15], v[2:3], v[16:17]
	s_nop 0
	v_min3_f32 v94, v14, v15, v94
	s_waitcnt lgkmcnt(6)
	v_pk_add_f32 v[14:15], v[4:5], v[18:19]
	s_nop 0
	v_min3_f32 v93, v14, v15, v93
	v_pk_add_f32 v[14:15], v[6:7], v[18:19]
	s_nop 0
	v_min3_f32 v92, v14, v15, v92
	v_pk_add_f32 v[14:15], v[0:1], v[18:19]
	s_nop 0
	v_min3_f32 v91, v14, v15, v91
	v_pk_add_f32 v[14:15], v[2:3], v[18:19]
	s_nop 0
	v_min3_f32 v90, v14, v15, v90
	v_pk_add_f32 v[14:15], v[4:5], v[20:21]
	s_nop 0
	v_min3_f32 v89, v14, v15, v89
	v_pk_add_f32 v[14:15], v[6:7], v[20:21]
	s_nop 0
	v_min3_f32 v88, v14, v15, v88
	v_pk_add_f32 v[14:15], v[0:1], v[20:21]
	s_nop 0
	v_min3_f32 v87, v14, v15, v87
	v_pk_add_f32 v[14:15], v[2:3], v[20:21]
	s_nop 0
	v_min3_f32 v86, v14, v15, v86
	s_waitcnt lgkmcnt(5)
	v_pk_add_f32 v[14:15], v[4:5], v[22:23]
	s_nop 0
	v_min3_f32 v85, v14, v15, v85
	v_pk_add_f32 v[14:15], v[6:7], v[22:23]
	s_nop 0
	v_min3_f32 v84, v14, v15, v84
	v_pk_add_f32 v[14:15], v[0:1], v[22:23]
	s_nop 0
	v_min3_f32 v83, v14, v15, v83
	v_pk_add_f32 v[14:15], v[2:3], v[22:23]
	s_nop 0
	v_min3_f32 v82, v14, v15, v82
	v_pk_add_f32 v[14:15], v[4:5], v[24:25]
	s_nop 0
	v_min3_f32 v81, v14, v15, v81
	v_pk_add_f32 v[14:15], v[6:7], v[24:25]
	s_nop 0
	v_min3_f32 v80, v14, v15, v80
	v_pk_add_f32 v[14:15], v[0:1], v[24:25]
	s_nop 0
	v_min3_f32 v79, v14, v15, v79
	v_pk_add_f32 v[14:15], v[2:3], v[24:25]
	s_nop 0
	v_min3_f32 v78, v14, v15, v78
	s_waitcnt lgkmcnt(4)
	v_pk_add_f32 v[14:15], v[4:5], v[26:27]
	s_nop 0
	v_min3_f32 v77, v14, v15, v77
	v_pk_add_f32 v[14:15], v[6:7], v[26:27]
	s_nop 0
	v_min3_f32 v76, v14, v15, v76
	v_pk_add_f32 v[14:15], v[0:1], v[26:27]
	s_nop 0
	v_min3_f32 v75, v14, v15, v75
	v_pk_add_f32 v[14:15], v[2:3], v[26:27]
	s_nop 0
	v_min3_f32 v74, v14, v15, v74
	v_pk_add_f32 v[14:15], v[4:5], v[28:29]
	s_nop 0
	v_min3_f32 v73, v14, v15, v73
	v_pk_add_f32 v[14:15], v[6:7], v[28:29]
	s_nop 0
	v_min3_f32 v72, v14, v15, v72
	v_pk_add_f32 v[14:15], v[0:1], v[28:29]
	s_nop 0
	v_min3_f32 v71, v14, v15, v71
	v_pk_add_f32 v[14:15], v[2:3], v[28:29]
	s_nop 0
	v_min3_f32 v70, v14, v15, v70
	s_waitcnt lgkmcnt(3)
	v_pk_add_f32 v[14:15], v[4:5], v[30:31]
	s_nop 0
	v_min3_f32 v69, v14, v15, v69
	v_pk_add_f32 v[14:15], v[6:7], v[30:31]
	s_nop 0
	v_min3_f32 v68, v14, v15, v68
	v_pk_add_f32 v[14:15], v[0:1], v[30:31]
	s_nop 0
	v_min3_f32 v67, v14, v15, v67
	v_pk_add_f32 v[14:15], v[2:3], v[30:31]
	s_nop 0
	v_min3_f32 v66, v14, v15, v66
	v_pk_add_f32 v[14:15], v[4:5], v[32:33]
	s_nop 0
	v_min3_f32 v65, v14, v15, v65
	v_pk_add_f32 v[14:15], v[6:7], v[32:33]
	s_nop 0
	v_min3_f32 v64, v14, v15, v64
	v_pk_add_f32 v[14:15], v[0:1], v[32:33]
	s_nop 0
	v_min3_f32 v63, v14, v15, v63
	v_pk_add_f32 v[14:15], v[2:3], v[32:33]
	s_nop 0
	v_min3_f32 v62, v14, v15, v62
	s_waitcnt lgkmcnt(2)
	v_pk_add_f32 v[14:15], v[4:5], v[34:35]
	s_nop 0
	v_min3_f32 v61, v14, v15, v61
	v_pk_add_f32 v[14:15], v[6:7], v[34:35]
	s_nop 0
	v_min3_f32 v60, v14, v15, v60
	v_pk_add_f32 v[14:15], v[0:1], v[34:35]
	s_nop 0
	v_min3_f32 v59, v14, v15, v59
	v_pk_add_f32 v[14:15], v[2:3], v[34:35]
	s_nop 0
	v_min3_f32 v58, v14, v15, v58
	v_pk_add_f32 v[14:15], v[4:5], v[36:37]
	s_nop 0
	v_min3_f32 v57, v14, v15, v57
	v_pk_add_f32 v[14:15], v[6:7], v[36:37]
	s_nop 0
	v_min3_f32 v56, v14, v15, v56
	v_pk_add_f32 v[14:15], v[0:1], v[36:37]
	s_nop 0
	v_min3_f32 v55, v14, v15, v55
	v_pk_add_f32 v[14:15], v[2:3], v[36:37]
	s_nop 0
	v_min3_f32 v54, v14, v15, v54
	s_waitcnt lgkmcnt(1)
	v_pk_add_f32 v[14:15], v[4:5], v[104:105]
	s_nop 0
	v_min3_f32 v53, v14, v15, v53
	v_pk_add_f32 v[14:15], v[6:7], v[104:105]
	s_nop 0
	v_min3_f32 v52, v14, v15, v52
	v_pk_add_f32 v[14:15], v[0:1], v[104:105]
	s_nop 0
	v_min3_f32 v51, v14, v15, v51
	v_pk_add_f32 v[14:15], v[2:3], v[104:105]
	s_nop 0
	v_min3_f32 v50, v14, v15, v50
	v_pk_add_f32 v[14:15], v[4:5], v[106:107]
	s_nop 0
	v_min3_f32 v49, v14, v15, v49
	v_pk_add_f32 v[14:15], v[6:7], v[106:107]
	s_nop 0
	;; [unrolled: 3-line block ×4, first 2 shown]
	v_min3_f32 v46, v14, v15, v46
	s_waitcnt lgkmcnt(0)
	v_pk_add_f32 v[14:15], v[4:5], v[8:9]
	v_pk_add_f32 v[4:5], v[4:5], v[10:11]
	v_min3_f32 v45, v14, v15, v45
	v_pk_add_f32 v[14:15], v[6:7], v[8:9]
	v_min3_f32 v41, v4, v5, v41
	v_min3_f32 v44, v14, v15, v44
	v_pk_add_f32 v[14:15], v[0:1], v[8:9]
	v_pk_add_f32 v[0:1], v[0:1], v[10:11]
	;; [unrolled: 1-line block ×4, first 2 shown]
	v_min3_f32 v39, v0, v1, v39
	v_pk_add_f32 v[0:1], v[2:3], v[10:11]
	v_min3_f32 v43, v14, v15, v43
	v_min3_f32 v42, v8, v9, v42
	;; [unrolled: 1-line block ×4, first 2 shown]
	s_cbranch_vccz .LBB61_17
; %bb.18:
	s_load_dwordx2 s[14:15], s[0:1], 0x70
	s_load_dword s6, s[0:1], 0x50
	s_load_dword s7, s[0:1], 0x68
	v_add_u32_e32 v16, s8, v100
	v_add_u32_e32 v4, s2, v99
	s_waitcnt lgkmcnt(0)
	s_mul_i32 s1, s15, s3
	s_mul_hi_u32 s9, s14, s3
	s_mul_i32 s0, s14, s3
	s_add_i32 s1, s9, s1
	s_lshl_b64 s[0:1], s[0:1], 2
	s_add_u32 s0, s10, s0
	s_addc_u32 s1, s11, s1
	v_mad_i64_i32 v[2:3], s[2:3], v16, s7, 0
	v_add_u32_e32 v0, 32, v4
	v_lshl_add_u64 v[12:13], v[2:3], 2, s[0:1]
	v_mad_i64_i32 v[2:3], s[2:3], v16, s6, 0
	v_ashrrev_i32_e32 v5, 31, v4
	v_ashrrev_i32_e32 v1, 31, v0
	s_mov_b64 s[2:3], -1
	v_max_f32_e32 v6, v103, v103
	s_mov_b64 vcc, s[4:5]
	s_cbranch_vccz .LBB61_20
; %bb.19:
	v_min_f32_e32 v7, 0, v6
	v_lshl_add_u64 v[8:9], v[4:5], 2, v[12:13]
	global_store_dword v[8:9], v7, off
	s_mov_b64 s[2:3], 0
.LBB61_20:
	v_lshl_add_u64 v[14:15], v[2:3], 2, s[12:13]
	v_mov_b32_e32 v10, 0
	s_andn2_b64 vcc, exec, s[2:3]
	v_lshlrev_b64 v[8:9], 2, v[4:5]
	s_cbranch_vccnz .LBB61_22
; %bb.21:
	v_lshl_add_u64 v[2:3], v[14:15], 0, v[8:9]
	global_load_dword v7, v[2:3], off
	v_lshl_add_u64 v[2:3], v[12:13], 0, v[8:9]
	s_waitcnt vmcnt(0)
	v_mul_f32_e32 v7, s19, v7
	v_min_f32_e32 v6, v7, v6
	global_store_dword v[2:3], v6, off
	v_lshl_add_u64 v[2:3], v[0:1], 2, v[14:15]
	global_load_dword v2, v[2:3], off
	s_waitcnt vmcnt(0)
	v_mul_f32_e32 v10, s19, v2
.LBB61_22:
	v_max_f32_e32 v11, v102, v102
	v_max_f32_e32 v10, v10, v10
	v_add_u32_e32 v6, 64, v4
	v_add_u32_e32 v2, 0x60, v4
	v_min_f32_e32 v17, v10, v11
	v_lshl_add_u64 v[10:11], v[0:1], 2, v[12:13]
	v_ashrrev_i32_e32 v7, 31, v6
	v_ashrrev_i32_e32 v3, 31, v2
	global_store_dword v[10:11], v17, off
	s_mov_b64 s[2:3], -1
	v_max_f32_e32 v17, v101, v101
	s_mov_b64 vcc, s[4:5]
	s_cbranch_vccz .LBB61_24
; %bb.23:
	v_min_f32_e32 v18, 0, v17
	v_lshl_add_u64 v[10:11], v[6:7], 2, v[12:13]
	global_store_dword v[10:11], v18, off
	s_mov_b64 s[2:3], 0
.LBB61_24:
	v_mov_b32_e32 v18, 0
	s_andn2_b64 vcc, exec, s[2:3]
	v_lshlrev_b64 v[10:11], 2, v[6:7]
	s_cbranch_vccnz .LBB61_26
; %bb.25:
	v_lshl_add_u64 v[18:19], v[14:15], 0, v[10:11]
	global_load_dword v20, v[18:19], off
	v_lshl_add_u64 v[18:19], v[12:13], 0, v[10:11]
	v_lshl_add_u64 v[14:15], v[2:3], 2, v[14:15]
	s_waitcnt vmcnt(0)
	v_mul_f32_e32 v20, s19, v20
	v_min_f32_e32 v17, v20, v17
	global_store_dword v[18:19], v17, off
	global_load_dword v14, v[14:15], off
	s_waitcnt vmcnt(0)
	v_mul_f32_e32 v18, s19, v14
.LBB61_26:
	v_max_f32_e32 v14, v98, v98
	v_max_f32_e32 v15, v18, v18
	v_min_f32_e32 v14, v15, v14
	v_lshl_add_u64 v[12:13], v[2:3], 2, v[12:13]
	global_store_dword v[12:13], v14, off
	v_add_u32_e32 v14, 8, v16
	v_mad_i64_i32 v[12:13], s[2:3], v14, s7, 0
	v_mad_i64_i32 v[14:15], s[2:3], v14, s6, 0
	v_lshl_add_u64 v[12:13], v[12:13], 2, s[0:1]
	s_mov_b64 s[2:3], -1
	v_max_f32_e32 v17, v97, v97
	s_mov_b64 vcc, s[4:5]
	s_cbranch_vccz .LBB61_28
; %bb.27:
	v_min_f32_e32 v20, 0, v17
	v_lshl_add_u64 v[18:19], v[4:5], 2, v[12:13]
	global_store_dword v[18:19], v20, off
	s_mov_b64 s[2:3], 0
.LBB61_28:
	v_lshl_add_u64 v[14:15], v[14:15], 2, s[12:13]
	s_andn2_b64 vcc, exec, s[2:3]
	v_mov_b32_e32 v18, 0
	s_cbranch_vccnz .LBB61_30
; %bb.29:
	v_lshl_add_u64 v[18:19], v[14:15], 0, v[8:9]
	global_load_dword v20, v[18:19], off
	v_lshl_add_u64 v[18:19], v[12:13], 0, v[8:9]
	s_waitcnt vmcnt(0)
	v_mul_f32_e32 v20, s19, v20
	v_min_f32_e32 v17, v20, v17
	global_store_dword v[18:19], v17, off
	v_lshl_add_u64 v[18:19], v[0:1], 2, v[14:15]
	global_load_dword v17, v[18:19], off
	s_waitcnt vmcnt(0)
	v_mul_f32_e32 v18, s19, v17
.LBB61_30:
	v_max_f32_e32 v17, v96, v96
	v_max_f32_e32 v18, v18, v18
	v_min_f32_e32 v17, v18, v17
	v_lshl_add_u64 v[18:19], v[0:1], 2, v[12:13]
	global_store_dword v[18:19], v17, off
	s_mov_b64 s[2:3], -1
	v_max_f32_e32 v17, v95, v95
	s_mov_b64 vcc, s[4:5]
	s_cbranch_vccz .LBB61_32
; %bb.31:
	v_min_f32_e32 v20, 0, v17
	v_lshl_add_u64 v[18:19], v[6:7], 2, v[12:13]
	global_store_dword v[18:19], v20, off
	s_mov_b64 s[2:3], 0
.LBB61_32:
	s_andn2_b64 vcc, exec, s[2:3]
	v_mov_b32_e32 v18, 0
	s_cbranch_vccnz .LBB61_34
; %bb.33:
	v_lshl_add_u64 v[18:19], v[14:15], 0, v[10:11]
	global_load_dword v20, v[18:19], off
	v_lshl_add_u64 v[18:19], v[12:13], 0, v[10:11]
	v_lshl_add_u64 v[14:15], v[2:3], 2, v[14:15]
	s_waitcnt vmcnt(0)
	v_mul_f32_e32 v20, s19, v20
	v_min_f32_e32 v17, v20, v17
	global_store_dword v[18:19], v17, off
	global_load_dword v14, v[14:15], off
	s_waitcnt vmcnt(0)
	v_mul_f32_e32 v18, s19, v14
.LBB61_34:
	v_max_f32_e32 v14, v94, v94
	v_max_f32_e32 v15, v18, v18
	v_min_f32_e32 v14, v15, v14
	v_lshl_add_u64 v[12:13], v[2:3], 2, v[12:13]
	global_store_dword v[12:13], v14, off
	v_add_u32_e32 v14, 16, v16
	v_mad_i64_i32 v[12:13], s[2:3], v14, s7, 0
	v_mad_i64_i32 v[14:15], s[2:3], v14, s6, 0
	v_lshl_add_u64 v[12:13], v[12:13], 2, s[0:1]
	s_mov_b64 s[2:3], -1
	v_max_f32_e32 v17, v93, v93
	s_mov_b64 vcc, s[4:5]
	s_cbranch_vccz .LBB61_36
; %bb.35:
	v_min_f32_e32 v20, 0, v17
	v_lshl_add_u64 v[18:19], v[4:5], 2, v[12:13]
	global_store_dword v[18:19], v20, off
	s_mov_b64 s[2:3], 0
.LBB61_36:
	v_lshl_add_u64 v[14:15], v[14:15], 2, s[12:13]
	s_andn2_b64 vcc, exec, s[2:3]
	v_mov_b32_e32 v18, 0
	s_cbranch_vccnz .LBB61_38
; %bb.37:
	v_lshl_add_u64 v[18:19], v[14:15], 0, v[8:9]
	global_load_dword v20, v[18:19], off
	v_lshl_add_u64 v[18:19], v[12:13], 0, v[8:9]
	s_waitcnt vmcnt(0)
	v_mul_f32_e32 v20, s19, v20
	v_min_f32_e32 v17, v20, v17
	global_store_dword v[18:19], v17, off
	v_lshl_add_u64 v[18:19], v[0:1], 2, v[14:15]
	global_load_dword v17, v[18:19], off
	s_waitcnt vmcnt(0)
	v_mul_f32_e32 v18, s19, v17
.LBB61_38:
	v_max_f32_e32 v17, v92, v92
	v_max_f32_e32 v18, v18, v18
	v_min_f32_e32 v17, v18, v17
	v_lshl_add_u64 v[18:19], v[0:1], 2, v[12:13]
	global_store_dword v[18:19], v17, off
	s_mov_b64 s[2:3], -1
	v_max_f32_e32 v17, v91, v91
	s_mov_b64 vcc, s[4:5]
	s_cbranch_vccz .LBB61_40
; %bb.39:
	v_min_f32_e32 v20, 0, v17
	v_lshl_add_u64 v[18:19], v[6:7], 2, v[12:13]
	global_store_dword v[18:19], v20, off
	s_mov_b64 s[2:3], 0
.LBB61_40:
	s_andn2_b64 vcc, exec, s[2:3]
	v_mov_b32_e32 v18, 0
	s_cbranch_vccnz .LBB61_42
; %bb.41:
	v_lshl_add_u64 v[18:19], v[14:15], 0, v[10:11]
	global_load_dword v20, v[18:19], off
	v_lshl_add_u64 v[18:19], v[12:13], 0, v[10:11]
	v_lshl_add_u64 v[14:15], v[2:3], 2, v[14:15]
	s_waitcnt vmcnt(0)
	v_mul_f32_e32 v20, s19, v20
	v_min_f32_e32 v17, v20, v17
	global_store_dword v[18:19], v17, off
	global_load_dword v14, v[14:15], off
	s_waitcnt vmcnt(0)
	v_mul_f32_e32 v18, s19, v14
.LBB61_42:
	v_max_f32_e32 v14, v90, v90
	v_max_f32_e32 v15, v18, v18
	v_min_f32_e32 v14, v15, v14
	v_lshl_add_u64 v[12:13], v[2:3], 2, v[12:13]
	global_store_dword v[12:13], v14, off
	v_add_u32_e32 v14, 24, v16
	v_mad_i64_i32 v[12:13], s[2:3], v14, s7, 0
	v_mad_i64_i32 v[14:15], s[2:3], v14, s6, 0
	v_lshl_add_u64 v[12:13], v[12:13], 2, s[0:1]
	s_mov_b64 s[2:3], -1
	v_max_f32_e32 v17, v89, v89
	s_mov_b64 vcc, s[4:5]
	s_cbranch_vccz .LBB61_44
; %bb.43:
	v_min_f32_e32 v20, 0, v17
	v_lshl_add_u64 v[18:19], v[4:5], 2, v[12:13]
	global_store_dword v[18:19], v20, off
	s_mov_b64 s[2:3], 0
.LBB61_44:
	v_lshl_add_u64 v[14:15], v[14:15], 2, s[12:13]
	s_andn2_b64 vcc, exec, s[2:3]
	v_mov_b32_e32 v18, 0
	s_cbranch_vccnz .LBB61_46
; %bb.45:
	v_lshl_add_u64 v[18:19], v[14:15], 0, v[8:9]
	global_load_dword v20, v[18:19], off
	v_lshl_add_u64 v[18:19], v[12:13], 0, v[8:9]
	s_waitcnt vmcnt(0)
	v_mul_f32_e32 v20, s19, v20
	v_min_f32_e32 v17, v20, v17
	global_store_dword v[18:19], v17, off
	v_lshl_add_u64 v[18:19], v[0:1], 2, v[14:15]
	global_load_dword v17, v[18:19], off
	s_waitcnt vmcnt(0)
	v_mul_f32_e32 v18, s19, v17
.LBB61_46:
	v_max_f32_e32 v17, v88, v88
	v_max_f32_e32 v18, v18, v18
	v_min_f32_e32 v17, v18, v17
	v_lshl_add_u64 v[18:19], v[0:1], 2, v[12:13]
	global_store_dword v[18:19], v17, off
	s_mov_b64 s[2:3], -1
	v_max_f32_e32 v17, v87, v87
	s_mov_b64 vcc, s[4:5]
	s_cbranch_vccz .LBB61_48
; %bb.47:
	v_min_f32_e32 v20, 0, v17
	v_lshl_add_u64 v[18:19], v[6:7], 2, v[12:13]
	global_store_dword v[18:19], v20, off
	s_mov_b64 s[2:3], 0
.LBB61_48:
	s_andn2_b64 vcc, exec, s[2:3]
	v_mov_b32_e32 v18, 0
	s_cbranch_vccnz .LBB61_50
; %bb.49:
	v_lshl_add_u64 v[18:19], v[14:15], 0, v[10:11]
	global_load_dword v20, v[18:19], off
	v_lshl_add_u64 v[18:19], v[12:13], 0, v[10:11]
	v_lshl_add_u64 v[14:15], v[2:3], 2, v[14:15]
	s_waitcnt vmcnt(0)
	v_mul_f32_e32 v20, s19, v20
	v_min_f32_e32 v17, v20, v17
	global_store_dword v[18:19], v17, off
	global_load_dword v14, v[14:15], off
	s_waitcnt vmcnt(0)
	v_mul_f32_e32 v18, s19, v14
.LBB61_50:
	v_max_f32_e32 v14, v86, v86
	v_max_f32_e32 v15, v18, v18
	v_min_f32_e32 v14, v15, v14
	v_lshl_add_u64 v[12:13], v[2:3], 2, v[12:13]
	global_store_dword v[12:13], v14, off
	v_add_u32_e32 v14, 32, v16
	v_mad_i64_i32 v[12:13], s[2:3], v14, s7, 0
	v_mad_i64_i32 v[14:15], s[2:3], v14, s6, 0
	v_lshl_add_u64 v[12:13], v[12:13], 2, s[0:1]
	s_mov_b64 s[2:3], -1
	v_max_f32_e32 v17, v85, v85
	s_mov_b64 vcc, s[4:5]
	s_cbranch_vccz .LBB61_52
; %bb.51:
	v_min_f32_e32 v20, 0, v17
	v_lshl_add_u64 v[18:19], v[4:5], 2, v[12:13]
	global_store_dword v[18:19], v20, off
	s_mov_b64 s[2:3], 0
.LBB61_52:
	v_lshl_add_u64 v[14:15], v[14:15], 2, s[12:13]
	s_andn2_b64 vcc, exec, s[2:3]
	v_mov_b32_e32 v18, 0
	s_cbranch_vccnz .LBB61_54
; %bb.53:
	v_lshl_add_u64 v[18:19], v[14:15], 0, v[8:9]
	global_load_dword v20, v[18:19], off
	v_lshl_add_u64 v[18:19], v[12:13], 0, v[8:9]
	s_waitcnt vmcnt(0)
	v_mul_f32_e32 v20, s19, v20
	v_min_f32_e32 v17, v20, v17
	global_store_dword v[18:19], v17, off
	v_lshl_add_u64 v[18:19], v[0:1], 2, v[14:15]
	global_load_dword v17, v[18:19], off
	s_waitcnt vmcnt(0)
	v_mul_f32_e32 v18, s19, v17
.LBB61_54:
	v_max_f32_e32 v17, v84, v84
	v_max_f32_e32 v18, v18, v18
	v_min_f32_e32 v17, v18, v17
	v_lshl_add_u64 v[18:19], v[0:1], 2, v[12:13]
	global_store_dword v[18:19], v17, off
	s_mov_b64 s[2:3], -1
	v_max_f32_e32 v17, v83, v83
	s_mov_b64 vcc, s[4:5]
	s_cbranch_vccz .LBB61_56
; %bb.55:
	v_min_f32_e32 v20, 0, v17
	v_lshl_add_u64 v[18:19], v[6:7], 2, v[12:13]
	global_store_dword v[18:19], v20, off
	s_mov_b64 s[2:3], 0
.LBB61_56:
	s_andn2_b64 vcc, exec, s[2:3]
	v_mov_b32_e32 v18, 0
	s_cbranch_vccnz .LBB61_58
; %bb.57:
	v_lshl_add_u64 v[18:19], v[14:15], 0, v[10:11]
	global_load_dword v20, v[18:19], off
	v_lshl_add_u64 v[18:19], v[12:13], 0, v[10:11]
	v_lshl_add_u64 v[14:15], v[2:3], 2, v[14:15]
	s_waitcnt vmcnt(0)
	v_mul_f32_e32 v20, s19, v20
	v_min_f32_e32 v17, v20, v17
	global_store_dword v[18:19], v17, off
	global_load_dword v14, v[14:15], off
	s_waitcnt vmcnt(0)
	v_mul_f32_e32 v18, s19, v14
.LBB61_58:
	v_max_f32_e32 v14, v82, v82
	v_max_f32_e32 v15, v18, v18
	v_min_f32_e32 v14, v15, v14
	v_lshl_add_u64 v[12:13], v[2:3], 2, v[12:13]
	global_store_dword v[12:13], v14, off
	v_add_u32_e32 v14, 40, v16
	v_mad_i64_i32 v[12:13], s[2:3], v14, s7, 0
	v_mad_i64_i32 v[14:15], s[2:3], v14, s6, 0
	v_lshl_add_u64 v[12:13], v[12:13], 2, s[0:1]
	s_mov_b64 s[2:3], -1
	v_max_f32_e32 v17, v81, v81
	s_mov_b64 vcc, s[4:5]
	s_cbranch_vccz .LBB61_60
; %bb.59:
	v_min_f32_e32 v20, 0, v17
	v_lshl_add_u64 v[18:19], v[4:5], 2, v[12:13]
	global_store_dword v[18:19], v20, off
	s_mov_b64 s[2:3], 0
.LBB61_60:
	v_lshl_add_u64 v[14:15], v[14:15], 2, s[12:13]
	s_andn2_b64 vcc, exec, s[2:3]
	v_mov_b32_e32 v18, 0
	s_cbranch_vccnz .LBB61_62
; %bb.61:
	v_lshl_add_u64 v[18:19], v[14:15], 0, v[8:9]
	global_load_dword v20, v[18:19], off
	v_lshl_add_u64 v[18:19], v[12:13], 0, v[8:9]
	s_waitcnt vmcnt(0)
	v_mul_f32_e32 v20, s19, v20
	v_min_f32_e32 v17, v20, v17
	global_store_dword v[18:19], v17, off
	v_lshl_add_u64 v[18:19], v[0:1], 2, v[14:15]
	global_load_dword v17, v[18:19], off
	s_waitcnt vmcnt(0)
	v_mul_f32_e32 v18, s19, v17
.LBB61_62:
	v_max_f32_e32 v17, v80, v80
	v_max_f32_e32 v18, v18, v18
	v_min_f32_e32 v17, v18, v17
	v_lshl_add_u64 v[18:19], v[0:1], 2, v[12:13]
	global_store_dword v[18:19], v17, off
	s_mov_b64 s[2:3], -1
	v_max_f32_e32 v17, v79, v79
	s_mov_b64 vcc, s[4:5]
	s_cbranch_vccz .LBB61_64
; %bb.63:
	v_min_f32_e32 v20, 0, v17
	v_lshl_add_u64 v[18:19], v[6:7], 2, v[12:13]
	global_store_dword v[18:19], v20, off
	s_mov_b64 s[2:3], 0
.LBB61_64:
	s_andn2_b64 vcc, exec, s[2:3]
	v_mov_b32_e32 v18, 0
	s_cbranch_vccnz .LBB61_66
; %bb.65:
	v_lshl_add_u64 v[18:19], v[14:15], 0, v[10:11]
	global_load_dword v20, v[18:19], off
	v_lshl_add_u64 v[18:19], v[12:13], 0, v[10:11]
	v_lshl_add_u64 v[14:15], v[2:3], 2, v[14:15]
	s_waitcnt vmcnt(0)
	v_mul_f32_e32 v20, s19, v20
	v_min_f32_e32 v17, v20, v17
	global_store_dword v[18:19], v17, off
	global_load_dword v14, v[14:15], off
	s_waitcnt vmcnt(0)
	v_mul_f32_e32 v18, s19, v14
.LBB61_66:
	v_max_f32_e32 v14, v78, v78
	v_max_f32_e32 v15, v18, v18
	v_min_f32_e32 v14, v15, v14
	v_lshl_add_u64 v[12:13], v[2:3], 2, v[12:13]
	global_store_dword v[12:13], v14, off
	v_add_u32_e32 v14, 48, v16
	v_mad_i64_i32 v[12:13], s[2:3], v14, s7, 0
	v_mad_i64_i32 v[14:15], s[2:3], v14, s6, 0
	v_lshl_add_u64 v[12:13], v[12:13], 2, s[0:1]
	s_mov_b64 s[2:3], -1
	v_max_f32_e32 v17, v77, v77
	s_mov_b64 vcc, s[4:5]
	s_cbranch_vccz .LBB61_68
; %bb.67:
	v_min_f32_e32 v20, 0, v17
	v_lshl_add_u64 v[18:19], v[4:5], 2, v[12:13]
	global_store_dword v[18:19], v20, off
	s_mov_b64 s[2:3], 0
.LBB61_68:
	v_lshl_add_u64 v[14:15], v[14:15], 2, s[12:13]
	s_andn2_b64 vcc, exec, s[2:3]
	v_mov_b32_e32 v18, 0
	s_cbranch_vccnz .LBB61_70
; %bb.69:
	v_lshl_add_u64 v[18:19], v[14:15], 0, v[8:9]
	global_load_dword v20, v[18:19], off
	v_lshl_add_u64 v[18:19], v[12:13], 0, v[8:9]
	s_waitcnt vmcnt(0)
	v_mul_f32_e32 v20, s19, v20
	v_min_f32_e32 v17, v20, v17
	global_store_dword v[18:19], v17, off
	v_lshl_add_u64 v[18:19], v[0:1], 2, v[14:15]
	global_load_dword v17, v[18:19], off
	s_waitcnt vmcnt(0)
	v_mul_f32_e32 v18, s19, v17
.LBB61_70:
	v_max_f32_e32 v17, v76, v76
	v_max_f32_e32 v18, v18, v18
	v_min_f32_e32 v17, v18, v17
	v_lshl_add_u64 v[18:19], v[0:1], 2, v[12:13]
	global_store_dword v[18:19], v17, off
	s_mov_b64 s[2:3], -1
	v_max_f32_e32 v17, v75, v75
	s_mov_b64 vcc, s[4:5]
	s_cbranch_vccz .LBB61_72
; %bb.71:
	v_min_f32_e32 v20, 0, v17
	v_lshl_add_u64 v[18:19], v[6:7], 2, v[12:13]
	global_store_dword v[18:19], v20, off
	s_mov_b64 s[2:3], 0
.LBB61_72:
	s_andn2_b64 vcc, exec, s[2:3]
	v_mov_b32_e32 v18, 0
	s_cbranch_vccnz .LBB61_74
; %bb.73:
	v_lshl_add_u64 v[18:19], v[14:15], 0, v[10:11]
	global_load_dword v20, v[18:19], off
	v_lshl_add_u64 v[18:19], v[12:13], 0, v[10:11]
	v_lshl_add_u64 v[14:15], v[2:3], 2, v[14:15]
	s_waitcnt vmcnt(0)
	v_mul_f32_e32 v20, s19, v20
	v_min_f32_e32 v17, v20, v17
	global_store_dword v[18:19], v17, off
	global_load_dword v14, v[14:15], off
	s_waitcnt vmcnt(0)
	v_mul_f32_e32 v18, s19, v14
.LBB61_74:
	v_max_f32_e32 v14, v74, v74
	v_max_f32_e32 v15, v18, v18
	v_min_f32_e32 v14, v15, v14
	v_lshl_add_u64 v[12:13], v[2:3], 2, v[12:13]
	global_store_dword v[12:13], v14, off
	v_add_u32_e32 v14, 56, v16
	v_mad_i64_i32 v[12:13], s[2:3], v14, s7, 0
	v_mad_i64_i32 v[14:15], s[2:3], v14, s6, 0
	v_lshl_add_u64 v[12:13], v[12:13], 2, s[0:1]
	s_mov_b64 s[2:3], -1
	v_max_f32_e32 v17, v73, v73
	s_mov_b64 vcc, s[4:5]
	s_cbranch_vccz .LBB61_76
; %bb.75:
	v_min_f32_e32 v20, 0, v17
	v_lshl_add_u64 v[18:19], v[4:5], 2, v[12:13]
	global_store_dword v[18:19], v20, off
	s_mov_b64 s[2:3], 0
.LBB61_76:
	v_lshl_add_u64 v[14:15], v[14:15], 2, s[12:13]
	s_andn2_b64 vcc, exec, s[2:3]
	v_mov_b32_e32 v18, 0
	s_cbranch_vccnz .LBB61_78
; %bb.77:
	v_lshl_add_u64 v[18:19], v[14:15], 0, v[8:9]
	global_load_dword v20, v[18:19], off
	v_lshl_add_u64 v[18:19], v[12:13], 0, v[8:9]
	s_waitcnt vmcnt(0)
	v_mul_f32_e32 v20, s19, v20
	v_min_f32_e32 v17, v20, v17
	global_store_dword v[18:19], v17, off
	v_lshl_add_u64 v[18:19], v[0:1], 2, v[14:15]
	global_load_dword v17, v[18:19], off
	s_waitcnt vmcnt(0)
	v_mul_f32_e32 v18, s19, v17
.LBB61_78:
	v_max_f32_e32 v17, v72, v72
	v_max_f32_e32 v18, v18, v18
	v_min_f32_e32 v17, v18, v17
	v_lshl_add_u64 v[18:19], v[0:1], 2, v[12:13]
	global_store_dword v[18:19], v17, off
	s_mov_b64 s[2:3], -1
	v_max_f32_e32 v17, v71, v71
	s_mov_b64 vcc, s[4:5]
	s_cbranch_vccz .LBB61_80
; %bb.79:
	v_min_f32_e32 v20, 0, v17
	v_lshl_add_u64 v[18:19], v[6:7], 2, v[12:13]
	global_store_dword v[18:19], v20, off
	s_mov_b64 s[2:3], 0
.LBB61_80:
	s_andn2_b64 vcc, exec, s[2:3]
	v_mov_b32_e32 v18, 0
	s_cbranch_vccnz .LBB61_82
; %bb.81:
	v_lshl_add_u64 v[18:19], v[14:15], 0, v[10:11]
	global_load_dword v20, v[18:19], off
	v_lshl_add_u64 v[18:19], v[12:13], 0, v[10:11]
	v_lshl_add_u64 v[14:15], v[2:3], 2, v[14:15]
	s_waitcnt vmcnt(0)
	v_mul_f32_e32 v20, s19, v20
	v_min_f32_e32 v17, v20, v17
	global_store_dword v[18:19], v17, off
	global_load_dword v14, v[14:15], off
	s_waitcnt vmcnt(0)
	v_mul_f32_e32 v18, s19, v14
.LBB61_82:
	v_max_f32_e32 v14, v70, v70
	v_max_f32_e32 v15, v18, v18
	v_min_f32_e32 v14, v15, v14
	v_lshl_add_u64 v[12:13], v[2:3], 2, v[12:13]
	global_store_dword v[12:13], v14, off
	v_add_u32_e32 v14, 64, v16
	v_mad_i64_i32 v[12:13], s[2:3], v14, s7, 0
	v_mad_i64_i32 v[14:15], s[2:3], v14, s6, 0
	v_lshl_add_u64 v[12:13], v[12:13], 2, s[0:1]
	s_mov_b64 s[2:3], -1
	v_max_f32_e32 v17, v69, v69
	s_mov_b64 vcc, s[4:5]
	s_cbranch_vccz .LBB61_84
; %bb.83:
	v_min_f32_e32 v20, 0, v17
	v_lshl_add_u64 v[18:19], v[4:5], 2, v[12:13]
	global_store_dword v[18:19], v20, off
	s_mov_b64 s[2:3], 0
.LBB61_84:
	v_lshl_add_u64 v[14:15], v[14:15], 2, s[12:13]
	s_andn2_b64 vcc, exec, s[2:3]
	v_mov_b32_e32 v18, 0
	s_cbranch_vccnz .LBB61_86
; %bb.85:
	v_lshl_add_u64 v[18:19], v[14:15], 0, v[8:9]
	global_load_dword v20, v[18:19], off
	v_lshl_add_u64 v[18:19], v[12:13], 0, v[8:9]
	s_waitcnt vmcnt(0)
	v_mul_f32_e32 v20, s19, v20
	v_min_f32_e32 v17, v20, v17
	global_store_dword v[18:19], v17, off
	v_lshl_add_u64 v[18:19], v[0:1], 2, v[14:15]
	global_load_dword v17, v[18:19], off
	s_waitcnt vmcnt(0)
	v_mul_f32_e32 v18, s19, v17
.LBB61_86:
	v_max_f32_e32 v17, v68, v68
	v_max_f32_e32 v18, v18, v18
	v_min_f32_e32 v17, v18, v17
	v_lshl_add_u64 v[18:19], v[0:1], 2, v[12:13]
	global_store_dword v[18:19], v17, off
	s_mov_b64 s[2:3], -1
	v_max_f32_e32 v17, v67, v67
	s_mov_b64 vcc, s[4:5]
	s_cbranch_vccz .LBB61_88
; %bb.87:
	v_min_f32_e32 v20, 0, v17
	v_lshl_add_u64 v[18:19], v[6:7], 2, v[12:13]
	global_store_dword v[18:19], v20, off
	s_mov_b64 s[2:3], 0
.LBB61_88:
	s_andn2_b64 vcc, exec, s[2:3]
	v_mov_b32_e32 v18, 0
	s_cbranch_vccnz .LBB61_90
; %bb.89:
	v_lshl_add_u64 v[18:19], v[14:15], 0, v[10:11]
	global_load_dword v20, v[18:19], off
	v_lshl_add_u64 v[18:19], v[12:13], 0, v[10:11]
	v_lshl_add_u64 v[14:15], v[2:3], 2, v[14:15]
	s_waitcnt vmcnt(0)
	v_mul_f32_e32 v20, s19, v20
	v_min_f32_e32 v17, v20, v17
	global_store_dword v[18:19], v17, off
	global_load_dword v14, v[14:15], off
	s_waitcnt vmcnt(0)
	v_mul_f32_e32 v18, s19, v14
.LBB61_90:
	v_max_f32_e32 v14, v66, v66
	v_max_f32_e32 v15, v18, v18
	v_min_f32_e32 v14, v15, v14
	v_lshl_add_u64 v[12:13], v[2:3], 2, v[12:13]
	global_store_dword v[12:13], v14, off
	v_add_u32_e32 v14, 0x48, v16
	v_mad_i64_i32 v[12:13], s[2:3], v14, s7, 0
	v_mad_i64_i32 v[14:15], s[2:3], v14, s6, 0
	v_lshl_add_u64 v[12:13], v[12:13], 2, s[0:1]
	s_mov_b64 s[2:3], -1
	v_max_f32_e32 v17, v65, v65
	s_mov_b64 vcc, s[4:5]
	s_cbranch_vccz .LBB61_92
; %bb.91:
	v_min_f32_e32 v20, 0, v17
	v_lshl_add_u64 v[18:19], v[4:5], 2, v[12:13]
	global_store_dword v[18:19], v20, off
	s_mov_b64 s[2:3], 0
.LBB61_92:
	v_lshl_add_u64 v[14:15], v[14:15], 2, s[12:13]
	s_andn2_b64 vcc, exec, s[2:3]
	v_mov_b32_e32 v18, 0
	s_cbranch_vccnz .LBB61_94
; %bb.93:
	v_lshl_add_u64 v[18:19], v[14:15], 0, v[8:9]
	global_load_dword v20, v[18:19], off
	v_lshl_add_u64 v[18:19], v[12:13], 0, v[8:9]
	s_waitcnt vmcnt(0)
	v_mul_f32_e32 v20, s19, v20
	v_min_f32_e32 v17, v20, v17
	global_store_dword v[18:19], v17, off
	v_lshl_add_u64 v[18:19], v[0:1], 2, v[14:15]
	global_load_dword v17, v[18:19], off
	s_waitcnt vmcnt(0)
	v_mul_f32_e32 v18, s19, v17
.LBB61_94:
	v_max_f32_e32 v17, v64, v64
	v_max_f32_e32 v18, v18, v18
	v_min_f32_e32 v17, v18, v17
	v_lshl_add_u64 v[18:19], v[0:1], 2, v[12:13]
	global_store_dword v[18:19], v17, off
	s_mov_b64 s[2:3], -1
	v_max_f32_e32 v17, v63, v63
	s_mov_b64 vcc, s[4:5]
	s_cbranch_vccz .LBB61_96
; %bb.95:
	v_min_f32_e32 v20, 0, v17
	v_lshl_add_u64 v[18:19], v[6:7], 2, v[12:13]
	global_store_dword v[18:19], v20, off
	s_mov_b64 s[2:3], 0
.LBB61_96:
	s_andn2_b64 vcc, exec, s[2:3]
	v_mov_b32_e32 v18, 0
	s_cbranch_vccnz .LBB61_98
; %bb.97:
	v_lshl_add_u64 v[18:19], v[14:15], 0, v[10:11]
	global_load_dword v20, v[18:19], off
	v_lshl_add_u64 v[18:19], v[12:13], 0, v[10:11]
	v_lshl_add_u64 v[14:15], v[2:3], 2, v[14:15]
	s_waitcnt vmcnt(0)
	v_mul_f32_e32 v20, s19, v20
	v_min_f32_e32 v17, v20, v17
	global_store_dword v[18:19], v17, off
	global_load_dword v14, v[14:15], off
	s_waitcnt vmcnt(0)
	v_mul_f32_e32 v18, s19, v14
.LBB61_98:
	v_max_f32_e32 v14, v62, v62
	v_max_f32_e32 v15, v18, v18
	v_min_f32_e32 v14, v15, v14
	v_lshl_add_u64 v[12:13], v[2:3], 2, v[12:13]
	global_store_dword v[12:13], v14, off
	v_add_u32_e32 v14, 0x50, v16
	v_mad_i64_i32 v[12:13], s[2:3], v14, s7, 0
	v_mad_i64_i32 v[14:15], s[2:3], v14, s6, 0
	v_lshl_add_u64 v[12:13], v[12:13], 2, s[0:1]
	s_mov_b64 s[2:3], -1
	v_max_f32_e32 v17, v61, v61
	s_mov_b64 vcc, s[4:5]
	s_cbranch_vccz .LBB61_100
; %bb.99:
	v_min_f32_e32 v20, 0, v17
	v_lshl_add_u64 v[18:19], v[4:5], 2, v[12:13]
	global_store_dword v[18:19], v20, off
	s_mov_b64 s[2:3], 0
.LBB61_100:
	v_lshl_add_u64 v[14:15], v[14:15], 2, s[12:13]
	s_andn2_b64 vcc, exec, s[2:3]
	v_mov_b32_e32 v18, 0
	s_cbranch_vccnz .LBB61_102
; %bb.101:
	v_lshl_add_u64 v[18:19], v[14:15], 0, v[8:9]
	global_load_dword v20, v[18:19], off
	v_lshl_add_u64 v[18:19], v[12:13], 0, v[8:9]
	s_waitcnt vmcnt(0)
	v_mul_f32_e32 v20, s19, v20
	v_min_f32_e32 v17, v20, v17
	global_store_dword v[18:19], v17, off
	v_lshl_add_u64 v[18:19], v[0:1], 2, v[14:15]
	global_load_dword v17, v[18:19], off
	s_waitcnt vmcnt(0)
	v_mul_f32_e32 v18, s19, v17
.LBB61_102:
	v_max_f32_e32 v17, v60, v60
	v_max_f32_e32 v18, v18, v18
	v_min_f32_e32 v17, v18, v17
	v_lshl_add_u64 v[18:19], v[0:1], 2, v[12:13]
	global_store_dword v[18:19], v17, off
	s_mov_b64 s[2:3], -1
	v_max_f32_e32 v17, v59, v59
	s_mov_b64 vcc, s[4:5]
	s_cbranch_vccz .LBB61_104
; %bb.103:
	v_min_f32_e32 v20, 0, v17
	v_lshl_add_u64 v[18:19], v[6:7], 2, v[12:13]
	global_store_dword v[18:19], v20, off
	s_mov_b64 s[2:3], 0
.LBB61_104:
	s_andn2_b64 vcc, exec, s[2:3]
	v_mov_b32_e32 v18, 0
	s_cbranch_vccnz .LBB61_106
; %bb.105:
	v_lshl_add_u64 v[18:19], v[14:15], 0, v[10:11]
	global_load_dword v20, v[18:19], off
	v_lshl_add_u64 v[18:19], v[12:13], 0, v[10:11]
	v_lshl_add_u64 v[14:15], v[2:3], 2, v[14:15]
	s_waitcnt vmcnt(0)
	v_mul_f32_e32 v20, s19, v20
	v_min_f32_e32 v17, v20, v17
	global_store_dword v[18:19], v17, off
	global_load_dword v14, v[14:15], off
	s_waitcnt vmcnt(0)
	v_mul_f32_e32 v18, s19, v14
.LBB61_106:
	v_max_f32_e32 v14, v58, v58
	v_max_f32_e32 v15, v18, v18
	v_min_f32_e32 v14, v15, v14
	v_lshl_add_u64 v[12:13], v[2:3], 2, v[12:13]
	global_store_dword v[12:13], v14, off
	v_add_u32_e32 v14, 0x58, v16
	v_mad_i64_i32 v[12:13], s[2:3], v14, s7, 0
	v_mad_i64_i32 v[14:15], s[2:3], v14, s6, 0
	v_lshl_add_u64 v[12:13], v[12:13], 2, s[0:1]
	s_mov_b64 s[2:3], -1
	v_max_f32_e32 v17, v57, v57
	s_mov_b64 vcc, s[4:5]
	s_cbranch_vccz .LBB61_108
; %bb.107:
	v_min_f32_e32 v20, 0, v17
	v_lshl_add_u64 v[18:19], v[4:5], 2, v[12:13]
	global_store_dword v[18:19], v20, off
	s_mov_b64 s[2:3], 0
.LBB61_108:
	v_lshl_add_u64 v[14:15], v[14:15], 2, s[12:13]
	s_andn2_b64 vcc, exec, s[2:3]
	v_mov_b32_e32 v18, 0
	s_cbranch_vccnz .LBB61_110
; %bb.109:
	v_lshl_add_u64 v[18:19], v[14:15], 0, v[8:9]
	global_load_dword v20, v[18:19], off
	v_lshl_add_u64 v[18:19], v[12:13], 0, v[8:9]
	s_waitcnt vmcnt(0)
	v_mul_f32_e32 v20, s19, v20
	v_min_f32_e32 v17, v20, v17
	global_store_dword v[18:19], v17, off
	v_lshl_add_u64 v[18:19], v[0:1], 2, v[14:15]
	global_load_dword v17, v[18:19], off
	s_waitcnt vmcnt(0)
	v_mul_f32_e32 v18, s19, v17
.LBB61_110:
	v_max_f32_e32 v17, v56, v56
	v_max_f32_e32 v18, v18, v18
	v_min_f32_e32 v17, v18, v17
	v_lshl_add_u64 v[18:19], v[0:1], 2, v[12:13]
	global_store_dword v[18:19], v17, off
	s_mov_b64 s[2:3], -1
	v_max_f32_e32 v17, v55, v55
	s_mov_b64 vcc, s[4:5]
	s_cbranch_vccz .LBB61_112
; %bb.111:
	v_min_f32_e32 v20, 0, v17
	v_lshl_add_u64 v[18:19], v[6:7], 2, v[12:13]
	global_store_dword v[18:19], v20, off
	s_mov_b64 s[2:3], 0
.LBB61_112:
	s_andn2_b64 vcc, exec, s[2:3]
	v_mov_b32_e32 v18, 0
	s_cbranch_vccnz .LBB61_114
; %bb.113:
	v_lshl_add_u64 v[18:19], v[14:15], 0, v[10:11]
	global_load_dword v20, v[18:19], off
	v_lshl_add_u64 v[18:19], v[12:13], 0, v[10:11]
	v_lshl_add_u64 v[14:15], v[2:3], 2, v[14:15]
	s_waitcnt vmcnt(0)
	v_mul_f32_e32 v20, s19, v20
	v_min_f32_e32 v17, v20, v17
	global_store_dword v[18:19], v17, off
	global_load_dword v14, v[14:15], off
	s_waitcnt vmcnt(0)
	v_mul_f32_e32 v18, s19, v14
.LBB61_114:
	v_max_f32_e32 v14, v54, v54
	v_max_f32_e32 v15, v18, v18
	v_min_f32_e32 v14, v15, v14
	v_lshl_add_u64 v[12:13], v[2:3], 2, v[12:13]
	global_store_dword v[12:13], v14, off
	v_add_u32_e32 v14, 0x60, v16
	v_mad_i64_i32 v[12:13], s[2:3], v14, s7, 0
	v_mad_i64_i32 v[14:15], s[2:3], v14, s6, 0
	v_lshl_add_u64 v[12:13], v[12:13], 2, s[0:1]
	s_mov_b64 s[2:3], -1
	v_max_f32_e32 v17, v53, v53
	s_mov_b64 vcc, s[4:5]
	s_cbranch_vccz .LBB61_116
; %bb.115:
	v_min_f32_e32 v20, 0, v17
	v_lshl_add_u64 v[18:19], v[4:5], 2, v[12:13]
	global_store_dword v[18:19], v20, off
	s_mov_b64 s[2:3], 0
.LBB61_116:
	v_lshl_add_u64 v[14:15], v[14:15], 2, s[12:13]
	s_andn2_b64 vcc, exec, s[2:3]
	v_mov_b32_e32 v18, 0
	s_cbranch_vccnz .LBB61_118
; %bb.117:
	v_lshl_add_u64 v[18:19], v[14:15], 0, v[8:9]
	global_load_dword v20, v[18:19], off
	v_lshl_add_u64 v[18:19], v[12:13], 0, v[8:9]
	s_waitcnt vmcnt(0)
	v_mul_f32_e32 v20, s19, v20
	v_min_f32_e32 v17, v20, v17
	global_store_dword v[18:19], v17, off
	v_lshl_add_u64 v[18:19], v[0:1], 2, v[14:15]
	global_load_dword v17, v[18:19], off
	s_waitcnt vmcnt(0)
	v_mul_f32_e32 v18, s19, v17
.LBB61_118:
	v_max_f32_e32 v17, v52, v52
	v_max_f32_e32 v18, v18, v18
	v_min_f32_e32 v17, v18, v17
	v_lshl_add_u64 v[18:19], v[0:1], 2, v[12:13]
	global_store_dword v[18:19], v17, off
	s_mov_b64 s[2:3], -1
	v_max_f32_e32 v17, v51, v51
	s_mov_b64 vcc, s[4:5]
	s_cbranch_vccz .LBB61_120
; %bb.119:
	v_min_f32_e32 v20, 0, v17
	v_lshl_add_u64 v[18:19], v[6:7], 2, v[12:13]
	global_store_dword v[18:19], v20, off
	s_mov_b64 s[2:3], 0
.LBB61_120:
	s_andn2_b64 vcc, exec, s[2:3]
	v_mov_b32_e32 v18, 0
	s_cbranch_vccnz .LBB61_122
; %bb.121:
	v_lshl_add_u64 v[18:19], v[14:15], 0, v[10:11]
	global_load_dword v20, v[18:19], off
	v_lshl_add_u64 v[18:19], v[12:13], 0, v[10:11]
	v_lshl_add_u64 v[14:15], v[2:3], 2, v[14:15]
	s_waitcnt vmcnt(0)
	v_mul_f32_e32 v20, s19, v20
	v_min_f32_e32 v17, v20, v17
	global_store_dword v[18:19], v17, off
	global_load_dword v14, v[14:15], off
	s_waitcnt vmcnt(0)
	v_mul_f32_e32 v18, s19, v14
.LBB61_122:
	v_max_f32_e32 v14, v50, v50
	v_max_f32_e32 v15, v18, v18
	v_min_f32_e32 v14, v15, v14
	v_lshl_add_u64 v[12:13], v[2:3], 2, v[12:13]
	global_store_dword v[12:13], v14, off
	v_add_u32_e32 v14, 0x68, v16
	v_mad_i64_i32 v[12:13], s[2:3], v14, s7, 0
	v_mad_i64_i32 v[14:15], s[2:3], v14, s6, 0
	v_lshl_add_u64 v[12:13], v[12:13], 2, s[0:1]
	s_mov_b64 s[2:3], -1
	v_max_f32_e32 v17, v49, v49
	s_mov_b64 vcc, s[4:5]
	s_cbranch_vccz .LBB61_124
; %bb.123:
	v_min_f32_e32 v20, 0, v17
	v_lshl_add_u64 v[18:19], v[4:5], 2, v[12:13]
	global_store_dword v[18:19], v20, off
	s_mov_b64 s[2:3], 0
.LBB61_124:
	v_lshl_add_u64 v[14:15], v[14:15], 2, s[12:13]
	s_andn2_b64 vcc, exec, s[2:3]
	v_mov_b32_e32 v18, 0
	s_cbranch_vccnz .LBB61_126
; %bb.125:
	v_lshl_add_u64 v[18:19], v[14:15], 0, v[8:9]
	global_load_dword v20, v[18:19], off
	v_lshl_add_u64 v[18:19], v[12:13], 0, v[8:9]
	s_waitcnt vmcnt(0)
	v_mul_f32_e32 v20, s19, v20
	v_min_f32_e32 v17, v20, v17
	global_store_dword v[18:19], v17, off
	v_lshl_add_u64 v[18:19], v[0:1], 2, v[14:15]
	global_load_dword v17, v[18:19], off
	s_waitcnt vmcnt(0)
	v_mul_f32_e32 v18, s19, v17
.LBB61_126:
	v_max_f32_e32 v17, v48, v48
	v_max_f32_e32 v18, v18, v18
	v_min_f32_e32 v17, v18, v17
	v_lshl_add_u64 v[18:19], v[0:1], 2, v[12:13]
	global_store_dword v[18:19], v17, off
	s_mov_b64 s[2:3], -1
	v_max_f32_e32 v17, v47, v47
	s_mov_b64 vcc, s[4:5]
	s_cbranch_vccz .LBB61_128
; %bb.127:
	v_min_f32_e32 v20, 0, v17
	v_lshl_add_u64 v[18:19], v[6:7], 2, v[12:13]
	global_store_dword v[18:19], v20, off
	s_mov_b64 s[2:3], 0
.LBB61_128:
	s_andn2_b64 vcc, exec, s[2:3]
	v_mov_b32_e32 v18, 0
	s_cbranch_vccnz .LBB61_130
; %bb.129:
	v_lshl_add_u64 v[18:19], v[14:15], 0, v[10:11]
	global_load_dword v20, v[18:19], off
	v_lshl_add_u64 v[18:19], v[12:13], 0, v[10:11]
	v_lshl_add_u64 v[14:15], v[2:3], 2, v[14:15]
	s_waitcnt vmcnt(0)
	v_mul_f32_e32 v20, s19, v20
	v_min_f32_e32 v17, v20, v17
	global_store_dword v[18:19], v17, off
	global_load_dword v14, v[14:15], off
	s_waitcnt vmcnt(0)
	v_mul_f32_e32 v18, s19, v14
.LBB61_130:
	v_max_f32_e32 v14, v46, v46
	v_max_f32_e32 v15, v18, v18
	v_min_f32_e32 v14, v15, v14
	v_lshl_add_u64 v[12:13], v[2:3], 2, v[12:13]
	global_store_dword v[12:13], v14, off
	v_add_u32_e32 v14, 0x70, v16
	v_mad_i64_i32 v[12:13], s[2:3], v14, s7, 0
	v_mad_i64_i32 v[14:15], s[2:3], v14, s6, 0
	v_lshl_add_u64 v[12:13], v[12:13], 2, s[0:1]
	s_mov_b64 s[2:3], -1
	v_max_f32_e32 v17, v45, v45
	s_mov_b64 vcc, s[4:5]
	s_cbranch_vccz .LBB61_132
; %bb.131:
	v_min_f32_e32 v20, 0, v17
	v_lshl_add_u64 v[18:19], v[4:5], 2, v[12:13]
	global_store_dword v[18:19], v20, off
	s_mov_b64 s[2:3], 0
.LBB61_132:
	v_lshl_add_u64 v[14:15], v[14:15], 2, s[12:13]
	s_andn2_b64 vcc, exec, s[2:3]
	v_mov_b32_e32 v18, 0
	s_cbranch_vccnz .LBB61_134
; %bb.133:
	v_lshl_add_u64 v[18:19], v[14:15], 0, v[8:9]
	global_load_dword v20, v[18:19], off
	v_lshl_add_u64 v[18:19], v[12:13], 0, v[8:9]
	s_waitcnt vmcnt(0)
	v_mul_f32_e32 v20, s19, v20
	v_min_f32_e32 v17, v20, v17
	global_store_dword v[18:19], v17, off
	v_lshl_add_u64 v[18:19], v[0:1], 2, v[14:15]
	global_load_dword v17, v[18:19], off
	s_waitcnt vmcnt(0)
	v_mul_f32_e32 v18, s19, v17
.LBB61_134:
	v_max_f32_e32 v17, v44, v44
	v_max_f32_e32 v18, v18, v18
	v_min_f32_e32 v17, v18, v17
	v_lshl_add_u64 v[18:19], v[0:1], 2, v[12:13]
	global_store_dword v[18:19], v17, off
	s_mov_b64 s[2:3], -1
	v_max_f32_e32 v17, v43, v43
	s_mov_b64 vcc, s[4:5]
	s_cbranch_vccz .LBB61_136
; %bb.135:
	v_min_f32_e32 v20, 0, v17
	v_lshl_add_u64 v[18:19], v[6:7], 2, v[12:13]
	global_store_dword v[18:19], v20, off
	s_mov_b64 s[2:3], 0
.LBB61_136:
	s_andn2_b64 vcc, exec, s[2:3]
	v_mov_b32_e32 v18, 0
	s_cbranch_vccnz .LBB61_138
; %bb.137:
	v_lshl_add_u64 v[18:19], v[14:15], 0, v[10:11]
	global_load_dword v20, v[18:19], off
	v_lshl_add_u64 v[18:19], v[12:13], 0, v[10:11]
	v_lshl_add_u64 v[14:15], v[2:3], 2, v[14:15]
	s_waitcnt vmcnt(0)
	v_mul_f32_e32 v20, s19, v20
	v_min_f32_e32 v17, v20, v17
	global_store_dword v[18:19], v17, off
	global_load_dword v14, v[14:15], off
	s_waitcnt vmcnt(0)
	v_mul_f32_e32 v18, s19, v14
.LBB61_138:
	v_max_f32_e32 v14, v42, v42
	v_max_f32_e32 v15, v18, v18
	v_min_f32_e32 v14, v15, v14
	v_lshl_add_u64 v[12:13], v[2:3], 2, v[12:13]
	global_store_dword v[12:13], v14, off
	v_add_u32_e32 v14, 0x78, v16
	v_mad_i64_i32 v[12:13], s[2:3], v14, s7, 0
	v_lshl_add_u64 v[12:13], v[12:13], 2, s[0:1]
	v_mad_i64_i32 v[14:15], s[0:1], v14, s6, 0
	s_mov_b64 s[0:1], -1
	v_max_f32_e32 v16, v41, v41
	s_mov_b64 vcc, s[4:5]
	s_cbranch_vccz .LBB61_140
; %bb.139:
	v_min_f32_e32 v17, 0, v16
	v_lshl_add_u64 v[4:5], v[4:5], 2, v[12:13]
	global_store_dword v[4:5], v17, off
	s_mov_b64 s[0:1], 0
.LBB61_140:
	v_lshl_add_u64 v[4:5], v[14:15], 2, s[12:13]
	s_andn2_b64 vcc, exec, s[0:1]
	v_mov_b32_e32 v14, 0
	s_cbranch_vccnz .LBB61_142
; %bb.141:
	v_lshl_add_u64 v[14:15], v[4:5], 0, v[8:9]
	global_load_dword v14, v[14:15], off
	v_lshl_add_u64 v[8:9], v[12:13], 0, v[8:9]
	s_waitcnt vmcnt(0)
	v_mul_f32_e32 v14, s19, v14
	v_min_f32_e32 v14, v14, v16
	global_store_dword v[8:9], v14, off
	v_lshl_add_u64 v[8:9], v[0:1], 2, v[4:5]
	global_load_dword v8, v[8:9], off
	s_waitcnt vmcnt(0)
	v_mul_f32_e32 v14, s19, v8
.LBB61_142:
	v_max_f32_e32 v8, v40, v40
	v_max_f32_e32 v9, v14, v14
	v_min_f32_e32 v8, v9, v8
	v_lshl_add_u64 v[0:1], v[0:1], 2, v[12:13]
	global_store_dword v[0:1], v8, off
	s_mov_b64 s[0:1], -1
	v_max_f32_e32 v0, v39, v39
	s_mov_b64 vcc, s[4:5]
	s_cbranch_vccz .LBB61_144
; %bb.143:
	v_min_f32_e32 v1, 0, v0
	v_lshl_add_u64 v[6:7], v[6:7], 2, v[12:13]
	global_store_dword v[6:7], v1, off
	s_mov_b64 s[0:1], 0
.LBB61_144:
	s_andn2_b64 vcc, exec, s[0:1]
	v_mov_b32_e32 v1, 0
	s_cbranch_vccnz .LBB61_146
; %bb.145:
	v_lshl_add_u64 v[6:7], v[4:5], 0, v[10:11]
	global_load_dword v1, v[6:7], off
	v_lshl_add_u64 v[6:7], v[12:13], 0, v[10:11]
	s_waitcnt vmcnt(0)
	v_mul_f32_e32 v1, s19, v1
	v_min_f32_e32 v0, v1, v0
	global_store_dword v[6:7], v0, off
	v_lshl_add_u64 v[0:1], v[2:3], 2, v[4:5]
	global_load_dword v0, v[0:1], off
	s_waitcnt vmcnt(0)
	v_mul_f32_e32 v1, s19, v0
.LBB61_146:
	v_max_f32_e32 v0, v38, v38
	v_max_f32_e32 v1, v1, v1
	v_min_f32_e32 v4, v1, v0
	v_lshl_add_u64 v[0:1], v[2:3], 2, v[12:13]
	global_store_dword v[0:1], v4, off
	s_endpgm
.LBB61_147:
	s_mov_b64 s[14:15], 0
	s_andn2_b64 vcc, exec, s[8:9]
	s_mov_b64 s[4:5], -1
	s_cbranch_vccz .LBB61_2
	s_branch .LBB61_3
	.section	.rodata,"a",@progbits
	.p2align	6, 0x0
	.amdhsa_kernel _ZN12_GLOBAL__N_120geam_min_plus_kernelIf15HIP_vector_typeIfLj2EEfLi32ELi8ELi128ELi128ELi4ELi4ELi64ELi4ELi64ELc84ELc78ELb1ELb0ELb1EfKffEEviiiT16_PT17_ilS6_ilS4_S6_ilPT18_ili26rocblas_geam_ex_operation_
		.amdhsa_group_segment_fixed_size 8192
		.amdhsa_private_segment_fixed_size 0
		.amdhsa_kernarg_size 128
		.amdhsa_user_sgpr_count 2
		.amdhsa_user_sgpr_dispatch_ptr 0
		.amdhsa_user_sgpr_queue_ptr 0
		.amdhsa_user_sgpr_kernarg_segment_ptr 1
		.amdhsa_user_sgpr_dispatch_id 0
		.amdhsa_user_sgpr_kernarg_preload_length 0
		.amdhsa_user_sgpr_kernarg_preload_offset 0
		.amdhsa_user_sgpr_private_segment_size 0
		.amdhsa_uses_dynamic_stack 0
		.amdhsa_enable_private_segment 0
		.amdhsa_system_sgpr_workgroup_id_x 1
		.amdhsa_system_sgpr_workgroup_id_y 0
		.amdhsa_system_sgpr_workgroup_id_z 1
		.amdhsa_system_sgpr_workgroup_info 0
		.amdhsa_system_vgpr_workitem_id 1
		.amdhsa_next_free_vgpr 138
		.amdhsa_next_free_sgpr 24
		.amdhsa_accum_offset 140
		.amdhsa_reserve_vcc 1
		.amdhsa_float_round_mode_32 0
		.amdhsa_float_round_mode_16_64 0
		.amdhsa_float_denorm_mode_32 3
		.amdhsa_float_denorm_mode_16_64 3
		.amdhsa_dx10_clamp 1
		.amdhsa_ieee_mode 1
		.amdhsa_fp16_overflow 0
		.amdhsa_tg_split 0
		.amdhsa_exception_fp_ieee_invalid_op 0
		.amdhsa_exception_fp_denorm_src 0
		.amdhsa_exception_fp_ieee_div_zero 0
		.amdhsa_exception_fp_ieee_overflow 0
		.amdhsa_exception_fp_ieee_underflow 0
		.amdhsa_exception_fp_ieee_inexact 0
		.amdhsa_exception_int_div_zero 0
	.end_amdhsa_kernel
	.section	.text._ZN12_GLOBAL__N_120geam_min_plus_kernelIf15HIP_vector_typeIfLj2EEfLi32ELi8ELi128ELi128ELi4ELi4ELi64ELi4ELi64ELc84ELc78ELb1ELb0ELb1EfKffEEviiiT16_PT17_ilS6_ilS4_S6_ilPT18_ili26rocblas_geam_ex_operation_,"axG",@progbits,_ZN12_GLOBAL__N_120geam_min_plus_kernelIf15HIP_vector_typeIfLj2EEfLi32ELi8ELi128ELi128ELi4ELi4ELi64ELi4ELi64ELc84ELc78ELb1ELb0ELb1EfKffEEviiiT16_PT17_ilS6_ilS4_S6_ilPT18_ili26rocblas_geam_ex_operation_,comdat
.Lfunc_end61:
	.size	_ZN12_GLOBAL__N_120geam_min_plus_kernelIf15HIP_vector_typeIfLj2EEfLi32ELi8ELi128ELi128ELi4ELi4ELi64ELi4ELi64ELc84ELc78ELb1ELb0ELb1EfKffEEviiiT16_PT17_ilS6_ilS4_S6_ilPT18_ili26rocblas_geam_ex_operation_, .Lfunc_end61-_ZN12_GLOBAL__N_120geam_min_plus_kernelIf15HIP_vector_typeIfLj2EEfLi32ELi8ELi128ELi128ELi4ELi4ELi64ELi4ELi64ELc84ELc78ELb1ELb0ELb1EfKffEEviiiT16_PT17_ilS6_ilS4_S6_ilPT18_ili26rocblas_geam_ex_operation_
                                        ; -- End function
	.set _ZN12_GLOBAL__N_120geam_min_plus_kernelIf15HIP_vector_typeIfLj2EEfLi32ELi8ELi128ELi128ELi4ELi4ELi64ELi4ELi64ELc84ELc78ELb1ELb0ELb1EfKffEEviiiT16_PT17_ilS6_ilS4_S6_ilPT18_ili26rocblas_geam_ex_operation_.num_vgpr, 138
	.set _ZN12_GLOBAL__N_120geam_min_plus_kernelIf15HIP_vector_typeIfLj2EEfLi32ELi8ELi128ELi128ELi4ELi4ELi64ELi4ELi64ELc84ELc78ELb1ELb0ELb1EfKffEEviiiT16_PT17_ilS6_ilS4_S6_ilPT18_ili26rocblas_geam_ex_operation_.num_agpr, 0
	.set _ZN12_GLOBAL__N_120geam_min_plus_kernelIf15HIP_vector_typeIfLj2EEfLi32ELi8ELi128ELi128ELi4ELi4ELi64ELi4ELi64ELc84ELc78ELb1ELb0ELb1EfKffEEviiiT16_PT17_ilS6_ilS4_S6_ilPT18_ili26rocblas_geam_ex_operation_.numbered_sgpr, 24
	.set _ZN12_GLOBAL__N_120geam_min_plus_kernelIf15HIP_vector_typeIfLj2EEfLi32ELi8ELi128ELi128ELi4ELi4ELi64ELi4ELi64ELc84ELc78ELb1ELb0ELb1EfKffEEviiiT16_PT17_ilS6_ilS4_S6_ilPT18_ili26rocblas_geam_ex_operation_.num_named_barrier, 0
	.set _ZN12_GLOBAL__N_120geam_min_plus_kernelIf15HIP_vector_typeIfLj2EEfLi32ELi8ELi128ELi128ELi4ELi4ELi64ELi4ELi64ELc84ELc78ELb1ELb0ELb1EfKffEEviiiT16_PT17_ilS6_ilS4_S6_ilPT18_ili26rocblas_geam_ex_operation_.private_seg_size, 0
	.set _ZN12_GLOBAL__N_120geam_min_plus_kernelIf15HIP_vector_typeIfLj2EEfLi32ELi8ELi128ELi128ELi4ELi4ELi64ELi4ELi64ELc84ELc78ELb1ELb0ELb1EfKffEEviiiT16_PT17_ilS6_ilS4_S6_ilPT18_ili26rocblas_geam_ex_operation_.uses_vcc, 1
	.set _ZN12_GLOBAL__N_120geam_min_plus_kernelIf15HIP_vector_typeIfLj2EEfLi32ELi8ELi128ELi128ELi4ELi4ELi64ELi4ELi64ELc84ELc78ELb1ELb0ELb1EfKffEEviiiT16_PT17_ilS6_ilS4_S6_ilPT18_ili26rocblas_geam_ex_operation_.uses_flat_scratch, 0
	.set _ZN12_GLOBAL__N_120geam_min_plus_kernelIf15HIP_vector_typeIfLj2EEfLi32ELi8ELi128ELi128ELi4ELi4ELi64ELi4ELi64ELc84ELc78ELb1ELb0ELb1EfKffEEviiiT16_PT17_ilS6_ilS4_S6_ilPT18_ili26rocblas_geam_ex_operation_.has_dyn_sized_stack, 0
	.set _ZN12_GLOBAL__N_120geam_min_plus_kernelIf15HIP_vector_typeIfLj2EEfLi32ELi8ELi128ELi128ELi4ELi4ELi64ELi4ELi64ELc84ELc78ELb1ELb0ELb1EfKffEEviiiT16_PT17_ilS6_ilS4_S6_ilPT18_ili26rocblas_geam_ex_operation_.has_recursion, 0
	.set _ZN12_GLOBAL__N_120geam_min_plus_kernelIf15HIP_vector_typeIfLj2EEfLi32ELi8ELi128ELi128ELi4ELi4ELi64ELi4ELi64ELc84ELc78ELb1ELb0ELb1EfKffEEviiiT16_PT17_ilS6_ilS4_S6_ilPT18_ili26rocblas_geam_ex_operation_.has_indirect_call, 0
	.section	.AMDGPU.csdata,"",@progbits
; Kernel info:
; codeLenInByte = 12520
; TotalNumSgprs: 30
; NumVgprs: 138
; NumAgprs: 0
; TotalNumVgprs: 138
; ScratchSize: 0
; MemoryBound: 0
; FloatMode: 240
; IeeeMode: 1
; LDSByteSize: 8192 bytes/workgroup (compile time only)
; SGPRBlocks: 3
; VGPRBlocks: 17
; NumSGPRsForWavesPerEU: 30
; NumVGPRsForWavesPerEU: 138
; AccumOffset: 140
; Occupancy: 3
; WaveLimiterHint : 0
; COMPUTE_PGM_RSRC2:SCRATCH_EN: 0
; COMPUTE_PGM_RSRC2:USER_SGPR: 2
; COMPUTE_PGM_RSRC2:TRAP_HANDLER: 0
; COMPUTE_PGM_RSRC2:TGID_X_EN: 1
; COMPUTE_PGM_RSRC2:TGID_Y_EN: 0
; COMPUTE_PGM_RSRC2:TGID_Z_EN: 1
; COMPUTE_PGM_RSRC2:TIDIG_COMP_CNT: 1
; COMPUTE_PGM_RSRC3_GFX90A:ACCUM_OFFSET: 34
; COMPUTE_PGM_RSRC3_GFX90A:TG_SPLIT: 0
	.section	.text._ZN12_GLOBAL__N_120geam_min_plus_kernelIf15HIP_vector_typeIfLj2EEfLi32ELi8ELi128ELi128ELi4ELi4ELi64ELi4ELi64ELc84ELc78ELb0ELb0ELb1EfKffEEviiiT16_PT17_ilS6_ilS4_S6_ilPT18_ili26rocblas_geam_ex_operation_,"axG",@progbits,_ZN12_GLOBAL__N_120geam_min_plus_kernelIf15HIP_vector_typeIfLj2EEfLi32ELi8ELi128ELi128ELi4ELi4ELi64ELi4ELi64ELc84ELc78ELb0ELb0ELb1EfKffEEviiiT16_PT17_ilS6_ilS4_S6_ilPT18_ili26rocblas_geam_ex_operation_,comdat
	.globl	_ZN12_GLOBAL__N_120geam_min_plus_kernelIf15HIP_vector_typeIfLj2EEfLi32ELi8ELi128ELi128ELi4ELi4ELi64ELi4ELi64ELc84ELc78ELb0ELb0ELb1EfKffEEviiiT16_PT17_ilS6_ilS4_S6_ilPT18_ili26rocblas_geam_ex_operation_ ; -- Begin function _ZN12_GLOBAL__N_120geam_min_plus_kernelIf15HIP_vector_typeIfLj2EEfLi32ELi8ELi128ELi128ELi4ELi4ELi64ELi4ELi64ELc84ELc78ELb0ELb0ELb1EfKffEEviiiT16_PT17_ilS6_ilS4_S6_ilPT18_ili26rocblas_geam_ex_operation_
	.p2align	8
	.type	_ZN12_GLOBAL__N_120geam_min_plus_kernelIf15HIP_vector_typeIfLj2EEfLi32ELi8ELi128ELi128ELi4ELi4ELi64ELi4ELi64ELc84ELc78ELb0ELb0ELb1EfKffEEviiiT16_PT17_ilS6_ilS4_S6_ilPT18_ili26rocblas_geam_ex_operation_,@function
_ZN12_GLOBAL__N_120geam_min_plus_kernelIf15HIP_vector_typeIfLj2EEfLi32ELi8ELi128ELi128ELi4ELi4ELi64ELi4ELi64ELc84ELc78ELb0ELb0ELb1EfKffEEviiiT16_PT17_ilS6_ilS4_S6_ilPT18_ili26rocblas_geam_ex_operation_: ; @_ZN12_GLOBAL__N_120geam_min_plus_kernelIf15HIP_vector_typeIfLj2EEfLi32ELi8ELi128ELi128ELi4ELi4ELi64ELi4ELi64ELc84ELc78ELb0ELb0ELb1EfKffEEviiiT16_PT17_ilS6_ilS4_S6_ilPT18_ili26rocblas_geam_ex_operation_
; %bb.0:
	s_load_dwordx2 s[18:19], s[0:1], 0x8
	s_load_dwordx4 s[8:11], s[0:1], 0x20
	s_waitcnt lgkmcnt(0)
	v_cmp_eq_f32_e64 s[6:7], s19, 0
	s_and_b64 s[4:5], exec, s[6:7]
	s_mov_b64 vcc, s[4:5]
	s_cbranch_vccnz .LBB62_172
; %bb.1:
	s_load_dwordx2 s[12:13], s[0:1], 0x10
	s_mul_i32 s9, s9, s3
	s_mul_hi_u32 s14, s8, s3
	s_add_i32 s9, s14, s9
	s_mul_i32 s8, s8, s3
	s_lshl_b64 s[8:9], s[8:9], 2
	s_waitcnt lgkmcnt(0)
	s_add_u32 s20, s12, s8
	s_addc_u32 s21, s13, s9
	s_andn2_b64 vcc, exec, s[6:7]
	s_mov_b64 s[6:7], -1
	s_cbranch_vccnz .LBB62_3
.LBB62_2:
	s_mov_b64 s[6:7], 0
.LBB62_3:
	s_mov_b64 s[16:17], 0
	s_andn2_b64 vcc, exec, s[6:7]
	s_mov_b64 s[22:23], 0
	s_cbranch_vccnz .LBB62_5
; %bb.4:
	s_load_dwordx2 s[6:7], s[0:1], 0x38
	s_waitcnt lgkmcnt(0)
	s_mul_i32 s7, s7, s3
	s_mul_hi_u32 s8, s6, s3
	s_add_i32 s7, s8, s7
	s_mul_i32 s6, s6, s3
	s_lshl_b64 s[6:7], s[6:7], 2
	s_add_u32 s22, s10, s6
	s_addc_u32 s23, s11, s7
.LBB62_5:
	s_load_dword s24, s[0:1], 0x40
	s_load_dwordx4 s[12:15], s[0:1], 0x58
	v_cmp_neq_f32_e64 s[10:11], s19, 0
	s_waitcnt lgkmcnt(0)
	v_cmp_eq_f32_e64 s[6:7], s24, 0
	s_and_b64 s[8:9], exec, s[6:7]
	s_mov_b64 vcc, s[8:9]
	s_cbranch_vccnz .LBB62_7
; %bb.6:
	s_load_dwordx2 s[6:7], s[0:1], 0x48
	s_mul_i32 s13, s13, s3
	s_mul_hi_u32 s16, s12, s3
	s_add_i32 s13, s16, s13
	s_mul_i32 s12, s12, s3
	s_lshl_b64 s[12:13], s[12:13], 2
	s_waitcnt lgkmcnt(0)
	s_add_u32 s16, s6, s12
	s_addc_u32 s17, s7, s13
.LBB62_7:
	s_load_dword s6, s[0:1], 0x0
	s_load_dword s25, s[0:1], 0x18
	v_and_b32_e32 v95, 0x3ff, v0
	v_bfe_u32 v96, v0, 10, 10
	v_and_b32_e32 v106, 3, v0
	s_waitcnt lgkmcnt(0)
	s_add_i32 s6, s6, -1
	s_ashr_i32 s7, s6, 31
	s_lshr_b32 s7, s7, 25
	s_add_i32 s6, s6, s7
	s_ashr_i32 s12, s6, 7
	s_add_i32 s13, s12, 1
	v_cvt_f32_u32_e32 v1, s13
	s_not_b32 s12, s12
	v_lshl_add_u32 v2, v96, 5, v95
	v_mov_b32_e32 v13, 0
	v_rcp_iflag_f32_e32 v0, v1
	v_cndmask_b32_e64 v1, 0, 1, s[10:11]
	v_lshlrev_b32_e32 v12, 2, v106
	v_lshrrev_b32_e32 v15, 2, v2
	v_mul_f32_e32 v0, 0x4f7ffffe, v0
	v_cvt_u32_f32_e32 v0, v0
	v_cmp_ne_u32_e64 s[6:7], 1, v1
	v_lshl_add_u64 v[2:3], s[20:21], 0, v[12:13]
	v_readfirstlane_b32 s26, v0
	s_mul_i32 s12, s12, s26
	s_mul_hi_u32 s12, s26, s12
	s_add_i32 s26, s26, s12
	s_mul_hi_u32 s12, s2, s26
	s_mul_i32 s26, s12, s13
	s_sub_i32 s26, s2, s26
	s_add_i32 s27, s12, 1
	s_sub_i32 s28, s26, s13
	s_cmp_ge_u32 s26, s13
	s_cselect_b32 s12, s27, s12
	s_cselect_b32 s26, s28, s26
	s_add_i32 s27, s12, 1
	s_cmp_ge_u32 s26, s13
	s_cselect_b32 s12, s27, s12
	s_mul_i32 s13, s12, s13
	s_sub_i32 s2, s2, s13
	s_lshl_b32 s2, s2, 7
	v_add_u32_e32 v16, s2, v15
	s_andn2_b64 vcc, exec, s[10:11]
	s_cbranch_vccnz .LBB62_9
; %bb.8:
	v_mad_i64_i32 v[0:1], s[10:11], v16, s25, 0
	v_lshl_add_u64 v[0:1], v[0:1], 2, v[2:3]
	global_load_dword v0, v[0:1], off
	s_waitcnt vmcnt(0)
	v_mul_f32_e32 v13, s19, v0
.LBB62_9:
	s_load_dword s26, s[0:1], 0x30
	s_lshl_b32 s12, s12, 7
	s_mov_b64 vcc, s[4:5]
	s_cbranch_vccz .LBB62_11
; %bb.10:
	v_mov_b32_e32 v1, 0
	v_mov_b32_e32 v0, v13
	s_mov_b64 s[10:11], 0
	s_branch .LBB62_12
.LBB62_11:
	s_mov_b64 s[10:11], -1
                                        ; implicit-def: $vgpr0_vgpr1
.LBB62_12:
	v_add_u32_e32 v18, s12, v15
	v_mov_b32_e32 v14, 0
	s_andn2_b64 vcc, exec, s[10:11]
	v_add_u32_e32 v19, 64, v16
	v_add_u32_e32 v17, 64, v18
	v_mov_b32_e32 v4, 0
	v_mov_b32_e32 v5, 0
	s_cbranch_vccnz .LBB62_14
; %bb.13:
	v_mad_i64_i32 v[0:1], s[10:11], v19, s25, 0
	v_lshl_add_u64 v[0:1], v[0:1], 2, v[2:3]
	global_load_dword v1, v[0:1], off
	v_mov_b32_e32 v0, v13
	v_mov_b32_e32 v13, 0
	v_lshl_add_u64 v[4:5], s[22:23], 0, v[12:13]
	s_waitcnt lgkmcnt(0)
	v_mad_i64_i32 v[6:7], s[10:11], v18, s26, 0
	v_lshl_add_u64 v[6:7], v[6:7], 2, v[4:5]
	v_mad_i64_i32 v[8:9], s[10:11], v17, s26, 0
	v_lshl_add_u64 v[4:5], v[8:9], 2, v[4:5]
	global_load_dword v8, v[6:7], off
	global_load_dword v9, v[4:5], off
	s_waitcnt vmcnt(2)
	v_mul_f32_e32 v1, s19, v1
	s_waitcnt vmcnt(1)
	v_mul_f32_e32 v5, s19, v8
	;; [unrolled: 2-line block ×3, first 2 shown]
.LBB62_14:
	s_and_b64 vcc, exec, s[6:7]
	s_cbranch_vccnz .LBB62_16
; %bb.15:
	v_mad_i64_i32 v[6:7], s[10:11], v16, s25, 0
	v_lshl_add_u64 v[6:7], v[6:7], 2, v[2:3]
	global_load_dword v6, v[6:7], off offset:16
	s_waitcnt vmcnt(0)
	v_mul_f32_e32 v14, s19, v6
.LBB62_16:
	v_mov_b32_e32 v20, 0
	s_mov_b64 vcc, s[4:5]
	s_cbranch_vccz .LBB62_18
; %bb.17:
	v_mov_b32_e32 v13, 0
	v_mov_b32_e32 v21, 0
	s_cbranch_execz .LBB62_19
	s_branch .LBB62_20
.LBB62_18:
                                        ; implicit-def: $vgpr13
	v_mov_b32_e32 v21, 0
.LBB62_19:
	v_mad_i64_i32 v[6:7], s[10:11], v19, s25, 0
	v_lshl_add_u64 v[2:3], v[6:7], 2, v[2:3]
	v_mov_b32_e32 v13, 0
	global_load_dword v10, v[2:3], off offset:16
	v_lshl_add_u64 v[2:3], s[22:23], 0, v[12:13]
	s_waitcnt lgkmcnt(0)
	v_mad_i64_i32 v[6:7], s[10:11], v18, s26, 0
	v_lshl_add_u64 v[6:7], v[6:7], 2, v[2:3]
	v_mad_i64_i32 v[8:9], s[10:11], v17, s26, 0
	v_lshl_add_u64 v[2:3], v[8:9], 2, v[2:3]
	global_load_dword v8, v[6:7], off offset:16
	global_load_dword v9, v[2:3], off offset:16
	s_waitcnt vmcnt(2)
	v_mul_f32_e32 v13, s19, v10
	s_waitcnt vmcnt(1)
	v_mul_f32_e32 v21, s19, v8
	;; [unrolled: 2-line block ×3, first 2 shown]
.LBB62_20:
	v_lshlrev_b32_e32 v2, 4, v15
	v_lshl_or_b32 v107, v106, 2, v2
	ds_write2st64_b32 v107, v0, v1 offset1:4
	v_mov_b32_e32 v0, 0x1000
	v_add_u32_e32 v108, 0x1000, v107
	v_lshlrev_b32_e32 v109, 4, v95
	v_lshl_add_u32 v110, v96, 4, v0
	v_mov_b32_e32 v105, 0x7f7fffff
	s_mov_b32 s13, 0
	s_mov_b64 s[10:11], -1
	v_mov_b32_e32 v104, 0x7f7fffff
	v_mov_b32_e32 v103, 0x7f7fffff
	;; [unrolled: 1-line block ×63, first 2 shown]
	ds_write2st64_b32 v107, v5, v4 offset0:16 offset1:20
	s_waitcnt lgkmcnt(0)
	s_barrier
.LBB62_21:                              ; =>This Inner Loop Header: Depth=1
	v_cndmask_b32_e64 v0, 0, 1, s[10:11]
	s_lshl_b32 s10, s13, 2
	v_cmp_ne_u32_e32 vcc, 1, v0
	v_add_u32_e32 v0, s10, v109
	ds_read2st64_b64 v[4:7], v0 offset1:1
	ds_read2st64_b64 v[0:3], v0 offset0:2 offset1:3
	v_add_u32_e32 v8, s10, v110
	ds_read2_b64 v[22:25], v8 offset1:16
	ds_read2_b64 v[26:29], v8 offset0:32 offset1:48
	ds_read2_b64 v[30:33], v8 offset0:64 offset1:80
	;; [unrolled: 1-line block ×7, first 2 shown]
	s_mov_b64 s[10:11], 0
	s_waitcnt lgkmcnt(7)
	v_pk_add_f32 v[38:39], v[4:5], v[22:23]
	s_and_b64 vcc, exec, vcc
	v_min3_f32 v105, v38, v39, v105
	v_pk_add_f32 v[38:39], v[6:7], v[22:23]
	s_mov_b32 s13, 2
	v_min3_f32 v104, v38, v39, v104
	v_pk_add_f32 v[38:39], v[0:1], v[22:23]
	v_pk_add_f32 v[22:23], v[2:3], v[22:23]
	v_min3_f32 v103, v38, v39, v103
	v_min3_f32 v102, v22, v23, v102
	v_pk_add_f32 v[22:23], v[4:5], v[24:25]
	s_nop 0
	v_min3_f32 v101, v22, v23, v101
	v_pk_add_f32 v[22:23], v[6:7], v[24:25]
	s_nop 0
	v_min3_f32 v100, v22, v23, v100
	v_pk_add_f32 v[22:23], v[0:1], v[24:25]
	s_nop 0
	v_min3_f32 v99, v22, v23, v99
	v_pk_add_f32 v[22:23], v[2:3], v[24:25]
	s_nop 0
	v_min3_f32 v98, v22, v23, v98
	s_waitcnt lgkmcnt(6)
	v_pk_add_f32 v[22:23], v[4:5], v[26:27]
	s_nop 0
	v_min3_f32 v97, v22, v23, v97
	v_pk_add_f32 v[22:23], v[6:7], v[26:27]
	s_nop 0
	v_min3_f32 v94, v22, v23, v94
	v_pk_add_f32 v[22:23], v[0:1], v[26:27]
	s_nop 0
	v_min3_f32 v93, v22, v23, v93
	v_pk_add_f32 v[22:23], v[2:3], v[26:27]
	s_nop 0
	v_min3_f32 v92, v22, v23, v92
	v_pk_add_f32 v[22:23], v[4:5], v[28:29]
	s_nop 0
	v_min3_f32 v91, v22, v23, v91
	v_pk_add_f32 v[22:23], v[6:7], v[28:29]
	s_nop 0
	v_min3_f32 v90, v22, v23, v90
	v_pk_add_f32 v[22:23], v[0:1], v[28:29]
	s_nop 0
	v_min3_f32 v89, v22, v23, v89
	v_pk_add_f32 v[22:23], v[2:3], v[28:29]
	s_nop 0
	v_min3_f32 v88, v22, v23, v88
	s_waitcnt lgkmcnt(5)
	v_pk_add_f32 v[22:23], v[4:5], v[30:31]
	s_nop 0
	v_min3_f32 v87, v22, v23, v87
	v_pk_add_f32 v[22:23], v[6:7], v[30:31]
	s_nop 0
	v_min3_f32 v86, v22, v23, v86
	v_pk_add_f32 v[22:23], v[0:1], v[30:31]
	s_nop 0
	v_min3_f32 v85, v22, v23, v85
	v_pk_add_f32 v[22:23], v[2:3], v[30:31]
	s_nop 0
	;; [unrolled: 25-line block ×6, first 2 shown]
	v_min3_f32 v52, v22, v23, v52
	v_pk_add_f32 v[22:23], v[4:5], v[122:123]
	s_nop 0
	v_min3_f32 v51, v22, v23, v51
	v_pk_add_f32 v[22:23], v[6:7], v[122:123]
	s_nop 0
	;; [unrolled: 3-line block ×4, first 2 shown]
	v_min3_f32 v48, v22, v23, v48
	s_waitcnt lgkmcnt(0)
	v_pk_add_f32 v[22:23], v[4:5], v[8:9]
	v_pk_add_f32 v[4:5], v[4:5], v[10:11]
	v_min3_f32 v47, v22, v23, v47
	v_pk_add_f32 v[22:23], v[6:7], v[8:9]
	v_min3_f32 v43, v4, v5, v43
	v_min3_f32 v46, v22, v23, v46
	v_pk_add_f32 v[22:23], v[0:1], v[8:9]
	v_pk_add_f32 v[0:1], v[0:1], v[10:11]
	;; [unrolled: 1-line block ×4, first 2 shown]
	v_min3_f32 v41, v0, v1, v41
	v_pk_add_f32 v[0:1], v[2:3], v[10:11]
	v_min3_f32 v45, v22, v23, v45
	v_min3_f32 v44, v8, v9, v44
	v_min3_f32 v42, v4, v5, v42
	v_min3_f32 v40, v0, v1, v40
	s_cbranch_vccz .LBB62_21
; %bb.22:
	v_lshl_or_b32 v0, v15, 4, v12
	s_cmp_lt_i32 s18, 9
	ds_write2st64_b32 v0, v14, v13 offset0:8 offset1:12
	ds_write2st64_b32 v0, v21, v20 offset0:24 offset1:28
	s_waitcnt lgkmcnt(0)
	s_barrier
	s_cbranch_scc1 .LBB62_41
; %bb.23:
	v_add_u32_e32 v111, 0x800, v0
	v_add_u32_e32 v112, 0x1800, v0
	v_mov_b32_e32 v0, 0x800
	v_lshl_add_u32 v113, v95, 4, v0
	v_mov_b32_e32 v0, 0x1800
	s_add_i32 s13, s18, -8
	v_mad_i64_i32 v[20:21], s[10:11], v16, s25, 0
	v_mad_i64_i32 v[22:23], s[10:11], v19, s25, 0
	;; [unrolled: 1-line block ×4, first 2 shown]
	v_lshl_add_u32 v114, v96, 4, v0
	s_mov_b32 s18, 8
	s_mov_b32 s25, 0
	v_mov_b32_e32 v29, 0
.LBB62_24:                              ; =>This Loop Header: Depth=1
                                        ;     Child Loop BB62_31 Depth 2
                                        ;     Child Loop BB62_38 Depth 2
	v_or_b32_e32 v28, s18, v106
	v_lshl_add_u64 v[0:1], v[28:29], 2, s[20:21]
	s_and_b64 vcc, exec, s[6:7]
	v_lshl_add_u64 v[34:35], v[20:21], 2, v[0:1]
	v_mov_b32_e32 v36, v29
	s_cbranch_vccnz .LBB62_26
; %bb.25:                               ;   in Loop: Header=BB62_24 Depth=1
	global_load_dword v2, v[34:35], off
	s_waitcnt vmcnt(0)
	v_mul_f32_e32 v36, s19, v2
.LBB62_26:                              ;   in Loop: Header=BB62_24 Depth=1
	s_mov_b64 s[10:11], -1
	s_mov_b64 vcc, s[4:5]
                                        ; implicit-def: $vgpr38_vgpr39
                                        ; implicit-def: $vgpr37
	s_cbranch_vccz .LBB62_28
; %bb.27:                               ;   in Loop: Header=BB62_24 Depth=1
	v_mov_b32_e32 v37, v29
	v_mov_b32_e32 v38, v29
	s_mov_b64 s[10:11], 0
.LBB62_28:                              ;   in Loop: Header=BB62_24 Depth=1
	v_mov_b32_e32 v39, 0
	s_andn2_b64 vcc, exec, s[10:11]
	v_lshl_add_u64 v[32:33], v[22:23], 2, v[0:1]
	v_lshl_add_u64 v[30:31], v[28:29], 2, s[22:23]
	s_cbranch_vccnz .LBB62_30
; %bb.29:                               ;   in Loop: Header=BB62_24 Depth=1
	v_lshl_add_u64 v[0:1], v[24:25], 2, v[30:31]
	global_load_dword v4, v[32:33], off
	v_lshl_add_u64 v[2:3], v[26:27], 2, v[30:31]
	global_load_dword v5, v[0:1], off
	global_load_dword v6, v[2:3], off
	s_waitcnt vmcnt(2)
	v_mul_f32_e32 v37, s19, v4
	s_waitcnt vmcnt(1)
	v_mul_f32_e32 v38, s19, v5
	;; [unrolled: 2-line block ×3, first 2 shown]
.LBB62_30:                              ;   in Loop: Header=BB62_24 Depth=1
	s_mov_b32 s26, 0
	s_mov_b64 s[10:11], -1
.LBB62_31:                              ;   Parent Loop BB62_24 Depth=1
                                        ; =>  This Inner Loop Header: Depth=2
	v_cndmask_b32_e64 v0, 0, 1, s[10:11]
	s_lshl_b32 s10, s26, 2
	v_cmp_ne_u32_e32 vcc, 1, v0
	v_add_u32_e32 v0, s10, v113
	ds_read2st64_b64 v[4:7], v0 offset1:1
	ds_read2st64_b64 v[0:3], v0 offset0:2 offset1:3
	v_add_u32_e32 v8, s10, v114
	ds_read2_b64 v[116:119], v8 offset1:16
	ds_read2_b64 v[120:123], v8 offset0:32 offset1:48
	ds_read2_b64 v[124:127], v8 offset0:64 offset1:80
	;; [unrolled: 1-line block ×7, first 2 shown]
	s_mov_b64 s[10:11], 0
	s_waitcnt lgkmcnt(7)
	v_pk_add_f32 v[136:137], v[4:5], v[116:117]
	s_and_b64 vcc, exec, vcc
	v_min3_f32 v105, v136, v137, v105
	v_pk_add_f32 v[136:137], v[6:7], v[116:117]
	s_mov_b32 s26, 2
	v_min3_f32 v104, v136, v137, v104
	v_pk_add_f32 v[136:137], v[0:1], v[116:117]
	v_pk_add_f32 v[116:117], v[2:3], v[116:117]
	v_min3_f32 v103, v136, v137, v103
	v_min3_f32 v102, v116, v117, v102
	v_pk_add_f32 v[116:117], v[4:5], v[118:119]
	s_nop 0
	v_min3_f32 v101, v116, v117, v101
	v_pk_add_f32 v[116:117], v[6:7], v[118:119]
	s_nop 0
	v_min3_f32 v100, v116, v117, v100
	v_pk_add_f32 v[116:117], v[0:1], v[118:119]
	s_nop 0
	v_min3_f32 v99, v116, v117, v99
	v_pk_add_f32 v[116:117], v[2:3], v[118:119]
	s_nop 0
	v_min3_f32 v98, v116, v117, v98
	s_waitcnt lgkmcnt(6)
	v_pk_add_f32 v[116:117], v[4:5], v[120:121]
	s_nop 0
	v_min3_f32 v97, v116, v117, v97
	v_pk_add_f32 v[116:117], v[6:7], v[120:121]
	s_nop 0
	v_min3_f32 v94, v116, v117, v94
	v_pk_add_f32 v[116:117], v[0:1], v[120:121]
	s_nop 0
	v_min3_f32 v93, v116, v117, v93
	v_pk_add_f32 v[116:117], v[2:3], v[120:121]
	s_nop 0
	v_min3_f32 v92, v116, v117, v92
	v_pk_add_f32 v[116:117], v[4:5], v[122:123]
	s_nop 0
	v_min3_f32 v91, v116, v117, v91
	v_pk_add_f32 v[116:117], v[6:7], v[122:123]
	s_nop 0
	v_min3_f32 v90, v116, v117, v90
	v_pk_add_f32 v[116:117], v[0:1], v[122:123]
	s_nop 0
	v_min3_f32 v89, v116, v117, v89
	v_pk_add_f32 v[116:117], v[2:3], v[122:123]
	s_nop 0
	v_min3_f32 v88, v116, v117, v88
	s_waitcnt lgkmcnt(5)
	v_pk_add_f32 v[116:117], v[4:5], v[124:125]
	s_nop 0
	v_min3_f32 v87, v116, v117, v87
	v_pk_add_f32 v[116:117], v[6:7], v[124:125]
	s_nop 0
	v_min3_f32 v86, v116, v117, v86
	v_pk_add_f32 v[116:117], v[0:1], v[124:125]
	s_nop 0
	v_min3_f32 v85, v116, v117, v85
	v_pk_add_f32 v[116:117], v[2:3], v[124:125]
	s_nop 0
	;; [unrolled: 25-line block ×4, first 2 shown]
	v_min3_f32 v68, v116, v117, v68
	v_pk_add_f32 v[116:117], v[4:5], v[134:135]
	s_nop 0
	v_min3_f32 v67, v116, v117, v67
	v_pk_add_f32 v[116:117], v[6:7], v[134:135]
	s_nop 0
	;; [unrolled: 3-line block ×4, first 2 shown]
	v_min3_f32 v64, v116, v117, v64
	s_waitcnt lgkmcnt(2)
	v_pk_add_f32 v[116:117], v[4:5], v[16:17]
	s_nop 0
	v_min3_f32 v63, v116, v117, v63
	v_pk_add_f32 v[116:117], v[6:7], v[16:17]
	s_nop 0
	v_min3_f32 v62, v116, v117, v62
	v_pk_add_f32 v[116:117], v[0:1], v[16:17]
	v_pk_add_f32 v[16:17], v[2:3], v[16:17]
	v_min3_f32 v61, v116, v117, v61
	v_min3_f32 v60, v16, v17, v60
	v_pk_add_f32 v[16:17], v[4:5], v[18:19]
	s_nop 0
	v_min3_f32 v59, v16, v17, v59
	v_pk_add_f32 v[16:17], v[6:7], v[18:19]
	s_nop 0
	;; [unrolled: 3-line block ×4, first 2 shown]
	v_min3_f32 v56, v16, v17, v56
	s_waitcnt lgkmcnt(1)
	v_pk_add_f32 v[16:17], v[4:5], v[12:13]
	s_nop 0
	v_min3_f32 v55, v16, v17, v55
	v_pk_add_f32 v[16:17], v[6:7], v[12:13]
	s_nop 0
	v_min3_f32 v54, v16, v17, v54
	v_pk_add_f32 v[16:17], v[0:1], v[12:13]
	v_pk_add_f32 v[12:13], v[2:3], v[12:13]
	v_min3_f32 v53, v16, v17, v53
	v_min3_f32 v52, v12, v13, v52
	v_pk_add_f32 v[12:13], v[4:5], v[14:15]
	s_nop 0
	v_min3_f32 v51, v12, v13, v51
	v_pk_add_f32 v[12:13], v[6:7], v[14:15]
	s_nop 0
	;; [unrolled: 3-line block ×4, first 2 shown]
	v_min3_f32 v48, v12, v13, v48
	s_waitcnt lgkmcnt(0)
	v_pk_add_f32 v[12:13], v[4:5], v[8:9]
	v_pk_add_f32 v[4:5], v[4:5], v[10:11]
	v_min3_f32 v47, v12, v13, v47
	v_pk_add_f32 v[12:13], v[6:7], v[8:9]
	v_min3_f32 v43, v4, v5, v43
	v_min3_f32 v46, v12, v13, v46
	v_pk_add_f32 v[12:13], v[0:1], v[8:9]
	v_pk_add_f32 v[0:1], v[0:1], v[10:11]
	;; [unrolled: 1-line block ×4, first 2 shown]
	v_min3_f32 v41, v0, v1, v41
	v_pk_add_f32 v[0:1], v[2:3], v[10:11]
	v_min3_f32 v45, v12, v13, v45
	v_min3_f32 v44, v8, v9, v44
	;; [unrolled: 1-line block ×4, first 2 shown]
	s_cbranch_vccz .LBB62_31
; %bb.32:                               ;   in Loop: Header=BB62_24 Depth=1
	s_and_b64 vcc, exec, s[6:7]
	ds_write2st64_b32 v107, v36, v37 offset1:4
	ds_write2st64_b32 v108, v38, v39 offset1:4
	s_waitcnt lgkmcnt(0)
	s_barrier
	s_cbranch_vccnz .LBB62_40
; %bb.33:                               ;   in Loop: Header=BB62_24 Depth=1
	global_load_dword v0, v[34:35], off offset:16
	s_waitcnt vmcnt(0)
	v_mul_f32_e32 v12, s19, v0
	s_mov_b64 s[10:11], -1
	s_mov_b64 vcc, s[4:5]
                                        ; implicit-def: $vgpr14_vgpr15
                                        ; implicit-def: $vgpr13
	s_cbranch_vccz .LBB62_35
.LBB62_34:                              ;   in Loop: Header=BB62_24 Depth=1
	v_mov_b32_e32 v13, v29
	v_mov_b32_e32 v14, v29
	s_mov_b64 s[10:11], 0
.LBB62_35:                              ;   in Loop: Header=BB62_24 Depth=1
	s_andn2_b64 vcc, exec, s[10:11]
	v_mov_b32_e32 v15, 0
	s_cbranch_vccnz .LBB62_37
; %bb.36:                               ;   in Loop: Header=BB62_24 Depth=1
	v_lshl_add_u64 v[0:1], v[24:25], 2, v[30:31]
	global_load_dword v4, v[32:33], off offset:16
	v_lshl_add_u64 v[2:3], v[26:27], 2, v[30:31]
	global_load_dword v5, v[0:1], off offset:16
	global_load_dword v6, v[2:3], off offset:16
	s_waitcnt vmcnt(2)
	v_mul_f32_e32 v13, s19, v4
	s_waitcnt vmcnt(1)
	v_mul_f32_e32 v14, s19, v5
	;; [unrolled: 2-line block ×3, first 2 shown]
.LBB62_37:                              ;   in Loop: Header=BB62_24 Depth=1
	s_mov_b32 s26, 0
	s_mov_b64 s[10:11], -1
.LBB62_38:                              ;   Parent Loop BB62_24 Depth=1
                                        ; =>  This Inner Loop Header: Depth=2
	v_cndmask_b32_e64 v0, 0, 1, s[10:11]
	s_lshl_b32 s10, s26, 2
	v_cmp_ne_u32_e32 vcc, 1, v0
	v_add_u32_e32 v0, s10, v109
	ds_read2st64_b64 v[4:7], v0 offset1:1
	ds_read2st64_b64 v[0:3], v0 offset0:2 offset1:3
	v_add_u32_e32 v8, s10, v110
	ds_read2_b64 v[16:19], v8 offset1:16
	ds_read2_b64 v[30:33], v8 offset0:32 offset1:48
	ds_read2_b64 v[34:37], v8 offset0:64 offset1:80
	;; [unrolled: 1-line block ×7, first 2 shown]
	s_mov_b64 s[10:11], 0
	s_waitcnt lgkmcnt(7)
	v_pk_add_f32 v[38:39], v[4:5], v[16:17]
	s_and_b64 vcc, exec, vcc
	v_min3_f32 v105, v38, v39, v105
	v_pk_add_f32 v[38:39], v[6:7], v[16:17]
	s_mov_b32 s26, 2
	v_min3_f32 v104, v38, v39, v104
	v_pk_add_f32 v[38:39], v[0:1], v[16:17]
	v_pk_add_f32 v[16:17], v[2:3], v[16:17]
	v_min3_f32 v103, v38, v39, v103
	v_min3_f32 v102, v16, v17, v102
	v_pk_add_f32 v[16:17], v[4:5], v[18:19]
	s_nop 0
	v_min3_f32 v101, v16, v17, v101
	v_pk_add_f32 v[16:17], v[6:7], v[18:19]
	s_nop 0
	v_min3_f32 v100, v16, v17, v100
	v_pk_add_f32 v[16:17], v[0:1], v[18:19]
	s_nop 0
	v_min3_f32 v99, v16, v17, v99
	v_pk_add_f32 v[16:17], v[2:3], v[18:19]
	s_nop 0
	v_min3_f32 v98, v16, v17, v98
	s_waitcnt lgkmcnt(6)
	v_pk_add_f32 v[16:17], v[4:5], v[30:31]
	s_nop 0
	v_min3_f32 v97, v16, v17, v97
	v_pk_add_f32 v[16:17], v[6:7], v[30:31]
	s_nop 0
	v_min3_f32 v94, v16, v17, v94
	v_pk_add_f32 v[16:17], v[0:1], v[30:31]
	s_nop 0
	v_min3_f32 v93, v16, v17, v93
	v_pk_add_f32 v[16:17], v[2:3], v[30:31]
	s_nop 0
	v_min3_f32 v92, v16, v17, v92
	v_pk_add_f32 v[16:17], v[4:5], v[32:33]
	s_nop 0
	v_min3_f32 v91, v16, v17, v91
	v_pk_add_f32 v[16:17], v[6:7], v[32:33]
	s_nop 0
	v_min3_f32 v90, v16, v17, v90
	v_pk_add_f32 v[16:17], v[0:1], v[32:33]
	s_nop 0
	v_min3_f32 v89, v16, v17, v89
	v_pk_add_f32 v[16:17], v[2:3], v[32:33]
	s_nop 0
	v_min3_f32 v88, v16, v17, v88
	s_waitcnt lgkmcnt(5)
	v_pk_add_f32 v[16:17], v[4:5], v[34:35]
	s_nop 0
	v_min3_f32 v87, v16, v17, v87
	v_pk_add_f32 v[16:17], v[6:7], v[34:35]
	s_nop 0
	v_min3_f32 v86, v16, v17, v86
	v_pk_add_f32 v[16:17], v[0:1], v[34:35]
	s_nop 0
	v_min3_f32 v85, v16, v17, v85
	v_pk_add_f32 v[16:17], v[2:3], v[34:35]
	s_nop 0
	;; [unrolled: 25-line block ×6, first 2 shown]
	v_min3_f32 v52, v16, v17, v52
	v_pk_add_f32 v[16:17], v[4:5], v[130:131]
	s_nop 0
	v_min3_f32 v51, v16, v17, v51
	v_pk_add_f32 v[16:17], v[6:7], v[130:131]
	s_nop 0
	;; [unrolled: 3-line block ×4, first 2 shown]
	v_min3_f32 v48, v16, v17, v48
	s_waitcnt lgkmcnt(0)
	v_pk_add_f32 v[16:17], v[4:5], v[8:9]
	v_pk_add_f32 v[4:5], v[4:5], v[10:11]
	v_min3_f32 v47, v16, v17, v47
	v_pk_add_f32 v[16:17], v[6:7], v[8:9]
	v_min3_f32 v43, v4, v5, v43
	v_min3_f32 v46, v16, v17, v46
	v_pk_add_f32 v[16:17], v[0:1], v[8:9]
	v_pk_add_f32 v[0:1], v[0:1], v[10:11]
	;; [unrolled: 1-line block ×4, first 2 shown]
	v_min3_f32 v41, v0, v1, v41
	v_pk_add_f32 v[0:1], v[2:3], v[10:11]
	v_min3_f32 v45, v16, v17, v45
	v_min3_f32 v44, v8, v9, v44
	;; [unrolled: 1-line block ×4, first 2 shown]
	s_cbranch_vccz .LBB62_38
; %bb.39:                               ;   in Loop: Header=BB62_24 Depth=1
	s_add_i32 s18, s18, 8
	s_add_i32 s25, s25, 8
	s_cmp_ge_i32 s25, s13
	ds_write2st64_b32 v111, v12, v13 offset1:4
	ds_write2st64_b32 v112, v14, v15 offset1:4
	s_waitcnt lgkmcnt(0)
	s_barrier
	s_cbranch_scc0 .LBB62_24
	s_branch .LBB62_41
.LBB62_40:                              ;   in Loop: Header=BB62_24 Depth=1
	v_mov_b32_e32 v12, 0
	s_mov_b64 s[10:11], -1
	s_mov_b64 vcc, s[4:5]
                                        ; implicit-def: $vgpr14_vgpr15
                                        ; implicit-def: $vgpr13
	s_cbranch_vccz .LBB62_35
	s_branch .LBB62_34
.LBB62_41:
	v_mov_b32_e32 v0, 0x800
	v_lshl_add_u32 v12, v95, 4, v0
	v_mov_b32_e32 v0, 0x1800
	v_lshl_add_u32 v13, v96, 4, v0
	s_mov_b32 s6, 0
	s_mov_b64 s[4:5], -1
.LBB62_42:                              ; =>This Inner Loop Header: Depth=1
	v_cndmask_b32_e64 v0, 0, 1, s[4:5]
	s_lshl_b32 s4, s6, 2
	v_cmp_ne_u32_e32 vcc, 1, v0
	v_add_u32_e32 v0, s4, v12
	ds_read2st64_b64 v[4:7], v0 offset1:1
	ds_read2st64_b64 v[0:3], v0 offset0:2 offset1:3
	v_add_u32_e32 v8, s4, v13
	ds_read2_b64 v[14:17], v8 offset1:16
	ds_read2_b64 v[18:21], v8 offset0:32 offset1:48
	ds_read2_b64 v[22:25], v8 offset0:64 offset1:80
	;; [unrolled: 1-line block ×7, first 2 shown]
	s_mov_b64 s[4:5], 0
	s_waitcnt lgkmcnt(7)
	v_pk_add_f32 v[38:39], v[4:5], v[14:15]
	s_and_b64 vcc, exec, vcc
	v_min3_f32 v105, v38, v39, v105
	v_pk_add_f32 v[38:39], v[6:7], v[14:15]
	s_mov_b32 s6, 2
	v_min3_f32 v104, v38, v39, v104
	v_pk_add_f32 v[38:39], v[0:1], v[14:15]
	v_pk_add_f32 v[14:15], v[2:3], v[14:15]
	v_min3_f32 v103, v38, v39, v103
	v_min3_f32 v102, v14, v15, v102
	v_pk_add_f32 v[14:15], v[4:5], v[16:17]
	s_nop 0
	v_min3_f32 v101, v14, v15, v101
	v_pk_add_f32 v[14:15], v[6:7], v[16:17]
	s_nop 0
	v_min3_f32 v100, v14, v15, v100
	v_pk_add_f32 v[14:15], v[0:1], v[16:17]
	s_nop 0
	v_min3_f32 v99, v14, v15, v99
	v_pk_add_f32 v[14:15], v[2:3], v[16:17]
	s_nop 0
	v_min3_f32 v98, v14, v15, v98
	s_waitcnt lgkmcnt(6)
	v_pk_add_f32 v[14:15], v[4:5], v[18:19]
	s_nop 0
	v_min3_f32 v97, v14, v15, v97
	v_pk_add_f32 v[14:15], v[6:7], v[18:19]
	s_nop 0
	v_min3_f32 v94, v14, v15, v94
	v_pk_add_f32 v[14:15], v[0:1], v[18:19]
	s_nop 0
	v_min3_f32 v93, v14, v15, v93
	v_pk_add_f32 v[14:15], v[2:3], v[18:19]
	s_nop 0
	v_min3_f32 v92, v14, v15, v92
	v_pk_add_f32 v[14:15], v[4:5], v[20:21]
	s_nop 0
	v_min3_f32 v91, v14, v15, v91
	v_pk_add_f32 v[14:15], v[6:7], v[20:21]
	s_nop 0
	v_min3_f32 v90, v14, v15, v90
	v_pk_add_f32 v[14:15], v[0:1], v[20:21]
	s_nop 0
	v_min3_f32 v89, v14, v15, v89
	v_pk_add_f32 v[14:15], v[2:3], v[20:21]
	s_nop 0
	v_min3_f32 v88, v14, v15, v88
	s_waitcnt lgkmcnt(5)
	v_pk_add_f32 v[14:15], v[4:5], v[22:23]
	s_nop 0
	v_min3_f32 v87, v14, v15, v87
	v_pk_add_f32 v[14:15], v[6:7], v[22:23]
	s_nop 0
	v_min3_f32 v86, v14, v15, v86
	v_pk_add_f32 v[14:15], v[0:1], v[22:23]
	s_nop 0
	v_min3_f32 v85, v14, v15, v85
	v_pk_add_f32 v[14:15], v[2:3], v[22:23]
	s_nop 0
	;; [unrolled: 25-line block ×6, first 2 shown]
	v_min3_f32 v52, v14, v15, v52
	v_pk_add_f32 v[14:15], v[4:5], v[108:109]
	s_nop 0
	v_min3_f32 v51, v14, v15, v51
	v_pk_add_f32 v[14:15], v[6:7], v[108:109]
	s_nop 0
	;; [unrolled: 3-line block ×4, first 2 shown]
	v_min3_f32 v48, v14, v15, v48
	s_waitcnt lgkmcnt(0)
	v_pk_add_f32 v[14:15], v[4:5], v[8:9]
	v_pk_add_f32 v[4:5], v[4:5], v[10:11]
	v_min3_f32 v47, v14, v15, v47
	v_pk_add_f32 v[14:15], v[6:7], v[8:9]
	v_min3_f32 v43, v4, v5, v43
	v_min3_f32 v46, v14, v15, v46
	v_pk_add_f32 v[14:15], v[0:1], v[8:9]
	v_pk_add_f32 v[0:1], v[0:1], v[10:11]
	;; [unrolled: 1-line block ×4, first 2 shown]
	v_min3_f32 v41, v0, v1, v41
	v_pk_add_f32 v[0:1], v[2:3], v[10:11]
	v_min3_f32 v45, v14, v15, v45
	v_min3_f32 v44, v8, v9, v44
	;; [unrolled: 1-line block ×4, first 2 shown]
	s_cbranch_vccz .LBB62_42
; %bb.43:
	s_load_dwordx2 s[6:7], s[0:1], 0x70
	s_load_dword s4, s[0:1], 0x50
	s_load_dword s5, s[0:1], 0x68
	v_add_u32_e32 v16, s12, v96
	v_add_u32_e32 v4, s2, v95
	s_waitcnt lgkmcnt(0)
	s_mul_i32 s1, s7, s3
	s_mul_hi_u32 s7, s6, s3
	s_mul_i32 s0, s6, s3
	s_add_i32 s1, s7, s1
	s_lshl_b64 s[0:1], s[0:1], 2
	s_add_u32 s0, s14, s0
	s_addc_u32 s1, s15, s1
	v_mad_i64_i32 v[2:3], s[2:3], v16, s5, 0
	v_add_u32_e32 v0, 32, v4
	v_lshl_add_u64 v[12:13], v[2:3], 2, s[0:1]
	v_mad_i64_i32 v[2:3], s[2:3], v16, s4, 0
	v_ashrrev_i32_e32 v5, 31, v4
	v_ashrrev_i32_e32 v1, 31, v0
	s_mov_b64 s[2:3], -1
	v_max_f32_e32 v6, v105, v105
	s_mov_b64 vcc, s[8:9]
	s_cbranch_vccz .LBB62_45
; %bb.44:
	v_min_f32_e32 v7, 0, v6
	v_lshl_add_u64 v[8:9], v[4:5], 2, v[12:13]
	global_store_dword v[8:9], v7, off
	s_mov_b64 s[2:3], 0
.LBB62_45:
	v_lshl_add_u64 v[14:15], v[2:3], 2, s[16:17]
	v_mov_b32_e32 v10, 0
	s_andn2_b64 vcc, exec, s[2:3]
	v_lshlrev_b64 v[8:9], 2, v[4:5]
	s_cbranch_vccnz .LBB62_47
; %bb.46:
	v_lshl_add_u64 v[2:3], v[14:15], 0, v[8:9]
	global_load_dword v7, v[2:3], off
	v_lshl_add_u64 v[2:3], v[12:13], 0, v[8:9]
	s_waitcnt vmcnt(0)
	v_mul_f32_e32 v7, s24, v7
	v_min_f32_e32 v6, v7, v6
	global_store_dword v[2:3], v6, off
	v_lshl_add_u64 v[2:3], v[0:1], 2, v[14:15]
	global_load_dword v2, v[2:3], off
	s_waitcnt vmcnt(0)
	v_mul_f32_e32 v10, s24, v2
.LBB62_47:
	v_max_f32_e32 v11, v104, v104
	v_max_f32_e32 v10, v10, v10
	v_add_u32_e32 v6, 64, v4
	v_add_u32_e32 v2, 0x60, v4
	v_min_f32_e32 v17, v10, v11
	v_lshl_add_u64 v[10:11], v[0:1], 2, v[12:13]
	v_ashrrev_i32_e32 v7, 31, v6
	v_ashrrev_i32_e32 v3, 31, v2
	global_store_dword v[10:11], v17, off
	s_mov_b64 s[2:3], -1
	v_max_f32_e32 v17, v103, v103
	s_mov_b64 vcc, s[8:9]
	s_cbranch_vccz .LBB62_49
; %bb.48:
	v_min_f32_e32 v18, 0, v17
	v_lshl_add_u64 v[10:11], v[6:7], 2, v[12:13]
	global_store_dword v[10:11], v18, off
	s_mov_b64 s[2:3], 0
.LBB62_49:
	v_mov_b32_e32 v18, 0
	s_andn2_b64 vcc, exec, s[2:3]
	v_lshlrev_b64 v[10:11], 2, v[6:7]
	s_cbranch_vccnz .LBB62_51
; %bb.50:
	v_lshl_add_u64 v[18:19], v[14:15], 0, v[10:11]
	global_load_dword v20, v[18:19], off
	v_lshl_add_u64 v[18:19], v[12:13], 0, v[10:11]
	v_lshl_add_u64 v[14:15], v[2:3], 2, v[14:15]
	s_waitcnt vmcnt(0)
	v_mul_f32_e32 v20, s24, v20
	v_min_f32_e32 v17, v20, v17
	global_store_dword v[18:19], v17, off
	global_load_dword v14, v[14:15], off
	s_waitcnt vmcnt(0)
	v_mul_f32_e32 v18, s24, v14
.LBB62_51:
	v_max_f32_e32 v14, v102, v102
	v_max_f32_e32 v15, v18, v18
	v_min_f32_e32 v14, v15, v14
	v_lshl_add_u64 v[12:13], v[2:3], 2, v[12:13]
	global_store_dword v[12:13], v14, off
	v_add_u32_e32 v14, 8, v16
	v_mad_i64_i32 v[12:13], s[2:3], v14, s5, 0
	v_mad_i64_i32 v[14:15], s[2:3], v14, s4, 0
	v_lshl_add_u64 v[12:13], v[12:13], 2, s[0:1]
	s_mov_b64 s[2:3], -1
	v_max_f32_e32 v17, v101, v101
	s_mov_b64 vcc, s[8:9]
	s_cbranch_vccz .LBB62_53
; %bb.52:
	v_min_f32_e32 v20, 0, v17
	v_lshl_add_u64 v[18:19], v[4:5], 2, v[12:13]
	global_store_dword v[18:19], v20, off
	s_mov_b64 s[2:3], 0
.LBB62_53:
	v_lshl_add_u64 v[14:15], v[14:15], 2, s[16:17]
	s_andn2_b64 vcc, exec, s[2:3]
	v_mov_b32_e32 v18, 0
	s_cbranch_vccnz .LBB62_55
; %bb.54:
	v_lshl_add_u64 v[18:19], v[14:15], 0, v[8:9]
	global_load_dword v20, v[18:19], off
	v_lshl_add_u64 v[18:19], v[12:13], 0, v[8:9]
	s_waitcnt vmcnt(0)
	v_mul_f32_e32 v20, s24, v20
	v_min_f32_e32 v17, v20, v17
	global_store_dword v[18:19], v17, off
	v_lshl_add_u64 v[18:19], v[0:1], 2, v[14:15]
	global_load_dword v17, v[18:19], off
	s_waitcnt vmcnt(0)
	v_mul_f32_e32 v18, s24, v17
.LBB62_55:
	v_max_f32_e32 v17, v100, v100
	v_max_f32_e32 v18, v18, v18
	v_min_f32_e32 v17, v18, v17
	v_lshl_add_u64 v[18:19], v[0:1], 2, v[12:13]
	global_store_dword v[18:19], v17, off
	s_mov_b64 s[2:3], -1
	v_max_f32_e32 v17, v99, v99
	s_mov_b64 vcc, s[8:9]
	s_cbranch_vccz .LBB62_57
; %bb.56:
	v_min_f32_e32 v20, 0, v17
	v_lshl_add_u64 v[18:19], v[6:7], 2, v[12:13]
	global_store_dword v[18:19], v20, off
	s_mov_b64 s[2:3], 0
.LBB62_57:
	s_andn2_b64 vcc, exec, s[2:3]
	v_mov_b32_e32 v18, 0
	s_cbranch_vccnz .LBB62_59
; %bb.58:
	v_lshl_add_u64 v[18:19], v[14:15], 0, v[10:11]
	global_load_dword v20, v[18:19], off
	v_lshl_add_u64 v[18:19], v[12:13], 0, v[10:11]
	v_lshl_add_u64 v[14:15], v[2:3], 2, v[14:15]
	s_waitcnt vmcnt(0)
	v_mul_f32_e32 v20, s24, v20
	v_min_f32_e32 v17, v20, v17
	global_store_dword v[18:19], v17, off
	global_load_dword v14, v[14:15], off
	s_waitcnt vmcnt(0)
	v_mul_f32_e32 v18, s24, v14
.LBB62_59:
	v_max_f32_e32 v14, v98, v98
	v_max_f32_e32 v15, v18, v18
	v_min_f32_e32 v14, v15, v14
	v_lshl_add_u64 v[12:13], v[2:3], 2, v[12:13]
	global_store_dword v[12:13], v14, off
	v_add_u32_e32 v14, 16, v16
	v_mad_i64_i32 v[12:13], s[2:3], v14, s5, 0
	v_mad_i64_i32 v[14:15], s[2:3], v14, s4, 0
	v_lshl_add_u64 v[12:13], v[12:13], 2, s[0:1]
	s_mov_b64 s[2:3], -1
	v_max_f32_e32 v17, v97, v97
	s_mov_b64 vcc, s[8:9]
	s_cbranch_vccz .LBB62_61
; %bb.60:
	v_min_f32_e32 v20, 0, v17
	v_lshl_add_u64 v[18:19], v[4:5], 2, v[12:13]
	global_store_dword v[18:19], v20, off
	s_mov_b64 s[2:3], 0
.LBB62_61:
	v_lshl_add_u64 v[14:15], v[14:15], 2, s[16:17]
	s_andn2_b64 vcc, exec, s[2:3]
	v_mov_b32_e32 v18, 0
	s_cbranch_vccnz .LBB62_63
; %bb.62:
	v_lshl_add_u64 v[18:19], v[14:15], 0, v[8:9]
	global_load_dword v20, v[18:19], off
	v_lshl_add_u64 v[18:19], v[12:13], 0, v[8:9]
	s_waitcnt vmcnt(0)
	v_mul_f32_e32 v20, s24, v20
	v_min_f32_e32 v17, v20, v17
	global_store_dword v[18:19], v17, off
	v_lshl_add_u64 v[18:19], v[0:1], 2, v[14:15]
	global_load_dword v17, v[18:19], off
	s_waitcnt vmcnt(0)
	v_mul_f32_e32 v18, s24, v17
.LBB62_63:
	v_max_f32_e32 v17, v94, v94
	v_max_f32_e32 v18, v18, v18
	v_min_f32_e32 v17, v18, v17
	v_lshl_add_u64 v[18:19], v[0:1], 2, v[12:13]
	global_store_dword v[18:19], v17, off
	s_mov_b64 s[2:3], -1
	v_max_f32_e32 v17, v93, v93
	s_mov_b64 vcc, s[8:9]
	s_cbranch_vccz .LBB62_65
; %bb.64:
	v_min_f32_e32 v20, 0, v17
	v_lshl_add_u64 v[18:19], v[6:7], 2, v[12:13]
	global_store_dword v[18:19], v20, off
	s_mov_b64 s[2:3], 0
.LBB62_65:
	s_andn2_b64 vcc, exec, s[2:3]
	v_mov_b32_e32 v18, 0
	s_cbranch_vccnz .LBB62_67
; %bb.66:
	v_lshl_add_u64 v[18:19], v[14:15], 0, v[10:11]
	global_load_dword v20, v[18:19], off
	v_lshl_add_u64 v[18:19], v[12:13], 0, v[10:11]
	v_lshl_add_u64 v[14:15], v[2:3], 2, v[14:15]
	s_waitcnt vmcnt(0)
	v_mul_f32_e32 v20, s24, v20
	v_min_f32_e32 v17, v20, v17
	global_store_dword v[18:19], v17, off
	global_load_dword v14, v[14:15], off
	s_waitcnt vmcnt(0)
	v_mul_f32_e32 v18, s24, v14
.LBB62_67:
	v_max_f32_e32 v14, v92, v92
	v_max_f32_e32 v15, v18, v18
	v_min_f32_e32 v14, v15, v14
	v_lshl_add_u64 v[12:13], v[2:3], 2, v[12:13]
	global_store_dword v[12:13], v14, off
	v_add_u32_e32 v14, 24, v16
	v_mad_i64_i32 v[12:13], s[2:3], v14, s5, 0
	v_mad_i64_i32 v[14:15], s[2:3], v14, s4, 0
	v_lshl_add_u64 v[12:13], v[12:13], 2, s[0:1]
	s_mov_b64 s[2:3], -1
	v_max_f32_e32 v17, v91, v91
	s_mov_b64 vcc, s[8:9]
	s_cbranch_vccz .LBB62_69
; %bb.68:
	v_min_f32_e32 v20, 0, v17
	v_lshl_add_u64 v[18:19], v[4:5], 2, v[12:13]
	global_store_dword v[18:19], v20, off
	s_mov_b64 s[2:3], 0
.LBB62_69:
	v_lshl_add_u64 v[14:15], v[14:15], 2, s[16:17]
	s_andn2_b64 vcc, exec, s[2:3]
	v_mov_b32_e32 v18, 0
	s_cbranch_vccnz .LBB62_71
; %bb.70:
	v_lshl_add_u64 v[18:19], v[14:15], 0, v[8:9]
	global_load_dword v20, v[18:19], off
	v_lshl_add_u64 v[18:19], v[12:13], 0, v[8:9]
	s_waitcnt vmcnt(0)
	v_mul_f32_e32 v20, s24, v20
	v_min_f32_e32 v17, v20, v17
	global_store_dword v[18:19], v17, off
	v_lshl_add_u64 v[18:19], v[0:1], 2, v[14:15]
	global_load_dword v17, v[18:19], off
	s_waitcnt vmcnt(0)
	v_mul_f32_e32 v18, s24, v17
.LBB62_71:
	v_max_f32_e32 v17, v90, v90
	v_max_f32_e32 v18, v18, v18
	v_min_f32_e32 v17, v18, v17
	v_lshl_add_u64 v[18:19], v[0:1], 2, v[12:13]
	global_store_dword v[18:19], v17, off
	s_mov_b64 s[2:3], -1
	v_max_f32_e32 v17, v89, v89
	s_mov_b64 vcc, s[8:9]
	s_cbranch_vccz .LBB62_73
; %bb.72:
	v_min_f32_e32 v20, 0, v17
	v_lshl_add_u64 v[18:19], v[6:7], 2, v[12:13]
	global_store_dword v[18:19], v20, off
	s_mov_b64 s[2:3], 0
.LBB62_73:
	s_andn2_b64 vcc, exec, s[2:3]
	v_mov_b32_e32 v18, 0
	s_cbranch_vccnz .LBB62_75
; %bb.74:
	v_lshl_add_u64 v[18:19], v[14:15], 0, v[10:11]
	global_load_dword v20, v[18:19], off
	v_lshl_add_u64 v[18:19], v[12:13], 0, v[10:11]
	v_lshl_add_u64 v[14:15], v[2:3], 2, v[14:15]
	s_waitcnt vmcnt(0)
	v_mul_f32_e32 v20, s24, v20
	v_min_f32_e32 v17, v20, v17
	global_store_dword v[18:19], v17, off
	global_load_dword v14, v[14:15], off
	s_waitcnt vmcnt(0)
	v_mul_f32_e32 v18, s24, v14
.LBB62_75:
	v_max_f32_e32 v14, v88, v88
	v_max_f32_e32 v15, v18, v18
	v_min_f32_e32 v14, v15, v14
	v_lshl_add_u64 v[12:13], v[2:3], 2, v[12:13]
	global_store_dword v[12:13], v14, off
	v_add_u32_e32 v14, 32, v16
	v_mad_i64_i32 v[12:13], s[2:3], v14, s5, 0
	v_mad_i64_i32 v[14:15], s[2:3], v14, s4, 0
	v_lshl_add_u64 v[12:13], v[12:13], 2, s[0:1]
	s_mov_b64 s[2:3], -1
	v_max_f32_e32 v17, v87, v87
	s_mov_b64 vcc, s[8:9]
	s_cbranch_vccz .LBB62_77
; %bb.76:
	v_min_f32_e32 v20, 0, v17
	v_lshl_add_u64 v[18:19], v[4:5], 2, v[12:13]
	global_store_dword v[18:19], v20, off
	s_mov_b64 s[2:3], 0
.LBB62_77:
	v_lshl_add_u64 v[14:15], v[14:15], 2, s[16:17]
	s_andn2_b64 vcc, exec, s[2:3]
	v_mov_b32_e32 v18, 0
	s_cbranch_vccnz .LBB62_79
; %bb.78:
	v_lshl_add_u64 v[18:19], v[14:15], 0, v[8:9]
	global_load_dword v20, v[18:19], off
	v_lshl_add_u64 v[18:19], v[12:13], 0, v[8:9]
	s_waitcnt vmcnt(0)
	v_mul_f32_e32 v20, s24, v20
	v_min_f32_e32 v17, v20, v17
	global_store_dword v[18:19], v17, off
	v_lshl_add_u64 v[18:19], v[0:1], 2, v[14:15]
	global_load_dword v17, v[18:19], off
	s_waitcnt vmcnt(0)
	v_mul_f32_e32 v18, s24, v17
.LBB62_79:
	v_max_f32_e32 v17, v86, v86
	v_max_f32_e32 v18, v18, v18
	v_min_f32_e32 v17, v18, v17
	v_lshl_add_u64 v[18:19], v[0:1], 2, v[12:13]
	global_store_dword v[18:19], v17, off
	s_mov_b64 s[2:3], -1
	v_max_f32_e32 v17, v85, v85
	s_mov_b64 vcc, s[8:9]
	s_cbranch_vccz .LBB62_81
; %bb.80:
	v_min_f32_e32 v20, 0, v17
	v_lshl_add_u64 v[18:19], v[6:7], 2, v[12:13]
	global_store_dword v[18:19], v20, off
	s_mov_b64 s[2:3], 0
.LBB62_81:
	s_andn2_b64 vcc, exec, s[2:3]
	v_mov_b32_e32 v18, 0
	s_cbranch_vccnz .LBB62_83
; %bb.82:
	v_lshl_add_u64 v[18:19], v[14:15], 0, v[10:11]
	global_load_dword v20, v[18:19], off
	v_lshl_add_u64 v[18:19], v[12:13], 0, v[10:11]
	v_lshl_add_u64 v[14:15], v[2:3], 2, v[14:15]
	s_waitcnt vmcnt(0)
	v_mul_f32_e32 v20, s24, v20
	v_min_f32_e32 v17, v20, v17
	global_store_dword v[18:19], v17, off
	global_load_dword v14, v[14:15], off
	s_waitcnt vmcnt(0)
	v_mul_f32_e32 v18, s24, v14
.LBB62_83:
	v_max_f32_e32 v14, v84, v84
	v_max_f32_e32 v15, v18, v18
	v_min_f32_e32 v14, v15, v14
	v_lshl_add_u64 v[12:13], v[2:3], 2, v[12:13]
	global_store_dword v[12:13], v14, off
	v_add_u32_e32 v14, 40, v16
	v_mad_i64_i32 v[12:13], s[2:3], v14, s5, 0
	v_mad_i64_i32 v[14:15], s[2:3], v14, s4, 0
	v_lshl_add_u64 v[12:13], v[12:13], 2, s[0:1]
	s_mov_b64 s[2:3], -1
	v_max_f32_e32 v17, v83, v83
	s_mov_b64 vcc, s[8:9]
	s_cbranch_vccz .LBB62_85
; %bb.84:
	v_min_f32_e32 v20, 0, v17
	v_lshl_add_u64 v[18:19], v[4:5], 2, v[12:13]
	global_store_dword v[18:19], v20, off
	s_mov_b64 s[2:3], 0
.LBB62_85:
	v_lshl_add_u64 v[14:15], v[14:15], 2, s[16:17]
	s_andn2_b64 vcc, exec, s[2:3]
	v_mov_b32_e32 v18, 0
	s_cbranch_vccnz .LBB62_87
; %bb.86:
	v_lshl_add_u64 v[18:19], v[14:15], 0, v[8:9]
	global_load_dword v20, v[18:19], off
	v_lshl_add_u64 v[18:19], v[12:13], 0, v[8:9]
	s_waitcnt vmcnt(0)
	v_mul_f32_e32 v20, s24, v20
	v_min_f32_e32 v17, v20, v17
	global_store_dword v[18:19], v17, off
	v_lshl_add_u64 v[18:19], v[0:1], 2, v[14:15]
	global_load_dword v17, v[18:19], off
	s_waitcnt vmcnt(0)
	v_mul_f32_e32 v18, s24, v17
.LBB62_87:
	v_max_f32_e32 v17, v82, v82
	v_max_f32_e32 v18, v18, v18
	v_min_f32_e32 v17, v18, v17
	v_lshl_add_u64 v[18:19], v[0:1], 2, v[12:13]
	global_store_dword v[18:19], v17, off
	s_mov_b64 s[2:3], -1
	v_max_f32_e32 v17, v81, v81
	s_mov_b64 vcc, s[8:9]
	s_cbranch_vccz .LBB62_89
; %bb.88:
	v_min_f32_e32 v20, 0, v17
	v_lshl_add_u64 v[18:19], v[6:7], 2, v[12:13]
	global_store_dword v[18:19], v20, off
	s_mov_b64 s[2:3], 0
.LBB62_89:
	s_andn2_b64 vcc, exec, s[2:3]
	v_mov_b32_e32 v18, 0
	s_cbranch_vccnz .LBB62_91
; %bb.90:
	v_lshl_add_u64 v[18:19], v[14:15], 0, v[10:11]
	global_load_dword v20, v[18:19], off
	v_lshl_add_u64 v[18:19], v[12:13], 0, v[10:11]
	v_lshl_add_u64 v[14:15], v[2:3], 2, v[14:15]
	s_waitcnt vmcnt(0)
	v_mul_f32_e32 v20, s24, v20
	v_min_f32_e32 v17, v20, v17
	global_store_dword v[18:19], v17, off
	global_load_dword v14, v[14:15], off
	s_waitcnt vmcnt(0)
	v_mul_f32_e32 v18, s24, v14
.LBB62_91:
	v_max_f32_e32 v14, v80, v80
	v_max_f32_e32 v15, v18, v18
	v_min_f32_e32 v14, v15, v14
	v_lshl_add_u64 v[12:13], v[2:3], 2, v[12:13]
	global_store_dword v[12:13], v14, off
	v_add_u32_e32 v14, 48, v16
	v_mad_i64_i32 v[12:13], s[2:3], v14, s5, 0
	v_mad_i64_i32 v[14:15], s[2:3], v14, s4, 0
	v_lshl_add_u64 v[12:13], v[12:13], 2, s[0:1]
	s_mov_b64 s[2:3], -1
	v_max_f32_e32 v17, v79, v79
	s_mov_b64 vcc, s[8:9]
	s_cbranch_vccz .LBB62_93
; %bb.92:
	v_min_f32_e32 v20, 0, v17
	v_lshl_add_u64 v[18:19], v[4:5], 2, v[12:13]
	global_store_dword v[18:19], v20, off
	s_mov_b64 s[2:3], 0
.LBB62_93:
	v_lshl_add_u64 v[14:15], v[14:15], 2, s[16:17]
	s_andn2_b64 vcc, exec, s[2:3]
	v_mov_b32_e32 v18, 0
	s_cbranch_vccnz .LBB62_95
; %bb.94:
	v_lshl_add_u64 v[18:19], v[14:15], 0, v[8:9]
	global_load_dword v20, v[18:19], off
	v_lshl_add_u64 v[18:19], v[12:13], 0, v[8:9]
	s_waitcnt vmcnt(0)
	v_mul_f32_e32 v20, s24, v20
	v_min_f32_e32 v17, v20, v17
	global_store_dword v[18:19], v17, off
	v_lshl_add_u64 v[18:19], v[0:1], 2, v[14:15]
	global_load_dword v17, v[18:19], off
	s_waitcnt vmcnt(0)
	v_mul_f32_e32 v18, s24, v17
.LBB62_95:
	v_max_f32_e32 v17, v78, v78
	v_max_f32_e32 v18, v18, v18
	v_min_f32_e32 v17, v18, v17
	v_lshl_add_u64 v[18:19], v[0:1], 2, v[12:13]
	global_store_dword v[18:19], v17, off
	s_mov_b64 s[2:3], -1
	v_max_f32_e32 v17, v77, v77
	s_mov_b64 vcc, s[8:9]
	s_cbranch_vccz .LBB62_97
; %bb.96:
	v_min_f32_e32 v20, 0, v17
	v_lshl_add_u64 v[18:19], v[6:7], 2, v[12:13]
	global_store_dword v[18:19], v20, off
	s_mov_b64 s[2:3], 0
.LBB62_97:
	s_andn2_b64 vcc, exec, s[2:3]
	v_mov_b32_e32 v18, 0
	s_cbranch_vccnz .LBB62_99
; %bb.98:
	v_lshl_add_u64 v[18:19], v[14:15], 0, v[10:11]
	global_load_dword v20, v[18:19], off
	v_lshl_add_u64 v[18:19], v[12:13], 0, v[10:11]
	v_lshl_add_u64 v[14:15], v[2:3], 2, v[14:15]
	s_waitcnt vmcnt(0)
	v_mul_f32_e32 v20, s24, v20
	v_min_f32_e32 v17, v20, v17
	global_store_dword v[18:19], v17, off
	global_load_dword v14, v[14:15], off
	s_waitcnt vmcnt(0)
	v_mul_f32_e32 v18, s24, v14
.LBB62_99:
	v_max_f32_e32 v14, v76, v76
	v_max_f32_e32 v15, v18, v18
	v_min_f32_e32 v14, v15, v14
	v_lshl_add_u64 v[12:13], v[2:3], 2, v[12:13]
	global_store_dword v[12:13], v14, off
	v_add_u32_e32 v14, 56, v16
	v_mad_i64_i32 v[12:13], s[2:3], v14, s5, 0
	v_mad_i64_i32 v[14:15], s[2:3], v14, s4, 0
	v_lshl_add_u64 v[12:13], v[12:13], 2, s[0:1]
	s_mov_b64 s[2:3], -1
	v_max_f32_e32 v17, v75, v75
	s_mov_b64 vcc, s[8:9]
	s_cbranch_vccz .LBB62_101
; %bb.100:
	v_min_f32_e32 v20, 0, v17
	v_lshl_add_u64 v[18:19], v[4:5], 2, v[12:13]
	global_store_dword v[18:19], v20, off
	s_mov_b64 s[2:3], 0
.LBB62_101:
	v_lshl_add_u64 v[14:15], v[14:15], 2, s[16:17]
	s_andn2_b64 vcc, exec, s[2:3]
	v_mov_b32_e32 v18, 0
	s_cbranch_vccnz .LBB62_103
; %bb.102:
	v_lshl_add_u64 v[18:19], v[14:15], 0, v[8:9]
	global_load_dword v20, v[18:19], off
	v_lshl_add_u64 v[18:19], v[12:13], 0, v[8:9]
	s_waitcnt vmcnt(0)
	v_mul_f32_e32 v20, s24, v20
	v_min_f32_e32 v17, v20, v17
	global_store_dword v[18:19], v17, off
	v_lshl_add_u64 v[18:19], v[0:1], 2, v[14:15]
	global_load_dword v17, v[18:19], off
	s_waitcnt vmcnt(0)
	v_mul_f32_e32 v18, s24, v17
.LBB62_103:
	v_max_f32_e32 v17, v74, v74
	v_max_f32_e32 v18, v18, v18
	v_min_f32_e32 v17, v18, v17
	v_lshl_add_u64 v[18:19], v[0:1], 2, v[12:13]
	global_store_dword v[18:19], v17, off
	s_mov_b64 s[2:3], -1
	v_max_f32_e32 v17, v73, v73
	s_mov_b64 vcc, s[8:9]
	s_cbranch_vccz .LBB62_105
; %bb.104:
	v_min_f32_e32 v20, 0, v17
	v_lshl_add_u64 v[18:19], v[6:7], 2, v[12:13]
	global_store_dword v[18:19], v20, off
	s_mov_b64 s[2:3], 0
.LBB62_105:
	s_andn2_b64 vcc, exec, s[2:3]
	v_mov_b32_e32 v18, 0
	s_cbranch_vccnz .LBB62_107
; %bb.106:
	v_lshl_add_u64 v[18:19], v[14:15], 0, v[10:11]
	global_load_dword v20, v[18:19], off
	v_lshl_add_u64 v[18:19], v[12:13], 0, v[10:11]
	v_lshl_add_u64 v[14:15], v[2:3], 2, v[14:15]
	s_waitcnt vmcnt(0)
	v_mul_f32_e32 v20, s24, v20
	v_min_f32_e32 v17, v20, v17
	global_store_dword v[18:19], v17, off
	global_load_dword v14, v[14:15], off
	s_waitcnt vmcnt(0)
	v_mul_f32_e32 v18, s24, v14
.LBB62_107:
	v_max_f32_e32 v14, v72, v72
	v_max_f32_e32 v15, v18, v18
	v_min_f32_e32 v14, v15, v14
	v_lshl_add_u64 v[12:13], v[2:3], 2, v[12:13]
	global_store_dword v[12:13], v14, off
	v_add_u32_e32 v14, 64, v16
	v_mad_i64_i32 v[12:13], s[2:3], v14, s5, 0
	v_mad_i64_i32 v[14:15], s[2:3], v14, s4, 0
	v_lshl_add_u64 v[12:13], v[12:13], 2, s[0:1]
	s_mov_b64 s[2:3], -1
	v_max_f32_e32 v17, v71, v71
	s_mov_b64 vcc, s[8:9]
	s_cbranch_vccz .LBB62_109
; %bb.108:
	v_min_f32_e32 v20, 0, v17
	v_lshl_add_u64 v[18:19], v[4:5], 2, v[12:13]
	global_store_dword v[18:19], v20, off
	s_mov_b64 s[2:3], 0
.LBB62_109:
	v_lshl_add_u64 v[14:15], v[14:15], 2, s[16:17]
	s_andn2_b64 vcc, exec, s[2:3]
	v_mov_b32_e32 v18, 0
	s_cbranch_vccnz .LBB62_111
; %bb.110:
	v_lshl_add_u64 v[18:19], v[14:15], 0, v[8:9]
	global_load_dword v20, v[18:19], off
	v_lshl_add_u64 v[18:19], v[12:13], 0, v[8:9]
	s_waitcnt vmcnt(0)
	v_mul_f32_e32 v20, s24, v20
	v_min_f32_e32 v17, v20, v17
	global_store_dword v[18:19], v17, off
	v_lshl_add_u64 v[18:19], v[0:1], 2, v[14:15]
	global_load_dword v17, v[18:19], off
	s_waitcnt vmcnt(0)
	v_mul_f32_e32 v18, s24, v17
.LBB62_111:
	v_max_f32_e32 v17, v70, v70
	v_max_f32_e32 v18, v18, v18
	v_min_f32_e32 v17, v18, v17
	v_lshl_add_u64 v[18:19], v[0:1], 2, v[12:13]
	global_store_dword v[18:19], v17, off
	s_mov_b64 s[2:3], -1
	v_max_f32_e32 v17, v69, v69
	s_mov_b64 vcc, s[8:9]
	s_cbranch_vccz .LBB62_113
; %bb.112:
	v_min_f32_e32 v20, 0, v17
	v_lshl_add_u64 v[18:19], v[6:7], 2, v[12:13]
	global_store_dword v[18:19], v20, off
	s_mov_b64 s[2:3], 0
.LBB62_113:
	s_andn2_b64 vcc, exec, s[2:3]
	v_mov_b32_e32 v18, 0
	s_cbranch_vccnz .LBB62_115
; %bb.114:
	v_lshl_add_u64 v[18:19], v[14:15], 0, v[10:11]
	global_load_dword v20, v[18:19], off
	v_lshl_add_u64 v[18:19], v[12:13], 0, v[10:11]
	v_lshl_add_u64 v[14:15], v[2:3], 2, v[14:15]
	s_waitcnt vmcnt(0)
	v_mul_f32_e32 v20, s24, v20
	v_min_f32_e32 v17, v20, v17
	global_store_dword v[18:19], v17, off
	global_load_dword v14, v[14:15], off
	s_waitcnt vmcnt(0)
	v_mul_f32_e32 v18, s24, v14
.LBB62_115:
	v_max_f32_e32 v14, v68, v68
	v_max_f32_e32 v15, v18, v18
	v_min_f32_e32 v14, v15, v14
	v_lshl_add_u64 v[12:13], v[2:3], 2, v[12:13]
	global_store_dword v[12:13], v14, off
	v_add_u32_e32 v14, 0x48, v16
	v_mad_i64_i32 v[12:13], s[2:3], v14, s5, 0
	v_mad_i64_i32 v[14:15], s[2:3], v14, s4, 0
	v_lshl_add_u64 v[12:13], v[12:13], 2, s[0:1]
	s_mov_b64 s[2:3], -1
	v_max_f32_e32 v17, v67, v67
	s_mov_b64 vcc, s[8:9]
	s_cbranch_vccz .LBB62_117
; %bb.116:
	v_min_f32_e32 v20, 0, v17
	v_lshl_add_u64 v[18:19], v[4:5], 2, v[12:13]
	global_store_dword v[18:19], v20, off
	s_mov_b64 s[2:3], 0
.LBB62_117:
	v_lshl_add_u64 v[14:15], v[14:15], 2, s[16:17]
	s_andn2_b64 vcc, exec, s[2:3]
	v_mov_b32_e32 v18, 0
	s_cbranch_vccnz .LBB62_119
; %bb.118:
	v_lshl_add_u64 v[18:19], v[14:15], 0, v[8:9]
	global_load_dword v20, v[18:19], off
	v_lshl_add_u64 v[18:19], v[12:13], 0, v[8:9]
	s_waitcnt vmcnt(0)
	v_mul_f32_e32 v20, s24, v20
	v_min_f32_e32 v17, v20, v17
	global_store_dword v[18:19], v17, off
	v_lshl_add_u64 v[18:19], v[0:1], 2, v[14:15]
	global_load_dword v17, v[18:19], off
	s_waitcnt vmcnt(0)
	v_mul_f32_e32 v18, s24, v17
.LBB62_119:
	v_max_f32_e32 v17, v66, v66
	v_max_f32_e32 v18, v18, v18
	v_min_f32_e32 v17, v18, v17
	v_lshl_add_u64 v[18:19], v[0:1], 2, v[12:13]
	global_store_dword v[18:19], v17, off
	s_mov_b64 s[2:3], -1
	v_max_f32_e32 v17, v65, v65
	s_mov_b64 vcc, s[8:9]
	s_cbranch_vccz .LBB62_121
; %bb.120:
	v_min_f32_e32 v20, 0, v17
	v_lshl_add_u64 v[18:19], v[6:7], 2, v[12:13]
	global_store_dword v[18:19], v20, off
	s_mov_b64 s[2:3], 0
.LBB62_121:
	s_andn2_b64 vcc, exec, s[2:3]
	v_mov_b32_e32 v18, 0
	s_cbranch_vccnz .LBB62_123
; %bb.122:
	v_lshl_add_u64 v[18:19], v[14:15], 0, v[10:11]
	global_load_dword v20, v[18:19], off
	v_lshl_add_u64 v[18:19], v[12:13], 0, v[10:11]
	v_lshl_add_u64 v[14:15], v[2:3], 2, v[14:15]
	s_waitcnt vmcnt(0)
	v_mul_f32_e32 v20, s24, v20
	v_min_f32_e32 v17, v20, v17
	global_store_dword v[18:19], v17, off
	global_load_dword v14, v[14:15], off
	s_waitcnt vmcnt(0)
	v_mul_f32_e32 v18, s24, v14
.LBB62_123:
	v_max_f32_e32 v14, v64, v64
	v_max_f32_e32 v15, v18, v18
	v_min_f32_e32 v14, v15, v14
	v_lshl_add_u64 v[12:13], v[2:3], 2, v[12:13]
	global_store_dword v[12:13], v14, off
	v_add_u32_e32 v14, 0x50, v16
	v_mad_i64_i32 v[12:13], s[2:3], v14, s5, 0
	v_mad_i64_i32 v[14:15], s[2:3], v14, s4, 0
	v_lshl_add_u64 v[12:13], v[12:13], 2, s[0:1]
	s_mov_b64 s[2:3], -1
	v_max_f32_e32 v17, v63, v63
	s_mov_b64 vcc, s[8:9]
	s_cbranch_vccz .LBB62_125
; %bb.124:
	v_min_f32_e32 v20, 0, v17
	v_lshl_add_u64 v[18:19], v[4:5], 2, v[12:13]
	global_store_dword v[18:19], v20, off
	s_mov_b64 s[2:3], 0
.LBB62_125:
	v_lshl_add_u64 v[14:15], v[14:15], 2, s[16:17]
	s_andn2_b64 vcc, exec, s[2:3]
	v_mov_b32_e32 v18, 0
	s_cbranch_vccnz .LBB62_127
; %bb.126:
	v_lshl_add_u64 v[18:19], v[14:15], 0, v[8:9]
	global_load_dword v20, v[18:19], off
	v_lshl_add_u64 v[18:19], v[12:13], 0, v[8:9]
	s_waitcnt vmcnt(0)
	v_mul_f32_e32 v20, s24, v20
	v_min_f32_e32 v17, v20, v17
	global_store_dword v[18:19], v17, off
	v_lshl_add_u64 v[18:19], v[0:1], 2, v[14:15]
	global_load_dword v17, v[18:19], off
	s_waitcnt vmcnt(0)
	v_mul_f32_e32 v18, s24, v17
.LBB62_127:
	v_max_f32_e32 v17, v62, v62
	v_max_f32_e32 v18, v18, v18
	v_min_f32_e32 v17, v18, v17
	v_lshl_add_u64 v[18:19], v[0:1], 2, v[12:13]
	global_store_dword v[18:19], v17, off
	s_mov_b64 s[2:3], -1
	v_max_f32_e32 v17, v61, v61
	s_mov_b64 vcc, s[8:9]
	s_cbranch_vccz .LBB62_129
; %bb.128:
	v_min_f32_e32 v20, 0, v17
	v_lshl_add_u64 v[18:19], v[6:7], 2, v[12:13]
	global_store_dword v[18:19], v20, off
	s_mov_b64 s[2:3], 0
.LBB62_129:
	s_andn2_b64 vcc, exec, s[2:3]
	v_mov_b32_e32 v18, 0
	s_cbranch_vccnz .LBB62_131
; %bb.130:
	v_lshl_add_u64 v[18:19], v[14:15], 0, v[10:11]
	global_load_dword v20, v[18:19], off
	v_lshl_add_u64 v[18:19], v[12:13], 0, v[10:11]
	v_lshl_add_u64 v[14:15], v[2:3], 2, v[14:15]
	s_waitcnt vmcnt(0)
	v_mul_f32_e32 v20, s24, v20
	v_min_f32_e32 v17, v20, v17
	global_store_dword v[18:19], v17, off
	global_load_dword v14, v[14:15], off
	s_waitcnt vmcnt(0)
	v_mul_f32_e32 v18, s24, v14
.LBB62_131:
	v_max_f32_e32 v14, v60, v60
	v_max_f32_e32 v15, v18, v18
	v_min_f32_e32 v14, v15, v14
	v_lshl_add_u64 v[12:13], v[2:3], 2, v[12:13]
	global_store_dword v[12:13], v14, off
	v_add_u32_e32 v14, 0x58, v16
	v_mad_i64_i32 v[12:13], s[2:3], v14, s5, 0
	v_mad_i64_i32 v[14:15], s[2:3], v14, s4, 0
	v_lshl_add_u64 v[12:13], v[12:13], 2, s[0:1]
	s_mov_b64 s[2:3], -1
	v_max_f32_e32 v17, v59, v59
	s_mov_b64 vcc, s[8:9]
	s_cbranch_vccz .LBB62_133
; %bb.132:
	v_min_f32_e32 v20, 0, v17
	v_lshl_add_u64 v[18:19], v[4:5], 2, v[12:13]
	global_store_dword v[18:19], v20, off
	s_mov_b64 s[2:3], 0
.LBB62_133:
	v_lshl_add_u64 v[14:15], v[14:15], 2, s[16:17]
	s_andn2_b64 vcc, exec, s[2:3]
	v_mov_b32_e32 v18, 0
	s_cbranch_vccnz .LBB62_135
; %bb.134:
	v_lshl_add_u64 v[18:19], v[14:15], 0, v[8:9]
	global_load_dword v20, v[18:19], off
	v_lshl_add_u64 v[18:19], v[12:13], 0, v[8:9]
	s_waitcnt vmcnt(0)
	v_mul_f32_e32 v20, s24, v20
	v_min_f32_e32 v17, v20, v17
	global_store_dword v[18:19], v17, off
	v_lshl_add_u64 v[18:19], v[0:1], 2, v[14:15]
	global_load_dword v17, v[18:19], off
	s_waitcnt vmcnt(0)
	v_mul_f32_e32 v18, s24, v17
.LBB62_135:
	v_max_f32_e32 v17, v58, v58
	v_max_f32_e32 v18, v18, v18
	v_min_f32_e32 v17, v18, v17
	v_lshl_add_u64 v[18:19], v[0:1], 2, v[12:13]
	global_store_dword v[18:19], v17, off
	s_mov_b64 s[2:3], -1
	v_max_f32_e32 v17, v57, v57
	s_mov_b64 vcc, s[8:9]
	s_cbranch_vccz .LBB62_137
; %bb.136:
	v_min_f32_e32 v20, 0, v17
	v_lshl_add_u64 v[18:19], v[6:7], 2, v[12:13]
	global_store_dword v[18:19], v20, off
	s_mov_b64 s[2:3], 0
.LBB62_137:
	s_andn2_b64 vcc, exec, s[2:3]
	v_mov_b32_e32 v18, 0
	s_cbranch_vccnz .LBB62_139
; %bb.138:
	v_lshl_add_u64 v[18:19], v[14:15], 0, v[10:11]
	global_load_dword v20, v[18:19], off
	v_lshl_add_u64 v[18:19], v[12:13], 0, v[10:11]
	v_lshl_add_u64 v[14:15], v[2:3], 2, v[14:15]
	s_waitcnt vmcnt(0)
	v_mul_f32_e32 v20, s24, v20
	v_min_f32_e32 v17, v20, v17
	global_store_dword v[18:19], v17, off
	global_load_dword v14, v[14:15], off
	s_waitcnt vmcnt(0)
	v_mul_f32_e32 v18, s24, v14
.LBB62_139:
	v_max_f32_e32 v14, v56, v56
	v_max_f32_e32 v15, v18, v18
	v_min_f32_e32 v14, v15, v14
	v_lshl_add_u64 v[12:13], v[2:3], 2, v[12:13]
	global_store_dword v[12:13], v14, off
	v_add_u32_e32 v14, 0x60, v16
	v_mad_i64_i32 v[12:13], s[2:3], v14, s5, 0
	v_mad_i64_i32 v[14:15], s[2:3], v14, s4, 0
	v_lshl_add_u64 v[12:13], v[12:13], 2, s[0:1]
	s_mov_b64 s[2:3], -1
	v_max_f32_e32 v17, v55, v55
	s_mov_b64 vcc, s[8:9]
	s_cbranch_vccz .LBB62_141
; %bb.140:
	v_min_f32_e32 v20, 0, v17
	v_lshl_add_u64 v[18:19], v[4:5], 2, v[12:13]
	global_store_dword v[18:19], v20, off
	s_mov_b64 s[2:3], 0
.LBB62_141:
	v_lshl_add_u64 v[14:15], v[14:15], 2, s[16:17]
	s_andn2_b64 vcc, exec, s[2:3]
	v_mov_b32_e32 v18, 0
	s_cbranch_vccnz .LBB62_143
; %bb.142:
	v_lshl_add_u64 v[18:19], v[14:15], 0, v[8:9]
	global_load_dword v20, v[18:19], off
	v_lshl_add_u64 v[18:19], v[12:13], 0, v[8:9]
	s_waitcnt vmcnt(0)
	v_mul_f32_e32 v20, s24, v20
	v_min_f32_e32 v17, v20, v17
	global_store_dword v[18:19], v17, off
	v_lshl_add_u64 v[18:19], v[0:1], 2, v[14:15]
	global_load_dword v17, v[18:19], off
	s_waitcnt vmcnt(0)
	v_mul_f32_e32 v18, s24, v17
.LBB62_143:
	v_max_f32_e32 v17, v54, v54
	v_max_f32_e32 v18, v18, v18
	v_min_f32_e32 v17, v18, v17
	v_lshl_add_u64 v[18:19], v[0:1], 2, v[12:13]
	global_store_dword v[18:19], v17, off
	s_mov_b64 s[2:3], -1
	v_max_f32_e32 v17, v53, v53
	s_mov_b64 vcc, s[8:9]
	s_cbranch_vccz .LBB62_145
; %bb.144:
	v_min_f32_e32 v20, 0, v17
	v_lshl_add_u64 v[18:19], v[6:7], 2, v[12:13]
	global_store_dword v[18:19], v20, off
	s_mov_b64 s[2:3], 0
.LBB62_145:
	s_andn2_b64 vcc, exec, s[2:3]
	v_mov_b32_e32 v18, 0
	s_cbranch_vccnz .LBB62_147
; %bb.146:
	v_lshl_add_u64 v[18:19], v[14:15], 0, v[10:11]
	global_load_dword v20, v[18:19], off
	v_lshl_add_u64 v[18:19], v[12:13], 0, v[10:11]
	v_lshl_add_u64 v[14:15], v[2:3], 2, v[14:15]
	s_waitcnt vmcnt(0)
	v_mul_f32_e32 v20, s24, v20
	v_min_f32_e32 v17, v20, v17
	global_store_dword v[18:19], v17, off
	global_load_dword v14, v[14:15], off
	s_waitcnt vmcnt(0)
	v_mul_f32_e32 v18, s24, v14
.LBB62_147:
	v_max_f32_e32 v14, v52, v52
	v_max_f32_e32 v15, v18, v18
	v_min_f32_e32 v14, v15, v14
	v_lshl_add_u64 v[12:13], v[2:3], 2, v[12:13]
	global_store_dword v[12:13], v14, off
	v_add_u32_e32 v14, 0x68, v16
	v_mad_i64_i32 v[12:13], s[2:3], v14, s5, 0
	v_mad_i64_i32 v[14:15], s[2:3], v14, s4, 0
	v_lshl_add_u64 v[12:13], v[12:13], 2, s[0:1]
	s_mov_b64 s[2:3], -1
	v_max_f32_e32 v17, v51, v51
	s_mov_b64 vcc, s[8:9]
	s_cbranch_vccz .LBB62_149
; %bb.148:
	v_min_f32_e32 v20, 0, v17
	v_lshl_add_u64 v[18:19], v[4:5], 2, v[12:13]
	global_store_dword v[18:19], v20, off
	s_mov_b64 s[2:3], 0
.LBB62_149:
	v_lshl_add_u64 v[14:15], v[14:15], 2, s[16:17]
	s_andn2_b64 vcc, exec, s[2:3]
	v_mov_b32_e32 v18, 0
	s_cbranch_vccnz .LBB62_151
; %bb.150:
	v_lshl_add_u64 v[18:19], v[14:15], 0, v[8:9]
	global_load_dword v20, v[18:19], off
	v_lshl_add_u64 v[18:19], v[12:13], 0, v[8:9]
	s_waitcnt vmcnt(0)
	v_mul_f32_e32 v20, s24, v20
	v_min_f32_e32 v17, v20, v17
	global_store_dword v[18:19], v17, off
	v_lshl_add_u64 v[18:19], v[0:1], 2, v[14:15]
	global_load_dword v17, v[18:19], off
	s_waitcnt vmcnt(0)
	v_mul_f32_e32 v18, s24, v17
.LBB62_151:
	v_max_f32_e32 v17, v50, v50
	v_max_f32_e32 v18, v18, v18
	v_min_f32_e32 v17, v18, v17
	v_lshl_add_u64 v[18:19], v[0:1], 2, v[12:13]
	global_store_dword v[18:19], v17, off
	s_mov_b64 s[2:3], -1
	v_max_f32_e32 v17, v49, v49
	s_mov_b64 vcc, s[8:9]
	s_cbranch_vccz .LBB62_153
; %bb.152:
	v_min_f32_e32 v20, 0, v17
	v_lshl_add_u64 v[18:19], v[6:7], 2, v[12:13]
	global_store_dword v[18:19], v20, off
	s_mov_b64 s[2:3], 0
.LBB62_153:
	s_andn2_b64 vcc, exec, s[2:3]
	v_mov_b32_e32 v18, 0
	s_cbranch_vccnz .LBB62_155
; %bb.154:
	v_lshl_add_u64 v[18:19], v[14:15], 0, v[10:11]
	global_load_dword v20, v[18:19], off
	v_lshl_add_u64 v[18:19], v[12:13], 0, v[10:11]
	v_lshl_add_u64 v[14:15], v[2:3], 2, v[14:15]
	s_waitcnt vmcnt(0)
	v_mul_f32_e32 v20, s24, v20
	v_min_f32_e32 v17, v20, v17
	global_store_dword v[18:19], v17, off
	global_load_dword v14, v[14:15], off
	s_waitcnt vmcnt(0)
	v_mul_f32_e32 v18, s24, v14
.LBB62_155:
	v_max_f32_e32 v14, v48, v48
	v_max_f32_e32 v15, v18, v18
	v_min_f32_e32 v14, v15, v14
	v_lshl_add_u64 v[12:13], v[2:3], 2, v[12:13]
	global_store_dword v[12:13], v14, off
	v_add_u32_e32 v14, 0x70, v16
	v_mad_i64_i32 v[12:13], s[2:3], v14, s5, 0
	v_mad_i64_i32 v[14:15], s[2:3], v14, s4, 0
	v_lshl_add_u64 v[12:13], v[12:13], 2, s[0:1]
	s_mov_b64 s[2:3], -1
	v_max_f32_e32 v17, v47, v47
	s_mov_b64 vcc, s[8:9]
	s_cbranch_vccz .LBB62_157
; %bb.156:
	v_min_f32_e32 v20, 0, v17
	v_lshl_add_u64 v[18:19], v[4:5], 2, v[12:13]
	global_store_dword v[18:19], v20, off
	s_mov_b64 s[2:3], 0
.LBB62_157:
	v_lshl_add_u64 v[14:15], v[14:15], 2, s[16:17]
	s_andn2_b64 vcc, exec, s[2:3]
	v_mov_b32_e32 v18, 0
	s_cbranch_vccnz .LBB62_159
; %bb.158:
	v_lshl_add_u64 v[18:19], v[14:15], 0, v[8:9]
	global_load_dword v20, v[18:19], off
	v_lshl_add_u64 v[18:19], v[12:13], 0, v[8:9]
	s_waitcnt vmcnt(0)
	v_mul_f32_e32 v20, s24, v20
	v_min_f32_e32 v17, v20, v17
	global_store_dword v[18:19], v17, off
	v_lshl_add_u64 v[18:19], v[0:1], 2, v[14:15]
	global_load_dword v17, v[18:19], off
	s_waitcnt vmcnt(0)
	v_mul_f32_e32 v18, s24, v17
.LBB62_159:
	v_max_f32_e32 v17, v46, v46
	v_max_f32_e32 v18, v18, v18
	v_min_f32_e32 v17, v18, v17
	v_lshl_add_u64 v[18:19], v[0:1], 2, v[12:13]
	global_store_dword v[18:19], v17, off
	s_mov_b64 s[2:3], -1
	v_max_f32_e32 v17, v45, v45
	s_mov_b64 vcc, s[8:9]
	s_cbranch_vccz .LBB62_161
; %bb.160:
	v_min_f32_e32 v20, 0, v17
	v_lshl_add_u64 v[18:19], v[6:7], 2, v[12:13]
	global_store_dword v[18:19], v20, off
	s_mov_b64 s[2:3], 0
.LBB62_161:
	s_andn2_b64 vcc, exec, s[2:3]
	v_mov_b32_e32 v18, 0
	s_cbranch_vccnz .LBB62_163
; %bb.162:
	v_lshl_add_u64 v[18:19], v[14:15], 0, v[10:11]
	global_load_dword v20, v[18:19], off
	v_lshl_add_u64 v[18:19], v[12:13], 0, v[10:11]
	v_lshl_add_u64 v[14:15], v[2:3], 2, v[14:15]
	s_waitcnt vmcnt(0)
	v_mul_f32_e32 v20, s24, v20
	v_min_f32_e32 v17, v20, v17
	global_store_dword v[18:19], v17, off
	global_load_dword v14, v[14:15], off
	s_waitcnt vmcnt(0)
	v_mul_f32_e32 v18, s24, v14
.LBB62_163:
	v_max_f32_e32 v14, v44, v44
	v_max_f32_e32 v15, v18, v18
	v_min_f32_e32 v14, v15, v14
	v_lshl_add_u64 v[12:13], v[2:3], 2, v[12:13]
	global_store_dword v[12:13], v14, off
	v_add_u32_e32 v14, 0x78, v16
	v_mad_i64_i32 v[12:13], s[2:3], v14, s5, 0
	v_lshl_add_u64 v[12:13], v[12:13], 2, s[0:1]
	v_mad_i64_i32 v[14:15], s[0:1], v14, s4, 0
	s_mov_b64 s[0:1], -1
	v_max_f32_e32 v16, v43, v43
	s_mov_b64 vcc, s[8:9]
	s_cbranch_vccz .LBB62_165
; %bb.164:
	v_min_f32_e32 v17, 0, v16
	v_lshl_add_u64 v[4:5], v[4:5], 2, v[12:13]
	global_store_dword v[4:5], v17, off
	s_mov_b64 s[0:1], 0
.LBB62_165:
	v_lshl_add_u64 v[4:5], v[14:15], 2, s[16:17]
	s_andn2_b64 vcc, exec, s[0:1]
	v_mov_b32_e32 v14, 0
	s_cbranch_vccnz .LBB62_167
; %bb.166:
	v_lshl_add_u64 v[14:15], v[4:5], 0, v[8:9]
	global_load_dword v14, v[14:15], off
	v_lshl_add_u64 v[8:9], v[12:13], 0, v[8:9]
	s_waitcnt vmcnt(0)
	v_mul_f32_e32 v14, s24, v14
	v_min_f32_e32 v14, v14, v16
	global_store_dword v[8:9], v14, off
	v_lshl_add_u64 v[8:9], v[0:1], 2, v[4:5]
	global_load_dword v8, v[8:9], off
	s_waitcnt vmcnt(0)
	v_mul_f32_e32 v14, s24, v8
.LBB62_167:
	v_max_f32_e32 v8, v42, v42
	v_max_f32_e32 v9, v14, v14
	v_min_f32_e32 v8, v9, v8
	v_lshl_add_u64 v[0:1], v[0:1], 2, v[12:13]
	global_store_dword v[0:1], v8, off
	s_mov_b64 s[0:1], -1
	v_max_f32_e32 v0, v41, v41
	s_mov_b64 vcc, s[8:9]
	s_cbranch_vccz .LBB62_169
; %bb.168:
	v_min_f32_e32 v1, 0, v0
	v_lshl_add_u64 v[6:7], v[6:7], 2, v[12:13]
	global_store_dword v[6:7], v1, off
	s_mov_b64 s[0:1], 0
.LBB62_169:
	s_andn2_b64 vcc, exec, s[0:1]
	v_mov_b32_e32 v1, 0
	s_cbranch_vccnz .LBB62_171
; %bb.170:
	v_lshl_add_u64 v[6:7], v[4:5], 0, v[10:11]
	global_load_dword v1, v[6:7], off
	v_lshl_add_u64 v[6:7], v[12:13], 0, v[10:11]
	s_waitcnt vmcnt(0)
	v_mul_f32_e32 v1, s24, v1
	v_min_f32_e32 v0, v1, v0
	global_store_dword v[6:7], v0, off
	v_lshl_add_u64 v[0:1], v[2:3], 2, v[4:5]
	global_load_dword v0, v[0:1], off
	s_waitcnt vmcnt(0)
	v_mul_f32_e32 v1, s24, v0
.LBB62_171:
	v_max_f32_e32 v0, v40, v40
	v_max_f32_e32 v1, v1, v1
	v_min_f32_e32 v4, v1, v0
	v_lshl_add_u64 v[0:1], v[2:3], 2, v[12:13]
	global_store_dword v[0:1], v4, off
	s_endpgm
.LBB62_172:
	s_mov_b64 s[20:21], 0
	s_andn2_b64 vcc, exec, s[6:7]
	s_mov_b64 s[6:7], -1
	s_cbranch_vccz .LBB62_2
	s_branch .LBB62_3
	.section	.rodata,"a",@progbits
	.p2align	6, 0x0
	.amdhsa_kernel _ZN12_GLOBAL__N_120geam_min_plus_kernelIf15HIP_vector_typeIfLj2EEfLi32ELi8ELi128ELi128ELi4ELi4ELi64ELi4ELi64ELc84ELc78ELb0ELb0ELb1EfKffEEviiiT16_PT17_ilS6_ilS4_S6_ilPT18_ili26rocblas_geam_ex_operation_
		.amdhsa_group_segment_fixed_size 8192
		.amdhsa_private_segment_fixed_size 0
		.amdhsa_kernarg_size 128
		.amdhsa_user_sgpr_count 2
		.amdhsa_user_sgpr_dispatch_ptr 0
		.amdhsa_user_sgpr_queue_ptr 0
		.amdhsa_user_sgpr_kernarg_segment_ptr 1
		.amdhsa_user_sgpr_dispatch_id 0
		.amdhsa_user_sgpr_kernarg_preload_length 0
		.amdhsa_user_sgpr_kernarg_preload_offset 0
		.amdhsa_user_sgpr_private_segment_size 0
		.amdhsa_uses_dynamic_stack 0
		.amdhsa_enable_private_segment 0
		.amdhsa_system_sgpr_workgroup_id_x 1
		.amdhsa_system_sgpr_workgroup_id_y 0
		.amdhsa_system_sgpr_workgroup_id_z 1
		.amdhsa_system_sgpr_workgroup_info 0
		.amdhsa_system_vgpr_workitem_id 1
		.amdhsa_next_free_vgpr 138
		.amdhsa_next_free_sgpr 29
		.amdhsa_accum_offset 140
		.amdhsa_reserve_vcc 1
		.amdhsa_float_round_mode_32 0
		.amdhsa_float_round_mode_16_64 0
		.amdhsa_float_denorm_mode_32 3
		.amdhsa_float_denorm_mode_16_64 3
		.amdhsa_dx10_clamp 1
		.amdhsa_ieee_mode 1
		.amdhsa_fp16_overflow 0
		.amdhsa_tg_split 0
		.amdhsa_exception_fp_ieee_invalid_op 0
		.amdhsa_exception_fp_denorm_src 0
		.amdhsa_exception_fp_ieee_div_zero 0
		.amdhsa_exception_fp_ieee_overflow 0
		.amdhsa_exception_fp_ieee_underflow 0
		.amdhsa_exception_fp_ieee_inexact 0
		.amdhsa_exception_int_div_zero 0
	.end_amdhsa_kernel
	.section	.text._ZN12_GLOBAL__N_120geam_min_plus_kernelIf15HIP_vector_typeIfLj2EEfLi32ELi8ELi128ELi128ELi4ELi4ELi64ELi4ELi64ELc84ELc78ELb0ELb0ELb1EfKffEEviiiT16_PT17_ilS6_ilS4_S6_ilPT18_ili26rocblas_geam_ex_operation_,"axG",@progbits,_ZN12_GLOBAL__N_120geam_min_plus_kernelIf15HIP_vector_typeIfLj2EEfLi32ELi8ELi128ELi128ELi4ELi4ELi64ELi4ELi64ELc84ELc78ELb0ELb0ELb1EfKffEEviiiT16_PT17_ilS6_ilS4_S6_ilPT18_ili26rocblas_geam_ex_operation_,comdat
.Lfunc_end62:
	.size	_ZN12_GLOBAL__N_120geam_min_plus_kernelIf15HIP_vector_typeIfLj2EEfLi32ELi8ELi128ELi128ELi4ELi4ELi64ELi4ELi64ELc84ELc78ELb0ELb0ELb1EfKffEEviiiT16_PT17_ilS6_ilS4_S6_ilPT18_ili26rocblas_geam_ex_operation_, .Lfunc_end62-_ZN12_GLOBAL__N_120geam_min_plus_kernelIf15HIP_vector_typeIfLj2EEfLi32ELi8ELi128ELi128ELi4ELi4ELi64ELi4ELi64ELc84ELc78ELb0ELb0ELb1EfKffEEviiiT16_PT17_ilS6_ilS4_S6_ilPT18_ili26rocblas_geam_ex_operation_
                                        ; -- End function
	.set _ZN12_GLOBAL__N_120geam_min_plus_kernelIf15HIP_vector_typeIfLj2EEfLi32ELi8ELi128ELi128ELi4ELi4ELi64ELi4ELi64ELc84ELc78ELb0ELb0ELb1EfKffEEviiiT16_PT17_ilS6_ilS4_S6_ilPT18_ili26rocblas_geam_ex_operation_.num_vgpr, 138
	.set _ZN12_GLOBAL__N_120geam_min_plus_kernelIf15HIP_vector_typeIfLj2EEfLi32ELi8ELi128ELi128ELi4ELi4ELi64ELi4ELi64ELc84ELc78ELb0ELb0ELb1EfKffEEviiiT16_PT17_ilS6_ilS4_S6_ilPT18_ili26rocblas_geam_ex_operation_.num_agpr, 0
	.set _ZN12_GLOBAL__N_120geam_min_plus_kernelIf15HIP_vector_typeIfLj2EEfLi32ELi8ELi128ELi128ELi4ELi4ELi64ELi4ELi64ELc84ELc78ELb0ELb0ELb1EfKffEEviiiT16_PT17_ilS6_ilS4_S6_ilPT18_ili26rocblas_geam_ex_operation_.numbered_sgpr, 29
	.set _ZN12_GLOBAL__N_120geam_min_plus_kernelIf15HIP_vector_typeIfLj2EEfLi32ELi8ELi128ELi128ELi4ELi4ELi64ELi4ELi64ELc84ELc78ELb0ELb0ELb1EfKffEEviiiT16_PT17_ilS6_ilS4_S6_ilPT18_ili26rocblas_geam_ex_operation_.num_named_barrier, 0
	.set _ZN12_GLOBAL__N_120geam_min_plus_kernelIf15HIP_vector_typeIfLj2EEfLi32ELi8ELi128ELi128ELi4ELi4ELi64ELi4ELi64ELc84ELc78ELb0ELb0ELb1EfKffEEviiiT16_PT17_ilS6_ilS4_S6_ilPT18_ili26rocblas_geam_ex_operation_.private_seg_size, 0
	.set _ZN12_GLOBAL__N_120geam_min_plus_kernelIf15HIP_vector_typeIfLj2EEfLi32ELi8ELi128ELi128ELi4ELi4ELi64ELi4ELi64ELc84ELc78ELb0ELb0ELb1EfKffEEviiiT16_PT17_ilS6_ilS4_S6_ilPT18_ili26rocblas_geam_ex_operation_.uses_vcc, 1
	.set _ZN12_GLOBAL__N_120geam_min_plus_kernelIf15HIP_vector_typeIfLj2EEfLi32ELi8ELi128ELi128ELi4ELi4ELi64ELi4ELi64ELc84ELc78ELb0ELb0ELb1EfKffEEviiiT16_PT17_ilS6_ilS4_S6_ilPT18_ili26rocblas_geam_ex_operation_.uses_flat_scratch, 0
	.set _ZN12_GLOBAL__N_120geam_min_plus_kernelIf15HIP_vector_typeIfLj2EEfLi32ELi8ELi128ELi128ELi4ELi4ELi64ELi4ELi64ELc84ELc78ELb0ELb0ELb1EfKffEEviiiT16_PT17_ilS6_ilS4_S6_ilPT18_ili26rocblas_geam_ex_operation_.has_dyn_sized_stack, 0
	.set _ZN12_GLOBAL__N_120geam_min_plus_kernelIf15HIP_vector_typeIfLj2EEfLi32ELi8ELi128ELi128ELi4ELi4ELi64ELi4ELi64ELc84ELc78ELb0ELb0ELb1EfKffEEviiiT16_PT17_ilS6_ilS4_S6_ilPT18_ili26rocblas_geam_ex_operation_.has_recursion, 0
	.set _ZN12_GLOBAL__N_120geam_min_plus_kernelIf15HIP_vector_typeIfLj2EEfLi32ELi8ELi128ELi128ELi4ELi4ELi64ELi4ELi64ELc84ELc78ELb0ELb0ELb1EfKffEEviiiT16_PT17_ilS6_ilS4_S6_ilPT18_ili26rocblas_geam_ex_operation_.has_indirect_call, 0
	.section	.AMDGPU.csdata,"",@progbits
; Kernel info:
; codeLenInByte = 13004
; TotalNumSgprs: 35
; NumVgprs: 138
; NumAgprs: 0
; TotalNumVgprs: 138
; ScratchSize: 0
; MemoryBound: 0
; FloatMode: 240
; IeeeMode: 1
; LDSByteSize: 8192 bytes/workgroup (compile time only)
; SGPRBlocks: 4
; VGPRBlocks: 17
; NumSGPRsForWavesPerEU: 35
; NumVGPRsForWavesPerEU: 138
; AccumOffset: 140
; Occupancy: 3
; WaveLimiterHint : 0
; COMPUTE_PGM_RSRC2:SCRATCH_EN: 0
; COMPUTE_PGM_RSRC2:USER_SGPR: 2
; COMPUTE_PGM_RSRC2:TRAP_HANDLER: 0
; COMPUTE_PGM_RSRC2:TGID_X_EN: 1
; COMPUTE_PGM_RSRC2:TGID_Y_EN: 0
; COMPUTE_PGM_RSRC2:TGID_Z_EN: 1
; COMPUTE_PGM_RSRC2:TIDIG_COMP_CNT: 1
; COMPUTE_PGM_RSRC3_GFX90A:ACCUM_OFFSET: 34
; COMPUTE_PGM_RSRC3_GFX90A:TG_SPLIT: 0
	.section	.text._ZN12_GLOBAL__N_120geam_min_plus_kernelIf15HIP_vector_typeIfLj2EEfLi32ELi8ELi128ELi128ELi4ELi4ELi64ELi4ELi64ELc84ELc78ELb0ELb1ELb1EPKfS3_fEEviiiT16_PT17_ilS7_ilS5_S7_ilPT18_ili26rocblas_geam_ex_operation_,"axG",@progbits,_ZN12_GLOBAL__N_120geam_min_plus_kernelIf15HIP_vector_typeIfLj2EEfLi32ELi8ELi128ELi128ELi4ELi4ELi64ELi4ELi64ELc84ELc78ELb0ELb1ELb1EPKfS3_fEEviiiT16_PT17_ilS7_ilS5_S7_ilPT18_ili26rocblas_geam_ex_operation_,comdat
	.globl	_ZN12_GLOBAL__N_120geam_min_plus_kernelIf15HIP_vector_typeIfLj2EEfLi32ELi8ELi128ELi128ELi4ELi4ELi64ELi4ELi64ELc84ELc78ELb0ELb1ELb1EPKfS3_fEEviiiT16_PT17_ilS7_ilS5_S7_ilPT18_ili26rocblas_geam_ex_operation_ ; -- Begin function _ZN12_GLOBAL__N_120geam_min_plus_kernelIf15HIP_vector_typeIfLj2EEfLi32ELi8ELi128ELi128ELi4ELi4ELi64ELi4ELi64ELc84ELc78ELb0ELb1ELb1EPKfS3_fEEviiiT16_PT17_ilS7_ilS5_S7_ilPT18_ili26rocblas_geam_ex_operation_
	.p2align	8
	.type	_ZN12_GLOBAL__N_120geam_min_plus_kernelIf15HIP_vector_typeIfLj2EEfLi32ELi8ELi128ELi128ELi4ELi4ELi64ELi4ELi64ELc84ELc78ELb0ELb1ELb1EPKfS3_fEEviiiT16_PT17_ilS7_ilS5_S7_ilPT18_ili26rocblas_geam_ex_operation_,@function
_ZN12_GLOBAL__N_120geam_min_plus_kernelIf15HIP_vector_typeIfLj2EEfLi32ELi8ELi128ELi128ELi4ELi4ELi64ELi4ELi64ELc84ELc78ELb0ELb1ELb1EPKfS3_fEEviiiT16_PT17_ilS7_ilS5_S7_ilPT18_ili26rocblas_geam_ex_operation_: ; @_ZN12_GLOBAL__N_120geam_min_plus_kernelIf15HIP_vector_typeIfLj2EEfLi32ELi8ELi128ELi128ELi4ELi4ELi64ELi4ELi64ELc84ELc78ELb0ELb1ELb1EPKfS3_fEEviiiT16_PT17_ilS7_ilS5_S7_ilPT18_ili26rocblas_geam_ex_operation_
; %bb.0:
	s_load_dwordx4 s[12:15], s[0:1], 0x10
	s_load_dwordx4 s[4:7], s[0:1], 0x28
	s_load_dwordx4 s[8:11], s[0:1], 0x40
	s_mov_b32 s20, s3
	s_mov_b32 s21, 0
	s_lshl_b64 s[16:17], s[20:21], 2
	s_waitcnt lgkmcnt(0)
	s_add_u32 s18, s12, s16
	s_addc_u32 s19, s13, s17
	s_load_dword s33, s[18:19], 0x0
	s_load_dwordx2 s[12:13], s[0:1], 0x50
	s_add_u32 s10, s10, s16
	s_addc_u32 s11, s11, s17
	s_mov_b64 s[24:25], 0
	s_waitcnt lgkmcnt(0)
	v_cmp_eq_f32_e64 s[18:19], s33, 0
	v_cmp_neq_f32_e64 s[16:17], s33, 0
	s_and_b64 vcc, exec, s[18:19]
	s_mov_b64 s[26:27], 0
	s_cbranch_vccnz .LBB63_2
; %bb.1:
	s_mul_i32 s3, s5, s20
	s_mul_hi_u32 s5, s4, s20
	s_add_i32 s5, s5, s3
	s_mul_i32 s4, s4, s20
	s_lshl_b64 s[4:5], s[4:5], 2
	s_add_u32 s26, s14, s4
	s_addc_u32 s27, s15, s5
.LBB63_2:
	s_load_dword s21, s[10:11], 0x0
	s_andn2_b64 vcc, exec, s[16:17]
	s_cbranch_vccnz .LBB63_4
; %bb.3:
	s_mul_i32 s3, s9, s20
	s_mul_hi_u32 s4, s8, s20
	s_add_i32 s5, s4, s3
	s_mul_i32 s4, s8, s20
	s_lshl_b64 s[4:5], s[4:5], 2
	s_add_u32 s24, s6, s4
	s_addc_u32 s25, s7, s5
.LBB63_4:
	s_load_dwordx4 s[16:19], s[0:1], 0x60
	s_waitcnt lgkmcnt(0)
	v_cmp_eq_f32_e64 s[4:5], s21, 0
	v_cmp_neq_f32_e64 s[22:23], s21, 0
	s_and_b64 vcc, exec, s[4:5]
	s_cbranch_vccnz .LBB63_6
; %bb.5:
	s_mul_i32 s3, s17, s20
	s_mul_hi_u32 s4, s16, s20
	s_add_i32 s5, s4, s3
	s_mul_i32 s4, s16, s20
	s_lshl_b64 s[4:5], s[4:5], 2
	s_add_u32 s16, s12, s4
	s_addc_u32 s17, s13, s5
	s_branch .LBB63_7
.LBB63_6:
	s_mov_b64 s[16:17], 0
.LBB63_7:
	s_load_dwordx4 s[12:15], s[0:1], 0x0
	s_load_dword s35, s[0:1], 0x20
	v_and_b32_e32 v85, 0x3ff, v0
	v_bfe_u32 v86, v0, 10, 10
	v_and_b32_e32 v94, 3, v0
	s_waitcnt lgkmcnt(0)
	s_add_i32 s3, s12, -1
	s_ashr_i32 s4, s3, 31
	s_lshr_b32 s4, s4, 25
	s_add_i32 s3, s3, s4
	s_ashr_i32 s3, s3, 7
	s_add_i32 s4, s3, 1
	v_cvt_f32_u32_e32 v1, s4
	s_not_b32 s3, s3
	v_lshl_add_u32 v0, v86, 5, v85
	v_lshrrev_b32_e32 v12, 2, v0
	v_rcp_iflag_f32_e32 v1, v1
	v_cmp_le_i32_e32 vcc, s14, v94
	v_cmp_eq_f32_e64 s[28:29], s33, 0
	v_mov_b32_e32 v5, 0x7f7fffff
	v_mul_f32_e32 v1, 0x4f7ffffe, v1
	v_cvt_u32_f32_e32 v1, v1
	s_nop 0
	v_readfirstlane_b32 s5, v1
	s_mul_i32 s3, s3, s5
	s_mul_hi_u32 s3, s5, s3
	s_add_i32 s5, s5, s3
	s_mul_hi_u32 s3, s2, s5
	s_mul_i32 s5, s3, s4
	s_sub_i32 s5, s2, s5
	s_add_i32 s6, s3, 1
	s_sub_i32 s7, s5, s4
	s_cmp_ge_u32 s5, s4
	s_cselect_b32 s3, s6, s3
	s_cselect_b32 s5, s7, s5
	s_add_i32 s6, s3, 1
	s_cmp_ge_u32 s5, s4
	s_cselect_b32 s8, s6, s3
	s_mul_i32 s3, s8, s4
	s_sub_i32 s2, s2, s3
	s_lshl_b32 s30, s2, 7
	s_add_i32 s15, s14, -1
	v_add_u32_e32 v13, s30, v12
	v_min_i32_e32 v0, s15, v94
	v_cmp_le_i32_e64 s[2:3], s12, v13
	v_ashrrev_i32_e32 v1, 31, v0
	s_or_b64 s[4:5], vcc, s[2:3]
	v_lshl_add_u64 v[2:3], v[0:1], 2, s[26:27]
	v_cndmask_b32_e64 v4, 0, v5, s[4:5]
	s_nor_b64 s[6:7], s[28:29], s[4:5]
	s_and_saveexec_b64 s[4:5], s[6:7]
	s_cbranch_execz .LBB63_9
; %bb.8:
	v_mad_i64_i32 v[6:7], s[6:7], v13, s35, 0
	v_lshl_add_u64 v[6:7], v[6:7], 2, v[2:3]
	global_load_dword v4, v[6:7], off
	s_waitcnt vmcnt(0)
	v_mul_f32_e32 v4, s33, v4
.LBB63_9:
	s_or_b64 exec, exec, s[4:5]
	v_add_u32_e32 v14, 64, v13
	v_cmp_le_i32_e64 s[4:5], s12, v14
	s_or_b64 s[6:7], vcc, s[4:5]
	v_cndmask_b32_e64 v5, 0, v5, s[6:7]
	s_nor_b64 s[10:11], s[28:29], s[6:7]
	s_and_saveexec_b64 s[6:7], s[10:11]
	s_cbranch_execz .LBB63_11
; %bb.10:
	v_mad_i64_i32 v[6:7], s[10:11], v14, s35, 0
	v_lshl_add_u64 v[2:3], v[6:7], 2, v[2:3]
	global_load_dword v2, v[2:3], off
	s_waitcnt vmcnt(0)
	v_mul_f32_e32 v5, s33, v2
.LBB63_11:
	s_or_b64 exec, exec, s[6:7]
	s_load_dword s36, s[0:1], 0x38
	s_lshl_b32 s31, s8, 7
	v_add_u32_e32 v15, s31, v12
	v_cmp_le_i32_e64 s[6:7], s13, v15
	v_mov_b32_e32 v2, 0x7f7fffff
	s_or_b64 s[8:9], vcc, s[6:7]
	v_lshl_add_u64 v[0:1], v[0:1], 2, s[24:25]
	v_cndmask_b32_e64 v6, 0, v2, s[8:9]
	s_nor_b64 s[10:11], s[28:29], s[8:9]
	s_and_saveexec_b64 s[8:9], s[10:11]
	s_cbranch_execz .LBB63_13
; %bb.12:
	s_waitcnt lgkmcnt(0)
	v_mad_i64_i32 v[6:7], s[10:11], v15, s36, 0
	v_lshl_add_u64 v[6:7], v[6:7], 2, v[0:1]
	global_load_dword v3, v[6:7], off
	s_waitcnt vmcnt(0)
	v_mul_f32_e32 v6, s33, v3
.LBB63_13:
	s_or_b64 exec, exec, s[8:9]
	v_add_u32_e32 v16, 64, v15
	v_cmp_le_i32_e64 s[8:9], s13, v16
	s_or_b64 vcc, vcc, s[8:9]
	v_cndmask_b32_e32 v7, 0, v2, vcc
	s_nor_b64 s[38:39], s[28:29], vcc
	s_and_saveexec_b64 s[10:11], s[38:39]
	s_cbranch_execz .LBB63_15
; %bb.14:
	s_waitcnt lgkmcnt(0)
	v_mad_i64_i32 v[2:3], s[38:39], v16, s36, 0
	v_lshl_add_u64 v[0:1], v[2:3], 2, v[0:1]
	global_load_dword v0, v[0:1], off
	s_waitcnt vmcnt(0)
	v_mul_f32_e32 v7, s33, v0
.LBB63_15:
	s_or_b64 exec, exec, s[10:11]
	v_or_b32_e32 v0, 4, v94
	v_cmp_le_i32_e32 vcc, s14, v0
	v_min_i32_e32 v0, s15, v0
	v_ashrrev_i32_e32 v1, 31, v0
	v_mov_b32_e32 v8, 0x7f7fffff
	s_or_b64 s[10:11], vcc, s[2:3]
	v_lshl_add_u64 v[2:3], v[0:1], 2, s[26:27]
	v_cndmask_b32_e64 v17, 0, v8, s[10:11]
	s_nor_b64 s[38:39], s[28:29], s[10:11]
	s_and_saveexec_b64 s[10:11], s[38:39]
	s_cbranch_execz .LBB63_17
; %bb.16:
	v_mad_i64_i32 v[10:11], s[38:39], v13, s35, 0
	v_lshl_add_u64 v[10:11], v[10:11], 2, v[2:3]
	global_load_dword v9, v[10:11], off
	s_waitcnt vmcnt(0)
	v_mul_f32_e32 v17, s33, v9
.LBB63_17:
	s_or_b64 exec, exec, s[10:11]
	s_or_b64 s[10:11], vcc, s[4:5]
	v_cndmask_b32_e64 v18, 0, v8, s[10:11]
	s_nor_b64 s[38:39], s[28:29], s[10:11]
	s_and_saveexec_b64 s[10:11], s[38:39]
	s_cbranch_execz .LBB63_19
; %bb.18:
	v_mad_i64_i32 v[8:9], s[38:39], v14, s35, 0
	v_lshl_add_u64 v[2:3], v[8:9], 2, v[2:3]
	global_load_dword v2, v[2:3], off
	s_waitcnt vmcnt(0)
	v_mul_f32_e32 v18, s33, v2
.LBB63_19:
	s_or_b64 exec, exec, s[10:11]
	v_mov_b32_e32 v2, 0x7f7fffff
	s_or_b64 s[10:11], vcc, s[6:7]
	v_lshl_add_u64 v[0:1], v[0:1], 2, s[24:25]
	v_cndmask_b32_e64 v19, 0, v2, s[10:11]
	s_nor_b64 s[38:39], s[28:29], s[10:11]
	s_and_saveexec_b64 s[10:11], s[38:39]
	s_cbranch_execz .LBB63_21
; %bb.20:
	s_waitcnt lgkmcnt(0)
	v_mad_i64_i32 v[8:9], s[38:39], v15, s36, 0
	v_lshl_add_u64 v[8:9], v[8:9], 2, v[0:1]
	global_load_dword v3, v[8:9], off
	s_waitcnt vmcnt(0)
	v_mul_f32_e32 v19, s33, v3
.LBB63_21:
	s_or_b64 exec, exec, s[10:11]
	s_or_b64 vcc, vcc, s[8:9]
	v_cndmask_b32_e32 v20, 0, v2, vcc
	s_nor_b64 s[38:39], s[28:29], vcc
	s_mov_b32 s34, 0
	s_and_saveexec_b64 s[10:11], s[38:39]
	s_cbranch_execz .LBB63_23
; %bb.22:
	s_waitcnt lgkmcnt(0)
	v_mad_i64_i32 v[2:3], s[38:39], v16, s36, 0
	v_lshl_add_u64 v[0:1], v[2:3], 2, v[0:1]
	global_load_dword v0, v[0:1], off
	s_waitcnt vmcnt(0)
	v_mul_f32_e32 v20, s33, v0
.LBB63_23:
	s_or_b64 exec, exec, s[10:11]
	v_lshlrev_b32_e32 v0, 4, v12
	v_lshl_or_b32 v95, v94, 2, v0
	v_mov_b32_e32 v0, 0x1000
	v_add_u32_e32 v96, 0x1000, v95
	v_lshlrev_b32_e32 v97, 4, v85
	v_lshl_add_u32 v98, v86, 4, v0
	v_mov_b32_e32 v93, 0x7f7fffff
	s_mov_b64 s[10:11], -1
	v_mov_b32_e32 v92, 0x7f7fffff
	v_mov_b32_e32 v91, 0x7f7fffff
	;; [unrolled: 1-line block ×63, first 2 shown]
	ds_write2st64_b32 v95, v4, v5 offset1:4
	ds_write2st64_b32 v95, v6, v7 offset0:16 offset1:20
	s_waitcnt lgkmcnt(0)
	s_barrier
.LBB63_24:                              ; =>This Inner Loop Header: Depth=1
	v_cndmask_b32_e64 v0, 0, 1, s[10:11]
	s_lshl_b32 s10, s34, 2
	v_cmp_ne_u32_e32 vcc, 1, v0
	v_add_u32_e32 v0, s10, v97
	ds_read2st64_b64 v[4:7], v0 offset1:1
	ds_read2st64_b64 v[0:3], v0 offset0:2 offset1:3
	v_add_u32_e32 v8, s10, v98
	ds_read2_b64 v[22:25], v8 offset1:16
	ds_read2_b64 v[100:103], v8 offset0:32 offset1:48
	ds_read2_b64 v[104:107], v8 offset0:64 offset1:80
	;; [unrolled: 1-line block ×7, first 2 shown]
	s_mov_b64 s[10:11], 0
	s_waitcnt lgkmcnt(7)
	v_pk_add_f32 v[26:27], v[4:5], v[22:23]
	s_and_b64 vcc, exec, vcc
	v_min3_f32 v93, v26, v27, v93
	v_pk_add_f32 v[26:27], v[6:7], v[22:23]
	s_mov_b32 s34, 2
	v_min3_f32 v92, v26, v27, v92
	v_pk_add_f32 v[26:27], v[0:1], v[22:23]
	v_pk_add_f32 v[22:23], v[2:3], v[22:23]
	v_min3_f32 v91, v26, v27, v91
	v_min3_f32 v90, v22, v23, v90
	v_pk_add_f32 v[22:23], v[4:5], v[24:25]
	s_nop 0
	v_min3_f32 v89, v22, v23, v89
	v_pk_add_f32 v[22:23], v[6:7], v[24:25]
	s_nop 0
	v_min3_f32 v88, v22, v23, v88
	v_pk_add_f32 v[22:23], v[0:1], v[24:25]
	s_nop 0
	v_min3_f32 v87, v22, v23, v87
	v_pk_add_f32 v[22:23], v[2:3], v[24:25]
	s_nop 0
	v_min3_f32 v84, v22, v23, v84
	s_waitcnt lgkmcnt(6)
	v_pk_add_f32 v[22:23], v[4:5], v[100:101]
	s_nop 0
	v_min3_f32 v83, v22, v23, v83
	v_pk_add_f32 v[22:23], v[6:7], v[100:101]
	s_nop 0
	v_min3_f32 v82, v22, v23, v82
	v_pk_add_f32 v[22:23], v[0:1], v[100:101]
	s_nop 0
	v_min3_f32 v81, v22, v23, v81
	v_pk_add_f32 v[22:23], v[2:3], v[100:101]
	s_nop 0
	v_min3_f32 v80, v22, v23, v80
	v_pk_add_f32 v[22:23], v[4:5], v[102:103]
	s_nop 0
	v_min3_f32 v79, v22, v23, v79
	v_pk_add_f32 v[22:23], v[6:7], v[102:103]
	s_nop 0
	v_min3_f32 v78, v22, v23, v78
	v_pk_add_f32 v[22:23], v[0:1], v[102:103]
	s_nop 0
	v_min3_f32 v77, v22, v23, v77
	v_pk_add_f32 v[22:23], v[2:3], v[102:103]
	s_nop 0
	v_min3_f32 v76, v22, v23, v76
	s_waitcnt lgkmcnt(5)
	v_pk_add_f32 v[22:23], v[4:5], v[104:105]
	s_nop 0
	v_min3_f32 v75, v22, v23, v75
	v_pk_add_f32 v[22:23], v[6:7], v[104:105]
	s_nop 0
	v_min3_f32 v74, v22, v23, v74
	v_pk_add_f32 v[22:23], v[0:1], v[104:105]
	s_nop 0
	v_min3_f32 v73, v22, v23, v73
	v_pk_add_f32 v[22:23], v[2:3], v[104:105]
	s_nop 0
	;; [unrolled: 25-line block ×6, first 2 shown]
	v_min3_f32 v40, v22, v23, v40
	v_pk_add_f32 v[22:23], v[4:5], v[122:123]
	s_nop 0
	v_min3_f32 v39, v22, v23, v39
	v_pk_add_f32 v[22:23], v[6:7], v[122:123]
	s_nop 0
	;; [unrolled: 3-line block ×4, first 2 shown]
	v_min3_f32 v36, v22, v23, v36
	s_waitcnt lgkmcnt(0)
	v_pk_add_f32 v[22:23], v[4:5], v[8:9]
	v_pk_add_f32 v[4:5], v[4:5], v[10:11]
	v_min3_f32 v35, v22, v23, v35
	v_pk_add_f32 v[22:23], v[6:7], v[8:9]
	v_min3_f32 v31, v4, v5, v31
	v_min3_f32 v34, v22, v23, v34
	v_pk_add_f32 v[22:23], v[0:1], v[8:9]
	v_pk_add_f32 v[0:1], v[0:1], v[10:11]
	;; [unrolled: 1-line block ×4, first 2 shown]
	v_min3_f32 v29, v0, v1, v29
	v_pk_add_f32 v[0:1], v[2:3], v[10:11]
	v_min3_f32 v33, v22, v23, v33
	v_min3_f32 v32, v8, v9, v32
	;; [unrolled: 1-line block ×4, first 2 shown]
	s_cbranch_vccz .LBB63_24
; %bb.25:
	v_lshlrev_b32_e32 v0, 2, v94
	v_lshl_or_b32 v0, v12, 4, v0
	s_cmp_lt_i32 s14, 9
	ds_write2st64_b32 v0, v17, v18 offset0:8 offset1:12
	ds_write2st64_b32 v0, v19, v20 offset0:24 offset1:28
	s_waitcnt lgkmcnt(0)
	s_barrier
	s_cbranch_scc1 .LBB63_48
; %bb.26:
	v_add_u32_e32 v99, 0x800, v0
	v_add_u32_e32 v100, 0x1800, v0
	v_mov_b32_e32 v0, 0x800
	v_lshl_add_u32 v101, v85, 4, v0
	v_mov_b32_e32 v0, 0x1800
	s_add_i32 s34, s14, -8
	v_mad_i64_i32 v[20:21], s[10:11], v13, s35, 0
	v_mad_i64_i32 v[22:23], s[10:11], v14, s35, 0
	;; [unrolled: 1-line block ×4, first 2 shown]
	v_lshl_add_u32 v102, v86, 4, v0
	s_mov_b32 s35, 8
	s_mov_b32 s36, 0
	v_mov_b32_e32 v103, 0x7f7fffff
.LBB63_27:                              ; =>This Loop Header: Depth=1
                                        ;     Child Loop BB63_36 Depth 2
                                        ;     Child Loop BB63_46 Depth 2
	v_or_b32_e32 v104, s35, v94
	v_cmp_le_i32_e32 vcc, s14, v104
	v_min_i32_e32 v0, s15, v104
	v_ashrrev_i32_e32 v1, 31, v0
	s_or_b64 s[10:11], s[2:3], vcc
	v_lshl_add_u64 v[2:3], v[0:1], 2, s[26:27]
	v_cndmask_b32_e64 v105, 0, v103, s[10:11]
	s_nor_b64 s[38:39], s[28:29], s[10:11]
	s_and_saveexec_b64 s[10:11], s[38:39]
	s_cbranch_execz .LBB63_29
; %bb.28:                               ;   in Loop: Header=BB63_27 Depth=1
	v_lshl_add_u64 v[4:5], v[20:21], 2, v[2:3]
	global_load_dword v4, v[4:5], off
	s_waitcnt vmcnt(0)
	v_mul_f32_e32 v105, s33, v4
.LBB63_29:                              ;   in Loop: Header=BB63_27 Depth=1
	s_or_b64 exec, exec, s[10:11]
	s_or_b64 s[10:11], s[4:5], vcc
	v_cndmask_b32_e64 v106, 0, v103, s[10:11]
	s_nor_b64 s[38:39], s[28:29], s[10:11]
	s_and_saveexec_b64 s[10:11], s[38:39]
	s_cbranch_execz .LBB63_31
; %bb.30:                               ;   in Loop: Header=BB63_27 Depth=1
	v_lshl_add_u64 v[2:3], v[22:23], 2, v[2:3]
	global_load_dword v2, v[2:3], off
	s_waitcnt vmcnt(0)
	v_mul_f32_e32 v106, s33, v2
.LBB63_31:                              ;   in Loop: Header=BB63_27 Depth=1
	s_or_b64 exec, exec, s[10:11]
	s_or_b64 s[10:11], s[6:7], vcc
	v_lshl_add_u64 v[0:1], v[0:1], 2, s[24:25]
	v_cndmask_b32_e64 v107, 0, v103, s[10:11]
	s_nor_b64 s[38:39], s[28:29], s[10:11]
	s_and_saveexec_b64 s[10:11], s[38:39]
	s_cbranch_execz .LBB63_33
; %bb.32:                               ;   in Loop: Header=BB63_27 Depth=1
	v_lshl_add_u64 v[2:3], v[24:25], 2, v[0:1]
	global_load_dword v2, v[2:3], off
	s_waitcnt vmcnt(0)
	v_mul_f32_e32 v107, s33, v2
.LBB63_33:                              ;   in Loop: Header=BB63_27 Depth=1
	s_or_b64 exec, exec, s[10:11]
	s_or_b64 vcc, s[8:9], vcc
	v_cndmask_b32_e32 v108, 0, v103, vcc
	s_nor_b64 s[38:39], s[28:29], vcc
	s_and_saveexec_b64 s[10:11], s[38:39]
	s_cbranch_execz .LBB63_35
; %bb.34:                               ;   in Loop: Header=BB63_27 Depth=1
	v_lshl_add_u64 v[0:1], v[26:27], 2, v[0:1]
	global_load_dword v0, v[0:1], off
	s_waitcnt vmcnt(0)
	v_mul_f32_e32 v108, s33, v0
.LBB63_35:                              ;   in Loop: Header=BB63_27 Depth=1
	s_or_b64 exec, exec, s[10:11]
	s_mov_b32 s37, 0
	s_mov_b64 s[10:11], -1
.LBB63_36:                              ;   Parent Loop BB63_27 Depth=1
                                        ; =>  This Inner Loop Header: Depth=2
	v_cndmask_b32_e64 v0, 0, 1, s[10:11]
	s_lshl_b32 s10, s37, 2
	v_cmp_ne_u32_e32 vcc, 1, v0
	v_add_u32_e32 v0, s10, v101
	ds_read2st64_b64 v[4:7], v0 offset1:1
	ds_read2st64_b64 v[0:3], v0 offset0:2 offset1:3
	v_add_u32_e32 v8, s10, v102
	ds_read2_b64 v[110:113], v8 offset1:16
	ds_read2_b64 v[114:117], v8 offset0:32 offset1:48
	ds_read2_b64 v[118:121], v8 offset0:64 offset1:80
	;; [unrolled: 1-line block ×7, first 2 shown]
	s_mov_b64 s[10:11], 0
	s_waitcnt lgkmcnt(7)
	v_pk_add_f32 v[130:131], v[4:5], v[110:111]
	s_and_b64 vcc, exec, vcc
	v_min3_f32 v93, v130, v131, v93
	v_pk_add_f32 v[130:131], v[6:7], v[110:111]
	s_mov_b32 s37, 2
	v_min3_f32 v92, v130, v131, v92
	v_pk_add_f32 v[130:131], v[0:1], v[110:111]
	v_pk_add_f32 v[110:111], v[2:3], v[110:111]
	v_min3_f32 v91, v130, v131, v91
	v_min3_f32 v90, v110, v111, v90
	v_pk_add_f32 v[110:111], v[4:5], v[112:113]
	s_nop 0
	v_min3_f32 v89, v110, v111, v89
	v_pk_add_f32 v[110:111], v[6:7], v[112:113]
	s_nop 0
	v_min3_f32 v88, v110, v111, v88
	v_pk_add_f32 v[110:111], v[0:1], v[112:113]
	s_nop 0
	v_min3_f32 v87, v110, v111, v87
	v_pk_add_f32 v[110:111], v[2:3], v[112:113]
	s_nop 0
	v_min3_f32 v84, v110, v111, v84
	s_waitcnt lgkmcnt(6)
	v_pk_add_f32 v[110:111], v[4:5], v[114:115]
	s_nop 0
	v_min3_f32 v83, v110, v111, v83
	v_pk_add_f32 v[110:111], v[6:7], v[114:115]
	s_nop 0
	v_min3_f32 v82, v110, v111, v82
	v_pk_add_f32 v[110:111], v[0:1], v[114:115]
	s_nop 0
	v_min3_f32 v81, v110, v111, v81
	v_pk_add_f32 v[110:111], v[2:3], v[114:115]
	s_nop 0
	v_min3_f32 v80, v110, v111, v80
	v_pk_add_f32 v[110:111], v[4:5], v[116:117]
	s_nop 0
	v_min3_f32 v79, v110, v111, v79
	v_pk_add_f32 v[110:111], v[6:7], v[116:117]
	s_nop 0
	v_min3_f32 v78, v110, v111, v78
	v_pk_add_f32 v[110:111], v[0:1], v[116:117]
	s_nop 0
	v_min3_f32 v77, v110, v111, v77
	v_pk_add_f32 v[110:111], v[2:3], v[116:117]
	s_nop 0
	v_min3_f32 v76, v110, v111, v76
	s_waitcnt lgkmcnt(5)
	v_pk_add_f32 v[110:111], v[4:5], v[118:119]
	s_nop 0
	v_min3_f32 v75, v110, v111, v75
	v_pk_add_f32 v[110:111], v[6:7], v[118:119]
	s_nop 0
	v_min3_f32 v74, v110, v111, v74
	v_pk_add_f32 v[110:111], v[0:1], v[118:119]
	s_nop 0
	v_min3_f32 v73, v110, v111, v73
	v_pk_add_f32 v[110:111], v[2:3], v[118:119]
	s_nop 0
	;; [unrolled: 25-line block ×4, first 2 shown]
	v_min3_f32 v56, v110, v111, v56
	v_pk_add_f32 v[110:111], v[4:5], v[128:129]
	s_nop 0
	v_min3_f32 v55, v110, v111, v55
	v_pk_add_f32 v[110:111], v[6:7], v[128:129]
	s_nop 0
	v_min3_f32 v54, v110, v111, v54
	v_pk_add_f32 v[110:111], v[0:1], v[128:129]
	s_nop 0
	v_min3_f32 v53, v110, v111, v53
	v_pk_add_f32 v[110:111], v[2:3], v[128:129]
	s_nop 0
	v_min3_f32 v52, v110, v111, v52
	s_waitcnt lgkmcnt(2)
	v_pk_add_f32 v[110:111], v[4:5], v[16:17]
	s_nop 0
	v_min3_f32 v51, v110, v111, v51
	v_pk_add_f32 v[110:111], v[6:7], v[16:17]
	s_nop 0
	v_min3_f32 v50, v110, v111, v50
	v_pk_add_f32 v[110:111], v[0:1], v[16:17]
	v_pk_add_f32 v[16:17], v[2:3], v[16:17]
	v_min3_f32 v49, v110, v111, v49
	v_min3_f32 v48, v16, v17, v48
	v_pk_add_f32 v[16:17], v[4:5], v[18:19]
	s_nop 0
	v_min3_f32 v47, v16, v17, v47
	v_pk_add_f32 v[16:17], v[6:7], v[18:19]
	s_nop 0
	v_min3_f32 v46, v16, v17, v46
	v_pk_add_f32 v[16:17], v[0:1], v[18:19]
	s_nop 0
	v_min3_f32 v45, v16, v17, v45
	v_pk_add_f32 v[16:17], v[2:3], v[18:19]
	s_nop 0
	v_min3_f32 v44, v16, v17, v44
	s_waitcnt lgkmcnt(1)
	v_pk_add_f32 v[16:17], v[4:5], v[12:13]
	s_nop 0
	v_min3_f32 v43, v16, v17, v43
	v_pk_add_f32 v[16:17], v[6:7], v[12:13]
	s_nop 0
	v_min3_f32 v42, v16, v17, v42
	v_pk_add_f32 v[16:17], v[0:1], v[12:13]
	v_pk_add_f32 v[12:13], v[2:3], v[12:13]
	v_min3_f32 v41, v16, v17, v41
	v_min3_f32 v40, v12, v13, v40
	v_pk_add_f32 v[12:13], v[4:5], v[14:15]
	s_nop 0
	v_min3_f32 v39, v12, v13, v39
	v_pk_add_f32 v[12:13], v[6:7], v[14:15]
	s_nop 0
	;; [unrolled: 3-line block ×4, first 2 shown]
	v_min3_f32 v36, v12, v13, v36
	s_waitcnt lgkmcnt(0)
	v_pk_add_f32 v[12:13], v[4:5], v[8:9]
	v_pk_add_f32 v[4:5], v[4:5], v[10:11]
	v_min3_f32 v35, v12, v13, v35
	v_pk_add_f32 v[12:13], v[6:7], v[8:9]
	v_min3_f32 v31, v4, v5, v31
	v_min3_f32 v34, v12, v13, v34
	v_pk_add_f32 v[12:13], v[0:1], v[8:9]
	v_pk_add_f32 v[0:1], v[0:1], v[10:11]
	;; [unrolled: 1-line block ×4, first 2 shown]
	v_min3_f32 v29, v0, v1, v29
	v_pk_add_f32 v[0:1], v[2:3], v[10:11]
	v_min3_f32 v33, v12, v13, v33
	v_min3_f32 v32, v8, v9, v32
	;; [unrolled: 1-line block ×4, first 2 shown]
	s_cbranch_vccz .LBB63_36
; %bb.37:                               ;   in Loop: Header=BB63_27 Depth=1
	v_or_b32_e32 v0, 4, v104
	v_cmp_le_i32_e32 vcc, s14, v0
	v_min_i32_e32 v0, s15, v0
	v_ashrrev_i32_e32 v1, 31, v0
	s_or_b64 s[10:11], s[2:3], vcc
	v_lshl_add_u64 v[2:3], v[0:1], 2, s[26:27]
	v_cndmask_b32_e64 v12, 0, v103, s[10:11]
	s_nor_b64 s[38:39], s[28:29], s[10:11]
	ds_write2st64_b32 v95, v105, v106 offset1:4
	ds_write2st64_b32 v96, v107, v108 offset1:4
	s_waitcnt lgkmcnt(0)
	s_barrier
	s_and_saveexec_b64 s[10:11], s[38:39]
	s_cbranch_execz .LBB63_39
; %bb.38:                               ;   in Loop: Header=BB63_27 Depth=1
	v_lshl_add_u64 v[4:5], v[20:21], 2, v[2:3]
	global_load_dword v4, v[4:5], off
	s_waitcnt vmcnt(0)
	v_mul_f32_e32 v12, s33, v4
.LBB63_39:                              ;   in Loop: Header=BB63_27 Depth=1
	s_or_b64 exec, exec, s[10:11]
	s_or_b64 s[10:11], s[4:5], vcc
	v_cndmask_b32_e64 v13, 0, v103, s[10:11]
	s_nor_b64 s[38:39], s[28:29], s[10:11]
	s_and_saveexec_b64 s[10:11], s[38:39]
	s_cbranch_execz .LBB63_41
; %bb.40:                               ;   in Loop: Header=BB63_27 Depth=1
	v_lshl_add_u64 v[2:3], v[22:23], 2, v[2:3]
	global_load_dword v2, v[2:3], off
	s_waitcnt vmcnt(0)
	v_mul_f32_e32 v13, s33, v2
.LBB63_41:                              ;   in Loop: Header=BB63_27 Depth=1
	s_or_b64 exec, exec, s[10:11]
	s_or_b64 s[10:11], s[6:7], vcc
	v_lshl_add_u64 v[0:1], v[0:1], 2, s[24:25]
	v_cndmask_b32_e64 v14, 0, v103, s[10:11]
	s_nor_b64 s[38:39], s[28:29], s[10:11]
	s_and_saveexec_b64 s[10:11], s[38:39]
	s_cbranch_execz .LBB63_43
; %bb.42:                               ;   in Loop: Header=BB63_27 Depth=1
	v_lshl_add_u64 v[2:3], v[24:25], 2, v[0:1]
	global_load_dword v2, v[2:3], off
	s_waitcnt vmcnt(0)
	v_mul_f32_e32 v14, s33, v2
.LBB63_43:                              ;   in Loop: Header=BB63_27 Depth=1
	s_or_b64 exec, exec, s[10:11]
	s_or_b64 vcc, s[8:9], vcc
	v_cndmask_b32_e32 v15, 0, v103, vcc
	s_nor_b64 s[38:39], s[28:29], vcc
	s_and_saveexec_b64 s[10:11], s[38:39]
	s_cbranch_execz .LBB63_45
; %bb.44:                               ;   in Loop: Header=BB63_27 Depth=1
	v_lshl_add_u64 v[0:1], v[26:27], 2, v[0:1]
	global_load_dword v0, v[0:1], off
	s_waitcnt vmcnt(0)
	v_mul_f32_e32 v15, s33, v0
.LBB63_45:                              ;   in Loop: Header=BB63_27 Depth=1
	s_or_b64 exec, exec, s[10:11]
	s_mov_b32 s37, 0
	s_mov_b64 s[10:11], -1
.LBB63_46:                              ;   Parent Loop BB63_27 Depth=1
                                        ; =>  This Inner Loop Header: Depth=2
	v_cndmask_b32_e64 v0, 0, 1, s[10:11]
	s_lshl_b32 s10, s37, 2
	v_cmp_ne_u32_e32 vcc, 1, v0
	v_add_u32_e32 v0, s10, v97
	ds_read2st64_b64 v[4:7], v0 offset1:1
	ds_read2st64_b64 v[0:3], v0 offset0:2 offset1:3
	v_add_u32_e32 v8, s10, v98
	ds_read2_b64 v[16:19], v8 offset1:16
	ds_read2_b64 v[104:107], v8 offset0:32 offset1:48
	ds_read2_b64 v[108:111], v8 offset0:64 offset1:80
	;; [unrolled: 1-line block ×7, first 2 shown]
	s_mov_b64 s[10:11], 0
	s_waitcnt lgkmcnt(7)
	v_pk_add_f32 v[128:129], v[4:5], v[16:17]
	s_and_b64 vcc, exec, vcc
	v_min3_f32 v93, v128, v129, v93
	v_pk_add_f32 v[128:129], v[6:7], v[16:17]
	s_mov_b32 s37, 2
	v_min3_f32 v92, v128, v129, v92
	v_pk_add_f32 v[128:129], v[0:1], v[16:17]
	v_pk_add_f32 v[16:17], v[2:3], v[16:17]
	v_min3_f32 v91, v128, v129, v91
	v_min3_f32 v90, v16, v17, v90
	v_pk_add_f32 v[16:17], v[4:5], v[18:19]
	s_nop 0
	v_min3_f32 v89, v16, v17, v89
	v_pk_add_f32 v[16:17], v[6:7], v[18:19]
	s_nop 0
	v_min3_f32 v88, v16, v17, v88
	v_pk_add_f32 v[16:17], v[0:1], v[18:19]
	s_nop 0
	v_min3_f32 v87, v16, v17, v87
	v_pk_add_f32 v[16:17], v[2:3], v[18:19]
	s_nop 0
	v_min3_f32 v84, v16, v17, v84
	s_waitcnt lgkmcnt(6)
	v_pk_add_f32 v[16:17], v[4:5], v[104:105]
	s_nop 0
	v_min3_f32 v83, v16, v17, v83
	v_pk_add_f32 v[16:17], v[6:7], v[104:105]
	s_nop 0
	v_min3_f32 v82, v16, v17, v82
	v_pk_add_f32 v[16:17], v[0:1], v[104:105]
	s_nop 0
	v_min3_f32 v81, v16, v17, v81
	v_pk_add_f32 v[16:17], v[2:3], v[104:105]
	s_nop 0
	v_min3_f32 v80, v16, v17, v80
	v_pk_add_f32 v[16:17], v[4:5], v[106:107]
	s_nop 0
	v_min3_f32 v79, v16, v17, v79
	v_pk_add_f32 v[16:17], v[6:7], v[106:107]
	s_nop 0
	v_min3_f32 v78, v16, v17, v78
	v_pk_add_f32 v[16:17], v[0:1], v[106:107]
	s_nop 0
	v_min3_f32 v77, v16, v17, v77
	v_pk_add_f32 v[16:17], v[2:3], v[106:107]
	s_nop 0
	v_min3_f32 v76, v16, v17, v76
	s_waitcnt lgkmcnt(5)
	v_pk_add_f32 v[16:17], v[4:5], v[108:109]
	s_nop 0
	v_min3_f32 v75, v16, v17, v75
	v_pk_add_f32 v[16:17], v[6:7], v[108:109]
	s_nop 0
	v_min3_f32 v74, v16, v17, v74
	v_pk_add_f32 v[16:17], v[0:1], v[108:109]
	s_nop 0
	v_min3_f32 v73, v16, v17, v73
	v_pk_add_f32 v[16:17], v[2:3], v[108:109]
	s_nop 0
	;; [unrolled: 25-line block ×6, first 2 shown]
	v_min3_f32 v40, v16, v17, v40
	v_pk_add_f32 v[16:17], v[4:5], v[126:127]
	s_nop 0
	v_min3_f32 v39, v16, v17, v39
	v_pk_add_f32 v[16:17], v[6:7], v[126:127]
	s_nop 0
	;; [unrolled: 3-line block ×4, first 2 shown]
	v_min3_f32 v36, v16, v17, v36
	s_waitcnt lgkmcnt(0)
	v_pk_add_f32 v[16:17], v[4:5], v[8:9]
	v_pk_add_f32 v[4:5], v[4:5], v[10:11]
	v_min3_f32 v35, v16, v17, v35
	v_pk_add_f32 v[16:17], v[6:7], v[8:9]
	v_min3_f32 v31, v4, v5, v31
	v_min3_f32 v34, v16, v17, v34
	v_pk_add_f32 v[16:17], v[0:1], v[8:9]
	v_pk_add_f32 v[0:1], v[0:1], v[10:11]
	;; [unrolled: 1-line block ×4, first 2 shown]
	v_min3_f32 v29, v0, v1, v29
	v_pk_add_f32 v[0:1], v[2:3], v[10:11]
	v_min3_f32 v33, v16, v17, v33
	v_min3_f32 v32, v8, v9, v32
	;; [unrolled: 1-line block ×4, first 2 shown]
	s_cbranch_vccz .LBB63_46
; %bb.47:                               ;   in Loop: Header=BB63_27 Depth=1
	s_add_i32 s35, s35, 8
	s_add_i32 s36, s36, 8
	s_cmp_ge_i32 s36, s34
	ds_write2st64_b32 v99, v12, v13 offset1:4
	ds_write2st64_b32 v100, v14, v15 offset1:4
	s_waitcnt lgkmcnt(0)
	s_barrier
	s_cbranch_scc0 .LBB63_27
.LBB63_48:
	v_mov_b32_e32 v0, 0x800
	v_lshl_add_u32 v12, v85, 4, v0
	v_mov_b32_e32 v0, 0x1800
	v_lshl_add_u32 v13, v86, 4, v0
	s_mov_b32 s4, 0
	s_mov_b64 s[2:3], -1
.LBB63_49:                              ; =>This Inner Loop Header: Depth=1
	v_cndmask_b32_e64 v0, 0, 1, s[2:3]
	s_lshl_b32 s2, s4, 2
	v_cmp_ne_u32_e32 vcc, 1, v0
	v_add_u32_e32 v0, s2, v12
	ds_read2st64_b64 v[4:7], v0 offset1:1
	ds_read2st64_b64 v[0:3], v0 offset0:2 offset1:3
	v_add_u32_e32 v8, s2, v13
	ds_read2_b64 v[14:17], v8 offset1:16
	ds_read2_b64 v[18:21], v8 offset0:32 offset1:48
	ds_read2_b64 v[22:25], v8 offset0:64 offset1:80
	;; [unrolled: 1-line block ×7, first 2 shown]
	s_mov_b64 s[2:3], 0
	s_waitcnt lgkmcnt(7)
	v_pk_add_f32 v[26:27], v[4:5], v[14:15]
	s_and_b64 vcc, exec, vcc
	v_min3_f32 v93, v26, v27, v93
	v_pk_add_f32 v[26:27], v[6:7], v[14:15]
	s_mov_b32 s4, 2
	v_min3_f32 v92, v26, v27, v92
	v_pk_add_f32 v[26:27], v[0:1], v[14:15]
	v_pk_add_f32 v[14:15], v[2:3], v[14:15]
	v_min3_f32 v91, v26, v27, v91
	v_min3_f32 v90, v14, v15, v90
	v_pk_add_f32 v[14:15], v[4:5], v[16:17]
	s_nop 0
	v_min3_f32 v89, v14, v15, v89
	v_pk_add_f32 v[14:15], v[6:7], v[16:17]
	s_nop 0
	v_min3_f32 v88, v14, v15, v88
	v_pk_add_f32 v[14:15], v[0:1], v[16:17]
	s_nop 0
	v_min3_f32 v87, v14, v15, v87
	v_pk_add_f32 v[14:15], v[2:3], v[16:17]
	s_nop 0
	v_min3_f32 v84, v14, v15, v84
	s_waitcnt lgkmcnt(6)
	v_pk_add_f32 v[14:15], v[4:5], v[18:19]
	s_nop 0
	v_min3_f32 v83, v14, v15, v83
	v_pk_add_f32 v[14:15], v[6:7], v[18:19]
	s_nop 0
	v_min3_f32 v82, v14, v15, v82
	v_pk_add_f32 v[14:15], v[0:1], v[18:19]
	s_nop 0
	v_min3_f32 v81, v14, v15, v81
	v_pk_add_f32 v[14:15], v[2:3], v[18:19]
	s_nop 0
	v_min3_f32 v80, v14, v15, v80
	v_pk_add_f32 v[14:15], v[4:5], v[20:21]
	s_nop 0
	v_min3_f32 v79, v14, v15, v79
	v_pk_add_f32 v[14:15], v[6:7], v[20:21]
	s_nop 0
	v_min3_f32 v78, v14, v15, v78
	v_pk_add_f32 v[14:15], v[0:1], v[20:21]
	s_nop 0
	v_min3_f32 v77, v14, v15, v77
	v_pk_add_f32 v[14:15], v[2:3], v[20:21]
	s_nop 0
	v_min3_f32 v76, v14, v15, v76
	s_waitcnt lgkmcnt(5)
	v_pk_add_f32 v[14:15], v[4:5], v[22:23]
	s_nop 0
	v_min3_f32 v75, v14, v15, v75
	v_pk_add_f32 v[14:15], v[6:7], v[22:23]
	s_nop 0
	v_min3_f32 v74, v14, v15, v74
	v_pk_add_f32 v[14:15], v[0:1], v[22:23]
	s_nop 0
	v_min3_f32 v73, v14, v15, v73
	v_pk_add_f32 v[14:15], v[2:3], v[22:23]
	s_nop 0
	;; [unrolled: 25-line block ×6, first 2 shown]
	v_min3_f32 v40, v14, v15, v40
	v_pk_add_f32 v[14:15], v[4:5], v[108:109]
	s_nop 0
	v_min3_f32 v39, v14, v15, v39
	v_pk_add_f32 v[14:15], v[6:7], v[108:109]
	s_nop 0
	;; [unrolled: 3-line block ×4, first 2 shown]
	v_min3_f32 v36, v14, v15, v36
	s_waitcnt lgkmcnt(0)
	v_pk_add_f32 v[14:15], v[4:5], v[8:9]
	v_pk_add_f32 v[4:5], v[4:5], v[10:11]
	v_min3_f32 v35, v14, v15, v35
	v_pk_add_f32 v[14:15], v[6:7], v[8:9]
	v_min3_f32 v31, v4, v5, v31
	v_min3_f32 v34, v14, v15, v34
	v_pk_add_f32 v[14:15], v[0:1], v[8:9]
	v_pk_add_f32 v[0:1], v[0:1], v[10:11]
	v_pk_add_f32 v[8:9], v[2:3], v[8:9]
	v_pk_add_f32 v[4:5], v[6:7], v[10:11]
	v_min3_f32 v29, v0, v1, v29
	v_pk_add_f32 v[0:1], v[2:3], v[10:11]
	v_min3_f32 v33, v14, v15, v33
	v_min3_f32 v32, v8, v9, v32
	;; [unrolled: 1-line block ×4, first 2 shown]
	s_cbranch_vccz .LBB63_49
; %bb.50:
	s_load_dwordx2 s[2:3], s[0:1], 0x78
	s_load_dword s25, s[0:1], 0x58
	s_load_dword s24, s[0:1], 0x70
	v_add_u32_e32 v12, s31, v86
	v_add_u32_e32 v0, s30, v85
	s_waitcnt lgkmcnt(0)
	s_mul_i32 s1, s3, s20
	s_mul_hi_u32 s3, s2, s20
	s_mul_i32 s0, s2, s20
	s_add_i32 s1, s3, s1
	s_lshl_b64 s[0:1], s[0:1], 2
	s_add_u32 s14, s18, s0
	s_addc_u32 s15, s19, s1
	v_mad_i64_i32 v[2:3], s[0:1], v12, s25, 0
	v_lshl_add_u64 v[10:11], v[2:3], 2, s[16:17]
	v_mad_i64_i32 v[2:3], s[0:1], v12, s24, 0
	v_cmp_gt_i32_e64 s[2:3], s12, v0
	v_cmp_gt_i32_e64 s[10:11], s13, v12
	v_lshl_add_u64 v[8:9], v[2:3], 2, s[14:15]
	v_cndmask_b32_e64 v2, 0, 1, s[22:23]
	v_ashrrev_i32_e32 v1, 31, v0
	s_and_b64 s[6:7], s[2:3], s[10:11]
	v_cmp_ne_u32_e64 s[0:1], 1, v2
	s_and_saveexec_b64 s[4:5], s[6:7]
	s_cbranch_execz .LBB63_55
; %bb.51:
	s_and_b64 vcc, exec, s[0:1]
	s_cbranch_vccnz .LBB63_53
; %bb.52:
	v_lshl_add_u64 v[2:3], v[0:1], 2, v[10:11]
	global_load_dword v2, v[2:3], off
	s_waitcnt vmcnt(0)
	v_mul_f32_e32 v2, s21, v2
	s_branch .LBB63_54
.LBB63_53:
	v_mov_b32_e32 v2, 0
.LBB63_54:
	v_max_f32_e32 v3, v93, v93
	v_max_f32_e32 v2, v2, v2
	v_min_f32_e32 v4, v2, v3
	v_lshl_add_u64 v[2:3], v[0:1], 2, v[8:9]
	global_store_dword v[2:3], v4, off
.LBB63_55:
	s_or_b64 exec, exec, s[4:5]
	v_add_u32_e32 v2, 32, v0
	v_cmp_gt_i32_e64 s[4:5], s12, v2
	v_ashrrev_i32_e32 v3, 31, v2
	s_and_b64 s[8:9], s[4:5], s[10:11]
	s_and_saveexec_b64 s[6:7], s[8:9]
	s_cbranch_execz .LBB63_60
; %bb.56:
	s_and_b64 vcc, exec, s[0:1]
	s_cbranch_vccnz .LBB63_58
; %bb.57:
	v_lshl_add_u64 v[4:5], v[2:3], 2, v[10:11]
	global_load_dword v4, v[4:5], off
	s_waitcnt vmcnt(0)
	v_mul_f32_e32 v4, s21, v4
	s_branch .LBB63_59
.LBB63_58:
	v_mov_b32_e32 v4, 0
.LBB63_59:
	v_max_f32_e32 v5, v92, v92
	v_max_f32_e32 v4, v4, v4
	v_min_f32_e32 v6, v4, v5
	v_lshl_add_u64 v[4:5], v[2:3], 2, v[8:9]
	global_store_dword v[4:5], v6, off
.LBB63_60:
	s_or_b64 exec, exec, s[6:7]
	v_add_u32_e32 v4, 64, v0
	v_cmp_gt_i32_e64 s[6:7], s12, v4
	v_ashrrev_i32_e32 v5, 31, v4
	s_and_b64 s[18:19], s[6:7], s[10:11]
	;; [unrolled: 25-line block ×3, first 2 shown]
	s_and_saveexec_b64 s[10:11], s[18:19]
	s_cbranch_execz .LBB63_70
; %bb.66:
	s_and_b64 vcc, exec, s[0:1]
	s_cbranch_vccnz .LBB63_68
; %bb.67:
	v_lshl_add_u64 v[10:11], v[6:7], 2, v[10:11]
	global_load_dword v10, v[10:11], off
	s_waitcnt vmcnt(0)
	v_mul_f32_e32 v10, s21, v10
	s_branch .LBB63_69
.LBB63_68:
	v_mov_b32_e32 v10, 0
.LBB63_69:
	v_max_f32_e32 v11, v90, v90
	v_max_f32_e32 v10, v10, v10
	v_min_f32_e32 v10, v10, v11
	v_lshl_add_u64 v[8:9], v[6:7], 2, v[8:9]
	global_store_dword v[8:9], v10, off
.LBB63_70:
	s_or_b64 exec, exec, s[10:11]
	v_add_u32_e32 v13, 8, v12
	v_mad_i64_i32 v[8:9], s[18:19], v13, s25, 0
	v_cmp_gt_i32_e64 s[10:11], s13, v13
	v_lshl_add_u64 v[10:11], v[8:9], 2, s[16:17]
	v_mad_i64_i32 v[8:9], s[18:19], v13, s24, 0
	v_lshl_add_u64 v[8:9], v[8:9], 2, s[14:15]
	s_and_b64 s[22:23], s[2:3], s[10:11]
	s_and_saveexec_b64 s[18:19], s[22:23]
	s_cbranch_execnz .LBB63_74
; %bb.71:
	s_or_b64 exec, exec, s[18:19]
	s_and_b64 s[22:23], s[4:5], s[10:11]
	s_and_saveexec_b64 s[18:19], s[22:23]
	s_cbranch_execnz .LBB63_78
.LBB63_72:
	s_or_b64 exec, exec, s[18:19]
	s_and_b64 s[22:23], s[6:7], s[10:11]
	s_and_saveexec_b64 s[18:19], s[22:23]
	s_cbranch_execnz .LBB63_82
.LBB63_73:
	s_or_b64 exec, exec, s[18:19]
	s_and_b64 s[18:19], s[8:9], s[10:11]
	s_and_saveexec_b64 s[10:11], s[18:19]
	s_cbranch_execnz .LBB63_86
	s_branch .LBB63_90
.LBB63_74:
	s_and_b64 vcc, exec, s[0:1]
	s_cbranch_vccnz .LBB63_76
; %bb.75:
	v_lshl_add_u64 v[14:15], v[0:1], 2, v[10:11]
	global_load_dword v13, v[14:15], off
	s_waitcnt vmcnt(0)
	v_mul_f32_e32 v13, s21, v13
	s_branch .LBB63_77
.LBB63_76:
	v_mov_b32_e32 v13, 0
.LBB63_77:
	v_max_f32_e32 v14, v89, v89
	v_max_f32_e32 v13, v13, v13
	v_min_f32_e32 v13, v13, v14
	v_lshl_add_u64 v[14:15], v[0:1], 2, v[8:9]
	global_store_dword v[14:15], v13, off
	s_or_b64 exec, exec, s[18:19]
	s_and_b64 s[22:23], s[4:5], s[10:11]
	s_and_saveexec_b64 s[18:19], s[22:23]
	s_cbranch_execz .LBB63_72
.LBB63_78:
	s_and_b64 vcc, exec, s[0:1]
	s_cbranch_vccnz .LBB63_80
; %bb.79:
	v_lshl_add_u64 v[14:15], v[2:3], 2, v[10:11]
	global_load_dword v13, v[14:15], off
	s_waitcnt vmcnt(0)
	v_mul_f32_e32 v13, s21, v13
	s_branch .LBB63_81
.LBB63_80:
	v_mov_b32_e32 v13, 0
.LBB63_81:
	v_max_f32_e32 v14, v88, v88
	v_max_f32_e32 v13, v13, v13
	v_min_f32_e32 v13, v13, v14
	v_lshl_add_u64 v[14:15], v[2:3], 2, v[8:9]
	global_store_dword v[14:15], v13, off
	s_or_b64 exec, exec, s[18:19]
	s_and_b64 s[22:23], s[6:7], s[10:11]
	s_and_saveexec_b64 s[18:19], s[22:23]
	s_cbranch_execz .LBB63_73
.LBB63_82:
	s_and_b64 vcc, exec, s[0:1]
	s_cbranch_vccnz .LBB63_84
; %bb.83:
	v_lshl_add_u64 v[14:15], v[4:5], 2, v[10:11]
	global_load_dword v13, v[14:15], off
	s_waitcnt vmcnt(0)
	v_mul_f32_e32 v13, s21, v13
	s_branch .LBB63_85
.LBB63_84:
	v_mov_b32_e32 v13, 0
.LBB63_85:
	v_max_f32_e32 v14, v87, v87
	v_max_f32_e32 v13, v13, v13
	v_min_f32_e32 v13, v13, v14
	v_lshl_add_u64 v[14:15], v[4:5], 2, v[8:9]
	global_store_dword v[14:15], v13, off
	s_or_b64 exec, exec, s[18:19]
	s_and_b64 s[18:19], s[8:9], s[10:11]
	s_and_saveexec_b64 s[10:11], s[18:19]
	s_cbranch_execz .LBB63_90
.LBB63_86:
	s_and_b64 vcc, exec, s[0:1]
	s_cbranch_vccnz .LBB63_88
; %bb.87:
	v_lshl_add_u64 v[10:11], v[6:7], 2, v[10:11]
	global_load_dword v10, v[10:11], off
	s_waitcnt vmcnt(0)
	v_mul_f32_e32 v10, s21, v10
	s_branch .LBB63_89
.LBB63_88:
	v_mov_b32_e32 v10, 0
.LBB63_89:
	v_max_f32_e32 v11, v84, v84
	v_max_f32_e32 v10, v10, v10
	v_min_f32_e32 v10, v10, v11
	v_lshl_add_u64 v[8:9], v[6:7], 2, v[8:9]
	global_store_dword v[8:9], v10, off
.LBB63_90:
	s_or_b64 exec, exec, s[10:11]
	v_add_u32_e32 v13, 16, v12
	v_mad_i64_i32 v[8:9], s[18:19], v13, s25, 0
	v_cmp_gt_i32_e64 s[10:11], s13, v13
	v_lshl_add_u64 v[10:11], v[8:9], 2, s[16:17]
	v_mad_i64_i32 v[8:9], s[18:19], v13, s24, 0
	v_lshl_add_u64 v[8:9], v[8:9], 2, s[14:15]
	s_and_b64 s[22:23], s[2:3], s[10:11]
	s_and_saveexec_b64 s[18:19], s[22:23]
	s_cbranch_execnz .LBB63_94
; %bb.91:
	s_or_b64 exec, exec, s[18:19]
	s_and_b64 s[22:23], s[4:5], s[10:11]
	s_and_saveexec_b64 s[18:19], s[22:23]
	s_cbranch_execnz .LBB63_98
.LBB63_92:
	s_or_b64 exec, exec, s[18:19]
	s_and_b64 s[22:23], s[6:7], s[10:11]
	s_and_saveexec_b64 s[18:19], s[22:23]
	s_cbranch_execnz .LBB63_102
.LBB63_93:
	s_or_b64 exec, exec, s[18:19]
	s_and_b64 s[18:19], s[8:9], s[10:11]
	s_and_saveexec_b64 s[10:11], s[18:19]
	s_cbranch_execnz .LBB63_106
	s_branch .LBB63_110
.LBB63_94:
	s_and_b64 vcc, exec, s[0:1]
	s_cbranch_vccnz .LBB63_96
; %bb.95:
	v_lshl_add_u64 v[14:15], v[0:1], 2, v[10:11]
	global_load_dword v13, v[14:15], off
	s_waitcnt vmcnt(0)
	v_mul_f32_e32 v13, s21, v13
	s_branch .LBB63_97
.LBB63_96:
	v_mov_b32_e32 v13, 0
.LBB63_97:
	v_max_f32_e32 v14, v83, v83
	v_max_f32_e32 v13, v13, v13
	v_min_f32_e32 v13, v13, v14
	v_lshl_add_u64 v[14:15], v[0:1], 2, v[8:9]
	global_store_dword v[14:15], v13, off
	s_or_b64 exec, exec, s[18:19]
	s_and_b64 s[22:23], s[4:5], s[10:11]
	s_and_saveexec_b64 s[18:19], s[22:23]
	s_cbranch_execz .LBB63_92
.LBB63_98:
	s_and_b64 vcc, exec, s[0:1]
	s_cbranch_vccnz .LBB63_100
; %bb.99:
	v_lshl_add_u64 v[14:15], v[2:3], 2, v[10:11]
	global_load_dword v13, v[14:15], off
	s_waitcnt vmcnt(0)
	v_mul_f32_e32 v13, s21, v13
	s_branch .LBB63_101
.LBB63_100:
	v_mov_b32_e32 v13, 0
.LBB63_101:
	v_max_f32_e32 v14, v82, v82
	v_max_f32_e32 v13, v13, v13
	v_min_f32_e32 v13, v13, v14
	v_lshl_add_u64 v[14:15], v[2:3], 2, v[8:9]
	global_store_dword v[14:15], v13, off
	s_or_b64 exec, exec, s[18:19]
	s_and_b64 s[22:23], s[6:7], s[10:11]
	s_and_saveexec_b64 s[18:19], s[22:23]
	s_cbranch_execz .LBB63_93
.LBB63_102:
	s_and_b64 vcc, exec, s[0:1]
	s_cbranch_vccnz .LBB63_104
; %bb.103:
	v_lshl_add_u64 v[14:15], v[4:5], 2, v[10:11]
	global_load_dword v13, v[14:15], off
	s_waitcnt vmcnt(0)
	v_mul_f32_e32 v13, s21, v13
	s_branch .LBB63_105
.LBB63_104:
	v_mov_b32_e32 v13, 0
.LBB63_105:
	v_max_f32_e32 v14, v81, v81
	v_max_f32_e32 v13, v13, v13
	v_min_f32_e32 v13, v13, v14
	v_lshl_add_u64 v[14:15], v[4:5], 2, v[8:9]
	global_store_dword v[14:15], v13, off
	s_or_b64 exec, exec, s[18:19]
	s_and_b64 s[18:19], s[8:9], s[10:11]
	s_and_saveexec_b64 s[10:11], s[18:19]
	s_cbranch_execz .LBB63_110
.LBB63_106:
	s_and_b64 vcc, exec, s[0:1]
	s_cbranch_vccnz .LBB63_108
; %bb.107:
	v_lshl_add_u64 v[10:11], v[6:7], 2, v[10:11]
	global_load_dword v10, v[10:11], off
	s_waitcnt vmcnt(0)
	v_mul_f32_e32 v10, s21, v10
	s_branch .LBB63_109
.LBB63_108:
	v_mov_b32_e32 v10, 0
.LBB63_109:
	v_max_f32_e32 v11, v80, v80
	v_max_f32_e32 v10, v10, v10
	v_min_f32_e32 v10, v10, v11
	v_lshl_add_u64 v[8:9], v[6:7], 2, v[8:9]
	global_store_dword v[8:9], v10, off
.LBB63_110:
	s_or_b64 exec, exec, s[10:11]
	v_add_u32_e32 v13, 24, v12
	v_mad_i64_i32 v[8:9], s[18:19], v13, s25, 0
	v_cmp_gt_i32_e64 s[10:11], s13, v13
	v_lshl_add_u64 v[10:11], v[8:9], 2, s[16:17]
	v_mad_i64_i32 v[8:9], s[18:19], v13, s24, 0
	v_lshl_add_u64 v[8:9], v[8:9], 2, s[14:15]
	s_and_b64 s[22:23], s[2:3], s[10:11]
	s_and_saveexec_b64 s[18:19], s[22:23]
	s_cbranch_execnz .LBB63_114
; %bb.111:
	s_or_b64 exec, exec, s[18:19]
	s_and_b64 s[22:23], s[4:5], s[10:11]
	s_and_saveexec_b64 s[18:19], s[22:23]
	s_cbranch_execnz .LBB63_118
.LBB63_112:
	s_or_b64 exec, exec, s[18:19]
	s_and_b64 s[22:23], s[6:7], s[10:11]
	s_and_saveexec_b64 s[18:19], s[22:23]
	s_cbranch_execnz .LBB63_122
.LBB63_113:
	s_or_b64 exec, exec, s[18:19]
	s_and_b64 s[18:19], s[8:9], s[10:11]
	s_and_saveexec_b64 s[10:11], s[18:19]
	s_cbranch_execnz .LBB63_126
	s_branch .LBB63_130
.LBB63_114:
	s_and_b64 vcc, exec, s[0:1]
	s_cbranch_vccnz .LBB63_116
; %bb.115:
	v_lshl_add_u64 v[14:15], v[0:1], 2, v[10:11]
	global_load_dword v13, v[14:15], off
	s_waitcnt vmcnt(0)
	v_mul_f32_e32 v13, s21, v13
	s_branch .LBB63_117
.LBB63_116:
	v_mov_b32_e32 v13, 0
.LBB63_117:
	v_max_f32_e32 v14, v79, v79
	v_max_f32_e32 v13, v13, v13
	v_min_f32_e32 v13, v13, v14
	v_lshl_add_u64 v[14:15], v[0:1], 2, v[8:9]
	global_store_dword v[14:15], v13, off
	s_or_b64 exec, exec, s[18:19]
	s_and_b64 s[22:23], s[4:5], s[10:11]
	s_and_saveexec_b64 s[18:19], s[22:23]
	s_cbranch_execz .LBB63_112
.LBB63_118:
	s_and_b64 vcc, exec, s[0:1]
	s_cbranch_vccnz .LBB63_120
; %bb.119:
	v_lshl_add_u64 v[14:15], v[2:3], 2, v[10:11]
	global_load_dword v13, v[14:15], off
	s_waitcnt vmcnt(0)
	v_mul_f32_e32 v13, s21, v13
	s_branch .LBB63_121
.LBB63_120:
	v_mov_b32_e32 v13, 0
.LBB63_121:
	v_max_f32_e32 v14, v78, v78
	v_max_f32_e32 v13, v13, v13
	v_min_f32_e32 v13, v13, v14
	v_lshl_add_u64 v[14:15], v[2:3], 2, v[8:9]
	global_store_dword v[14:15], v13, off
	s_or_b64 exec, exec, s[18:19]
	s_and_b64 s[22:23], s[6:7], s[10:11]
	s_and_saveexec_b64 s[18:19], s[22:23]
	s_cbranch_execz .LBB63_113
.LBB63_122:
	s_and_b64 vcc, exec, s[0:1]
	s_cbranch_vccnz .LBB63_124
; %bb.123:
	v_lshl_add_u64 v[14:15], v[4:5], 2, v[10:11]
	global_load_dword v13, v[14:15], off
	s_waitcnt vmcnt(0)
	v_mul_f32_e32 v13, s21, v13
	s_branch .LBB63_125
.LBB63_124:
	v_mov_b32_e32 v13, 0
.LBB63_125:
	v_max_f32_e32 v14, v77, v77
	v_max_f32_e32 v13, v13, v13
	v_min_f32_e32 v13, v13, v14
	v_lshl_add_u64 v[14:15], v[4:5], 2, v[8:9]
	global_store_dword v[14:15], v13, off
	s_or_b64 exec, exec, s[18:19]
	s_and_b64 s[18:19], s[8:9], s[10:11]
	s_and_saveexec_b64 s[10:11], s[18:19]
	s_cbranch_execz .LBB63_130
.LBB63_126:
	s_and_b64 vcc, exec, s[0:1]
	s_cbranch_vccnz .LBB63_128
; %bb.127:
	v_lshl_add_u64 v[10:11], v[6:7], 2, v[10:11]
	global_load_dword v10, v[10:11], off
	s_waitcnt vmcnt(0)
	v_mul_f32_e32 v10, s21, v10
	s_branch .LBB63_129
.LBB63_128:
	v_mov_b32_e32 v10, 0
.LBB63_129:
	v_max_f32_e32 v11, v76, v76
	v_max_f32_e32 v10, v10, v10
	v_min_f32_e32 v10, v10, v11
	v_lshl_add_u64 v[8:9], v[6:7], 2, v[8:9]
	global_store_dword v[8:9], v10, off
.LBB63_130:
	s_or_b64 exec, exec, s[10:11]
	v_add_u32_e32 v13, 32, v12
	v_mad_i64_i32 v[8:9], s[18:19], v13, s25, 0
	v_cmp_gt_i32_e64 s[10:11], s13, v13
	v_lshl_add_u64 v[10:11], v[8:9], 2, s[16:17]
	v_mad_i64_i32 v[8:9], s[18:19], v13, s24, 0
	v_lshl_add_u64 v[8:9], v[8:9], 2, s[14:15]
	s_and_b64 s[22:23], s[2:3], s[10:11]
	s_and_saveexec_b64 s[18:19], s[22:23]
	s_cbranch_execnz .LBB63_134
; %bb.131:
	s_or_b64 exec, exec, s[18:19]
	s_and_b64 s[22:23], s[4:5], s[10:11]
	s_and_saveexec_b64 s[18:19], s[22:23]
	s_cbranch_execnz .LBB63_138
.LBB63_132:
	s_or_b64 exec, exec, s[18:19]
	s_and_b64 s[22:23], s[6:7], s[10:11]
	s_and_saveexec_b64 s[18:19], s[22:23]
	s_cbranch_execnz .LBB63_142
.LBB63_133:
	s_or_b64 exec, exec, s[18:19]
	s_and_b64 s[18:19], s[8:9], s[10:11]
	s_and_saveexec_b64 s[10:11], s[18:19]
	s_cbranch_execnz .LBB63_146
	s_branch .LBB63_150
.LBB63_134:
	s_and_b64 vcc, exec, s[0:1]
	s_cbranch_vccnz .LBB63_136
; %bb.135:
	v_lshl_add_u64 v[14:15], v[0:1], 2, v[10:11]
	global_load_dword v13, v[14:15], off
	s_waitcnt vmcnt(0)
	v_mul_f32_e32 v13, s21, v13
	s_branch .LBB63_137
.LBB63_136:
	v_mov_b32_e32 v13, 0
.LBB63_137:
	v_max_f32_e32 v14, v75, v75
	v_max_f32_e32 v13, v13, v13
	v_min_f32_e32 v13, v13, v14
	v_lshl_add_u64 v[14:15], v[0:1], 2, v[8:9]
	global_store_dword v[14:15], v13, off
	s_or_b64 exec, exec, s[18:19]
	s_and_b64 s[22:23], s[4:5], s[10:11]
	s_and_saveexec_b64 s[18:19], s[22:23]
	s_cbranch_execz .LBB63_132
.LBB63_138:
	s_and_b64 vcc, exec, s[0:1]
	s_cbranch_vccnz .LBB63_140
; %bb.139:
	v_lshl_add_u64 v[14:15], v[2:3], 2, v[10:11]
	global_load_dword v13, v[14:15], off
	s_waitcnt vmcnt(0)
	v_mul_f32_e32 v13, s21, v13
	s_branch .LBB63_141
.LBB63_140:
	v_mov_b32_e32 v13, 0
.LBB63_141:
	v_max_f32_e32 v14, v74, v74
	v_max_f32_e32 v13, v13, v13
	v_min_f32_e32 v13, v13, v14
	v_lshl_add_u64 v[14:15], v[2:3], 2, v[8:9]
	global_store_dword v[14:15], v13, off
	s_or_b64 exec, exec, s[18:19]
	s_and_b64 s[22:23], s[6:7], s[10:11]
	s_and_saveexec_b64 s[18:19], s[22:23]
	s_cbranch_execz .LBB63_133
.LBB63_142:
	s_and_b64 vcc, exec, s[0:1]
	s_cbranch_vccnz .LBB63_144
; %bb.143:
	v_lshl_add_u64 v[14:15], v[4:5], 2, v[10:11]
	global_load_dword v13, v[14:15], off
	s_waitcnt vmcnt(0)
	v_mul_f32_e32 v13, s21, v13
	s_branch .LBB63_145
.LBB63_144:
	v_mov_b32_e32 v13, 0
.LBB63_145:
	v_max_f32_e32 v14, v73, v73
	v_max_f32_e32 v13, v13, v13
	v_min_f32_e32 v13, v13, v14
	v_lshl_add_u64 v[14:15], v[4:5], 2, v[8:9]
	global_store_dword v[14:15], v13, off
	s_or_b64 exec, exec, s[18:19]
	s_and_b64 s[18:19], s[8:9], s[10:11]
	s_and_saveexec_b64 s[10:11], s[18:19]
	s_cbranch_execz .LBB63_150
.LBB63_146:
	s_and_b64 vcc, exec, s[0:1]
	s_cbranch_vccnz .LBB63_148
; %bb.147:
	v_lshl_add_u64 v[10:11], v[6:7], 2, v[10:11]
	global_load_dword v10, v[10:11], off
	s_waitcnt vmcnt(0)
	v_mul_f32_e32 v10, s21, v10
	s_branch .LBB63_149
.LBB63_148:
	v_mov_b32_e32 v10, 0
.LBB63_149:
	v_max_f32_e32 v11, v72, v72
	v_max_f32_e32 v10, v10, v10
	v_min_f32_e32 v10, v10, v11
	v_lshl_add_u64 v[8:9], v[6:7], 2, v[8:9]
	global_store_dword v[8:9], v10, off
.LBB63_150:
	s_or_b64 exec, exec, s[10:11]
	v_add_u32_e32 v13, 40, v12
	v_mad_i64_i32 v[8:9], s[18:19], v13, s25, 0
	v_cmp_gt_i32_e64 s[10:11], s13, v13
	v_lshl_add_u64 v[10:11], v[8:9], 2, s[16:17]
	v_mad_i64_i32 v[8:9], s[18:19], v13, s24, 0
	v_lshl_add_u64 v[8:9], v[8:9], 2, s[14:15]
	s_and_b64 s[22:23], s[2:3], s[10:11]
	s_and_saveexec_b64 s[18:19], s[22:23]
	s_cbranch_execnz .LBB63_154
; %bb.151:
	s_or_b64 exec, exec, s[18:19]
	s_and_b64 s[22:23], s[4:5], s[10:11]
	s_and_saveexec_b64 s[18:19], s[22:23]
	s_cbranch_execnz .LBB63_158
.LBB63_152:
	s_or_b64 exec, exec, s[18:19]
	s_and_b64 s[22:23], s[6:7], s[10:11]
	s_and_saveexec_b64 s[18:19], s[22:23]
	s_cbranch_execnz .LBB63_162
.LBB63_153:
	s_or_b64 exec, exec, s[18:19]
	s_and_b64 s[18:19], s[8:9], s[10:11]
	s_and_saveexec_b64 s[10:11], s[18:19]
	s_cbranch_execnz .LBB63_166
	s_branch .LBB63_170
.LBB63_154:
	s_and_b64 vcc, exec, s[0:1]
	s_cbranch_vccnz .LBB63_156
; %bb.155:
	v_lshl_add_u64 v[14:15], v[0:1], 2, v[10:11]
	global_load_dword v13, v[14:15], off
	s_waitcnt vmcnt(0)
	v_mul_f32_e32 v13, s21, v13
	s_branch .LBB63_157
.LBB63_156:
	v_mov_b32_e32 v13, 0
.LBB63_157:
	v_max_f32_e32 v14, v71, v71
	v_max_f32_e32 v13, v13, v13
	v_min_f32_e32 v13, v13, v14
	v_lshl_add_u64 v[14:15], v[0:1], 2, v[8:9]
	global_store_dword v[14:15], v13, off
	s_or_b64 exec, exec, s[18:19]
	s_and_b64 s[22:23], s[4:5], s[10:11]
	s_and_saveexec_b64 s[18:19], s[22:23]
	s_cbranch_execz .LBB63_152
.LBB63_158:
	s_and_b64 vcc, exec, s[0:1]
	s_cbranch_vccnz .LBB63_160
; %bb.159:
	v_lshl_add_u64 v[14:15], v[2:3], 2, v[10:11]
	global_load_dword v13, v[14:15], off
	s_waitcnt vmcnt(0)
	v_mul_f32_e32 v13, s21, v13
	s_branch .LBB63_161
.LBB63_160:
	v_mov_b32_e32 v13, 0
.LBB63_161:
	v_max_f32_e32 v14, v70, v70
	v_max_f32_e32 v13, v13, v13
	v_min_f32_e32 v13, v13, v14
	v_lshl_add_u64 v[14:15], v[2:3], 2, v[8:9]
	global_store_dword v[14:15], v13, off
	s_or_b64 exec, exec, s[18:19]
	s_and_b64 s[22:23], s[6:7], s[10:11]
	s_and_saveexec_b64 s[18:19], s[22:23]
	s_cbranch_execz .LBB63_153
.LBB63_162:
	s_and_b64 vcc, exec, s[0:1]
	s_cbranch_vccnz .LBB63_164
; %bb.163:
	v_lshl_add_u64 v[14:15], v[4:5], 2, v[10:11]
	global_load_dword v13, v[14:15], off
	s_waitcnt vmcnt(0)
	v_mul_f32_e32 v13, s21, v13
	s_branch .LBB63_165
.LBB63_164:
	v_mov_b32_e32 v13, 0
.LBB63_165:
	v_max_f32_e32 v14, v69, v69
	v_max_f32_e32 v13, v13, v13
	v_min_f32_e32 v13, v13, v14
	v_lshl_add_u64 v[14:15], v[4:5], 2, v[8:9]
	global_store_dword v[14:15], v13, off
	s_or_b64 exec, exec, s[18:19]
	s_and_b64 s[18:19], s[8:9], s[10:11]
	s_and_saveexec_b64 s[10:11], s[18:19]
	s_cbranch_execz .LBB63_170
.LBB63_166:
	s_and_b64 vcc, exec, s[0:1]
	s_cbranch_vccnz .LBB63_168
; %bb.167:
	v_lshl_add_u64 v[10:11], v[6:7], 2, v[10:11]
	global_load_dword v10, v[10:11], off
	s_waitcnt vmcnt(0)
	v_mul_f32_e32 v10, s21, v10
	s_branch .LBB63_169
.LBB63_168:
	v_mov_b32_e32 v10, 0
.LBB63_169:
	v_max_f32_e32 v11, v68, v68
	v_max_f32_e32 v10, v10, v10
	v_min_f32_e32 v10, v10, v11
	v_lshl_add_u64 v[8:9], v[6:7], 2, v[8:9]
	global_store_dword v[8:9], v10, off
.LBB63_170:
	s_or_b64 exec, exec, s[10:11]
	v_add_u32_e32 v13, 48, v12
	v_mad_i64_i32 v[8:9], s[18:19], v13, s25, 0
	v_cmp_gt_i32_e64 s[10:11], s13, v13
	v_lshl_add_u64 v[10:11], v[8:9], 2, s[16:17]
	v_mad_i64_i32 v[8:9], s[18:19], v13, s24, 0
	v_lshl_add_u64 v[8:9], v[8:9], 2, s[14:15]
	s_and_b64 s[22:23], s[2:3], s[10:11]
	s_and_saveexec_b64 s[18:19], s[22:23]
	s_cbranch_execnz .LBB63_174
; %bb.171:
	s_or_b64 exec, exec, s[18:19]
	s_and_b64 s[22:23], s[4:5], s[10:11]
	s_and_saveexec_b64 s[18:19], s[22:23]
	s_cbranch_execnz .LBB63_178
.LBB63_172:
	s_or_b64 exec, exec, s[18:19]
	s_and_b64 s[22:23], s[6:7], s[10:11]
	s_and_saveexec_b64 s[18:19], s[22:23]
	s_cbranch_execnz .LBB63_182
.LBB63_173:
	s_or_b64 exec, exec, s[18:19]
	s_and_b64 s[18:19], s[8:9], s[10:11]
	s_and_saveexec_b64 s[10:11], s[18:19]
	s_cbranch_execnz .LBB63_186
	s_branch .LBB63_190
.LBB63_174:
	s_and_b64 vcc, exec, s[0:1]
	s_cbranch_vccnz .LBB63_176
; %bb.175:
	v_lshl_add_u64 v[14:15], v[0:1], 2, v[10:11]
	global_load_dword v13, v[14:15], off
	s_waitcnt vmcnt(0)
	v_mul_f32_e32 v13, s21, v13
	s_branch .LBB63_177
.LBB63_176:
	v_mov_b32_e32 v13, 0
.LBB63_177:
	v_max_f32_e32 v14, v67, v67
	v_max_f32_e32 v13, v13, v13
	v_min_f32_e32 v13, v13, v14
	v_lshl_add_u64 v[14:15], v[0:1], 2, v[8:9]
	global_store_dword v[14:15], v13, off
	s_or_b64 exec, exec, s[18:19]
	s_and_b64 s[22:23], s[4:5], s[10:11]
	s_and_saveexec_b64 s[18:19], s[22:23]
	s_cbranch_execz .LBB63_172
.LBB63_178:
	s_and_b64 vcc, exec, s[0:1]
	s_cbranch_vccnz .LBB63_180
; %bb.179:
	v_lshl_add_u64 v[14:15], v[2:3], 2, v[10:11]
	global_load_dword v13, v[14:15], off
	s_waitcnt vmcnt(0)
	v_mul_f32_e32 v13, s21, v13
	s_branch .LBB63_181
.LBB63_180:
	v_mov_b32_e32 v13, 0
.LBB63_181:
	v_max_f32_e32 v14, v66, v66
	v_max_f32_e32 v13, v13, v13
	v_min_f32_e32 v13, v13, v14
	v_lshl_add_u64 v[14:15], v[2:3], 2, v[8:9]
	global_store_dword v[14:15], v13, off
	s_or_b64 exec, exec, s[18:19]
	s_and_b64 s[22:23], s[6:7], s[10:11]
	s_and_saveexec_b64 s[18:19], s[22:23]
	s_cbranch_execz .LBB63_173
.LBB63_182:
	s_and_b64 vcc, exec, s[0:1]
	s_cbranch_vccnz .LBB63_184
; %bb.183:
	v_lshl_add_u64 v[14:15], v[4:5], 2, v[10:11]
	global_load_dword v13, v[14:15], off
	s_waitcnt vmcnt(0)
	v_mul_f32_e32 v13, s21, v13
	s_branch .LBB63_185
.LBB63_184:
	v_mov_b32_e32 v13, 0
.LBB63_185:
	v_max_f32_e32 v14, v65, v65
	v_max_f32_e32 v13, v13, v13
	v_min_f32_e32 v13, v13, v14
	v_lshl_add_u64 v[14:15], v[4:5], 2, v[8:9]
	global_store_dword v[14:15], v13, off
	s_or_b64 exec, exec, s[18:19]
	s_and_b64 s[18:19], s[8:9], s[10:11]
	s_and_saveexec_b64 s[10:11], s[18:19]
	s_cbranch_execz .LBB63_190
.LBB63_186:
	s_and_b64 vcc, exec, s[0:1]
	s_cbranch_vccnz .LBB63_188
; %bb.187:
	v_lshl_add_u64 v[10:11], v[6:7], 2, v[10:11]
	global_load_dword v10, v[10:11], off
	s_waitcnt vmcnt(0)
	v_mul_f32_e32 v10, s21, v10
	s_branch .LBB63_189
.LBB63_188:
	v_mov_b32_e32 v10, 0
.LBB63_189:
	v_max_f32_e32 v11, v64, v64
	v_max_f32_e32 v10, v10, v10
	v_min_f32_e32 v10, v10, v11
	v_lshl_add_u64 v[8:9], v[6:7], 2, v[8:9]
	global_store_dword v[8:9], v10, off
.LBB63_190:
	s_or_b64 exec, exec, s[10:11]
	v_add_u32_e32 v13, 56, v12
	v_mad_i64_i32 v[8:9], s[18:19], v13, s25, 0
	v_cmp_gt_i32_e64 s[10:11], s13, v13
	v_lshl_add_u64 v[10:11], v[8:9], 2, s[16:17]
	v_mad_i64_i32 v[8:9], s[18:19], v13, s24, 0
	v_lshl_add_u64 v[8:9], v[8:9], 2, s[14:15]
	s_and_b64 s[22:23], s[2:3], s[10:11]
	s_and_saveexec_b64 s[18:19], s[22:23]
	s_cbranch_execnz .LBB63_194
; %bb.191:
	s_or_b64 exec, exec, s[18:19]
	s_and_b64 s[22:23], s[4:5], s[10:11]
	s_and_saveexec_b64 s[18:19], s[22:23]
	s_cbranch_execnz .LBB63_198
.LBB63_192:
	s_or_b64 exec, exec, s[18:19]
	s_and_b64 s[22:23], s[6:7], s[10:11]
	s_and_saveexec_b64 s[18:19], s[22:23]
	s_cbranch_execnz .LBB63_202
.LBB63_193:
	s_or_b64 exec, exec, s[18:19]
	s_and_b64 s[18:19], s[8:9], s[10:11]
	s_and_saveexec_b64 s[10:11], s[18:19]
	s_cbranch_execnz .LBB63_206
	s_branch .LBB63_210
.LBB63_194:
	s_and_b64 vcc, exec, s[0:1]
	s_cbranch_vccnz .LBB63_196
; %bb.195:
	v_lshl_add_u64 v[14:15], v[0:1], 2, v[10:11]
	global_load_dword v13, v[14:15], off
	s_waitcnt vmcnt(0)
	v_mul_f32_e32 v13, s21, v13
	s_branch .LBB63_197
.LBB63_196:
	v_mov_b32_e32 v13, 0
.LBB63_197:
	v_max_f32_e32 v14, v63, v63
	v_max_f32_e32 v13, v13, v13
	v_min_f32_e32 v13, v13, v14
	v_lshl_add_u64 v[14:15], v[0:1], 2, v[8:9]
	global_store_dword v[14:15], v13, off
	s_or_b64 exec, exec, s[18:19]
	s_and_b64 s[22:23], s[4:5], s[10:11]
	s_and_saveexec_b64 s[18:19], s[22:23]
	s_cbranch_execz .LBB63_192
.LBB63_198:
	s_and_b64 vcc, exec, s[0:1]
	s_cbranch_vccnz .LBB63_200
; %bb.199:
	v_lshl_add_u64 v[14:15], v[2:3], 2, v[10:11]
	global_load_dword v13, v[14:15], off
	s_waitcnt vmcnt(0)
	v_mul_f32_e32 v13, s21, v13
	s_branch .LBB63_201
.LBB63_200:
	v_mov_b32_e32 v13, 0
.LBB63_201:
	v_max_f32_e32 v14, v62, v62
	v_max_f32_e32 v13, v13, v13
	v_min_f32_e32 v13, v13, v14
	v_lshl_add_u64 v[14:15], v[2:3], 2, v[8:9]
	global_store_dword v[14:15], v13, off
	s_or_b64 exec, exec, s[18:19]
	s_and_b64 s[22:23], s[6:7], s[10:11]
	s_and_saveexec_b64 s[18:19], s[22:23]
	s_cbranch_execz .LBB63_193
.LBB63_202:
	s_and_b64 vcc, exec, s[0:1]
	s_cbranch_vccnz .LBB63_204
; %bb.203:
	v_lshl_add_u64 v[14:15], v[4:5], 2, v[10:11]
	global_load_dword v13, v[14:15], off
	s_waitcnt vmcnt(0)
	v_mul_f32_e32 v13, s21, v13
	s_branch .LBB63_205
.LBB63_204:
	v_mov_b32_e32 v13, 0
.LBB63_205:
	v_max_f32_e32 v14, v61, v61
	v_max_f32_e32 v13, v13, v13
	v_min_f32_e32 v13, v13, v14
	v_lshl_add_u64 v[14:15], v[4:5], 2, v[8:9]
	global_store_dword v[14:15], v13, off
	s_or_b64 exec, exec, s[18:19]
	s_and_b64 s[18:19], s[8:9], s[10:11]
	s_and_saveexec_b64 s[10:11], s[18:19]
	s_cbranch_execz .LBB63_210
.LBB63_206:
	s_and_b64 vcc, exec, s[0:1]
	s_cbranch_vccnz .LBB63_208
; %bb.207:
	v_lshl_add_u64 v[10:11], v[6:7], 2, v[10:11]
	global_load_dword v10, v[10:11], off
	s_waitcnt vmcnt(0)
	v_mul_f32_e32 v10, s21, v10
	s_branch .LBB63_209
.LBB63_208:
	v_mov_b32_e32 v10, 0
.LBB63_209:
	v_max_f32_e32 v11, v60, v60
	v_max_f32_e32 v10, v10, v10
	v_min_f32_e32 v10, v10, v11
	v_lshl_add_u64 v[8:9], v[6:7], 2, v[8:9]
	global_store_dword v[8:9], v10, off
.LBB63_210:
	s_or_b64 exec, exec, s[10:11]
	v_add_u32_e32 v13, 64, v12
	v_mad_i64_i32 v[8:9], s[18:19], v13, s25, 0
	v_cmp_gt_i32_e64 s[10:11], s13, v13
	v_lshl_add_u64 v[10:11], v[8:9], 2, s[16:17]
	v_mad_i64_i32 v[8:9], s[18:19], v13, s24, 0
	v_lshl_add_u64 v[8:9], v[8:9], 2, s[14:15]
	s_and_b64 s[22:23], s[2:3], s[10:11]
	s_and_saveexec_b64 s[18:19], s[22:23]
	s_cbranch_execnz .LBB63_214
; %bb.211:
	s_or_b64 exec, exec, s[18:19]
	s_and_b64 s[22:23], s[4:5], s[10:11]
	s_and_saveexec_b64 s[18:19], s[22:23]
	s_cbranch_execnz .LBB63_218
.LBB63_212:
	s_or_b64 exec, exec, s[18:19]
	s_and_b64 s[22:23], s[6:7], s[10:11]
	s_and_saveexec_b64 s[18:19], s[22:23]
	s_cbranch_execnz .LBB63_222
.LBB63_213:
	s_or_b64 exec, exec, s[18:19]
	s_and_b64 s[18:19], s[8:9], s[10:11]
	s_and_saveexec_b64 s[10:11], s[18:19]
	s_cbranch_execnz .LBB63_226
	s_branch .LBB63_230
.LBB63_214:
	s_and_b64 vcc, exec, s[0:1]
	s_cbranch_vccnz .LBB63_216
; %bb.215:
	v_lshl_add_u64 v[14:15], v[0:1], 2, v[10:11]
	global_load_dword v13, v[14:15], off
	s_waitcnt vmcnt(0)
	v_mul_f32_e32 v13, s21, v13
	s_branch .LBB63_217
.LBB63_216:
	v_mov_b32_e32 v13, 0
.LBB63_217:
	v_max_f32_e32 v14, v59, v59
	v_max_f32_e32 v13, v13, v13
	v_min_f32_e32 v13, v13, v14
	v_lshl_add_u64 v[14:15], v[0:1], 2, v[8:9]
	global_store_dword v[14:15], v13, off
	s_or_b64 exec, exec, s[18:19]
	s_and_b64 s[22:23], s[4:5], s[10:11]
	s_and_saveexec_b64 s[18:19], s[22:23]
	s_cbranch_execz .LBB63_212
.LBB63_218:
	s_and_b64 vcc, exec, s[0:1]
	s_cbranch_vccnz .LBB63_220
; %bb.219:
	v_lshl_add_u64 v[14:15], v[2:3], 2, v[10:11]
	global_load_dword v13, v[14:15], off
	s_waitcnt vmcnt(0)
	v_mul_f32_e32 v13, s21, v13
	s_branch .LBB63_221
.LBB63_220:
	v_mov_b32_e32 v13, 0
.LBB63_221:
	v_max_f32_e32 v14, v58, v58
	v_max_f32_e32 v13, v13, v13
	v_min_f32_e32 v13, v13, v14
	v_lshl_add_u64 v[14:15], v[2:3], 2, v[8:9]
	global_store_dword v[14:15], v13, off
	s_or_b64 exec, exec, s[18:19]
	s_and_b64 s[22:23], s[6:7], s[10:11]
	s_and_saveexec_b64 s[18:19], s[22:23]
	s_cbranch_execz .LBB63_213
.LBB63_222:
	s_and_b64 vcc, exec, s[0:1]
	s_cbranch_vccnz .LBB63_224
; %bb.223:
	v_lshl_add_u64 v[14:15], v[4:5], 2, v[10:11]
	global_load_dword v13, v[14:15], off
	s_waitcnt vmcnt(0)
	v_mul_f32_e32 v13, s21, v13
	s_branch .LBB63_225
.LBB63_224:
	v_mov_b32_e32 v13, 0
.LBB63_225:
	v_max_f32_e32 v14, v57, v57
	v_max_f32_e32 v13, v13, v13
	v_min_f32_e32 v13, v13, v14
	v_lshl_add_u64 v[14:15], v[4:5], 2, v[8:9]
	global_store_dword v[14:15], v13, off
	s_or_b64 exec, exec, s[18:19]
	s_and_b64 s[18:19], s[8:9], s[10:11]
	s_and_saveexec_b64 s[10:11], s[18:19]
	s_cbranch_execz .LBB63_230
.LBB63_226:
	s_and_b64 vcc, exec, s[0:1]
	s_cbranch_vccnz .LBB63_228
; %bb.227:
	v_lshl_add_u64 v[10:11], v[6:7], 2, v[10:11]
	global_load_dword v10, v[10:11], off
	s_waitcnt vmcnt(0)
	v_mul_f32_e32 v10, s21, v10
	s_branch .LBB63_229
.LBB63_228:
	v_mov_b32_e32 v10, 0
.LBB63_229:
	v_max_f32_e32 v11, v56, v56
	v_max_f32_e32 v10, v10, v10
	v_min_f32_e32 v10, v10, v11
	v_lshl_add_u64 v[8:9], v[6:7], 2, v[8:9]
	global_store_dword v[8:9], v10, off
.LBB63_230:
	s_or_b64 exec, exec, s[10:11]
	v_add_u32_e32 v13, 0x48, v12
	v_mad_i64_i32 v[8:9], s[18:19], v13, s25, 0
	v_cmp_gt_i32_e64 s[10:11], s13, v13
	v_lshl_add_u64 v[10:11], v[8:9], 2, s[16:17]
	v_mad_i64_i32 v[8:9], s[18:19], v13, s24, 0
	v_lshl_add_u64 v[8:9], v[8:9], 2, s[14:15]
	s_and_b64 s[22:23], s[2:3], s[10:11]
	s_and_saveexec_b64 s[18:19], s[22:23]
	s_cbranch_execnz .LBB63_234
; %bb.231:
	s_or_b64 exec, exec, s[18:19]
	s_and_b64 s[22:23], s[4:5], s[10:11]
	s_and_saveexec_b64 s[18:19], s[22:23]
	s_cbranch_execnz .LBB63_238
.LBB63_232:
	s_or_b64 exec, exec, s[18:19]
	s_and_b64 s[22:23], s[6:7], s[10:11]
	s_and_saveexec_b64 s[18:19], s[22:23]
	s_cbranch_execnz .LBB63_242
.LBB63_233:
	s_or_b64 exec, exec, s[18:19]
	s_and_b64 s[18:19], s[8:9], s[10:11]
	s_and_saveexec_b64 s[10:11], s[18:19]
	s_cbranch_execnz .LBB63_246
	s_branch .LBB63_250
.LBB63_234:
	s_and_b64 vcc, exec, s[0:1]
	s_cbranch_vccnz .LBB63_236
; %bb.235:
	v_lshl_add_u64 v[14:15], v[0:1], 2, v[10:11]
	global_load_dword v13, v[14:15], off
	s_waitcnt vmcnt(0)
	v_mul_f32_e32 v13, s21, v13
	s_branch .LBB63_237
.LBB63_236:
	v_mov_b32_e32 v13, 0
.LBB63_237:
	v_max_f32_e32 v14, v55, v55
	v_max_f32_e32 v13, v13, v13
	v_min_f32_e32 v13, v13, v14
	v_lshl_add_u64 v[14:15], v[0:1], 2, v[8:9]
	global_store_dword v[14:15], v13, off
	s_or_b64 exec, exec, s[18:19]
	s_and_b64 s[22:23], s[4:5], s[10:11]
	s_and_saveexec_b64 s[18:19], s[22:23]
	s_cbranch_execz .LBB63_232
.LBB63_238:
	s_and_b64 vcc, exec, s[0:1]
	s_cbranch_vccnz .LBB63_240
; %bb.239:
	v_lshl_add_u64 v[14:15], v[2:3], 2, v[10:11]
	global_load_dword v13, v[14:15], off
	s_waitcnt vmcnt(0)
	v_mul_f32_e32 v13, s21, v13
	s_branch .LBB63_241
.LBB63_240:
	v_mov_b32_e32 v13, 0
.LBB63_241:
	v_max_f32_e32 v14, v54, v54
	v_max_f32_e32 v13, v13, v13
	v_min_f32_e32 v13, v13, v14
	v_lshl_add_u64 v[14:15], v[2:3], 2, v[8:9]
	global_store_dword v[14:15], v13, off
	s_or_b64 exec, exec, s[18:19]
	s_and_b64 s[22:23], s[6:7], s[10:11]
	s_and_saveexec_b64 s[18:19], s[22:23]
	s_cbranch_execz .LBB63_233
.LBB63_242:
	s_and_b64 vcc, exec, s[0:1]
	s_cbranch_vccnz .LBB63_244
; %bb.243:
	v_lshl_add_u64 v[14:15], v[4:5], 2, v[10:11]
	global_load_dword v13, v[14:15], off
	s_waitcnt vmcnt(0)
	v_mul_f32_e32 v13, s21, v13
	s_branch .LBB63_245
.LBB63_244:
	v_mov_b32_e32 v13, 0
.LBB63_245:
	v_max_f32_e32 v14, v53, v53
	v_max_f32_e32 v13, v13, v13
	v_min_f32_e32 v13, v13, v14
	v_lshl_add_u64 v[14:15], v[4:5], 2, v[8:9]
	global_store_dword v[14:15], v13, off
	s_or_b64 exec, exec, s[18:19]
	s_and_b64 s[18:19], s[8:9], s[10:11]
	s_and_saveexec_b64 s[10:11], s[18:19]
	s_cbranch_execz .LBB63_250
.LBB63_246:
	s_and_b64 vcc, exec, s[0:1]
	s_cbranch_vccnz .LBB63_248
; %bb.247:
	v_lshl_add_u64 v[10:11], v[6:7], 2, v[10:11]
	global_load_dword v10, v[10:11], off
	s_waitcnt vmcnt(0)
	v_mul_f32_e32 v10, s21, v10
	s_branch .LBB63_249
.LBB63_248:
	v_mov_b32_e32 v10, 0
.LBB63_249:
	v_max_f32_e32 v11, v52, v52
	v_max_f32_e32 v10, v10, v10
	v_min_f32_e32 v10, v10, v11
	v_lshl_add_u64 v[8:9], v[6:7], 2, v[8:9]
	global_store_dword v[8:9], v10, off
.LBB63_250:
	s_or_b64 exec, exec, s[10:11]
	v_add_u32_e32 v13, 0x50, v12
	v_mad_i64_i32 v[8:9], s[18:19], v13, s25, 0
	v_cmp_gt_i32_e64 s[10:11], s13, v13
	v_lshl_add_u64 v[10:11], v[8:9], 2, s[16:17]
	v_mad_i64_i32 v[8:9], s[18:19], v13, s24, 0
	v_lshl_add_u64 v[8:9], v[8:9], 2, s[14:15]
	s_and_b64 s[22:23], s[2:3], s[10:11]
	s_and_saveexec_b64 s[18:19], s[22:23]
	s_cbranch_execnz .LBB63_254
; %bb.251:
	s_or_b64 exec, exec, s[18:19]
	s_and_b64 s[22:23], s[4:5], s[10:11]
	s_and_saveexec_b64 s[18:19], s[22:23]
	s_cbranch_execnz .LBB63_258
.LBB63_252:
	s_or_b64 exec, exec, s[18:19]
	s_and_b64 s[22:23], s[6:7], s[10:11]
	s_and_saveexec_b64 s[18:19], s[22:23]
	s_cbranch_execnz .LBB63_262
.LBB63_253:
	s_or_b64 exec, exec, s[18:19]
	s_and_b64 s[18:19], s[8:9], s[10:11]
	s_and_saveexec_b64 s[10:11], s[18:19]
	s_cbranch_execnz .LBB63_266
	s_branch .LBB63_270
.LBB63_254:
	s_and_b64 vcc, exec, s[0:1]
	s_cbranch_vccnz .LBB63_256
; %bb.255:
	v_lshl_add_u64 v[14:15], v[0:1], 2, v[10:11]
	global_load_dword v13, v[14:15], off
	s_waitcnt vmcnt(0)
	v_mul_f32_e32 v13, s21, v13
	s_branch .LBB63_257
.LBB63_256:
	v_mov_b32_e32 v13, 0
.LBB63_257:
	v_max_f32_e32 v14, v51, v51
	v_max_f32_e32 v13, v13, v13
	v_min_f32_e32 v13, v13, v14
	v_lshl_add_u64 v[14:15], v[0:1], 2, v[8:9]
	global_store_dword v[14:15], v13, off
	s_or_b64 exec, exec, s[18:19]
	s_and_b64 s[22:23], s[4:5], s[10:11]
	s_and_saveexec_b64 s[18:19], s[22:23]
	s_cbranch_execz .LBB63_252
.LBB63_258:
	s_and_b64 vcc, exec, s[0:1]
	s_cbranch_vccnz .LBB63_260
; %bb.259:
	v_lshl_add_u64 v[14:15], v[2:3], 2, v[10:11]
	global_load_dword v13, v[14:15], off
	s_waitcnt vmcnt(0)
	v_mul_f32_e32 v13, s21, v13
	s_branch .LBB63_261
.LBB63_260:
	v_mov_b32_e32 v13, 0
.LBB63_261:
	v_max_f32_e32 v14, v50, v50
	v_max_f32_e32 v13, v13, v13
	v_min_f32_e32 v13, v13, v14
	v_lshl_add_u64 v[14:15], v[2:3], 2, v[8:9]
	global_store_dword v[14:15], v13, off
	s_or_b64 exec, exec, s[18:19]
	s_and_b64 s[22:23], s[6:7], s[10:11]
	s_and_saveexec_b64 s[18:19], s[22:23]
	s_cbranch_execz .LBB63_253
.LBB63_262:
	s_and_b64 vcc, exec, s[0:1]
	s_cbranch_vccnz .LBB63_264
; %bb.263:
	v_lshl_add_u64 v[14:15], v[4:5], 2, v[10:11]
	global_load_dword v13, v[14:15], off
	s_waitcnt vmcnt(0)
	v_mul_f32_e32 v13, s21, v13
	s_branch .LBB63_265
.LBB63_264:
	v_mov_b32_e32 v13, 0
.LBB63_265:
	v_max_f32_e32 v14, v49, v49
	v_max_f32_e32 v13, v13, v13
	v_min_f32_e32 v13, v13, v14
	v_lshl_add_u64 v[14:15], v[4:5], 2, v[8:9]
	global_store_dword v[14:15], v13, off
	s_or_b64 exec, exec, s[18:19]
	s_and_b64 s[18:19], s[8:9], s[10:11]
	s_and_saveexec_b64 s[10:11], s[18:19]
	s_cbranch_execz .LBB63_270
.LBB63_266:
	s_and_b64 vcc, exec, s[0:1]
	s_cbranch_vccnz .LBB63_268
; %bb.267:
	v_lshl_add_u64 v[10:11], v[6:7], 2, v[10:11]
	global_load_dword v10, v[10:11], off
	s_waitcnt vmcnt(0)
	v_mul_f32_e32 v10, s21, v10
	s_branch .LBB63_269
.LBB63_268:
	v_mov_b32_e32 v10, 0
.LBB63_269:
	v_max_f32_e32 v11, v48, v48
	v_max_f32_e32 v10, v10, v10
	v_min_f32_e32 v10, v10, v11
	v_lshl_add_u64 v[8:9], v[6:7], 2, v[8:9]
	global_store_dword v[8:9], v10, off
.LBB63_270:
	s_or_b64 exec, exec, s[10:11]
	v_add_u32_e32 v13, 0x58, v12
	v_mad_i64_i32 v[8:9], s[18:19], v13, s25, 0
	v_cmp_gt_i32_e64 s[10:11], s13, v13
	v_lshl_add_u64 v[10:11], v[8:9], 2, s[16:17]
	v_mad_i64_i32 v[8:9], s[18:19], v13, s24, 0
	v_lshl_add_u64 v[8:9], v[8:9], 2, s[14:15]
	s_and_b64 s[22:23], s[2:3], s[10:11]
	s_and_saveexec_b64 s[18:19], s[22:23]
	s_cbranch_execnz .LBB63_274
; %bb.271:
	s_or_b64 exec, exec, s[18:19]
	s_and_b64 s[22:23], s[4:5], s[10:11]
	s_and_saveexec_b64 s[18:19], s[22:23]
	s_cbranch_execnz .LBB63_278
.LBB63_272:
	s_or_b64 exec, exec, s[18:19]
	s_and_b64 s[22:23], s[6:7], s[10:11]
	s_and_saveexec_b64 s[18:19], s[22:23]
	s_cbranch_execnz .LBB63_282
.LBB63_273:
	s_or_b64 exec, exec, s[18:19]
	s_and_b64 s[18:19], s[8:9], s[10:11]
	s_and_saveexec_b64 s[10:11], s[18:19]
	s_cbranch_execnz .LBB63_286
	s_branch .LBB63_290
.LBB63_274:
	s_and_b64 vcc, exec, s[0:1]
	s_cbranch_vccnz .LBB63_276
; %bb.275:
	v_lshl_add_u64 v[14:15], v[0:1], 2, v[10:11]
	global_load_dword v13, v[14:15], off
	s_waitcnt vmcnt(0)
	v_mul_f32_e32 v13, s21, v13
	s_branch .LBB63_277
.LBB63_276:
	v_mov_b32_e32 v13, 0
.LBB63_277:
	v_max_f32_e32 v14, v47, v47
	v_max_f32_e32 v13, v13, v13
	v_min_f32_e32 v13, v13, v14
	v_lshl_add_u64 v[14:15], v[0:1], 2, v[8:9]
	global_store_dword v[14:15], v13, off
	s_or_b64 exec, exec, s[18:19]
	s_and_b64 s[22:23], s[4:5], s[10:11]
	s_and_saveexec_b64 s[18:19], s[22:23]
	s_cbranch_execz .LBB63_272
.LBB63_278:
	s_and_b64 vcc, exec, s[0:1]
	s_cbranch_vccnz .LBB63_280
; %bb.279:
	v_lshl_add_u64 v[14:15], v[2:3], 2, v[10:11]
	global_load_dword v13, v[14:15], off
	s_waitcnt vmcnt(0)
	v_mul_f32_e32 v13, s21, v13
	s_branch .LBB63_281
.LBB63_280:
	v_mov_b32_e32 v13, 0
.LBB63_281:
	v_max_f32_e32 v14, v46, v46
	v_max_f32_e32 v13, v13, v13
	v_min_f32_e32 v13, v13, v14
	v_lshl_add_u64 v[14:15], v[2:3], 2, v[8:9]
	global_store_dword v[14:15], v13, off
	s_or_b64 exec, exec, s[18:19]
	s_and_b64 s[22:23], s[6:7], s[10:11]
	s_and_saveexec_b64 s[18:19], s[22:23]
	s_cbranch_execz .LBB63_273
.LBB63_282:
	s_and_b64 vcc, exec, s[0:1]
	s_cbranch_vccnz .LBB63_284
; %bb.283:
	v_lshl_add_u64 v[14:15], v[4:5], 2, v[10:11]
	global_load_dword v13, v[14:15], off
	s_waitcnt vmcnt(0)
	v_mul_f32_e32 v13, s21, v13
	s_branch .LBB63_285
.LBB63_284:
	v_mov_b32_e32 v13, 0
.LBB63_285:
	v_max_f32_e32 v14, v45, v45
	v_max_f32_e32 v13, v13, v13
	v_min_f32_e32 v13, v13, v14
	v_lshl_add_u64 v[14:15], v[4:5], 2, v[8:9]
	global_store_dword v[14:15], v13, off
	s_or_b64 exec, exec, s[18:19]
	s_and_b64 s[18:19], s[8:9], s[10:11]
	s_and_saveexec_b64 s[10:11], s[18:19]
	s_cbranch_execz .LBB63_290
.LBB63_286:
	s_and_b64 vcc, exec, s[0:1]
	s_cbranch_vccnz .LBB63_288
; %bb.287:
	v_lshl_add_u64 v[10:11], v[6:7], 2, v[10:11]
	global_load_dword v10, v[10:11], off
	s_waitcnt vmcnt(0)
	v_mul_f32_e32 v10, s21, v10
	s_branch .LBB63_289
.LBB63_288:
	v_mov_b32_e32 v10, 0
.LBB63_289:
	v_max_f32_e32 v11, v44, v44
	v_max_f32_e32 v10, v10, v10
	v_min_f32_e32 v10, v10, v11
	v_lshl_add_u64 v[8:9], v[6:7], 2, v[8:9]
	global_store_dword v[8:9], v10, off
.LBB63_290:
	s_or_b64 exec, exec, s[10:11]
	v_add_u32_e32 v13, 0x60, v12
	v_mad_i64_i32 v[8:9], s[18:19], v13, s25, 0
	v_cmp_gt_i32_e64 s[10:11], s13, v13
	v_lshl_add_u64 v[10:11], v[8:9], 2, s[16:17]
	v_mad_i64_i32 v[8:9], s[18:19], v13, s24, 0
	v_lshl_add_u64 v[8:9], v[8:9], 2, s[14:15]
	s_and_b64 s[22:23], s[2:3], s[10:11]
	s_and_saveexec_b64 s[18:19], s[22:23]
	s_cbranch_execnz .LBB63_294
; %bb.291:
	s_or_b64 exec, exec, s[18:19]
	s_and_b64 s[22:23], s[4:5], s[10:11]
	s_and_saveexec_b64 s[18:19], s[22:23]
	s_cbranch_execnz .LBB63_298
.LBB63_292:
	s_or_b64 exec, exec, s[18:19]
	s_and_b64 s[22:23], s[6:7], s[10:11]
	s_and_saveexec_b64 s[18:19], s[22:23]
	s_cbranch_execnz .LBB63_302
.LBB63_293:
	s_or_b64 exec, exec, s[18:19]
	s_and_b64 s[18:19], s[8:9], s[10:11]
	s_and_saveexec_b64 s[10:11], s[18:19]
	s_cbranch_execnz .LBB63_306
	s_branch .LBB63_310
.LBB63_294:
	s_and_b64 vcc, exec, s[0:1]
	s_cbranch_vccnz .LBB63_296
; %bb.295:
	v_lshl_add_u64 v[14:15], v[0:1], 2, v[10:11]
	global_load_dword v13, v[14:15], off
	s_waitcnt vmcnt(0)
	v_mul_f32_e32 v13, s21, v13
	s_branch .LBB63_297
.LBB63_296:
	v_mov_b32_e32 v13, 0
.LBB63_297:
	v_max_f32_e32 v14, v43, v43
	v_max_f32_e32 v13, v13, v13
	v_min_f32_e32 v13, v13, v14
	v_lshl_add_u64 v[14:15], v[0:1], 2, v[8:9]
	global_store_dword v[14:15], v13, off
	s_or_b64 exec, exec, s[18:19]
	s_and_b64 s[22:23], s[4:5], s[10:11]
	s_and_saveexec_b64 s[18:19], s[22:23]
	s_cbranch_execz .LBB63_292
.LBB63_298:
	s_and_b64 vcc, exec, s[0:1]
	s_cbranch_vccnz .LBB63_300
; %bb.299:
	v_lshl_add_u64 v[14:15], v[2:3], 2, v[10:11]
	global_load_dword v13, v[14:15], off
	s_waitcnt vmcnt(0)
	v_mul_f32_e32 v13, s21, v13
	s_branch .LBB63_301
.LBB63_300:
	v_mov_b32_e32 v13, 0
.LBB63_301:
	v_max_f32_e32 v14, v42, v42
	v_max_f32_e32 v13, v13, v13
	v_min_f32_e32 v13, v13, v14
	v_lshl_add_u64 v[14:15], v[2:3], 2, v[8:9]
	global_store_dword v[14:15], v13, off
	s_or_b64 exec, exec, s[18:19]
	s_and_b64 s[22:23], s[6:7], s[10:11]
	s_and_saveexec_b64 s[18:19], s[22:23]
	s_cbranch_execz .LBB63_293
.LBB63_302:
	s_and_b64 vcc, exec, s[0:1]
	s_cbranch_vccnz .LBB63_304
; %bb.303:
	v_lshl_add_u64 v[14:15], v[4:5], 2, v[10:11]
	global_load_dword v13, v[14:15], off
	s_waitcnt vmcnt(0)
	v_mul_f32_e32 v13, s21, v13
	s_branch .LBB63_305
.LBB63_304:
	v_mov_b32_e32 v13, 0
.LBB63_305:
	v_max_f32_e32 v14, v41, v41
	v_max_f32_e32 v13, v13, v13
	v_min_f32_e32 v13, v13, v14
	v_lshl_add_u64 v[14:15], v[4:5], 2, v[8:9]
	global_store_dword v[14:15], v13, off
	s_or_b64 exec, exec, s[18:19]
	s_and_b64 s[18:19], s[8:9], s[10:11]
	s_and_saveexec_b64 s[10:11], s[18:19]
	s_cbranch_execz .LBB63_310
.LBB63_306:
	s_and_b64 vcc, exec, s[0:1]
	s_cbranch_vccnz .LBB63_308
; %bb.307:
	v_lshl_add_u64 v[10:11], v[6:7], 2, v[10:11]
	global_load_dword v10, v[10:11], off
	s_waitcnt vmcnt(0)
	v_mul_f32_e32 v10, s21, v10
	s_branch .LBB63_309
.LBB63_308:
	v_mov_b32_e32 v10, 0
.LBB63_309:
	v_max_f32_e32 v11, v40, v40
	v_max_f32_e32 v10, v10, v10
	v_min_f32_e32 v10, v10, v11
	v_lshl_add_u64 v[8:9], v[6:7], 2, v[8:9]
	global_store_dword v[8:9], v10, off
.LBB63_310:
	s_or_b64 exec, exec, s[10:11]
	v_add_u32_e32 v13, 0x68, v12
	v_mad_i64_i32 v[8:9], s[18:19], v13, s25, 0
	v_cmp_gt_i32_e64 s[10:11], s13, v13
	v_lshl_add_u64 v[10:11], v[8:9], 2, s[16:17]
	v_mad_i64_i32 v[8:9], s[18:19], v13, s24, 0
	v_lshl_add_u64 v[8:9], v[8:9], 2, s[14:15]
	s_and_b64 s[22:23], s[2:3], s[10:11]
	s_and_saveexec_b64 s[18:19], s[22:23]
	s_cbranch_execnz .LBB63_314
; %bb.311:
	s_or_b64 exec, exec, s[18:19]
	s_and_b64 s[22:23], s[4:5], s[10:11]
	s_and_saveexec_b64 s[18:19], s[22:23]
	s_cbranch_execnz .LBB63_318
.LBB63_312:
	s_or_b64 exec, exec, s[18:19]
	s_and_b64 s[22:23], s[6:7], s[10:11]
	s_and_saveexec_b64 s[18:19], s[22:23]
	s_cbranch_execnz .LBB63_322
.LBB63_313:
	s_or_b64 exec, exec, s[18:19]
	s_and_b64 s[18:19], s[8:9], s[10:11]
	s_and_saveexec_b64 s[10:11], s[18:19]
	s_cbranch_execnz .LBB63_326
	s_branch .LBB63_330
.LBB63_314:
	s_and_b64 vcc, exec, s[0:1]
	s_cbranch_vccnz .LBB63_316
; %bb.315:
	v_lshl_add_u64 v[14:15], v[0:1], 2, v[10:11]
	global_load_dword v13, v[14:15], off
	s_waitcnt vmcnt(0)
	v_mul_f32_e32 v13, s21, v13
	s_branch .LBB63_317
.LBB63_316:
	v_mov_b32_e32 v13, 0
.LBB63_317:
	v_max_f32_e32 v14, v39, v39
	v_max_f32_e32 v13, v13, v13
	v_min_f32_e32 v13, v13, v14
	v_lshl_add_u64 v[14:15], v[0:1], 2, v[8:9]
	global_store_dword v[14:15], v13, off
	s_or_b64 exec, exec, s[18:19]
	s_and_b64 s[22:23], s[4:5], s[10:11]
	s_and_saveexec_b64 s[18:19], s[22:23]
	s_cbranch_execz .LBB63_312
.LBB63_318:
	s_and_b64 vcc, exec, s[0:1]
	s_cbranch_vccnz .LBB63_320
; %bb.319:
	v_lshl_add_u64 v[14:15], v[2:3], 2, v[10:11]
	global_load_dword v13, v[14:15], off
	s_waitcnt vmcnt(0)
	v_mul_f32_e32 v13, s21, v13
	s_branch .LBB63_321
.LBB63_320:
	v_mov_b32_e32 v13, 0
.LBB63_321:
	v_max_f32_e32 v14, v38, v38
	v_max_f32_e32 v13, v13, v13
	v_min_f32_e32 v13, v13, v14
	v_lshl_add_u64 v[14:15], v[2:3], 2, v[8:9]
	global_store_dword v[14:15], v13, off
	s_or_b64 exec, exec, s[18:19]
	s_and_b64 s[22:23], s[6:7], s[10:11]
	s_and_saveexec_b64 s[18:19], s[22:23]
	s_cbranch_execz .LBB63_313
.LBB63_322:
	s_and_b64 vcc, exec, s[0:1]
	s_cbranch_vccnz .LBB63_324
; %bb.323:
	v_lshl_add_u64 v[14:15], v[4:5], 2, v[10:11]
	global_load_dword v13, v[14:15], off
	s_waitcnt vmcnt(0)
	v_mul_f32_e32 v13, s21, v13
	s_branch .LBB63_325
.LBB63_324:
	v_mov_b32_e32 v13, 0
.LBB63_325:
	v_max_f32_e32 v14, v37, v37
	v_max_f32_e32 v13, v13, v13
	v_min_f32_e32 v13, v13, v14
	v_lshl_add_u64 v[14:15], v[4:5], 2, v[8:9]
	global_store_dword v[14:15], v13, off
	s_or_b64 exec, exec, s[18:19]
	s_and_b64 s[18:19], s[8:9], s[10:11]
	s_and_saveexec_b64 s[10:11], s[18:19]
	s_cbranch_execz .LBB63_330
.LBB63_326:
	s_and_b64 vcc, exec, s[0:1]
	s_cbranch_vccnz .LBB63_328
; %bb.327:
	v_lshl_add_u64 v[10:11], v[6:7], 2, v[10:11]
	global_load_dword v10, v[10:11], off
	s_waitcnt vmcnt(0)
	v_mul_f32_e32 v10, s21, v10
	s_branch .LBB63_329
.LBB63_328:
	v_mov_b32_e32 v10, 0
.LBB63_329:
	v_max_f32_e32 v11, v36, v36
	v_max_f32_e32 v10, v10, v10
	v_min_f32_e32 v10, v10, v11
	v_lshl_add_u64 v[8:9], v[6:7], 2, v[8:9]
	global_store_dword v[8:9], v10, off
.LBB63_330:
	s_or_b64 exec, exec, s[10:11]
	v_add_u32_e32 v13, 0x70, v12
	v_mad_i64_i32 v[8:9], s[18:19], v13, s25, 0
	v_cmp_gt_i32_e64 s[10:11], s13, v13
	v_lshl_add_u64 v[10:11], v[8:9], 2, s[16:17]
	v_mad_i64_i32 v[8:9], s[18:19], v13, s24, 0
	v_lshl_add_u64 v[8:9], v[8:9], 2, s[14:15]
	s_and_b64 s[22:23], s[2:3], s[10:11]
	s_and_saveexec_b64 s[18:19], s[22:23]
	s_cbranch_execnz .LBB63_334
; %bb.331:
	s_or_b64 exec, exec, s[18:19]
	s_and_b64 s[22:23], s[4:5], s[10:11]
	s_and_saveexec_b64 s[18:19], s[22:23]
	s_cbranch_execnz .LBB63_338
.LBB63_332:
	s_or_b64 exec, exec, s[18:19]
	s_and_b64 s[22:23], s[6:7], s[10:11]
	s_and_saveexec_b64 s[18:19], s[22:23]
	s_cbranch_execnz .LBB63_342
.LBB63_333:
	s_or_b64 exec, exec, s[18:19]
	s_and_b64 s[18:19], s[8:9], s[10:11]
	s_and_saveexec_b64 s[10:11], s[18:19]
	s_cbranch_execnz .LBB63_346
	s_branch .LBB63_350
.LBB63_334:
	s_and_b64 vcc, exec, s[0:1]
	s_cbranch_vccnz .LBB63_336
; %bb.335:
	v_lshl_add_u64 v[14:15], v[0:1], 2, v[10:11]
	global_load_dword v13, v[14:15], off
	s_waitcnt vmcnt(0)
	v_mul_f32_e32 v13, s21, v13
	s_branch .LBB63_337
.LBB63_336:
	v_mov_b32_e32 v13, 0
.LBB63_337:
	v_max_f32_e32 v14, v35, v35
	v_max_f32_e32 v13, v13, v13
	v_min_f32_e32 v13, v13, v14
	v_lshl_add_u64 v[14:15], v[0:1], 2, v[8:9]
	global_store_dword v[14:15], v13, off
	s_or_b64 exec, exec, s[18:19]
	s_and_b64 s[22:23], s[4:5], s[10:11]
	s_and_saveexec_b64 s[18:19], s[22:23]
	s_cbranch_execz .LBB63_332
.LBB63_338:
	s_and_b64 vcc, exec, s[0:1]
	s_cbranch_vccnz .LBB63_340
; %bb.339:
	v_lshl_add_u64 v[14:15], v[2:3], 2, v[10:11]
	global_load_dword v13, v[14:15], off
	s_waitcnt vmcnt(0)
	v_mul_f32_e32 v13, s21, v13
	s_branch .LBB63_341
.LBB63_340:
	v_mov_b32_e32 v13, 0
.LBB63_341:
	v_max_f32_e32 v14, v34, v34
	v_max_f32_e32 v13, v13, v13
	v_min_f32_e32 v13, v13, v14
	v_lshl_add_u64 v[14:15], v[2:3], 2, v[8:9]
	global_store_dword v[14:15], v13, off
	s_or_b64 exec, exec, s[18:19]
	s_and_b64 s[22:23], s[6:7], s[10:11]
	s_and_saveexec_b64 s[18:19], s[22:23]
	s_cbranch_execz .LBB63_333
.LBB63_342:
	s_and_b64 vcc, exec, s[0:1]
	s_cbranch_vccnz .LBB63_344
; %bb.343:
	v_lshl_add_u64 v[14:15], v[4:5], 2, v[10:11]
	global_load_dword v13, v[14:15], off
	s_waitcnt vmcnt(0)
	v_mul_f32_e32 v13, s21, v13
	s_branch .LBB63_345
.LBB63_344:
	v_mov_b32_e32 v13, 0
.LBB63_345:
	v_max_f32_e32 v14, v33, v33
	v_max_f32_e32 v13, v13, v13
	v_min_f32_e32 v13, v13, v14
	v_lshl_add_u64 v[14:15], v[4:5], 2, v[8:9]
	global_store_dword v[14:15], v13, off
	s_or_b64 exec, exec, s[18:19]
	s_and_b64 s[18:19], s[8:9], s[10:11]
	s_and_saveexec_b64 s[10:11], s[18:19]
	s_cbranch_execz .LBB63_350
.LBB63_346:
	s_and_b64 vcc, exec, s[0:1]
	s_cbranch_vccnz .LBB63_348
; %bb.347:
	v_lshl_add_u64 v[10:11], v[6:7], 2, v[10:11]
	global_load_dword v10, v[10:11], off
	s_waitcnt vmcnt(0)
	v_mul_f32_e32 v10, s21, v10
	s_branch .LBB63_349
.LBB63_348:
	v_mov_b32_e32 v10, 0
.LBB63_349:
	v_max_f32_e32 v11, v32, v32
	v_max_f32_e32 v10, v10, v10
	v_min_f32_e32 v10, v10, v11
	v_lshl_add_u64 v[8:9], v[6:7], 2, v[8:9]
	global_store_dword v[8:9], v10, off
.LBB63_350:
	s_or_b64 exec, exec, s[10:11]
	v_add_u32_e32 v12, 0x78, v12
	v_cmp_gt_i32_e64 s[10:11], s13, v12
	v_mad_i64_i32 v[8:9], s[12:13], v12, s25, 0
	v_lshl_add_u64 v[10:11], v[8:9], 2, s[16:17]
	v_mad_i64_i32 v[8:9], s[12:13], v12, s24, 0
	v_lshl_add_u64 v[8:9], v[8:9], 2, s[14:15]
	s_and_b64 s[12:13], s[2:3], s[10:11]
	s_and_saveexec_b64 s[2:3], s[12:13]
	s_cbranch_execnz .LBB63_355
; %bb.351:
	s_or_b64 exec, exec, s[2:3]
	s_and_b64 s[4:5], s[4:5], s[10:11]
	s_and_saveexec_b64 s[2:3], s[4:5]
	s_cbranch_execnz .LBB63_359
.LBB63_352:
	s_or_b64 exec, exec, s[2:3]
	s_and_b64 s[4:5], s[6:7], s[10:11]
	s_and_saveexec_b64 s[2:3], s[4:5]
	s_cbranch_execnz .LBB63_363
.LBB63_353:
	s_or_b64 exec, exec, s[2:3]
	s_and_b64 s[2:3], s[8:9], s[10:11]
	s_and_saveexec_b64 s[4:5], s[2:3]
	s_cbranch_execnz .LBB63_367
.LBB63_354:
	s_endpgm
.LBB63_355:
	s_and_b64 vcc, exec, s[0:1]
	s_cbranch_vccnz .LBB63_357
; %bb.356:
	v_lshl_add_u64 v[12:13], v[0:1], 2, v[10:11]
	global_load_dword v12, v[12:13], off
	s_waitcnt vmcnt(0)
	v_mul_f32_e32 v12, s21, v12
	s_branch .LBB63_358
.LBB63_357:
	v_mov_b32_e32 v12, 0
.LBB63_358:
	v_max_f32_e32 v13, v31, v31
	v_max_f32_e32 v12, v12, v12
	v_min_f32_e32 v12, v12, v13
	v_lshl_add_u64 v[0:1], v[0:1], 2, v[8:9]
	global_store_dword v[0:1], v12, off
	s_or_b64 exec, exec, s[2:3]
	s_and_b64 s[4:5], s[4:5], s[10:11]
	s_and_saveexec_b64 s[2:3], s[4:5]
	s_cbranch_execz .LBB63_352
.LBB63_359:
	s_and_b64 vcc, exec, s[0:1]
	s_cbranch_vccnz .LBB63_361
; %bb.360:
	v_lshl_add_u64 v[0:1], v[2:3], 2, v[10:11]
	global_load_dword v0, v[0:1], off
	s_waitcnt vmcnt(0)
	v_mul_f32_e32 v0, s21, v0
	s_branch .LBB63_362
.LBB63_361:
	v_mov_b32_e32 v0, 0
.LBB63_362:
	v_max_f32_e32 v1, v30, v30
	v_max_f32_e32 v0, v0, v0
	v_min_f32_e32 v12, v0, v1
	v_lshl_add_u64 v[0:1], v[2:3], 2, v[8:9]
	global_store_dword v[0:1], v12, off
	s_or_b64 exec, exec, s[2:3]
	s_and_b64 s[4:5], s[6:7], s[10:11]
	s_and_saveexec_b64 s[2:3], s[4:5]
	s_cbranch_execz .LBB63_353
.LBB63_363:
	s_and_b64 vcc, exec, s[0:1]
	s_cbranch_vccnz .LBB63_365
; %bb.364:
	v_lshl_add_u64 v[0:1], v[4:5], 2, v[10:11]
	global_load_dword v0, v[0:1], off
	s_waitcnt vmcnt(0)
	v_mul_f32_e32 v0, s21, v0
	s_branch .LBB63_366
.LBB63_365:
	v_mov_b32_e32 v0, 0
.LBB63_366:
	v_max_f32_e32 v1, v29, v29
	v_max_f32_e32 v0, v0, v0
	v_min_f32_e32 v2, v0, v1
	v_lshl_add_u64 v[0:1], v[4:5], 2, v[8:9]
	global_store_dword v[0:1], v2, off
	s_or_b64 exec, exec, s[2:3]
	s_and_b64 s[2:3], s[8:9], s[10:11]
	s_and_saveexec_b64 s[4:5], s[2:3]
	s_cbranch_execz .LBB63_354
.LBB63_367:
	s_and_b64 vcc, exec, s[0:1]
	s_cbranch_vccnz .LBB63_369
; %bb.368:
	v_lshl_add_u64 v[0:1], v[6:7], 2, v[10:11]
	global_load_dword v0, v[0:1], off
	s_waitcnt vmcnt(0)
	v_mul_f32_e32 v0, s21, v0
	s_branch .LBB63_370
.LBB63_369:
	v_mov_b32_e32 v0, 0
.LBB63_370:
	v_max_f32_e32 v1, v28, v28
	v_max_f32_e32 v0, v0, v0
	v_min_f32_e32 v2, v0, v1
	v_lshl_add_u64 v[0:1], v[6:7], 2, v[8:9]
	global_store_dword v[0:1], v2, off
	s_endpgm
	.section	.rodata,"a",@progbits
	.p2align	6, 0x0
	.amdhsa_kernel _ZN12_GLOBAL__N_120geam_min_plus_kernelIf15HIP_vector_typeIfLj2EEfLi32ELi8ELi128ELi128ELi4ELi4ELi64ELi4ELi64ELc84ELc78ELb0ELb1ELb1EPKfS3_fEEviiiT16_PT17_ilS7_ilS5_S7_ilPT18_ili26rocblas_geam_ex_operation_
		.amdhsa_group_segment_fixed_size 8192
		.amdhsa_private_segment_fixed_size 0
		.amdhsa_kernarg_size 136
		.amdhsa_user_sgpr_count 2
		.amdhsa_user_sgpr_dispatch_ptr 0
		.amdhsa_user_sgpr_queue_ptr 0
		.amdhsa_user_sgpr_kernarg_segment_ptr 1
		.amdhsa_user_sgpr_dispatch_id 0
		.amdhsa_user_sgpr_kernarg_preload_length 0
		.amdhsa_user_sgpr_kernarg_preload_offset 0
		.amdhsa_user_sgpr_private_segment_size 0
		.amdhsa_uses_dynamic_stack 0
		.amdhsa_enable_private_segment 0
		.amdhsa_system_sgpr_workgroup_id_x 1
		.amdhsa_system_sgpr_workgroup_id_y 0
		.amdhsa_system_sgpr_workgroup_id_z 1
		.amdhsa_system_sgpr_workgroup_info 0
		.amdhsa_system_vgpr_workitem_id 1
		.amdhsa_next_free_vgpr 132
		.amdhsa_next_free_sgpr 40
		.amdhsa_accum_offset 132
		.amdhsa_reserve_vcc 1
		.amdhsa_float_round_mode_32 0
		.amdhsa_float_round_mode_16_64 0
		.amdhsa_float_denorm_mode_32 3
		.amdhsa_float_denorm_mode_16_64 3
		.amdhsa_dx10_clamp 1
		.amdhsa_ieee_mode 1
		.amdhsa_fp16_overflow 0
		.amdhsa_tg_split 0
		.amdhsa_exception_fp_ieee_invalid_op 0
		.amdhsa_exception_fp_denorm_src 0
		.amdhsa_exception_fp_ieee_div_zero 0
		.amdhsa_exception_fp_ieee_overflow 0
		.amdhsa_exception_fp_ieee_underflow 0
		.amdhsa_exception_fp_ieee_inexact 0
		.amdhsa_exception_int_div_zero 0
	.end_amdhsa_kernel
	.section	.text._ZN12_GLOBAL__N_120geam_min_plus_kernelIf15HIP_vector_typeIfLj2EEfLi32ELi8ELi128ELi128ELi4ELi4ELi64ELi4ELi64ELc84ELc78ELb0ELb1ELb1EPKfS3_fEEviiiT16_PT17_ilS7_ilS5_S7_ilPT18_ili26rocblas_geam_ex_operation_,"axG",@progbits,_ZN12_GLOBAL__N_120geam_min_plus_kernelIf15HIP_vector_typeIfLj2EEfLi32ELi8ELi128ELi128ELi4ELi4ELi64ELi4ELi64ELc84ELc78ELb0ELb1ELb1EPKfS3_fEEviiiT16_PT17_ilS7_ilS5_S7_ilPT18_ili26rocblas_geam_ex_operation_,comdat
.Lfunc_end63:
	.size	_ZN12_GLOBAL__N_120geam_min_plus_kernelIf15HIP_vector_typeIfLj2EEfLi32ELi8ELi128ELi128ELi4ELi4ELi64ELi4ELi64ELc84ELc78ELb0ELb1ELb1EPKfS3_fEEviiiT16_PT17_ilS7_ilS5_S7_ilPT18_ili26rocblas_geam_ex_operation_, .Lfunc_end63-_ZN12_GLOBAL__N_120geam_min_plus_kernelIf15HIP_vector_typeIfLj2EEfLi32ELi8ELi128ELi128ELi4ELi4ELi64ELi4ELi64ELc84ELc78ELb0ELb1ELb1EPKfS3_fEEviiiT16_PT17_ilS7_ilS5_S7_ilPT18_ili26rocblas_geam_ex_operation_
                                        ; -- End function
	.set _ZN12_GLOBAL__N_120geam_min_plus_kernelIf15HIP_vector_typeIfLj2EEfLi32ELi8ELi128ELi128ELi4ELi4ELi64ELi4ELi64ELc84ELc78ELb0ELb1ELb1EPKfS3_fEEviiiT16_PT17_ilS7_ilS5_S7_ilPT18_ili26rocblas_geam_ex_operation_.num_vgpr, 132
	.set _ZN12_GLOBAL__N_120geam_min_plus_kernelIf15HIP_vector_typeIfLj2EEfLi32ELi8ELi128ELi128ELi4ELi4ELi64ELi4ELi64ELc84ELc78ELb0ELb1ELb1EPKfS3_fEEviiiT16_PT17_ilS7_ilS5_S7_ilPT18_ili26rocblas_geam_ex_operation_.num_agpr, 0
	.set _ZN12_GLOBAL__N_120geam_min_plus_kernelIf15HIP_vector_typeIfLj2EEfLi32ELi8ELi128ELi128ELi4ELi4ELi64ELi4ELi64ELc84ELc78ELb0ELb1ELb1EPKfS3_fEEviiiT16_PT17_ilS7_ilS5_S7_ilPT18_ili26rocblas_geam_ex_operation_.numbered_sgpr, 40
	.set _ZN12_GLOBAL__N_120geam_min_plus_kernelIf15HIP_vector_typeIfLj2EEfLi32ELi8ELi128ELi128ELi4ELi4ELi64ELi4ELi64ELc84ELc78ELb0ELb1ELb1EPKfS3_fEEviiiT16_PT17_ilS7_ilS5_S7_ilPT18_ili26rocblas_geam_ex_operation_.num_named_barrier, 0
	.set _ZN12_GLOBAL__N_120geam_min_plus_kernelIf15HIP_vector_typeIfLj2EEfLi32ELi8ELi128ELi128ELi4ELi4ELi64ELi4ELi64ELc84ELc78ELb0ELb1ELb1EPKfS3_fEEviiiT16_PT17_ilS7_ilS5_S7_ilPT18_ili26rocblas_geam_ex_operation_.private_seg_size, 0
	.set _ZN12_GLOBAL__N_120geam_min_plus_kernelIf15HIP_vector_typeIfLj2EEfLi32ELi8ELi128ELi128ELi4ELi4ELi64ELi4ELi64ELc84ELc78ELb0ELb1ELb1EPKfS3_fEEviiiT16_PT17_ilS7_ilS5_S7_ilPT18_ili26rocblas_geam_ex_operation_.uses_vcc, 1
	.set _ZN12_GLOBAL__N_120geam_min_plus_kernelIf15HIP_vector_typeIfLj2EEfLi32ELi8ELi128ELi128ELi4ELi4ELi64ELi4ELi64ELc84ELc78ELb0ELb1ELb1EPKfS3_fEEviiiT16_PT17_ilS7_ilS5_S7_ilPT18_ili26rocblas_geam_ex_operation_.uses_flat_scratch, 0
	.set _ZN12_GLOBAL__N_120geam_min_plus_kernelIf15HIP_vector_typeIfLj2EEfLi32ELi8ELi128ELi128ELi4ELi4ELi64ELi4ELi64ELc84ELc78ELb0ELb1ELb1EPKfS3_fEEviiiT16_PT17_ilS7_ilS5_S7_ilPT18_ili26rocblas_geam_ex_operation_.has_dyn_sized_stack, 0
	.set _ZN12_GLOBAL__N_120geam_min_plus_kernelIf15HIP_vector_typeIfLj2EEfLi32ELi8ELi128ELi128ELi4ELi4ELi64ELi4ELi64ELc84ELc78ELb0ELb1ELb1EPKfS3_fEEviiiT16_PT17_ilS7_ilS5_S7_ilPT18_ili26rocblas_geam_ex_operation_.has_recursion, 0
	.set _ZN12_GLOBAL__N_120geam_min_plus_kernelIf15HIP_vector_typeIfLj2EEfLi32ELi8ELi128ELi128ELi4ELi4ELi64ELi4ELi64ELc84ELc78ELb0ELb1ELb1EPKfS3_fEEviiiT16_PT17_ilS7_ilS5_S7_ilPT18_ili26rocblas_geam_ex_operation_.has_indirect_call, 0
	.section	.AMDGPU.csdata,"",@progbits
; Kernel info:
; codeLenInByte = 14948
; TotalNumSgprs: 46
; NumVgprs: 132
; NumAgprs: 0
; TotalNumVgprs: 132
; ScratchSize: 0
; MemoryBound: 0
; FloatMode: 240
; IeeeMode: 1
; LDSByteSize: 8192 bytes/workgroup (compile time only)
; SGPRBlocks: 5
; VGPRBlocks: 16
; NumSGPRsForWavesPerEU: 46
; NumVGPRsForWavesPerEU: 132
; AccumOffset: 132
; Occupancy: 3
; WaveLimiterHint : 0
; COMPUTE_PGM_RSRC2:SCRATCH_EN: 0
; COMPUTE_PGM_RSRC2:USER_SGPR: 2
; COMPUTE_PGM_RSRC2:TRAP_HANDLER: 0
; COMPUTE_PGM_RSRC2:TGID_X_EN: 1
; COMPUTE_PGM_RSRC2:TGID_Y_EN: 0
; COMPUTE_PGM_RSRC2:TGID_Z_EN: 1
; COMPUTE_PGM_RSRC2:TIDIG_COMP_CNT: 1
; COMPUTE_PGM_RSRC3_GFX90A:ACCUM_OFFSET: 32
; COMPUTE_PGM_RSRC3_GFX90A:TG_SPLIT: 0
	.section	.text._ZN12_GLOBAL__N_120geam_min_plus_kernelIf15HIP_vector_typeIfLj2EEfLi32ELi8ELi128ELi128ELi4ELi4ELi64ELi4ELi64ELc84ELc78ELb1ELb1ELb1EfKffEEviiiT16_PT17_ilS6_ilS4_S6_ilPT18_ili26rocblas_geam_ex_operation_,"axG",@progbits,_ZN12_GLOBAL__N_120geam_min_plus_kernelIf15HIP_vector_typeIfLj2EEfLi32ELi8ELi128ELi128ELi4ELi4ELi64ELi4ELi64ELc84ELc78ELb1ELb1ELb1EfKffEEviiiT16_PT17_ilS6_ilS4_S6_ilPT18_ili26rocblas_geam_ex_operation_,comdat
	.globl	_ZN12_GLOBAL__N_120geam_min_plus_kernelIf15HIP_vector_typeIfLj2EEfLi32ELi8ELi128ELi128ELi4ELi4ELi64ELi4ELi64ELc84ELc78ELb1ELb1ELb1EfKffEEviiiT16_PT17_ilS6_ilS4_S6_ilPT18_ili26rocblas_geam_ex_operation_ ; -- Begin function _ZN12_GLOBAL__N_120geam_min_plus_kernelIf15HIP_vector_typeIfLj2EEfLi32ELi8ELi128ELi128ELi4ELi4ELi64ELi4ELi64ELc84ELc78ELb1ELb1ELb1EfKffEEviiiT16_PT17_ilS6_ilS4_S6_ilPT18_ili26rocblas_geam_ex_operation_
	.p2align	8
	.type	_ZN12_GLOBAL__N_120geam_min_plus_kernelIf15HIP_vector_typeIfLj2EEfLi32ELi8ELi128ELi128ELi4ELi4ELi64ELi4ELi64ELc84ELc78ELb1ELb1ELb1EfKffEEviiiT16_PT17_ilS6_ilS4_S6_ilPT18_ili26rocblas_geam_ex_operation_,@function
_ZN12_GLOBAL__N_120geam_min_plus_kernelIf15HIP_vector_typeIfLj2EEfLi32ELi8ELi128ELi128ELi4ELi4ELi64ELi4ELi64ELc84ELc78ELb1ELb1ELb1EfKffEEviiiT16_PT17_ilS6_ilS4_S6_ilPT18_ili26rocblas_geam_ex_operation_: ; @_ZN12_GLOBAL__N_120geam_min_plus_kernelIf15HIP_vector_typeIfLj2EEfLi32ELi8ELi128ELi128ELi4ELi4ELi64ELi4ELi64ELc84ELc78ELb1ELb1ELb1EfKffEEviiiT16_PT17_ilS6_ilS4_S6_ilPT18_ili26rocblas_geam_ex_operation_
; %bb.0:
	s_load_dwordx4 s[12:15], s[0:1], 0x0
	s_load_dwordx4 s[4:7], s[0:1], 0x20
	s_waitcnt lgkmcnt(0)
	v_cmp_eq_f32_e64 s[8:9], s15, 0
	s_and_b64 vcc, exec, s[8:9]
	s_cbranch_vccnz .LBB64_53
; %bb.1:
	s_load_dwordx2 s[10:11], s[0:1], 0x10
	s_mul_i32 s5, s5, s3
	s_mul_hi_u32 s15, s4, s3
	s_add_i32 s5, s15, s5
	s_mul_i32 s4, s4, s3
	s_lshl_b64 s[4:5], s[4:5], 2
	s_waitcnt lgkmcnt(0)
	s_add_u32 s24, s10, s4
	s_addc_u32 s25, s11, s5
	s_andn2_b64 vcc, exec, s[8:9]
	s_mov_b64 s[4:5], -1
	s_cbranch_vccnz .LBB64_3
.LBB64_2:
	s_mov_b64 s[4:5], 0
.LBB64_3:
	s_mov_b64 s[20:21], 0
	s_andn2_b64 vcc, exec, s[4:5]
	s_mov_b64 s[26:27], 0
	s_cbranch_vccnz .LBB64_5
; %bb.4:
	s_load_dwordx2 s[4:5], s[0:1], 0x38
	s_waitcnt lgkmcnt(0)
	s_mul_i32 s5, s5, s3
	s_mul_hi_u32 s8, s4, s3
	s_add_i32 s5, s8, s5
	s_mul_i32 s4, s4, s3
	s_lshl_b64 s[4:5], s[4:5], 2
	s_add_u32 s26, s6, s4
	s_addc_u32 s27, s7, s5
.LBB64_5:
	s_load_dword s28, s[0:1], 0x40
	s_load_dwordx4 s[16:19], s[0:1], 0x58
	s_waitcnt lgkmcnt(0)
	v_cmp_eq_f32_e64 s[4:5], s28, 0
	v_cmp_neq_f32_e64 s[22:23], s28, 0
	s_and_b64 vcc, exec, s[4:5]
	s_cbranch_vccnz .LBB64_7
; %bb.6:
	s_load_dwordx2 s[4:5], s[0:1], 0x48
	s_mul_i32 s6, s17, s3
	s_mul_hi_u32 s7, s16, s3
	s_add_i32 s7, s7, s6
	s_mul_i32 s6, s16, s3
	s_lshl_b64 s[6:7], s[6:7], 2
	s_waitcnt lgkmcnt(0)
	s_add_u32 s20, s4, s6
	s_addc_u32 s21, s5, s7
.LBB64_7:
	s_add_i32 s4, s12, -1
	s_ashr_i32 s5, s4, 31
	s_lshr_b32 s5, s5, 25
	s_add_i32 s4, s4, s5
	s_ashr_i32 s4, s4, 7
	s_add_i32 s5, s4, 1
	v_cvt_f32_u32_e32 v1, s5
	v_and_b32_e32 v97, 0x3ff, v0
	v_bfe_u32 v98, v0, 10, 10
	v_and_b32_e32 v104, 3, v0
	v_rcp_iflag_f32_e32 v1, v1
	s_not_b32 s4, s4
	s_load_dword s30, s[0:1], 0x18
	v_cmp_le_i32_e32 vcc, s14, v104
	v_mul_f32_e32 v0, 0x4f7ffffe, v1
	v_cvt_u32_f32_e32 v0, v0
	v_lshl_add_u32 v1, v98, 5, v97
	v_lshrrev_b32_e32 v14, 2, v1
	v_mov_b32_e32 v13, 0
	v_readfirstlane_b32 s6, v0
	s_mul_i32 s4, s4, s6
	s_mul_hi_u32 s4, s6, s4
	s_add_i32 s6, s6, s4
	s_mul_hi_u32 s4, s2, s6
	s_mul_i32 s6, s4, s5
	s_sub_i32 s6, s2, s6
	s_add_i32 s7, s4, 1
	s_sub_i32 s8, s6, s5
	s_cmp_ge_u32 s6, s5
	s_cselect_b32 s4, s7, s4
	s_cselect_b32 s6, s8, s6
	s_add_i32 s7, s4, 1
	s_cmp_ge_u32 s6, s5
	s_cselect_b32 s8, s7, s4
	s_mul_i32 s4, s8, s5
	s_sub_i32 s2, s2, s4
	s_lshl_b32 s2, s2, 7
	v_add_u32_e32 v15, s2, v14
	v_lshlrev_b32_e32 v12, 2, v104
	v_cmp_le_i32_e64 s[10:11], s12, v15
	v_lshl_add_u64 v[0:1], s[24:25], 0, v[12:13]
	s_nor_b64 s[6:7], vcc, s[10:11]
	v_mov_b32_e32 v4, 0x7f7fffff
	v_mov_b32_e32 v5, 0x7f7fffff
	s_and_saveexec_b64 s[4:5], s[6:7]
	s_cbranch_execz .LBB64_9
; %bb.8:
	s_waitcnt lgkmcnt(0)
	v_mad_i64_i32 v[2:3], s[6:7], v15, s30, 0
	v_lshl_add_u64 v[2:3], v[2:3], 2, v[0:1]
	global_load_dword v5, v[2:3], off
.LBB64_9:
	s_or_b64 exec, exec, s[4:5]
	v_add_u32_e32 v16, 64, v15
	v_cmp_le_i32_e64 s[4:5], s12, v16
	s_nor_b64 s[16:17], vcc, s[4:5]
	s_and_saveexec_b64 s[6:7], s[16:17]
	s_cbranch_execz .LBB64_11
; %bb.10:
	s_waitcnt lgkmcnt(0)
	v_mad_i64_i32 v[2:3], s[16:17], v16, s30, 0
	v_lshl_add_u64 v[2:3], v[2:3], 2, v[0:1]
	global_load_dword v4, v[2:3], off
.LBB64_11:
	s_or_b64 exec, exec, s[6:7]
	s_load_dword s31, s[0:1], 0x30
	s_lshl_b32 s29, s8, 7
	v_add_u32_e32 v17, s29, v14
	v_mov_b32_e32 v13, 0
	v_cmp_le_i32_e64 s[6:7], s13, v17
	v_lshl_add_u64 v[2:3], s[26:27], 0, v[12:13]
	s_nor_b64 s[16:17], vcc, s[6:7]
	v_mov_b32_e32 v6, 0x7f7fffff
	v_mov_b32_e32 v7, 0x7f7fffff
	s_and_saveexec_b64 s[8:9], s[16:17]
	s_cbranch_execz .LBB64_13
; %bb.12:
	s_waitcnt lgkmcnt(0)
	v_mad_i64_i32 v[8:9], s[16:17], v17, s31, 0
	v_lshl_add_u64 v[8:9], v[8:9], 2, v[2:3]
	global_load_dword v7, v[8:9], off
.LBB64_13:
	s_or_b64 exec, exec, s[8:9]
	v_add_u32_e32 v13, 64, v17
	v_cmp_le_i32_e64 s[8:9], s13, v13
	s_nor_b64 s[34:35], vcc, s[8:9]
	s_and_saveexec_b64 s[16:17], s[34:35]
	s_cbranch_execz .LBB64_15
; %bb.14:
	s_waitcnt lgkmcnt(0)
	v_mad_i64_i32 v[8:9], s[34:35], v13, s31, 0
	v_lshl_add_u64 v[8:9], v[8:9], 2, v[2:3]
	global_load_dword v6, v[8:9], off
.LBB64_15:
	s_or_b64 exec, exec, s[16:17]
	v_or_b32_e32 v8, 4, v104
	v_cmp_le_i32_e32 vcc, s14, v8
	s_nor_b64 s[34:35], vcc, s[10:11]
	v_mov_b32_e32 v18, 0x7f7fffff
	v_mov_b32_e32 v19, 0x7f7fffff
	s_and_saveexec_b64 s[16:17], s[34:35]
	s_cbranch_execz .LBB64_17
; %bb.16:
	s_waitcnt lgkmcnt(0)
	v_mad_i64_i32 v[8:9], s[34:35], v15, s30, 0
	v_lshl_add_u64 v[8:9], v[8:9], 2, v[0:1]
	global_load_dword v19, v[8:9], off offset:16
.LBB64_17:
	s_or_b64 exec, exec, s[16:17]
	s_nor_b64 s[34:35], vcc, s[4:5]
	s_and_saveexec_b64 s[16:17], s[34:35]
	s_cbranch_execz .LBB64_19
; %bb.18:
	s_waitcnt lgkmcnt(0)
	v_mad_i64_i32 v[8:9], s[34:35], v16, s30, 0
	v_lshl_add_u64 v[0:1], v[8:9], 2, v[0:1]
	global_load_dword v18, v[0:1], off offset:16
.LBB64_19:
	s_or_b64 exec, exec, s[16:17]
	s_nor_b64 s[34:35], vcc, s[6:7]
	v_mov_b32_e32 v20, 0x7f7fffff
	v_mov_b32_e32 v21, 0x7f7fffff
	s_and_saveexec_b64 s[16:17], s[34:35]
	s_cbranch_execz .LBB64_21
; %bb.20:
	s_waitcnt lgkmcnt(0)
	v_mad_i64_i32 v[0:1], s[34:35], v17, s31, 0
	v_lshl_add_u64 v[0:1], v[0:1], 2, v[2:3]
	global_load_dword v21, v[0:1], off offset:16
.LBB64_21:
	s_or_b64 exec, exec, s[16:17]
	s_nor_b64 s[34:35], vcc, s[8:9]
	s_and_saveexec_b64 s[16:17], s[34:35]
	s_cbranch_execz .LBB64_23
; %bb.22:
	s_waitcnt lgkmcnt(0)
	v_mad_i64_i32 v[0:1], s[34:35], v13, s31, 0
	v_lshl_add_u64 v[0:1], v[0:1], 2, v[2:3]
	global_load_dword v20, v[0:1], off offset:16
.LBB64_23:
	s_or_b64 exec, exec, s[16:17]
	v_lshlrev_b32_e32 v0, 4, v14
	v_lshl_or_b32 v105, v104, 2, v0
	v_mov_b32_e32 v0, 0x1000
	v_add_u32_e32 v106, 0x1000, v105
	v_lshlrev_b32_e32 v107, 4, v97
	v_lshl_add_u32 v108, v98, 4, v0
	v_mov_b32_e32 v103, 0x7f7fffff
	s_mov_b32 s15, 0
	s_mov_b64 s[16:17], -1
	v_mov_b32_e32 v102, 0x7f7fffff
	v_mov_b32_e32 v101, 0x7f7fffff
	;; [unrolled: 1-line block ×63, first 2 shown]
	s_waitcnt vmcnt(0)
	ds_write2st64_b32 v105, v5, v4 offset1:4
	ds_write2st64_b32 v105, v7, v6 offset0:16 offset1:20
	s_waitcnt lgkmcnt(0)
	s_barrier
.LBB64_24:                              ; =>This Inner Loop Header: Depth=1
	v_cndmask_b32_e64 v0, 0, 1, s[16:17]
	s_lshl_b32 s15, s15, 2
	v_cmp_ne_u32_e32 vcc, 1, v0
	v_add_u32_e32 v0, s15, v107
	ds_read2st64_b64 v[4:7], v0 offset1:1
	ds_read2st64_b64 v[0:3], v0 offset0:2 offset1:3
	v_add_u32_e32 v8, s15, v108
	ds_read2_b64 v[22:25], v8 offset1:16
	ds_read2_b64 v[26:29], v8 offset0:32 offset1:48
	ds_read2_b64 v[30:33], v8 offset0:64 offset1:80
	;; [unrolled: 1-line block ×7, first 2 shown]
	s_mov_b64 s[16:17], 0
	s_waitcnt lgkmcnt(7)
	v_pk_add_f32 v[122:123], v[4:5], v[22:23]
	s_and_b64 vcc, exec, vcc
	v_min3_f32 v103, v122, v123, v103
	v_pk_add_f32 v[122:123], v[6:7], v[22:23]
	s_mov_b32 s15, 2
	v_min3_f32 v102, v122, v123, v102
	v_pk_add_f32 v[122:123], v[0:1], v[22:23]
	v_pk_add_f32 v[22:23], v[2:3], v[22:23]
	v_min3_f32 v101, v122, v123, v101
	v_min3_f32 v100, v22, v23, v100
	v_pk_add_f32 v[22:23], v[4:5], v[24:25]
	s_nop 0
	v_min3_f32 v99, v22, v23, v99
	v_pk_add_f32 v[22:23], v[6:7], v[24:25]
	s_nop 0
	v_min3_f32 v96, v22, v23, v96
	v_pk_add_f32 v[22:23], v[0:1], v[24:25]
	s_nop 0
	v_min3_f32 v95, v22, v23, v95
	v_pk_add_f32 v[22:23], v[2:3], v[24:25]
	s_nop 0
	v_min3_f32 v94, v22, v23, v94
	s_waitcnt lgkmcnt(6)
	v_pk_add_f32 v[22:23], v[4:5], v[26:27]
	s_nop 0
	v_min3_f32 v93, v22, v23, v93
	v_pk_add_f32 v[22:23], v[6:7], v[26:27]
	s_nop 0
	v_min3_f32 v92, v22, v23, v92
	v_pk_add_f32 v[22:23], v[0:1], v[26:27]
	s_nop 0
	v_min3_f32 v91, v22, v23, v91
	v_pk_add_f32 v[22:23], v[2:3], v[26:27]
	s_nop 0
	v_min3_f32 v90, v22, v23, v90
	v_pk_add_f32 v[22:23], v[4:5], v[28:29]
	s_nop 0
	v_min3_f32 v89, v22, v23, v89
	v_pk_add_f32 v[22:23], v[6:7], v[28:29]
	s_nop 0
	v_min3_f32 v88, v22, v23, v88
	v_pk_add_f32 v[22:23], v[0:1], v[28:29]
	s_nop 0
	v_min3_f32 v87, v22, v23, v87
	v_pk_add_f32 v[22:23], v[2:3], v[28:29]
	s_nop 0
	v_min3_f32 v86, v22, v23, v86
	s_waitcnt lgkmcnt(5)
	v_pk_add_f32 v[22:23], v[4:5], v[30:31]
	s_nop 0
	v_min3_f32 v85, v22, v23, v85
	v_pk_add_f32 v[22:23], v[6:7], v[30:31]
	s_nop 0
	v_min3_f32 v84, v22, v23, v84
	v_pk_add_f32 v[22:23], v[0:1], v[30:31]
	s_nop 0
	v_min3_f32 v83, v22, v23, v83
	v_pk_add_f32 v[22:23], v[2:3], v[30:31]
	s_nop 0
	;; [unrolled: 25-line block ×6, first 2 shown]
	v_min3_f32 v50, v22, v23, v50
	v_pk_add_f32 v[22:23], v[4:5], v[120:121]
	s_nop 0
	v_min3_f32 v49, v22, v23, v49
	v_pk_add_f32 v[22:23], v[6:7], v[120:121]
	s_nop 0
	;; [unrolled: 3-line block ×4, first 2 shown]
	v_min3_f32 v46, v22, v23, v46
	s_waitcnt lgkmcnt(0)
	v_pk_add_f32 v[22:23], v[4:5], v[8:9]
	v_pk_add_f32 v[4:5], v[4:5], v[10:11]
	v_min3_f32 v45, v22, v23, v45
	v_pk_add_f32 v[22:23], v[6:7], v[8:9]
	v_min3_f32 v41, v4, v5, v41
	v_min3_f32 v44, v22, v23, v44
	v_pk_add_f32 v[22:23], v[0:1], v[8:9]
	v_pk_add_f32 v[0:1], v[0:1], v[10:11]
	;; [unrolled: 1-line block ×4, first 2 shown]
	v_min3_f32 v39, v0, v1, v39
	v_pk_add_f32 v[0:1], v[2:3], v[10:11]
	v_min3_f32 v43, v22, v23, v43
	v_min3_f32 v42, v8, v9, v42
	;; [unrolled: 1-line block ×4, first 2 shown]
	s_cbranch_vccz .LBB64_24
; %bb.25:
	v_lshl_or_b32 v0, v14, 4, v12
	s_cmp_lt_i32 s14, 9
	ds_write2st64_b32 v0, v19, v18 offset0:8 offset1:12
	ds_write2st64_b32 v0, v21, v20 offset0:24 offset1:28
	s_waitcnt lgkmcnt(0)
	s_barrier
	s_cbranch_scc1 .LBB64_48
; %bb.26:
	v_add_u32_e32 v109, 0x800, v0
	v_add_u32_e32 v110, 0x1800, v0
	v_mov_b32_e32 v0, 0x800
	v_lshl_add_u32 v111, v97, 4, v0
	v_mov_b32_e32 v0, 0x1800
	s_add_i32 s15, s14, -8
	v_mad_i64_i32 v[20:21], s[16:17], v15, s30, 0
	v_mad_i64_i32 v[22:23], s[16:17], v16, s30, 0
	v_mad_i64_i32 v[24:25], s[16:17], v17, s31, 0
	v_mad_i64_i32 v[26:27], s[16:17], v13, s31, 0
	v_lshl_add_u32 v112, v98, 4, v0
	s_mov_b32 s30, 8
	s_mov_b32 s31, 0
	v_mov_b32_e32 v29, 0
.LBB64_27:                              ; =>This Loop Header: Depth=1
                                        ;     Child Loop BB64_36 Depth 2
                                        ;     Child Loop BB64_46 Depth 2
	v_or_b32_e32 v28, s30, v104
	v_cmp_le_i32_e32 vcc, s14, v28
	v_lshl_add_u64 v[0:1], v[28:29], 2, s[24:25]
	s_nor_b64 s[34:35], s[10:11], vcc
	v_mov_b32_e32 v113, 0x7f7fffff
	v_lshl_add_u64 v[30:31], v[20:21], 2, v[0:1]
	v_mov_b32_e32 v114, 0x7f7fffff
	s_and_saveexec_b64 s[16:17], s[34:35]
	s_cbranch_execz .LBB64_29
; %bb.28:                               ;   in Loop: Header=BB64_27 Depth=1
	global_load_dword v114, v[30:31], off
.LBB64_29:                              ;   in Loop: Header=BB64_27 Depth=1
	s_or_b64 exec, exec, s[16:17]
	s_nor_b64 s[34:35], s[4:5], vcc
	v_lshl_add_u64 v[32:33], v[22:23], 2, v[0:1]
	s_and_saveexec_b64 s[16:17], s[34:35]
	s_cbranch_execz .LBB64_31
; %bb.30:                               ;   in Loop: Header=BB64_27 Depth=1
	global_load_dword v113, v[32:33], off
.LBB64_31:                              ;   in Loop: Header=BB64_27 Depth=1
	s_or_b64 exec, exec, s[16:17]
	v_lshl_add_u64 v[0:1], v[28:29], 2, s[26:27]
	s_nor_b64 s[34:35], s[6:7], vcc
	v_mov_b32_e32 v115, 0x7f7fffff
	v_lshl_add_u64 v[34:35], v[24:25], 2, v[0:1]
	v_mov_b32_e32 v116, 0x7f7fffff
	s_and_saveexec_b64 s[16:17], s[34:35]
	s_cbranch_execz .LBB64_33
; %bb.32:                               ;   in Loop: Header=BB64_27 Depth=1
	global_load_dword v116, v[34:35], off
.LBB64_33:                              ;   in Loop: Header=BB64_27 Depth=1
	s_or_b64 exec, exec, s[16:17]
	s_nor_b64 s[34:35], s[8:9], vcc
	v_lshl_add_u64 v[36:37], v[26:27], 2, v[0:1]
	s_and_saveexec_b64 s[16:17], s[34:35]
	s_cbranch_execz .LBB64_35
; %bb.34:                               ;   in Loop: Header=BB64_27 Depth=1
	global_load_dword v115, v[36:37], off
.LBB64_35:                              ;   in Loop: Header=BB64_27 Depth=1
	s_or_b64 exec, exec, s[16:17]
	s_mov_b32 s33, 0
	s_mov_b64 s[16:17], -1
.LBB64_36:                              ;   Parent Loop BB64_27 Depth=1
                                        ; =>  This Inner Loop Header: Depth=2
	v_cndmask_b32_e64 v0, 0, 1, s[16:17]
	s_lshl_b32 s16, s33, 2
	v_cmp_ne_u32_e32 vcc, 1, v0
	v_add_u32_e32 v0, s16, v111
	ds_read2st64_b64 v[4:7], v0 offset1:1
	ds_read2st64_b64 v[0:3], v0 offset0:2 offset1:3
	v_add_u32_e32 v8, s16, v112
	ds_read2_b64 v[118:121], v8 offset1:16
	ds_read2_b64 v[122:125], v8 offset0:32 offset1:48
	ds_read2_b64 v[126:129], v8 offset0:64 offset1:80
	;; [unrolled: 1-line block ×7, first 2 shown]
	s_mov_b64 s[16:17], 0
	s_waitcnt lgkmcnt(7)
	v_pk_add_f32 v[138:139], v[4:5], v[118:119]
	s_and_b64 vcc, exec, vcc
	v_min3_f32 v103, v138, v139, v103
	v_pk_add_f32 v[138:139], v[6:7], v[118:119]
	s_mov_b32 s33, 2
	v_min3_f32 v102, v138, v139, v102
	v_pk_add_f32 v[138:139], v[0:1], v[118:119]
	v_pk_add_f32 v[118:119], v[2:3], v[118:119]
	v_min3_f32 v101, v138, v139, v101
	v_min3_f32 v100, v118, v119, v100
	v_pk_add_f32 v[118:119], v[4:5], v[120:121]
	s_nop 0
	v_min3_f32 v99, v118, v119, v99
	v_pk_add_f32 v[118:119], v[6:7], v[120:121]
	s_nop 0
	v_min3_f32 v96, v118, v119, v96
	v_pk_add_f32 v[118:119], v[0:1], v[120:121]
	s_nop 0
	v_min3_f32 v95, v118, v119, v95
	v_pk_add_f32 v[118:119], v[2:3], v[120:121]
	s_nop 0
	v_min3_f32 v94, v118, v119, v94
	s_waitcnt lgkmcnt(6)
	v_pk_add_f32 v[118:119], v[4:5], v[122:123]
	s_nop 0
	v_min3_f32 v93, v118, v119, v93
	v_pk_add_f32 v[118:119], v[6:7], v[122:123]
	s_nop 0
	v_min3_f32 v92, v118, v119, v92
	v_pk_add_f32 v[118:119], v[0:1], v[122:123]
	s_nop 0
	v_min3_f32 v91, v118, v119, v91
	v_pk_add_f32 v[118:119], v[2:3], v[122:123]
	s_nop 0
	v_min3_f32 v90, v118, v119, v90
	v_pk_add_f32 v[118:119], v[4:5], v[124:125]
	s_nop 0
	v_min3_f32 v89, v118, v119, v89
	v_pk_add_f32 v[118:119], v[6:7], v[124:125]
	s_nop 0
	v_min3_f32 v88, v118, v119, v88
	v_pk_add_f32 v[118:119], v[0:1], v[124:125]
	s_nop 0
	v_min3_f32 v87, v118, v119, v87
	v_pk_add_f32 v[118:119], v[2:3], v[124:125]
	s_nop 0
	v_min3_f32 v86, v118, v119, v86
	s_waitcnt lgkmcnt(5)
	v_pk_add_f32 v[118:119], v[4:5], v[126:127]
	s_nop 0
	v_min3_f32 v85, v118, v119, v85
	v_pk_add_f32 v[118:119], v[6:7], v[126:127]
	s_nop 0
	v_min3_f32 v84, v118, v119, v84
	v_pk_add_f32 v[118:119], v[0:1], v[126:127]
	s_nop 0
	v_min3_f32 v83, v118, v119, v83
	v_pk_add_f32 v[118:119], v[2:3], v[126:127]
	s_nop 0
	;; [unrolled: 25-line block ×4, first 2 shown]
	v_min3_f32 v66, v118, v119, v66
	v_pk_add_f32 v[118:119], v[4:5], v[136:137]
	s_nop 0
	v_min3_f32 v65, v118, v119, v65
	v_pk_add_f32 v[118:119], v[6:7], v[136:137]
	s_nop 0
	;; [unrolled: 3-line block ×4, first 2 shown]
	v_min3_f32 v62, v118, v119, v62
	s_waitcnt lgkmcnt(2)
	v_pk_add_f32 v[118:119], v[4:5], v[16:17]
	s_nop 0
	v_min3_f32 v61, v118, v119, v61
	v_pk_add_f32 v[118:119], v[6:7], v[16:17]
	s_nop 0
	v_min3_f32 v60, v118, v119, v60
	v_pk_add_f32 v[118:119], v[0:1], v[16:17]
	v_pk_add_f32 v[16:17], v[2:3], v[16:17]
	v_min3_f32 v59, v118, v119, v59
	v_min3_f32 v58, v16, v17, v58
	v_pk_add_f32 v[16:17], v[4:5], v[18:19]
	s_nop 0
	v_min3_f32 v57, v16, v17, v57
	v_pk_add_f32 v[16:17], v[6:7], v[18:19]
	s_nop 0
	;; [unrolled: 3-line block ×4, first 2 shown]
	v_min3_f32 v54, v16, v17, v54
	s_waitcnt lgkmcnt(1)
	v_pk_add_f32 v[16:17], v[4:5], v[12:13]
	s_nop 0
	v_min3_f32 v53, v16, v17, v53
	v_pk_add_f32 v[16:17], v[6:7], v[12:13]
	s_nop 0
	v_min3_f32 v52, v16, v17, v52
	v_pk_add_f32 v[16:17], v[0:1], v[12:13]
	v_pk_add_f32 v[12:13], v[2:3], v[12:13]
	v_min3_f32 v51, v16, v17, v51
	v_min3_f32 v50, v12, v13, v50
	v_pk_add_f32 v[12:13], v[4:5], v[14:15]
	s_nop 0
	v_min3_f32 v49, v12, v13, v49
	v_pk_add_f32 v[12:13], v[6:7], v[14:15]
	s_nop 0
	;; [unrolled: 3-line block ×4, first 2 shown]
	v_min3_f32 v46, v12, v13, v46
	s_waitcnt lgkmcnt(0)
	v_pk_add_f32 v[12:13], v[4:5], v[8:9]
	v_pk_add_f32 v[4:5], v[4:5], v[10:11]
	v_min3_f32 v45, v12, v13, v45
	v_pk_add_f32 v[12:13], v[6:7], v[8:9]
	v_min3_f32 v41, v4, v5, v41
	v_min3_f32 v44, v12, v13, v44
	v_pk_add_f32 v[12:13], v[0:1], v[8:9]
	v_pk_add_f32 v[0:1], v[0:1], v[10:11]
	;; [unrolled: 1-line block ×4, first 2 shown]
	v_min3_f32 v39, v0, v1, v39
	v_pk_add_f32 v[0:1], v[2:3], v[10:11]
	v_min3_f32 v43, v12, v13, v43
	v_min3_f32 v42, v8, v9, v42
	;; [unrolled: 1-line block ×4, first 2 shown]
	s_cbranch_vccz .LBB64_36
; %bb.37:                               ;   in Loop: Header=BB64_27 Depth=1
	v_or_b32_e32 v0, 4, v28
	v_cmp_le_i32_e32 vcc, s14, v0
	s_nor_b64 s[34:35], s[10:11], vcc
	v_mov_b32_e32 v12, 0x7f7fffff
	v_mov_b32_e32 v13, 0x7f7fffff
	s_waitcnt vmcnt(0)
	ds_write2st64_b32 v105, v114, v113 offset1:4
	ds_write2st64_b32 v106, v116, v115 offset1:4
	s_waitcnt lgkmcnt(0)
	s_barrier
	s_and_saveexec_b64 s[16:17], s[34:35]
	s_cbranch_execz .LBB64_39
; %bb.38:                               ;   in Loop: Header=BB64_27 Depth=1
	global_load_dword v13, v[30:31], off offset:16
.LBB64_39:                              ;   in Loop: Header=BB64_27 Depth=1
	s_or_b64 exec, exec, s[16:17]
	s_nor_b64 s[34:35], s[4:5], vcc
	s_and_saveexec_b64 s[16:17], s[34:35]
	s_cbranch_execz .LBB64_41
; %bb.40:                               ;   in Loop: Header=BB64_27 Depth=1
	global_load_dword v12, v[32:33], off offset:16
.LBB64_41:                              ;   in Loop: Header=BB64_27 Depth=1
	s_or_b64 exec, exec, s[16:17]
	s_nor_b64 s[34:35], s[6:7], vcc
	v_mov_b32_e32 v14, 0x7f7fffff
	v_mov_b32_e32 v15, 0x7f7fffff
	s_and_saveexec_b64 s[16:17], s[34:35]
	s_cbranch_execz .LBB64_43
; %bb.42:                               ;   in Loop: Header=BB64_27 Depth=1
	global_load_dword v15, v[34:35], off offset:16
.LBB64_43:                              ;   in Loop: Header=BB64_27 Depth=1
	s_or_b64 exec, exec, s[16:17]
	s_nor_b64 s[34:35], s[8:9], vcc
	s_and_saveexec_b64 s[16:17], s[34:35]
	s_cbranch_execz .LBB64_45
; %bb.44:                               ;   in Loop: Header=BB64_27 Depth=1
	global_load_dword v14, v[36:37], off offset:16
.LBB64_45:                              ;   in Loop: Header=BB64_27 Depth=1
	s_or_b64 exec, exec, s[16:17]
	s_mov_b32 s33, 0
	s_mov_b64 s[16:17], -1
.LBB64_46:                              ;   Parent Loop BB64_27 Depth=1
                                        ; =>  This Inner Loop Header: Depth=2
	v_cndmask_b32_e64 v0, 0, 1, s[16:17]
	s_lshl_b32 s16, s33, 2
	v_cmp_ne_u32_e32 vcc, 1, v0
	v_add_u32_e32 v0, s16, v107
	ds_read2st64_b64 v[4:7], v0 offset1:1
	ds_read2st64_b64 v[0:3], v0 offset0:2 offset1:3
	v_add_u32_e32 v8, s16, v108
	ds_read2_b64 v[16:19], v8 offset1:16
	ds_read2_b64 v[30:33], v8 offset0:32 offset1:48
	ds_read2_b64 v[34:37], v8 offset0:64 offset1:80
	;; [unrolled: 1-line block ×7, first 2 shown]
	s_mov_b64 s[16:17], 0
	s_waitcnt lgkmcnt(7)
	v_pk_add_f32 v[130:131], v[4:5], v[16:17]
	s_and_b64 vcc, exec, vcc
	v_min3_f32 v103, v130, v131, v103
	v_pk_add_f32 v[130:131], v[6:7], v[16:17]
	s_mov_b32 s33, 2
	v_min3_f32 v102, v130, v131, v102
	v_pk_add_f32 v[130:131], v[0:1], v[16:17]
	v_pk_add_f32 v[16:17], v[2:3], v[16:17]
	v_min3_f32 v101, v130, v131, v101
	v_min3_f32 v100, v16, v17, v100
	v_pk_add_f32 v[16:17], v[4:5], v[18:19]
	s_nop 0
	v_min3_f32 v99, v16, v17, v99
	v_pk_add_f32 v[16:17], v[6:7], v[18:19]
	s_nop 0
	v_min3_f32 v96, v16, v17, v96
	v_pk_add_f32 v[16:17], v[0:1], v[18:19]
	s_nop 0
	v_min3_f32 v95, v16, v17, v95
	v_pk_add_f32 v[16:17], v[2:3], v[18:19]
	s_nop 0
	v_min3_f32 v94, v16, v17, v94
	s_waitcnt lgkmcnt(6)
	v_pk_add_f32 v[16:17], v[4:5], v[30:31]
	s_nop 0
	v_min3_f32 v93, v16, v17, v93
	v_pk_add_f32 v[16:17], v[6:7], v[30:31]
	s_nop 0
	v_min3_f32 v92, v16, v17, v92
	v_pk_add_f32 v[16:17], v[0:1], v[30:31]
	s_nop 0
	v_min3_f32 v91, v16, v17, v91
	v_pk_add_f32 v[16:17], v[2:3], v[30:31]
	s_nop 0
	v_min3_f32 v90, v16, v17, v90
	v_pk_add_f32 v[16:17], v[4:5], v[32:33]
	s_nop 0
	v_min3_f32 v89, v16, v17, v89
	v_pk_add_f32 v[16:17], v[6:7], v[32:33]
	s_nop 0
	v_min3_f32 v88, v16, v17, v88
	v_pk_add_f32 v[16:17], v[0:1], v[32:33]
	s_nop 0
	v_min3_f32 v87, v16, v17, v87
	v_pk_add_f32 v[16:17], v[2:3], v[32:33]
	s_nop 0
	v_min3_f32 v86, v16, v17, v86
	s_waitcnt lgkmcnt(5)
	v_pk_add_f32 v[16:17], v[4:5], v[34:35]
	s_nop 0
	v_min3_f32 v85, v16, v17, v85
	v_pk_add_f32 v[16:17], v[6:7], v[34:35]
	s_nop 0
	v_min3_f32 v84, v16, v17, v84
	v_pk_add_f32 v[16:17], v[0:1], v[34:35]
	s_nop 0
	v_min3_f32 v83, v16, v17, v83
	v_pk_add_f32 v[16:17], v[2:3], v[34:35]
	s_nop 0
	;; [unrolled: 25-line block ×6, first 2 shown]
	v_min3_f32 v50, v16, v17, v50
	v_pk_add_f32 v[16:17], v[4:5], v[128:129]
	s_nop 0
	v_min3_f32 v49, v16, v17, v49
	v_pk_add_f32 v[16:17], v[6:7], v[128:129]
	s_nop 0
	;; [unrolled: 3-line block ×4, first 2 shown]
	v_min3_f32 v46, v16, v17, v46
	s_waitcnt lgkmcnt(0)
	v_pk_add_f32 v[16:17], v[4:5], v[8:9]
	v_pk_add_f32 v[4:5], v[4:5], v[10:11]
	v_min3_f32 v45, v16, v17, v45
	v_pk_add_f32 v[16:17], v[6:7], v[8:9]
	v_min3_f32 v41, v4, v5, v41
	v_min3_f32 v44, v16, v17, v44
	v_pk_add_f32 v[16:17], v[0:1], v[8:9]
	v_pk_add_f32 v[0:1], v[0:1], v[10:11]
	v_pk_add_f32 v[8:9], v[2:3], v[8:9]
	v_pk_add_f32 v[4:5], v[6:7], v[10:11]
	v_min3_f32 v39, v0, v1, v39
	v_pk_add_f32 v[0:1], v[2:3], v[10:11]
	v_min3_f32 v43, v16, v17, v43
	v_min3_f32 v42, v8, v9, v42
	;; [unrolled: 1-line block ×4, first 2 shown]
	s_cbranch_vccz .LBB64_46
; %bb.47:                               ;   in Loop: Header=BB64_27 Depth=1
	s_add_i32 s30, s30, 8
	s_add_i32 s31, s31, 8
	s_cmp_ge_i32 s31, s15
	s_waitcnt vmcnt(0)
	ds_write2st64_b32 v109, v13, v12 offset1:4
	ds_write2st64_b32 v110, v15, v14 offset1:4
	s_waitcnt lgkmcnt(0)
	s_barrier
	s_cbranch_scc0 .LBB64_27
.LBB64_48:
	v_mov_b32_e32 v0, 0x800
	v_lshl_add_u32 v12, v97, 4, v0
	v_mov_b32_e32 v0, 0x1800
	v_lshl_add_u32 v13, v98, 4, v0
	s_mov_b32 s6, 0
	s_mov_b64 s[4:5], -1
.LBB64_49:                              ; =>This Inner Loop Header: Depth=1
	v_cndmask_b32_e64 v0, 0, 1, s[4:5]
	s_lshl_b32 s4, s6, 2
	v_cmp_ne_u32_e32 vcc, 1, v0
	v_add_u32_e32 v0, s4, v12
	ds_read2st64_b64 v[4:7], v0 offset1:1
	ds_read2st64_b64 v[0:3], v0 offset0:2 offset1:3
	v_add_u32_e32 v8, s4, v13
	ds_read2_b64 v[14:17], v8 offset1:16
	ds_read2_b64 v[18:21], v8 offset0:32 offset1:48
	ds_read2_b64 v[22:25], v8 offset0:64 offset1:80
	;; [unrolled: 1-line block ×7, first 2 shown]
	s_mov_b64 s[4:5], 0
	s_waitcnt lgkmcnt(7)
	v_pk_add_f32 v[108:109], v[4:5], v[14:15]
	s_and_b64 vcc, exec, vcc
	v_min3_f32 v103, v108, v109, v103
	v_pk_add_f32 v[108:109], v[6:7], v[14:15]
	s_mov_b32 s6, 2
	v_min3_f32 v102, v108, v109, v102
	v_pk_add_f32 v[108:109], v[0:1], v[14:15]
	v_pk_add_f32 v[14:15], v[2:3], v[14:15]
	v_min3_f32 v101, v108, v109, v101
	v_min3_f32 v100, v14, v15, v100
	v_pk_add_f32 v[14:15], v[4:5], v[16:17]
	s_nop 0
	v_min3_f32 v99, v14, v15, v99
	v_pk_add_f32 v[14:15], v[6:7], v[16:17]
	s_nop 0
	v_min3_f32 v96, v14, v15, v96
	v_pk_add_f32 v[14:15], v[0:1], v[16:17]
	s_nop 0
	v_min3_f32 v95, v14, v15, v95
	v_pk_add_f32 v[14:15], v[2:3], v[16:17]
	s_nop 0
	v_min3_f32 v94, v14, v15, v94
	s_waitcnt lgkmcnt(6)
	v_pk_add_f32 v[14:15], v[4:5], v[18:19]
	s_nop 0
	v_min3_f32 v93, v14, v15, v93
	v_pk_add_f32 v[14:15], v[6:7], v[18:19]
	s_nop 0
	v_min3_f32 v92, v14, v15, v92
	v_pk_add_f32 v[14:15], v[0:1], v[18:19]
	s_nop 0
	v_min3_f32 v91, v14, v15, v91
	v_pk_add_f32 v[14:15], v[2:3], v[18:19]
	s_nop 0
	v_min3_f32 v90, v14, v15, v90
	v_pk_add_f32 v[14:15], v[4:5], v[20:21]
	s_nop 0
	v_min3_f32 v89, v14, v15, v89
	v_pk_add_f32 v[14:15], v[6:7], v[20:21]
	s_nop 0
	v_min3_f32 v88, v14, v15, v88
	v_pk_add_f32 v[14:15], v[0:1], v[20:21]
	s_nop 0
	v_min3_f32 v87, v14, v15, v87
	v_pk_add_f32 v[14:15], v[2:3], v[20:21]
	s_nop 0
	v_min3_f32 v86, v14, v15, v86
	s_waitcnt lgkmcnt(5)
	v_pk_add_f32 v[14:15], v[4:5], v[22:23]
	s_nop 0
	v_min3_f32 v85, v14, v15, v85
	v_pk_add_f32 v[14:15], v[6:7], v[22:23]
	s_nop 0
	v_min3_f32 v84, v14, v15, v84
	v_pk_add_f32 v[14:15], v[0:1], v[22:23]
	s_nop 0
	v_min3_f32 v83, v14, v15, v83
	v_pk_add_f32 v[14:15], v[2:3], v[22:23]
	s_nop 0
	;; [unrolled: 25-line block ×6, first 2 shown]
	v_min3_f32 v50, v14, v15, v50
	v_pk_add_f32 v[14:15], v[4:5], v[106:107]
	s_nop 0
	v_min3_f32 v49, v14, v15, v49
	v_pk_add_f32 v[14:15], v[6:7], v[106:107]
	s_nop 0
	;; [unrolled: 3-line block ×4, first 2 shown]
	v_min3_f32 v46, v14, v15, v46
	s_waitcnt lgkmcnt(0)
	v_pk_add_f32 v[14:15], v[4:5], v[8:9]
	v_pk_add_f32 v[4:5], v[4:5], v[10:11]
	v_min3_f32 v45, v14, v15, v45
	v_pk_add_f32 v[14:15], v[6:7], v[8:9]
	v_min3_f32 v41, v4, v5, v41
	v_min3_f32 v44, v14, v15, v44
	v_pk_add_f32 v[14:15], v[0:1], v[8:9]
	v_pk_add_f32 v[0:1], v[0:1], v[10:11]
	;; [unrolled: 1-line block ×4, first 2 shown]
	v_min3_f32 v39, v0, v1, v39
	v_pk_add_f32 v[0:1], v[2:3], v[10:11]
	v_min3_f32 v43, v14, v15, v43
	v_min3_f32 v42, v8, v9, v42
	v_min3_f32 v40, v4, v5, v40
	v_min3_f32 v38, v0, v1, v38
	s_cbranch_vccz .LBB64_49
; %bb.50:
	s_load_dwordx2 s[4:5], s[0:1], 0x70
	s_load_dword s25, s[0:1], 0x50
	s_load_dword s24, s[0:1], 0x68
	v_add_u32_e32 v12, s29, v98
	v_add_u32_e32 v0, s2, v97
	s_waitcnt lgkmcnt(0)
	s_mul_i32 s1, s5, s3
	s_mul_hi_u32 s5, s4, s3
	s_mul_i32 s0, s4, s3
	s_add_i32 s1, s5, s1
	s_lshl_b64 s[0:1], s[0:1], 2
	s_add_u32 s14, s18, s0
	s_addc_u32 s15, s19, s1
	v_mad_i64_i32 v[2:3], s[0:1], v12, s25, 0
	v_lshl_add_u64 v[10:11], v[2:3], 2, s[20:21]
	v_mad_i64_i32 v[2:3], s[0:1], v12, s24, 0
	v_cmp_gt_i32_e64 s[2:3], s12, v0
	v_cmp_gt_i32_e64 s[10:11], s13, v12
	v_lshl_add_u64 v[8:9], v[2:3], 2, s[14:15]
	v_cndmask_b32_e64 v2, 0, 1, s[22:23]
	v_ashrrev_i32_e32 v1, 31, v0
	s_and_b64 s[6:7], s[2:3], s[10:11]
	v_cmp_ne_u32_e64 s[0:1], 1, v2
	s_and_saveexec_b64 s[4:5], s[6:7]
	s_cbranch_execz .LBB64_56
; %bb.51:
	s_and_b64 vcc, exec, s[0:1]
	s_cbranch_vccnz .LBB64_54
; %bb.52:
	v_lshl_add_u64 v[2:3], v[0:1], 2, v[10:11]
	global_load_dword v2, v[2:3], off
	s_waitcnt vmcnt(0)
	v_mul_f32_e32 v2, s28, v2
	s_branch .LBB64_55
.LBB64_53:
	s_mov_b64 s[24:25], 0
	s_andn2_b64 vcc, exec, s[8:9]
	s_mov_b64 s[4:5], -1
	s_cbranch_vccz .LBB64_2
	s_branch .LBB64_3
.LBB64_54:
	v_mov_b32_e32 v2, 0
.LBB64_55:
	v_max_f32_e32 v3, v103, v103
	v_max_f32_e32 v2, v2, v2
	v_min_f32_e32 v4, v2, v3
	v_lshl_add_u64 v[2:3], v[0:1], 2, v[8:9]
	global_store_dword v[2:3], v4, off
.LBB64_56:
	s_or_b64 exec, exec, s[4:5]
	v_add_u32_e32 v2, 32, v0
	v_cmp_gt_i32_e64 s[4:5], s12, v2
	v_ashrrev_i32_e32 v3, 31, v2
	s_and_b64 s[8:9], s[4:5], s[10:11]
	s_and_saveexec_b64 s[6:7], s[8:9]
	s_cbranch_execz .LBB64_61
; %bb.57:
	s_and_b64 vcc, exec, s[0:1]
	s_cbranch_vccnz .LBB64_59
; %bb.58:
	v_lshl_add_u64 v[4:5], v[2:3], 2, v[10:11]
	global_load_dword v4, v[4:5], off
	s_waitcnt vmcnt(0)
	v_mul_f32_e32 v4, s28, v4
	s_branch .LBB64_60
.LBB64_59:
	v_mov_b32_e32 v4, 0
.LBB64_60:
	v_max_f32_e32 v5, v102, v102
	v_max_f32_e32 v4, v4, v4
	v_min_f32_e32 v6, v4, v5
	v_lshl_add_u64 v[4:5], v[2:3], 2, v[8:9]
	global_store_dword v[4:5], v6, off
.LBB64_61:
	s_or_b64 exec, exec, s[6:7]
	v_add_u32_e32 v4, 64, v0
	v_cmp_gt_i32_e64 s[6:7], s12, v4
	v_ashrrev_i32_e32 v5, 31, v4
	s_and_b64 s[16:17], s[6:7], s[10:11]
	s_and_saveexec_b64 s[8:9], s[16:17]
	s_cbranch_execz .LBB64_66
; %bb.62:
	s_and_b64 vcc, exec, s[0:1]
	s_cbranch_vccnz .LBB64_64
; %bb.63:
	v_lshl_add_u64 v[6:7], v[4:5], 2, v[10:11]
	global_load_dword v6, v[6:7], off
	s_waitcnt vmcnt(0)
	v_mul_f32_e32 v6, s28, v6
	s_branch .LBB64_65
.LBB64_64:
	v_mov_b32_e32 v6, 0
.LBB64_65:
	v_max_f32_e32 v7, v101, v101
	v_max_f32_e32 v6, v6, v6
	v_min_f32_e32 v13, v6, v7
	v_lshl_add_u64 v[6:7], v[4:5], 2, v[8:9]
	global_store_dword v[6:7], v13, off
.LBB64_66:
	;; [unrolled: 25-line block ×3, first 2 shown]
	s_or_b64 exec, exec, s[10:11]
	v_add_u32_e32 v13, 8, v12
	v_mad_i64_i32 v[8:9], s[16:17], v13, s25, 0
	v_cmp_gt_i32_e64 s[10:11], s13, v13
	v_lshl_add_u64 v[10:11], v[8:9], 2, s[20:21]
	v_mad_i64_i32 v[8:9], s[16:17], v13, s24, 0
	v_lshl_add_u64 v[8:9], v[8:9], 2, s[14:15]
	s_and_b64 s[18:19], s[2:3], s[10:11]
	s_and_saveexec_b64 s[16:17], s[18:19]
	s_cbranch_execnz .LBB64_75
; %bb.72:
	s_or_b64 exec, exec, s[16:17]
	s_and_b64 s[18:19], s[4:5], s[10:11]
	s_and_saveexec_b64 s[16:17], s[18:19]
	s_cbranch_execnz .LBB64_79
.LBB64_73:
	s_or_b64 exec, exec, s[16:17]
	s_and_b64 s[18:19], s[6:7], s[10:11]
	s_and_saveexec_b64 s[16:17], s[18:19]
	s_cbranch_execnz .LBB64_83
.LBB64_74:
	s_or_b64 exec, exec, s[16:17]
	s_and_b64 s[16:17], s[8:9], s[10:11]
	s_and_saveexec_b64 s[10:11], s[16:17]
	s_cbranch_execnz .LBB64_87
	s_branch .LBB64_91
.LBB64_75:
	s_and_b64 vcc, exec, s[0:1]
	s_cbranch_vccnz .LBB64_77
; %bb.76:
	v_lshl_add_u64 v[14:15], v[0:1], 2, v[10:11]
	global_load_dword v13, v[14:15], off
	s_waitcnt vmcnt(0)
	v_mul_f32_e32 v13, s28, v13
	s_branch .LBB64_78
.LBB64_77:
	v_mov_b32_e32 v13, 0
.LBB64_78:
	v_max_f32_e32 v14, v99, v99
	v_max_f32_e32 v13, v13, v13
	v_min_f32_e32 v13, v13, v14
	v_lshl_add_u64 v[14:15], v[0:1], 2, v[8:9]
	global_store_dword v[14:15], v13, off
	s_or_b64 exec, exec, s[16:17]
	s_and_b64 s[18:19], s[4:5], s[10:11]
	s_and_saveexec_b64 s[16:17], s[18:19]
	s_cbranch_execz .LBB64_73
.LBB64_79:
	s_and_b64 vcc, exec, s[0:1]
	s_cbranch_vccnz .LBB64_81
; %bb.80:
	v_lshl_add_u64 v[14:15], v[2:3], 2, v[10:11]
	global_load_dword v13, v[14:15], off
	s_waitcnt vmcnt(0)
	v_mul_f32_e32 v13, s28, v13
	s_branch .LBB64_82
.LBB64_81:
	v_mov_b32_e32 v13, 0
.LBB64_82:
	v_max_f32_e32 v14, v96, v96
	v_max_f32_e32 v13, v13, v13
	v_min_f32_e32 v13, v13, v14
	v_lshl_add_u64 v[14:15], v[2:3], 2, v[8:9]
	global_store_dword v[14:15], v13, off
	s_or_b64 exec, exec, s[16:17]
	s_and_b64 s[18:19], s[6:7], s[10:11]
	s_and_saveexec_b64 s[16:17], s[18:19]
	s_cbranch_execz .LBB64_74
.LBB64_83:
	s_and_b64 vcc, exec, s[0:1]
	s_cbranch_vccnz .LBB64_85
; %bb.84:
	v_lshl_add_u64 v[14:15], v[4:5], 2, v[10:11]
	global_load_dword v13, v[14:15], off
	s_waitcnt vmcnt(0)
	v_mul_f32_e32 v13, s28, v13
	s_branch .LBB64_86
.LBB64_85:
	v_mov_b32_e32 v13, 0
.LBB64_86:
	v_max_f32_e32 v14, v95, v95
	v_max_f32_e32 v13, v13, v13
	v_min_f32_e32 v13, v13, v14
	v_lshl_add_u64 v[14:15], v[4:5], 2, v[8:9]
	global_store_dword v[14:15], v13, off
	s_or_b64 exec, exec, s[16:17]
	s_and_b64 s[16:17], s[8:9], s[10:11]
	s_and_saveexec_b64 s[10:11], s[16:17]
	s_cbranch_execz .LBB64_91
.LBB64_87:
	s_and_b64 vcc, exec, s[0:1]
	s_cbranch_vccnz .LBB64_89
; %bb.88:
	v_lshl_add_u64 v[10:11], v[6:7], 2, v[10:11]
	global_load_dword v10, v[10:11], off
	s_waitcnt vmcnt(0)
	v_mul_f32_e32 v10, s28, v10
	s_branch .LBB64_90
.LBB64_89:
	v_mov_b32_e32 v10, 0
.LBB64_90:
	v_max_f32_e32 v11, v94, v94
	v_max_f32_e32 v10, v10, v10
	v_min_f32_e32 v10, v10, v11
	v_lshl_add_u64 v[8:9], v[6:7], 2, v[8:9]
	global_store_dword v[8:9], v10, off
.LBB64_91:
	s_or_b64 exec, exec, s[10:11]
	v_add_u32_e32 v13, 16, v12
	v_mad_i64_i32 v[8:9], s[16:17], v13, s25, 0
	v_cmp_gt_i32_e64 s[10:11], s13, v13
	v_lshl_add_u64 v[10:11], v[8:9], 2, s[20:21]
	v_mad_i64_i32 v[8:9], s[16:17], v13, s24, 0
	v_lshl_add_u64 v[8:9], v[8:9], 2, s[14:15]
	s_and_b64 s[18:19], s[2:3], s[10:11]
	s_and_saveexec_b64 s[16:17], s[18:19]
	s_cbranch_execnz .LBB64_95
; %bb.92:
	s_or_b64 exec, exec, s[16:17]
	s_and_b64 s[18:19], s[4:5], s[10:11]
	s_and_saveexec_b64 s[16:17], s[18:19]
	s_cbranch_execnz .LBB64_99
.LBB64_93:
	s_or_b64 exec, exec, s[16:17]
	s_and_b64 s[18:19], s[6:7], s[10:11]
	s_and_saveexec_b64 s[16:17], s[18:19]
	s_cbranch_execnz .LBB64_103
.LBB64_94:
	s_or_b64 exec, exec, s[16:17]
	s_and_b64 s[16:17], s[8:9], s[10:11]
	s_and_saveexec_b64 s[10:11], s[16:17]
	s_cbranch_execnz .LBB64_107
	s_branch .LBB64_111
.LBB64_95:
	s_and_b64 vcc, exec, s[0:1]
	s_cbranch_vccnz .LBB64_97
; %bb.96:
	v_lshl_add_u64 v[14:15], v[0:1], 2, v[10:11]
	global_load_dword v13, v[14:15], off
	s_waitcnt vmcnt(0)
	v_mul_f32_e32 v13, s28, v13
	s_branch .LBB64_98
.LBB64_97:
	v_mov_b32_e32 v13, 0
.LBB64_98:
	v_max_f32_e32 v14, v93, v93
	v_max_f32_e32 v13, v13, v13
	v_min_f32_e32 v13, v13, v14
	v_lshl_add_u64 v[14:15], v[0:1], 2, v[8:9]
	global_store_dword v[14:15], v13, off
	s_or_b64 exec, exec, s[16:17]
	s_and_b64 s[18:19], s[4:5], s[10:11]
	s_and_saveexec_b64 s[16:17], s[18:19]
	s_cbranch_execz .LBB64_93
.LBB64_99:
	s_and_b64 vcc, exec, s[0:1]
	s_cbranch_vccnz .LBB64_101
; %bb.100:
	v_lshl_add_u64 v[14:15], v[2:3], 2, v[10:11]
	global_load_dword v13, v[14:15], off
	s_waitcnt vmcnt(0)
	v_mul_f32_e32 v13, s28, v13
	s_branch .LBB64_102
.LBB64_101:
	v_mov_b32_e32 v13, 0
.LBB64_102:
	v_max_f32_e32 v14, v92, v92
	v_max_f32_e32 v13, v13, v13
	v_min_f32_e32 v13, v13, v14
	v_lshl_add_u64 v[14:15], v[2:3], 2, v[8:9]
	global_store_dword v[14:15], v13, off
	s_or_b64 exec, exec, s[16:17]
	s_and_b64 s[18:19], s[6:7], s[10:11]
	s_and_saveexec_b64 s[16:17], s[18:19]
	s_cbranch_execz .LBB64_94
.LBB64_103:
	s_and_b64 vcc, exec, s[0:1]
	s_cbranch_vccnz .LBB64_105
; %bb.104:
	v_lshl_add_u64 v[14:15], v[4:5], 2, v[10:11]
	global_load_dword v13, v[14:15], off
	s_waitcnt vmcnt(0)
	v_mul_f32_e32 v13, s28, v13
	s_branch .LBB64_106
.LBB64_105:
	v_mov_b32_e32 v13, 0
.LBB64_106:
	v_max_f32_e32 v14, v91, v91
	v_max_f32_e32 v13, v13, v13
	v_min_f32_e32 v13, v13, v14
	v_lshl_add_u64 v[14:15], v[4:5], 2, v[8:9]
	global_store_dword v[14:15], v13, off
	s_or_b64 exec, exec, s[16:17]
	s_and_b64 s[16:17], s[8:9], s[10:11]
	s_and_saveexec_b64 s[10:11], s[16:17]
	s_cbranch_execz .LBB64_111
.LBB64_107:
	s_and_b64 vcc, exec, s[0:1]
	s_cbranch_vccnz .LBB64_109
; %bb.108:
	v_lshl_add_u64 v[10:11], v[6:7], 2, v[10:11]
	global_load_dword v10, v[10:11], off
	s_waitcnt vmcnt(0)
	v_mul_f32_e32 v10, s28, v10
	s_branch .LBB64_110
.LBB64_109:
	v_mov_b32_e32 v10, 0
.LBB64_110:
	v_max_f32_e32 v11, v90, v90
	v_max_f32_e32 v10, v10, v10
	v_min_f32_e32 v10, v10, v11
	v_lshl_add_u64 v[8:9], v[6:7], 2, v[8:9]
	global_store_dword v[8:9], v10, off
.LBB64_111:
	s_or_b64 exec, exec, s[10:11]
	v_add_u32_e32 v13, 24, v12
	v_mad_i64_i32 v[8:9], s[16:17], v13, s25, 0
	v_cmp_gt_i32_e64 s[10:11], s13, v13
	v_lshl_add_u64 v[10:11], v[8:9], 2, s[20:21]
	v_mad_i64_i32 v[8:9], s[16:17], v13, s24, 0
	v_lshl_add_u64 v[8:9], v[8:9], 2, s[14:15]
	s_and_b64 s[18:19], s[2:3], s[10:11]
	s_and_saveexec_b64 s[16:17], s[18:19]
	s_cbranch_execnz .LBB64_115
; %bb.112:
	s_or_b64 exec, exec, s[16:17]
	s_and_b64 s[18:19], s[4:5], s[10:11]
	s_and_saveexec_b64 s[16:17], s[18:19]
	s_cbranch_execnz .LBB64_119
.LBB64_113:
	s_or_b64 exec, exec, s[16:17]
	s_and_b64 s[18:19], s[6:7], s[10:11]
	s_and_saveexec_b64 s[16:17], s[18:19]
	s_cbranch_execnz .LBB64_123
.LBB64_114:
	s_or_b64 exec, exec, s[16:17]
	s_and_b64 s[16:17], s[8:9], s[10:11]
	s_and_saveexec_b64 s[10:11], s[16:17]
	s_cbranch_execnz .LBB64_127
	s_branch .LBB64_131
.LBB64_115:
	s_and_b64 vcc, exec, s[0:1]
	s_cbranch_vccnz .LBB64_117
; %bb.116:
	v_lshl_add_u64 v[14:15], v[0:1], 2, v[10:11]
	global_load_dword v13, v[14:15], off
	s_waitcnt vmcnt(0)
	v_mul_f32_e32 v13, s28, v13
	s_branch .LBB64_118
.LBB64_117:
	v_mov_b32_e32 v13, 0
.LBB64_118:
	v_max_f32_e32 v14, v89, v89
	v_max_f32_e32 v13, v13, v13
	v_min_f32_e32 v13, v13, v14
	v_lshl_add_u64 v[14:15], v[0:1], 2, v[8:9]
	global_store_dword v[14:15], v13, off
	s_or_b64 exec, exec, s[16:17]
	s_and_b64 s[18:19], s[4:5], s[10:11]
	s_and_saveexec_b64 s[16:17], s[18:19]
	s_cbranch_execz .LBB64_113
.LBB64_119:
	s_and_b64 vcc, exec, s[0:1]
	s_cbranch_vccnz .LBB64_121
; %bb.120:
	v_lshl_add_u64 v[14:15], v[2:3], 2, v[10:11]
	global_load_dword v13, v[14:15], off
	s_waitcnt vmcnt(0)
	v_mul_f32_e32 v13, s28, v13
	s_branch .LBB64_122
.LBB64_121:
	v_mov_b32_e32 v13, 0
.LBB64_122:
	v_max_f32_e32 v14, v88, v88
	v_max_f32_e32 v13, v13, v13
	v_min_f32_e32 v13, v13, v14
	v_lshl_add_u64 v[14:15], v[2:3], 2, v[8:9]
	global_store_dword v[14:15], v13, off
	s_or_b64 exec, exec, s[16:17]
	s_and_b64 s[18:19], s[6:7], s[10:11]
	s_and_saveexec_b64 s[16:17], s[18:19]
	s_cbranch_execz .LBB64_114
.LBB64_123:
	s_and_b64 vcc, exec, s[0:1]
	s_cbranch_vccnz .LBB64_125
; %bb.124:
	v_lshl_add_u64 v[14:15], v[4:5], 2, v[10:11]
	global_load_dword v13, v[14:15], off
	s_waitcnt vmcnt(0)
	v_mul_f32_e32 v13, s28, v13
	s_branch .LBB64_126
.LBB64_125:
	v_mov_b32_e32 v13, 0
.LBB64_126:
	v_max_f32_e32 v14, v87, v87
	v_max_f32_e32 v13, v13, v13
	v_min_f32_e32 v13, v13, v14
	v_lshl_add_u64 v[14:15], v[4:5], 2, v[8:9]
	global_store_dword v[14:15], v13, off
	s_or_b64 exec, exec, s[16:17]
	s_and_b64 s[16:17], s[8:9], s[10:11]
	s_and_saveexec_b64 s[10:11], s[16:17]
	s_cbranch_execz .LBB64_131
.LBB64_127:
	s_and_b64 vcc, exec, s[0:1]
	s_cbranch_vccnz .LBB64_129
; %bb.128:
	v_lshl_add_u64 v[10:11], v[6:7], 2, v[10:11]
	global_load_dword v10, v[10:11], off
	s_waitcnt vmcnt(0)
	v_mul_f32_e32 v10, s28, v10
	s_branch .LBB64_130
.LBB64_129:
	v_mov_b32_e32 v10, 0
.LBB64_130:
	v_max_f32_e32 v11, v86, v86
	v_max_f32_e32 v10, v10, v10
	v_min_f32_e32 v10, v10, v11
	v_lshl_add_u64 v[8:9], v[6:7], 2, v[8:9]
	global_store_dword v[8:9], v10, off
.LBB64_131:
	s_or_b64 exec, exec, s[10:11]
	v_add_u32_e32 v13, 32, v12
	v_mad_i64_i32 v[8:9], s[16:17], v13, s25, 0
	v_cmp_gt_i32_e64 s[10:11], s13, v13
	v_lshl_add_u64 v[10:11], v[8:9], 2, s[20:21]
	v_mad_i64_i32 v[8:9], s[16:17], v13, s24, 0
	v_lshl_add_u64 v[8:9], v[8:9], 2, s[14:15]
	s_and_b64 s[18:19], s[2:3], s[10:11]
	s_and_saveexec_b64 s[16:17], s[18:19]
	s_cbranch_execnz .LBB64_135
; %bb.132:
	s_or_b64 exec, exec, s[16:17]
	s_and_b64 s[18:19], s[4:5], s[10:11]
	s_and_saveexec_b64 s[16:17], s[18:19]
	s_cbranch_execnz .LBB64_139
.LBB64_133:
	s_or_b64 exec, exec, s[16:17]
	s_and_b64 s[18:19], s[6:7], s[10:11]
	s_and_saveexec_b64 s[16:17], s[18:19]
	s_cbranch_execnz .LBB64_143
.LBB64_134:
	s_or_b64 exec, exec, s[16:17]
	s_and_b64 s[16:17], s[8:9], s[10:11]
	s_and_saveexec_b64 s[10:11], s[16:17]
	s_cbranch_execnz .LBB64_147
	s_branch .LBB64_151
.LBB64_135:
	s_and_b64 vcc, exec, s[0:1]
	s_cbranch_vccnz .LBB64_137
; %bb.136:
	v_lshl_add_u64 v[14:15], v[0:1], 2, v[10:11]
	global_load_dword v13, v[14:15], off
	s_waitcnt vmcnt(0)
	v_mul_f32_e32 v13, s28, v13
	s_branch .LBB64_138
.LBB64_137:
	v_mov_b32_e32 v13, 0
.LBB64_138:
	v_max_f32_e32 v14, v85, v85
	v_max_f32_e32 v13, v13, v13
	v_min_f32_e32 v13, v13, v14
	v_lshl_add_u64 v[14:15], v[0:1], 2, v[8:9]
	global_store_dword v[14:15], v13, off
	s_or_b64 exec, exec, s[16:17]
	s_and_b64 s[18:19], s[4:5], s[10:11]
	s_and_saveexec_b64 s[16:17], s[18:19]
	s_cbranch_execz .LBB64_133
.LBB64_139:
	s_and_b64 vcc, exec, s[0:1]
	s_cbranch_vccnz .LBB64_141
; %bb.140:
	v_lshl_add_u64 v[14:15], v[2:3], 2, v[10:11]
	global_load_dword v13, v[14:15], off
	s_waitcnt vmcnt(0)
	v_mul_f32_e32 v13, s28, v13
	s_branch .LBB64_142
.LBB64_141:
	v_mov_b32_e32 v13, 0
.LBB64_142:
	v_max_f32_e32 v14, v84, v84
	v_max_f32_e32 v13, v13, v13
	v_min_f32_e32 v13, v13, v14
	v_lshl_add_u64 v[14:15], v[2:3], 2, v[8:9]
	global_store_dword v[14:15], v13, off
	s_or_b64 exec, exec, s[16:17]
	s_and_b64 s[18:19], s[6:7], s[10:11]
	s_and_saveexec_b64 s[16:17], s[18:19]
	s_cbranch_execz .LBB64_134
.LBB64_143:
	s_and_b64 vcc, exec, s[0:1]
	s_cbranch_vccnz .LBB64_145
; %bb.144:
	v_lshl_add_u64 v[14:15], v[4:5], 2, v[10:11]
	global_load_dword v13, v[14:15], off
	s_waitcnt vmcnt(0)
	v_mul_f32_e32 v13, s28, v13
	s_branch .LBB64_146
.LBB64_145:
	v_mov_b32_e32 v13, 0
.LBB64_146:
	v_max_f32_e32 v14, v83, v83
	v_max_f32_e32 v13, v13, v13
	v_min_f32_e32 v13, v13, v14
	v_lshl_add_u64 v[14:15], v[4:5], 2, v[8:9]
	global_store_dword v[14:15], v13, off
	s_or_b64 exec, exec, s[16:17]
	s_and_b64 s[16:17], s[8:9], s[10:11]
	s_and_saveexec_b64 s[10:11], s[16:17]
	s_cbranch_execz .LBB64_151
.LBB64_147:
	s_and_b64 vcc, exec, s[0:1]
	s_cbranch_vccnz .LBB64_149
; %bb.148:
	v_lshl_add_u64 v[10:11], v[6:7], 2, v[10:11]
	global_load_dword v10, v[10:11], off
	s_waitcnt vmcnt(0)
	v_mul_f32_e32 v10, s28, v10
	s_branch .LBB64_150
.LBB64_149:
	v_mov_b32_e32 v10, 0
.LBB64_150:
	v_max_f32_e32 v11, v82, v82
	v_max_f32_e32 v10, v10, v10
	v_min_f32_e32 v10, v10, v11
	v_lshl_add_u64 v[8:9], v[6:7], 2, v[8:9]
	global_store_dword v[8:9], v10, off
.LBB64_151:
	s_or_b64 exec, exec, s[10:11]
	v_add_u32_e32 v13, 40, v12
	v_mad_i64_i32 v[8:9], s[16:17], v13, s25, 0
	v_cmp_gt_i32_e64 s[10:11], s13, v13
	v_lshl_add_u64 v[10:11], v[8:9], 2, s[20:21]
	v_mad_i64_i32 v[8:9], s[16:17], v13, s24, 0
	v_lshl_add_u64 v[8:9], v[8:9], 2, s[14:15]
	s_and_b64 s[18:19], s[2:3], s[10:11]
	s_and_saveexec_b64 s[16:17], s[18:19]
	s_cbranch_execnz .LBB64_155
; %bb.152:
	s_or_b64 exec, exec, s[16:17]
	s_and_b64 s[18:19], s[4:5], s[10:11]
	s_and_saveexec_b64 s[16:17], s[18:19]
	s_cbranch_execnz .LBB64_159
.LBB64_153:
	s_or_b64 exec, exec, s[16:17]
	s_and_b64 s[18:19], s[6:7], s[10:11]
	s_and_saveexec_b64 s[16:17], s[18:19]
	s_cbranch_execnz .LBB64_163
.LBB64_154:
	s_or_b64 exec, exec, s[16:17]
	s_and_b64 s[16:17], s[8:9], s[10:11]
	s_and_saveexec_b64 s[10:11], s[16:17]
	s_cbranch_execnz .LBB64_167
	s_branch .LBB64_171
.LBB64_155:
	s_and_b64 vcc, exec, s[0:1]
	s_cbranch_vccnz .LBB64_157
; %bb.156:
	v_lshl_add_u64 v[14:15], v[0:1], 2, v[10:11]
	global_load_dword v13, v[14:15], off
	s_waitcnt vmcnt(0)
	v_mul_f32_e32 v13, s28, v13
	s_branch .LBB64_158
.LBB64_157:
	v_mov_b32_e32 v13, 0
.LBB64_158:
	v_max_f32_e32 v14, v81, v81
	v_max_f32_e32 v13, v13, v13
	v_min_f32_e32 v13, v13, v14
	v_lshl_add_u64 v[14:15], v[0:1], 2, v[8:9]
	global_store_dword v[14:15], v13, off
	s_or_b64 exec, exec, s[16:17]
	s_and_b64 s[18:19], s[4:5], s[10:11]
	s_and_saveexec_b64 s[16:17], s[18:19]
	s_cbranch_execz .LBB64_153
.LBB64_159:
	s_and_b64 vcc, exec, s[0:1]
	s_cbranch_vccnz .LBB64_161
; %bb.160:
	v_lshl_add_u64 v[14:15], v[2:3], 2, v[10:11]
	global_load_dword v13, v[14:15], off
	s_waitcnt vmcnt(0)
	v_mul_f32_e32 v13, s28, v13
	s_branch .LBB64_162
.LBB64_161:
	v_mov_b32_e32 v13, 0
.LBB64_162:
	v_max_f32_e32 v14, v80, v80
	v_max_f32_e32 v13, v13, v13
	v_min_f32_e32 v13, v13, v14
	v_lshl_add_u64 v[14:15], v[2:3], 2, v[8:9]
	global_store_dword v[14:15], v13, off
	s_or_b64 exec, exec, s[16:17]
	s_and_b64 s[18:19], s[6:7], s[10:11]
	s_and_saveexec_b64 s[16:17], s[18:19]
	s_cbranch_execz .LBB64_154
.LBB64_163:
	s_and_b64 vcc, exec, s[0:1]
	s_cbranch_vccnz .LBB64_165
; %bb.164:
	v_lshl_add_u64 v[14:15], v[4:5], 2, v[10:11]
	global_load_dword v13, v[14:15], off
	s_waitcnt vmcnt(0)
	v_mul_f32_e32 v13, s28, v13
	s_branch .LBB64_166
.LBB64_165:
	v_mov_b32_e32 v13, 0
.LBB64_166:
	v_max_f32_e32 v14, v79, v79
	v_max_f32_e32 v13, v13, v13
	v_min_f32_e32 v13, v13, v14
	v_lshl_add_u64 v[14:15], v[4:5], 2, v[8:9]
	global_store_dword v[14:15], v13, off
	s_or_b64 exec, exec, s[16:17]
	s_and_b64 s[16:17], s[8:9], s[10:11]
	s_and_saveexec_b64 s[10:11], s[16:17]
	s_cbranch_execz .LBB64_171
.LBB64_167:
	s_and_b64 vcc, exec, s[0:1]
	s_cbranch_vccnz .LBB64_169
; %bb.168:
	v_lshl_add_u64 v[10:11], v[6:7], 2, v[10:11]
	global_load_dword v10, v[10:11], off
	s_waitcnt vmcnt(0)
	v_mul_f32_e32 v10, s28, v10
	s_branch .LBB64_170
.LBB64_169:
	v_mov_b32_e32 v10, 0
.LBB64_170:
	v_max_f32_e32 v11, v78, v78
	v_max_f32_e32 v10, v10, v10
	v_min_f32_e32 v10, v10, v11
	v_lshl_add_u64 v[8:9], v[6:7], 2, v[8:9]
	global_store_dword v[8:9], v10, off
.LBB64_171:
	s_or_b64 exec, exec, s[10:11]
	v_add_u32_e32 v13, 48, v12
	v_mad_i64_i32 v[8:9], s[16:17], v13, s25, 0
	v_cmp_gt_i32_e64 s[10:11], s13, v13
	v_lshl_add_u64 v[10:11], v[8:9], 2, s[20:21]
	v_mad_i64_i32 v[8:9], s[16:17], v13, s24, 0
	v_lshl_add_u64 v[8:9], v[8:9], 2, s[14:15]
	s_and_b64 s[18:19], s[2:3], s[10:11]
	s_and_saveexec_b64 s[16:17], s[18:19]
	s_cbranch_execnz .LBB64_175
; %bb.172:
	s_or_b64 exec, exec, s[16:17]
	s_and_b64 s[18:19], s[4:5], s[10:11]
	s_and_saveexec_b64 s[16:17], s[18:19]
	s_cbranch_execnz .LBB64_179
.LBB64_173:
	s_or_b64 exec, exec, s[16:17]
	s_and_b64 s[18:19], s[6:7], s[10:11]
	s_and_saveexec_b64 s[16:17], s[18:19]
	s_cbranch_execnz .LBB64_183
.LBB64_174:
	s_or_b64 exec, exec, s[16:17]
	s_and_b64 s[16:17], s[8:9], s[10:11]
	s_and_saveexec_b64 s[10:11], s[16:17]
	s_cbranch_execnz .LBB64_187
	s_branch .LBB64_191
.LBB64_175:
	s_and_b64 vcc, exec, s[0:1]
	s_cbranch_vccnz .LBB64_177
; %bb.176:
	v_lshl_add_u64 v[14:15], v[0:1], 2, v[10:11]
	global_load_dword v13, v[14:15], off
	s_waitcnt vmcnt(0)
	v_mul_f32_e32 v13, s28, v13
	s_branch .LBB64_178
.LBB64_177:
	v_mov_b32_e32 v13, 0
.LBB64_178:
	v_max_f32_e32 v14, v77, v77
	v_max_f32_e32 v13, v13, v13
	v_min_f32_e32 v13, v13, v14
	v_lshl_add_u64 v[14:15], v[0:1], 2, v[8:9]
	global_store_dword v[14:15], v13, off
	s_or_b64 exec, exec, s[16:17]
	s_and_b64 s[18:19], s[4:5], s[10:11]
	s_and_saveexec_b64 s[16:17], s[18:19]
	s_cbranch_execz .LBB64_173
.LBB64_179:
	s_and_b64 vcc, exec, s[0:1]
	s_cbranch_vccnz .LBB64_181
; %bb.180:
	v_lshl_add_u64 v[14:15], v[2:3], 2, v[10:11]
	global_load_dword v13, v[14:15], off
	s_waitcnt vmcnt(0)
	v_mul_f32_e32 v13, s28, v13
	s_branch .LBB64_182
.LBB64_181:
	v_mov_b32_e32 v13, 0
.LBB64_182:
	v_max_f32_e32 v14, v76, v76
	v_max_f32_e32 v13, v13, v13
	v_min_f32_e32 v13, v13, v14
	v_lshl_add_u64 v[14:15], v[2:3], 2, v[8:9]
	global_store_dword v[14:15], v13, off
	s_or_b64 exec, exec, s[16:17]
	s_and_b64 s[18:19], s[6:7], s[10:11]
	s_and_saveexec_b64 s[16:17], s[18:19]
	s_cbranch_execz .LBB64_174
.LBB64_183:
	s_and_b64 vcc, exec, s[0:1]
	s_cbranch_vccnz .LBB64_185
; %bb.184:
	v_lshl_add_u64 v[14:15], v[4:5], 2, v[10:11]
	global_load_dword v13, v[14:15], off
	s_waitcnt vmcnt(0)
	v_mul_f32_e32 v13, s28, v13
	s_branch .LBB64_186
.LBB64_185:
	v_mov_b32_e32 v13, 0
.LBB64_186:
	v_max_f32_e32 v14, v75, v75
	v_max_f32_e32 v13, v13, v13
	v_min_f32_e32 v13, v13, v14
	v_lshl_add_u64 v[14:15], v[4:5], 2, v[8:9]
	global_store_dword v[14:15], v13, off
	s_or_b64 exec, exec, s[16:17]
	s_and_b64 s[16:17], s[8:9], s[10:11]
	s_and_saveexec_b64 s[10:11], s[16:17]
	s_cbranch_execz .LBB64_191
.LBB64_187:
	s_and_b64 vcc, exec, s[0:1]
	s_cbranch_vccnz .LBB64_189
; %bb.188:
	v_lshl_add_u64 v[10:11], v[6:7], 2, v[10:11]
	global_load_dword v10, v[10:11], off
	s_waitcnt vmcnt(0)
	v_mul_f32_e32 v10, s28, v10
	s_branch .LBB64_190
.LBB64_189:
	v_mov_b32_e32 v10, 0
.LBB64_190:
	v_max_f32_e32 v11, v74, v74
	v_max_f32_e32 v10, v10, v10
	v_min_f32_e32 v10, v10, v11
	v_lshl_add_u64 v[8:9], v[6:7], 2, v[8:9]
	global_store_dword v[8:9], v10, off
.LBB64_191:
	s_or_b64 exec, exec, s[10:11]
	v_add_u32_e32 v13, 56, v12
	v_mad_i64_i32 v[8:9], s[16:17], v13, s25, 0
	v_cmp_gt_i32_e64 s[10:11], s13, v13
	v_lshl_add_u64 v[10:11], v[8:9], 2, s[20:21]
	v_mad_i64_i32 v[8:9], s[16:17], v13, s24, 0
	v_lshl_add_u64 v[8:9], v[8:9], 2, s[14:15]
	s_and_b64 s[18:19], s[2:3], s[10:11]
	s_and_saveexec_b64 s[16:17], s[18:19]
	s_cbranch_execnz .LBB64_195
; %bb.192:
	s_or_b64 exec, exec, s[16:17]
	s_and_b64 s[18:19], s[4:5], s[10:11]
	s_and_saveexec_b64 s[16:17], s[18:19]
	s_cbranch_execnz .LBB64_199
.LBB64_193:
	s_or_b64 exec, exec, s[16:17]
	s_and_b64 s[18:19], s[6:7], s[10:11]
	s_and_saveexec_b64 s[16:17], s[18:19]
	s_cbranch_execnz .LBB64_203
.LBB64_194:
	s_or_b64 exec, exec, s[16:17]
	s_and_b64 s[16:17], s[8:9], s[10:11]
	s_and_saveexec_b64 s[10:11], s[16:17]
	s_cbranch_execnz .LBB64_207
	s_branch .LBB64_211
.LBB64_195:
	s_and_b64 vcc, exec, s[0:1]
	s_cbranch_vccnz .LBB64_197
; %bb.196:
	v_lshl_add_u64 v[14:15], v[0:1], 2, v[10:11]
	global_load_dword v13, v[14:15], off
	s_waitcnt vmcnt(0)
	v_mul_f32_e32 v13, s28, v13
	s_branch .LBB64_198
.LBB64_197:
	v_mov_b32_e32 v13, 0
.LBB64_198:
	v_max_f32_e32 v14, v73, v73
	v_max_f32_e32 v13, v13, v13
	v_min_f32_e32 v13, v13, v14
	v_lshl_add_u64 v[14:15], v[0:1], 2, v[8:9]
	global_store_dword v[14:15], v13, off
	s_or_b64 exec, exec, s[16:17]
	s_and_b64 s[18:19], s[4:5], s[10:11]
	s_and_saveexec_b64 s[16:17], s[18:19]
	s_cbranch_execz .LBB64_193
.LBB64_199:
	s_and_b64 vcc, exec, s[0:1]
	s_cbranch_vccnz .LBB64_201
; %bb.200:
	v_lshl_add_u64 v[14:15], v[2:3], 2, v[10:11]
	global_load_dword v13, v[14:15], off
	s_waitcnt vmcnt(0)
	v_mul_f32_e32 v13, s28, v13
	s_branch .LBB64_202
.LBB64_201:
	v_mov_b32_e32 v13, 0
.LBB64_202:
	v_max_f32_e32 v14, v72, v72
	v_max_f32_e32 v13, v13, v13
	v_min_f32_e32 v13, v13, v14
	v_lshl_add_u64 v[14:15], v[2:3], 2, v[8:9]
	global_store_dword v[14:15], v13, off
	s_or_b64 exec, exec, s[16:17]
	s_and_b64 s[18:19], s[6:7], s[10:11]
	s_and_saveexec_b64 s[16:17], s[18:19]
	s_cbranch_execz .LBB64_194
.LBB64_203:
	s_and_b64 vcc, exec, s[0:1]
	s_cbranch_vccnz .LBB64_205
; %bb.204:
	v_lshl_add_u64 v[14:15], v[4:5], 2, v[10:11]
	global_load_dword v13, v[14:15], off
	s_waitcnt vmcnt(0)
	v_mul_f32_e32 v13, s28, v13
	s_branch .LBB64_206
.LBB64_205:
	v_mov_b32_e32 v13, 0
.LBB64_206:
	v_max_f32_e32 v14, v71, v71
	v_max_f32_e32 v13, v13, v13
	v_min_f32_e32 v13, v13, v14
	v_lshl_add_u64 v[14:15], v[4:5], 2, v[8:9]
	global_store_dword v[14:15], v13, off
	s_or_b64 exec, exec, s[16:17]
	s_and_b64 s[16:17], s[8:9], s[10:11]
	s_and_saveexec_b64 s[10:11], s[16:17]
	s_cbranch_execz .LBB64_211
.LBB64_207:
	s_and_b64 vcc, exec, s[0:1]
	s_cbranch_vccnz .LBB64_209
; %bb.208:
	v_lshl_add_u64 v[10:11], v[6:7], 2, v[10:11]
	global_load_dword v10, v[10:11], off
	s_waitcnt vmcnt(0)
	v_mul_f32_e32 v10, s28, v10
	s_branch .LBB64_210
.LBB64_209:
	v_mov_b32_e32 v10, 0
.LBB64_210:
	v_max_f32_e32 v11, v70, v70
	v_max_f32_e32 v10, v10, v10
	v_min_f32_e32 v10, v10, v11
	v_lshl_add_u64 v[8:9], v[6:7], 2, v[8:9]
	global_store_dword v[8:9], v10, off
.LBB64_211:
	s_or_b64 exec, exec, s[10:11]
	v_add_u32_e32 v13, 64, v12
	v_mad_i64_i32 v[8:9], s[16:17], v13, s25, 0
	v_cmp_gt_i32_e64 s[10:11], s13, v13
	v_lshl_add_u64 v[10:11], v[8:9], 2, s[20:21]
	v_mad_i64_i32 v[8:9], s[16:17], v13, s24, 0
	v_lshl_add_u64 v[8:9], v[8:9], 2, s[14:15]
	s_and_b64 s[18:19], s[2:3], s[10:11]
	s_and_saveexec_b64 s[16:17], s[18:19]
	s_cbranch_execnz .LBB64_215
; %bb.212:
	s_or_b64 exec, exec, s[16:17]
	s_and_b64 s[18:19], s[4:5], s[10:11]
	s_and_saveexec_b64 s[16:17], s[18:19]
	s_cbranch_execnz .LBB64_219
.LBB64_213:
	s_or_b64 exec, exec, s[16:17]
	s_and_b64 s[18:19], s[6:7], s[10:11]
	s_and_saveexec_b64 s[16:17], s[18:19]
	s_cbranch_execnz .LBB64_223
.LBB64_214:
	s_or_b64 exec, exec, s[16:17]
	s_and_b64 s[16:17], s[8:9], s[10:11]
	s_and_saveexec_b64 s[10:11], s[16:17]
	s_cbranch_execnz .LBB64_227
	s_branch .LBB64_231
.LBB64_215:
	s_and_b64 vcc, exec, s[0:1]
	s_cbranch_vccnz .LBB64_217
; %bb.216:
	v_lshl_add_u64 v[14:15], v[0:1], 2, v[10:11]
	global_load_dword v13, v[14:15], off
	s_waitcnt vmcnt(0)
	v_mul_f32_e32 v13, s28, v13
	s_branch .LBB64_218
.LBB64_217:
	v_mov_b32_e32 v13, 0
.LBB64_218:
	v_max_f32_e32 v14, v69, v69
	v_max_f32_e32 v13, v13, v13
	v_min_f32_e32 v13, v13, v14
	v_lshl_add_u64 v[14:15], v[0:1], 2, v[8:9]
	global_store_dword v[14:15], v13, off
	s_or_b64 exec, exec, s[16:17]
	s_and_b64 s[18:19], s[4:5], s[10:11]
	s_and_saveexec_b64 s[16:17], s[18:19]
	s_cbranch_execz .LBB64_213
.LBB64_219:
	s_and_b64 vcc, exec, s[0:1]
	s_cbranch_vccnz .LBB64_221
; %bb.220:
	v_lshl_add_u64 v[14:15], v[2:3], 2, v[10:11]
	global_load_dword v13, v[14:15], off
	s_waitcnt vmcnt(0)
	v_mul_f32_e32 v13, s28, v13
	s_branch .LBB64_222
.LBB64_221:
	v_mov_b32_e32 v13, 0
.LBB64_222:
	v_max_f32_e32 v14, v68, v68
	v_max_f32_e32 v13, v13, v13
	v_min_f32_e32 v13, v13, v14
	v_lshl_add_u64 v[14:15], v[2:3], 2, v[8:9]
	global_store_dword v[14:15], v13, off
	s_or_b64 exec, exec, s[16:17]
	s_and_b64 s[18:19], s[6:7], s[10:11]
	s_and_saveexec_b64 s[16:17], s[18:19]
	s_cbranch_execz .LBB64_214
.LBB64_223:
	s_and_b64 vcc, exec, s[0:1]
	s_cbranch_vccnz .LBB64_225
; %bb.224:
	v_lshl_add_u64 v[14:15], v[4:5], 2, v[10:11]
	global_load_dword v13, v[14:15], off
	s_waitcnt vmcnt(0)
	v_mul_f32_e32 v13, s28, v13
	s_branch .LBB64_226
.LBB64_225:
	v_mov_b32_e32 v13, 0
.LBB64_226:
	v_max_f32_e32 v14, v67, v67
	v_max_f32_e32 v13, v13, v13
	v_min_f32_e32 v13, v13, v14
	v_lshl_add_u64 v[14:15], v[4:5], 2, v[8:9]
	global_store_dword v[14:15], v13, off
	s_or_b64 exec, exec, s[16:17]
	s_and_b64 s[16:17], s[8:9], s[10:11]
	s_and_saveexec_b64 s[10:11], s[16:17]
	s_cbranch_execz .LBB64_231
.LBB64_227:
	s_and_b64 vcc, exec, s[0:1]
	s_cbranch_vccnz .LBB64_229
; %bb.228:
	v_lshl_add_u64 v[10:11], v[6:7], 2, v[10:11]
	global_load_dword v10, v[10:11], off
	s_waitcnt vmcnt(0)
	v_mul_f32_e32 v10, s28, v10
	s_branch .LBB64_230
.LBB64_229:
	v_mov_b32_e32 v10, 0
.LBB64_230:
	v_max_f32_e32 v11, v66, v66
	v_max_f32_e32 v10, v10, v10
	v_min_f32_e32 v10, v10, v11
	v_lshl_add_u64 v[8:9], v[6:7], 2, v[8:9]
	global_store_dword v[8:9], v10, off
.LBB64_231:
	s_or_b64 exec, exec, s[10:11]
	v_add_u32_e32 v13, 0x48, v12
	v_mad_i64_i32 v[8:9], s[16:17], v13, s25, 0
	v_cmp_gt_i32_e64 s[10:11], s13, v13
	v_lshl_add_u64 v[10:11], v[8:9], 2, s[20:21]
	v_mad_i64_i32 v[8:9], s[16:17], v13, s24, 0
	v_lshl_add_u64 v[8:9], v[8:9], 2, s[14:15]
	s_and_b64 s[18:19], s[2:3], s[10:11]
	s_and_saveexec_b64 s[16:17], s[18:19]
	s_cbranch_execnz .LBB64_235
; %bb.232:
	s_or_b64 exec, exec, s[16:17]
	s_and_b64 s[18:19], s[4:5], s[10:11]
	s_and_saveexec_b64 s[16:17], s[18:19]
	s_cbranch_execnz .LBB64_239
.LBB64_233:
	s_or_b64 exec, exec, s[16:17]
	s_and_b64 s[18:19], s[6:7], s[10:11]
	s_and_saveexec_b64 s[16:17], s[18:19]
	s_cbranch_execnz .LBB64_243
.LBB64_234:
	s_or_b64 exec, exec, s[16:17]
	s_and_b64 s[16:17], s[8:9], s[10:11]
	s_and_saveexec_b64 s[10:11], s[16:17]
	s_cbranch_execnz .LBB64_247
	s_branch .LBB64_251
.LBB64_235:
	s_and_b64 vcc, exec, s[0:1]
	s_cbranch_vccnz .LBB64_237
; %bb.236:
	v_lshl_add_u64 v[14:15], v[0:1], 2, v[10:11]
	global_load_dword v13, v[14:15], off
	s_waitcnt vmcnt(0)
	v_mul_f32_e32 v13, s28, v13
	s_branch .LBB64_238
.LBB64_237:
	v_mov_b32_e32 v13, 0
.LBB64_238:
	v_max_f32_e32 v14, v65, v65
	v_max_f32_e32 v13, v13, v13
	v_min_f32_e32 v13, v13, v14
	v_lshl_add_u64 v[14:15], v[0:1], 2, v[8:9]
	global_store_dword v[14:15], v13, off
	s_or_b64 exec, exec, s[16:17]
	s_and_b64 s[18:19], s[4:5], s[10:11]
	s_and_saveexec_b64 s[16:17], s[18:19]
	s_cbranch_execz .LBB64_233
.LBB64_239:
	s_and_b64 vcc, exec, s[0:1]
	s_cbranch_vccnz .LBB64_241
; %bb.240:
	v_lshl_add_u64 v[14:15], v[2:3], 2, v[10:11]
	global_load_dword v13, v[14:15], off
	s_waitcnt vmcnt(0)
	v_mul_f32_e32 v13, s28, v13
	s_branch .LBB64_242
.LBB64_241:
	v_mov_b32_e32 v13, 0
.LBB64_242:
	v_max_f32_e32 v14, v64, v64
	v_max_f32_e32 v13, v13, v13
	v_min_f32_e32 v13, v13, v14
	v_lshl_add_u64 v[14:15], v[2:3], 2, v[8:9]
	global_store_dword v[14:15], v13, off
	s_or_b64 exec, exec, s[16:17]
	s_and_b64 s[18:19], s[6:7], s[10:11]
	s_and_saveexec_b64 s[16:17], s[18:19]
	s_cbranch_execz .LBB64_234
.LBB64_243:
	s_and_b64 vcc, exec, s[0:1]
	s_cbranch_vccnz .LBB64_245
; %bb.244:
	v_lshl_add_u64 v[14:15], v[4:5], 2, v[10:11]
	global_load_dword v13, v[14:15], off
	s_waitcnt vmcnt(0)
	v_mul_f32_e32 v13, s28, v13
	s_branch .LBB64_246
.LBB64_245:
	v_mov_b32_e32 v13, 0
.LBB64_246:
	v_max_f32_e32 v14, v63, v63
	v_max_f32_e32 v13, v13, v13
	v_min_f32_e32 v13, v13, v14
	v_lshl_add_u64 v[14:15], v[4:5], 2, v[8:9]
	global_store_dword v[14:15], v13, off
	s_or_b64 exec, exec, s[16:17]
	s_and_b64 s[16:17], s[8:9], s[10:11]
	s_and_saveexec_b64 s[10:11], s[16:17]
	s_cbranch_execz .LBB64_251
.LBB64_247:
	s_and_b64 vcc, exec, s[0:1]
	s_cbranch_vccnz .LBB64_249
; %bb.248:
	v_lshl_add_u64 v[10:11], v[6:7], 2, v[10:11]
	global_load_dword v10, v[10:11], off
	s_waitcnt vmcnt(0)
	v_mul_f32_e32 v10, s28, v10
	s_branch .LBB64_250
.LBB64_249:
	v_mov_b32_e32 v10, 0
.LBB64_250:
	v_max_f32_e32 v11, v62, v62
	v_max_f32_e32 v10, v10, v10
	v_min_f32_e32 v10, v10, v11
	v_lshl_add_u64 v[8:9], v[6:7], 2, v[8:9]
	global_store_dword v[8:9], v10, off
.LBB64_251:
	s_or_b64 exec, exec, s[10:11]
	v_add_u32_e32 v13, 0x50, v12
	v_mad_i64_i32 v[8:9], s[16:17], v13, s25, 0
	v_cmp_gt_i32_e64 s[10:11], s13, v13
	v_lshl_add_u64 v[10:11], v[8:9], 2, s[20:21]
	v_mad_i64_i32 v[8:9], s[16:17], v13, s24, 0
	v_lshl_add_u64 v[8:9], v[8:9], 2, s[14:15]
	s_and_b64 s[18:19], s[2:3], s[10:11]
	s_and_saveexec_b64 s[16:17], s[18:19]
	s_cbranch_execnz .LBB64_255
; %bb.252:
	s_or_b64 exec, exec, s[16:17]
	s_and_b64 s[18:19], s[4:5], s[10:11]
	s_and_saveexec_b64 s[16:17], s[18:19]
	s_cbranch_execnz .LBB64_259
.LBB64_253:
	s_or_b64 exec, exec, s[16:17]
	s_and_b64 s[18:19], s[6:7], s[10:11]
	s_and_saveexec_b64 s[16:17], s[18:19]
	s_cbranch_execnz .LBB64_263
.LBB64_254:
	s_or_b64 exec, exec, s[16:17]
	s_and_b64 s[16:17], s[8:9], s[10:11]
	s_and_saveexec_b64 s[10:11], s[16:17]
	s_cbranch_execnz .LBB64_267
	s_branch .LBB64_271
.LBB64_255:
	s_and_b64 vcc, exec, s[0:1]
	s_cbranch_vccnz .LBB64_257
; %bb.256:
	v_lshl_add_u64 v[14:15], v[0:1], 2, v[10:11]
	global_load_dword v13, v[14:15], off
	s_waitcnt vmcnt(0)
	v_mul_f32_e32 v13, s28, v13
	s_branch .LBB64_258
.LBB64_257:
	v_mov_b32_e32 v13, 0
.LBB64_258:
	v_max_f32_e32 v14, v61, v61
	v_max_f32_e32 v13, v13, v13
	v_min_f32_e32 v13, v13, v14
	v_lshl_add_u64 v[14:15], v[0:1], 2, v[8:9]
	global_store_dword v[14:15], v13, off
	s_or_b64 exec, exec, s[16:17]
	s_and_b64 s[18:19], s[4:5], s[10:11]
	s_and_saveexec_b64 s[16:17], s[18:19]
	s_cbranch_execz .LBB64_253
.LBB64_259:
	s_and_b64 vcc, exec, s[0:1]
	s_cbranch_vccnz .LBB64_261
; %bb.260:
	v_lshl_add_u64 v[14:15], v[2:3], 2, v[10:11]
	global_load_dword v13, v[14:15], off
	s_waitcnt vmcnt(0)
	v_mul_f32_e32 v13, s28, v13
	s_branch .LBB64_262
.LBB64_261:
	v_mov_b32_e32 v13, 0
.LBB64_262:
	v_max_f32_e32 v14, v60, v60
	v_max_f32_e32 v13, v13, v13
	v_min_f32_e32 v13, v13, v14
	v_lshl_add_u64 v[14:15], v[2:3], 2, v[8:9]
	global_store_dword v[14:15], v13, off
	s_or_b64 exec, exec, s[16:17]
	s_and_b64 s[18:19], s[6:7], s[10:11]
	s_and_saveexec_b64 s[16:17], s[18:19]
	s_cbranch_execz .LBB64_254
.LBB64_263:
	s_and_b64 vcc, exec, s[0:1]
	s_cbranch_vccnz .LBB64_265
; %bb.264:
	v_lshl_add_u64 v[14:15], v[4:5], 2, v[10:11]
	global_load_dword v13, v[14:15], off
	s_waitcnt vmcnt(0)
	v_mul_f32_e32 v13, s28, v13
	s_branch .LBB64_266
.LBB64_265:
	v_mov_b32_e32 v13, 0
.LBB64_266:
	v_max_f32_e32 v14, v59, v59
	v_max_f32_e32 v13, v13, v13
	v_min_f32_e32 v13, v13, v14
	v_lshl_add_u64 v[14:15], v[4:5], 2, v[8:9]
	global_store_dword v[14:15], v13, off
	s_or_b64 exec, exec, s[16:17]
	s_and_b64 s[16:17], s[8:9], s[10:11]
	s_and_saveexec_b64 s[10:11], s[16:17]
	s_cbranch_execz .LBB64_271
.LBB64_267:
	s_and_b64 vcc, exec, s[0:1]
	s_cbranch_vccnz .LBB64_269
; %bb.268:
	v_lshl_add_u64 v[10:11], v[6:7], 2, v[10:11]
	global_load_dword v10, v[10:11], off
	s_waitcnt vmcnt(0)
	v_mul_f32_e32 v10, s28, v10
	s_branch .LBB64_270
.LBB64_269:
	v_mov_b32_e32 v10, 0
.LBB64_270:
	v_max_f32_e32 v11, v58, v58
	v_max_f32_e32 v10, v10, v10
	v_min_f32_e32 v10, v10, v11
	v_lshl_add_u64 v[8:9], v[6:7], 2, v[8:9]
	global_store_dword v[8:9], v10, off
.LBB64_271:
	s_or_b64 exec, exec, s[10:11]
	v_add_u32_e32 v13, 0x58, v12
	v_mad_i64_i32 v[8:9], s[16:17], v13, s25, 0
	v_cmp_gt_i32_e64 s[10:11], s13, v13
	v_lshl_add_u64 v[10:11], v[8:9], 2, s[20:21]
	v_mad_i64_i32 v[8:9], s[16:17], v13, s24, 0
	v_lshl_add_u64 v[8:9], v[8:9], 2, s[14:15]
	s_and_b64 s[18:19], s[2:3], s[10:11]
	s_and_saveexec_b64 s[16:17], s[18:19]
	s_cbranch_execnz .LBB64_275
; %bb.272:
	s_or_b64 exec, exec, s[16:17]
	s_and_b64 s[18:19], s[4:5], s[10:11]
	s_and_saveexec_b64 s[16:17], s[18:19]
	s_cbranch_execnz .LBB64_279
.LBB64_273:
	s_or_b64 exec, exec, s[16:17]
	s_and_b64 s[18:19], s[6:7], s[10:11]
	s_and_saveexec_b64 s[16:17], s[18:19]
	s_cbranch_execnz .LBB64_283
.LBB64_274:
	s_or_b64 exec, exec, s[16:17]
	s_and_b64 s[16:17], s[8:9], s[10:11]
	s_and_saveexec_b64 s[10:11], s[16:17]
	s_cbranch_execnz .LBB64_287
	s_branch .LBB64_291
.LBB64_275:
	s_and_b64 vcc, exec, s[0:1]
	s_cbranch_vccnz .LBB64_277
; %bb.276:
	v_lshl_add_u64 v[14:15], v[0:1], 2, v[10:11]
	global_load_dword v13, v[14:15], off
	s_waitcnt vmcnt(0)
	v_mul_f32_e32 v13, s28, v13
	s_branch .LBB64_278
.LBB64_277:
	v_mov_b32_e32 v13, 0
.LBB64_278:
	v_max_f32_e32 v14, v57, v57
	v_max_f32_e32 v13, v13, v13
	v_min_f32_e32 v13, v13, v14
	v_lshl_add_u64 v[14:15], v[0:1], 2, v[8:9]
	global_store_dword v[14:15], v13, off
	s_or_b64 exec, exec, s[16:17]
	s_and_b64 s[18:19], s[4:5], s[10:11]
	s_and_saveexec_b64 s[16:17], s[18:19]
	s_cbranch_execz .LBB64_273
.LBB64_279:
	s_and_b64 vcc, exec, s[0:1]
	s_cbranch_vccnz .LBB64_281
; %bb.280:
	v_lshl_add_u64 v[14:15], v[2:3], 2, v[10:11]
	global_load_dword v13, v[14:15], off
	s_waitcnt vmcnt(0)
	v_mul_f32_e32 v13, s28, v13
	s_branch .LBB64_282
.LBB64_281:
	v_mov_b32_e32 v13, 0
.LBB64_282:
	v_max_f32_e32 v14, v56, v56
	v_max_f32_e32 v13, v13, v13
	v_min_f32_e32 v13, v13, v14
	v_lshl_add_u64 v[14:15], v[2:3], 2, v[8:9]
	global_store_dword v[14:15], v13, off
	s_or_b64 exec, exec, s[16:17]
	s_and_b64 s[18:19], s[6:7], s[10:11]
	s_and_saveexec_b64 s[16:17], s[18:19]
	s_cbranch_execz .LBB64_274
.LBB64_283:
	s_and_b64 vcc, exec, s[0:1]
	s_cbranch_vccnz .LBB64_285
; %bb.284:
	v_lshl_add_u64 v[14:15], v[4:5], 2, v[10:11]
	global_load_dword v13, v[14:15], off
	s_waitcnt vmcnt(0)
	v_mul_f32_e32 v13, s28, v13
	s_branch .LBB64_286
.LBB64_285:
	v_mov_b32_e32 v13, 0
.LBB64_286:
	v_max_f32_e32 v14, v55, v55
	v_max_f32_e32 v13, v13, v13
	v_min_f32_e32 v13, v13, v14
	v_lshl_add_u64 v[14:15], v[4:5], 2, v[8:9]
	global_store_dword v[14:15], v13, off
	s_or_b64 exec, exec, s[16:17]
	s_and_b64 s[16:17], s[8:9], s[10:11]
	s_and_saveexec_b64 s[10:11], s[16:17]
	s_cbranch_execz .LBB64_291
.LBB64_287:
	s_and_b64 vcc, exec, s[0:1]
	s_cbranch_vccnz .LBB64_289
; %bb.288:
	v_lshl_add_u64 v[10:11], v[6:7], 2, v[10:11]
	global_load_dword v10, v[10:11], off
	s_waitcnt vmcnt(0)
	v_mul_f32_e32 v10, s28, v10
	s_branch .LBB64_290
.LBB64_289:
	v_mov_b32_e32 v10, 0
.LBB64_290:
	v_max_f32_e32 v11, v54, v54
	v_max_f32_e32 v10, v10, v10
	v_min_f32_e32 v10, v10, v11
	v_lshl_add_u64 v[8:9], v[6:7], 2, v[8:9]
	global_store_dword v[8:9], v10, off
.LBB64_291:
	s_or_b64 exec, exec, s[10:11]
	v_add_u32_e32 v13, 0x60, v12
	v_mad_i64_i32 v[8:9], s[16:17], v13, s25, 0
	v_cmp_gt_i32_e64 s[10:11], s13, v13
	v_lshl_add_u64 v[10:11], v[8:9], 2, s[20:21]
	v_mad_i64_i32 v[8:9], s[16:17], v13, s24, 0
	v_lshl_add_u64 v[8:9], v[8:9], 2, s[14:15]
	s_and_b64 s[18:19], s[2:3], s[10:11]
	s_and_saveexec_b64 s[16:17], s[18:19]
	s_cbranch_execnz .LBB64_295
; %bb.292:
	s_or_b64 exec, exec, s[16:17]
	s_and_b64 s[18:19], s[4:5], s[10:11]
	s_and_saveexec_b64 s[16:17], s[18:19]
	s_cbranch_execnz .LBB64_299
.LBB64_293:
	s_or_b64 exec, exec, s[16:17]
	s_and_b64 s[18:19], s[6:7], s[10:11]
	s_and_saveexec_b64 s[16:17], s[18:19]
	s_cbranch_execnz .LBB64_303
.LBB64_294:
	s_or_b64 exec, exec, s[16:17]
	s_and_b64 s[16:17], s[8:9], s[10:11]
	s_and_saveexec_b64 s[10:11], s[16:17]
	s_cbranch_execnz .LBB64_307
	s_branch .LBB64_311
.LBB64_295:
	s_and_b64 vcc, exec, s[0:1]
	s_cbranch_vccnz .LBB64_297
; %bb.296:
	v_lshl_add_u64 v[14:15], v[0:1], 2, v[10:11]
	global_load_dword v13, v[14:15], off
	s_waitcnt vmcnt(0)
	v_mul_f32_e32 v13, s28, v13
	s_branch .LBB64_298
.LBB64_297:
	v_mov_b32_e32 v13, 0
.LBB64_298:
	v_max_f32_e32 v14, v53, v53
	v_max_f32_e32 v13, v13, v13
	v_min_f32_e32 v13, v13, v14
	v_lshl_add_u64 v[14:15], v[0:1], 2, v[8:9]
	global_store_dword v[14:15], v13, off
	s_or_b64 exec, exec, s[16:17]
	s_and_b64 s[18:19], s[4:5], s[10:11]
	s_and_saveexec_b64 s[16:17], s[18:19]
	s_cbranch_execz .LBB64_293
.LBB64_299:
	s_and_b64 vcc, exec, s[0:1]
	s_cbranch_vccnz .LBB64_301
; %bb.300:
	v_lshl_add_u64 v[14:15], v[2:3], 2, v[10:11]
	global_load_dword v13, v[14:15], off
	s_waitcnt vmcnt(0)
	v_mul_f32_e32 v13, s28, v13
	s_branch .LBB64_302
.LBB64_301:
	v_mov_b32_e32 v13, 0
.LBB64_302:
	v_max_f32_e32 v14, v52, v52
	v_max_f32_e32 v13, v13, v13
	v_min_f32_e32 v13, v13, v14
	v_lshl_add_u64 v[14:15], v[2:3], 2, v[8:9]
	global_store_dword v[14:15], v13, off
	s_or_b64 exec, exec, s[16:17]
	s_and_b64 s[18:19], s[6:7], s[10:11]
	s_and_saveexec_b64 s[16:17], s[18:19]
	s_cbranch_execz .LBB64_294
.LBB64_303:
	s_and_b64 vcc, exec, s[0:1]
	s_cbranch_vccnz .LBB64_305
; %bb.304:
	v_lshl_add_u64 v[14:15], v[4:5], 2, v[10:11]
	global_load_dword v13, v[14:15], off
	s_waitcnt vmcnt(0)
	v_mul_f32_e32 v13, s28, v13
	s_branch .LBB64_306
.LBB64_305:
	v_mov_b32_e32 v13, 0
.LBB64_306:
	v_max_f32_e32 v14, v51, v51
	v_max_f32_e32 v13, v13, v13
	v_min_f32_e32 v13, v13, v14
	v_lshl_add_u64 v[14:15], v[4:5], 2, v[8:9]
	global_store_dword v[14:15], v13, off
	s_or_b64 exec, exec, s[16:17]
	s_and_b64 s[16:17], s[8:9], s[10:11]
	s_and_saveexec_b64 s[10:11], s[16:17]
	s_cbranch_execz .LBB64_311
.LBB64_307:
	s_and_b64 vcc, exec, s[0:1]
	s_cbranch_vccnz .LBB64_309
; %bb.308:
	v_lshl_add_u64 v[10:11], v[6:7], 2, v[10:11]
	global_load_dword v10, v[10:11], off
	s_waitcnt vmcnt(0)
	v_mul_f32_e32 v10, s28, v10
	s_branch .LBB64_310
.LBB64_309:
	v_mov_b32_e32 v10, 0
.LBB64_310:
	v_max_f32_e32 v11, v50, v50
	v_max_f32_e32 v10, v10, v10
	v_min_f32_e32 v10, v10, v11
	v_lshl_add_u64 v[8:9], v[6:7], 2, v[8:9]
	global_store_dword v[8:9], v10, off
.LBB64_311:
	s_or_b64 exec, exec, s[10:11]
	v_add_u32_e32 v13, 0x68, v12
	v_mad_i64_i32 v[8:9], s[16:17], v13, s25, 0
	v_cmp_gt_i32_e64 s[10:11], s13, v13
	v_lshl_add_u64 v[10:11], v[8:9], 2, s[20:21]
	v_mad_i64_i32 v[8:9], s[16:17], v13, s24, 0
	v_lshl_add_u64 v[8:9], v[8:9], 2, s[14:15]
	s_and_b64 s[18:19], s[2:3], s[10:11]
	s_and_saveexec_b64 s[16:17], s[18:19]
	s_cbranch_execnz .LBB64_315
; %bb.312:
	s_or_b64 exec, exec, s[16:17]
	s_and_b64 s[18:19], s[4:5], s[10:11]
	s_and_saveexec_b64 s[16:17], s[18:19]
	s_cbranch_execnz .LBB64_319
.LBB64_313:
	s_or_b64 exec, exec, s[16:17]
	s_and_b64 s[18:19], s[6:7], s[10:11]
	s_and_saveexec_b64 s[16:17], s[18:19]
	s_cbranch_execnz .LBB64_323
.LBB64_314:
	s_or_b64 exec, exec, s[16:17]
	s_and_b64 s[16:17], s[8:9], s[10:11]
	s_and_saveexec_b64 s[10:11], s[16:17]
	s_cbranch_execnz .LBB64_327
	s_branch .LBB64_331
.LBB64_315:
	s_and_b64 vcc, exec, s[0:1]
	s_cbranch_vccnz .LBB64_317
; %bb.316:
	v_lshl_add_u64 v[14:15], v[0:1], 2, v[10:11]
	global_load_dword v13, v[14:15], off
	s_waitcnt vmcnt(0)
	v_mul_f32_e32 v13, s28, v13
	s_branch .LBB64_318
.LBB64_317:
	v_mov_b32_e32 v13, 0
.LBB64_318:
	v_max_f32_e32 v14, v49, v49
	v_max_f32_e32 v13, v13, v13
	v_min_f32_e32 v13, v13, v14
	v_lshl_add_u64 v[14:15], v[0:1], 2, v[8:9]
	global_store_dword v[14:15], v13, off
	s_or_b64 exec, exec, s[16:17]
	s_and_b64 s[18:19], s[4:5], s[10:11]
	s_and_saveexec_b64 s[16:17], s[18:19]
	s_cbranch_execz .LBB64_313
.LBB64_319:
	s_and_b64 vcc, exec, s[0:1]
	s_cbranch_vccnz .LBB64_321
; %bb.320:
	v_lshl_add_u64 v[14:15], v[2:3], 2, v[10:11]
	global_load_dword v13, v[14:15], off
	s_waitcnt vmcnt(0)
	v_mul_f32_e32 v13, s28, v13
	s_branch .LBB64_322
.LBB64_321:
	v_mov_b32_e32 v13, 0
.LBB64_322:
	v_max_f32_e32 v14, v48, v48
	v_max_f32_e32 v13, v13, v13
	v_min_f32_e32 v13, v13, v14
	v_lshl_add_u64 v[14:15], v[2:3], 2, v[8:9]
	global_store_dword v[14:15], v13, off
	s_or_b64 exec, exec, s[16:17]
	s_and_b64 s[18:19], s[6:7], s[10:11]
	s_and_saveexec_b64 s[16:17], s[18:19]
	s_cbranch_execz .LBB64_314
.LBB64_323:
	s_and_b64 vcc, exec, s[0:1]
	s_cbranch_vccnz .LBB64_325
; %bb.324:
	v_lshl_add_u64 v[14:15], v[4:5], 2, v[10:11]
	global_load_dword v13, v[14:15], off
	s_waitcnt vmcnt(0)
	v_mul_f32_e32 v13, s28, v13
	s_branch .LBB64_326
.LBB64_325:
	v_mov_b32_e32 v13, 0
.LBB64_326:
	v_max_f32_e32 v14, v47, v47
	v_max_f32_e32 v13, v13, v13
	v_min_f32_e32 v13, v13, v14
	v_lshl_add_u64 v[14:15], v[4:5], 2, v[8:9]
	global_store_dword v[14:15], v13, off
	s_or_b64 exec, exec, s[16:17]
	s_and_b64 s[16:17], s[8:9], s[10:11]
	s_and_saveexec_b64 s[10:11], s[16:17]
	s_cbranch_execz .LBB64_331
.LBB64_327:
	s_and_b64 vcc, exec, s[0:1]
	s_cbranch_vccnz .LBB64_329
; %bb.328:
	v_lshl_add_u64 v[10:11], v[6:7], 2, v[10:11]
	global_load_dword v10, v[10:11], off
	s_waitcnt vmcnt(0)
	v_mul_f32_e32 v10, s28, v10
	s_branch .LBB64_330
.LBB64_329:
	v_mov_b32_e32 v10, 0
.LBB64_330:
	v_max_f32_e32 v11, v46, v46
	v_max_f32_e32 v10, v10, v10
	v_min_f32_e32 v10, v10, v11
	v_lshl_add_u64 v[8:9], v[6:7], 2, v[8:9]
	global_store_dword v[8:9], v10, off
.LBB64_331:
	s_or_b64 exec, exec, s[10:11]
	v_add_u32_e32 v13, 0x70, v12
	v_mad_i64_i32 v[8:9], s[16:17], v13, s25, 0
	v_cmp_gt_i32_e64 s[10:11], s13, v13
	v_lshl_add_u64 v[10:11], v[8:9], 2, s[20:21]
	v_mad_i64_i32 v[8:9], s[16:17], v13, s24, 0
	v_lshl_add_u64 v[8:9], v[8:9], 2, s[14:15]
	s_and_b64 s[18:19], s[2:3], s[10:11]
	s_and_saveexec_b64 s[16:17], s[18:19]
	s_cbranch_execnz .LBB64_335
; %bb.332:
	s_or_b64 exec, exec, s[16:17]
	s_and_b64 s[18:19], s[4:5], s[10:11]
	s_and_saveexec_b64 s[16:17], s[18:19]
	s_cbranch_execnz .LBB64_339
.LBB64_333:
	s_or_b64 exec, exec, s[16:17]
	s_and_b64 s[18:19], s[6:7], s[10:11]
	s_and_saveexec_b64 s[16:17], s[18:19]
	s_cbranch_execnz .LBB64_343
.LBB64_334:
	s_or_b64 exec, exec, s[16:17]
	s_and_b64 s[16:17], s[8:9], s[10:11]
	s_and_saveexec_b64 s[10:11], s[16:17]
	s_cbranch_execnz .LBB64_347
	s_branch .LBB64_351
.LBB64_335:
	s_and_b64 vcc, exec, s[0:1]
	s_cbranch_vccnz .LBB64_337
; %bb.336:
	v_lshl_add_u64 v[14:15], v[0:1], 2, v[10:11]
	global_load_dword v13, v[14:15], off
	s_waitcnt vmcnt(0)
	v_mul_f32_e32 v13, s28, v13
	s_branch .LBB64_338
.LBB64_337:
	v_mov_b32_e32 v13, 0
.LBB64_338:
	v_max_f32_e32 v14, v45, v45
	v_max_f32_e32 v13, v13, v13
	v_min_f32_e32 v13, v13, v14
	v_lshl_add_u64 v[14:15], v[0:1], 2, v[8:9]
	global_store_dword v[14:15], v13, off
	s_or_b64 exec, exec, s[16:17]
	s_and_b64 s[18:19], s[4:5], s[10:11]
	s_and_saveexec_b64 s[16:17], s[18:19]
	s_cbranch_execz .LBB64_333
.LBB64_339:
	s_and_b64 vcc, exec, s[0:1]
	s_cbranch_vccnz .LBB64_341
; %bb.340:
	v_lshl_add_u64 v[14:15], v[2:3], 2, v[10:11]
	global_load_dword v13, v[14:15], off
	s_waitcnt vmcnt(0)
	v_mul_f32_e32 v13, s28, v13
	s_branch .LBB64_342
.LBB64_341:
	v_mov_b32_e32 v13, 0
.LBB64_342:
	v_max_f32_e32 v14, v44, v44
	v_max_f32_e32 v13, v13, v13
	v_min_f32_e32 v13, v13, v14
	v_lshl_add_u64 v[14:15], v[2:3], 2, v[8:9]
	global_store_dword v[14:15], v13, off
	s_or_b64 exec, exec, s[16:17]
	s_and_b64 s[18:19], s[6:7], s[10:11]
	s_and_saveexec_b64 s[16:17], s[18:19]
	s_cbranch_execz .LBB64_334
.LBB64_343:
	s_and_b64 vcc, exec, s[0:1]
	s_cbranch_vccnz .LBB64_345
; %bb.344:
	v_lshl_add_u64 v[14:15], v[4:5], 2, v[10:11]
	global_load_dword v13, v[14:15], off
	s_waitcnt vmcnt(0)
	v_mul_f32_e32 v13, s28, v13
	s_branch .LBB64_346
.LBB64_345:
	v_mov_b32_e32 v13, 0
.LBB64_346:
	v_max_f32_e32 v14, v43, v43
	v_max_f32_e32 v13, v13, v13
	v_min_f32_e32 v13, v13, v14
	v_lshl_add_u64 v[14:15], v[4:5], 2, v[8:9]
	global_store_dword v[14:15], v13, off
	s_or_b64 exec, exec, s[16:17]
	s_and_b64 s[16:17], s[8:9], s[10:11]
	s_and_saveexec_b64 s[10:11], s[16:17]
	s_cbranch_execz .LBB64_351
.LBB64_347:
	s_and_b64 vcc, exec, s[0:1]
	s_cbranch_vccnz .LBB64_349
; %bb.348:
	v_lshl_add_u64 v[10:11], v[6:7], 2, v[10:11]
	global_load_dword v10, v[10:11], off
	s_waitcnt vmcnt(0)
	v_mul_f32_e32 v10, s28, v10
	s_branch .LBB64_350
.LBB64_349:
	v_mov_b32_e32 v10, 0
.LBB64_350:
	v_max_f32_e32 v11, v42, v42
	v_max_f32_e32 v10, v10, v10
	v_min_f32_e32 v10, v10, v11
	v_lshl_add_u64 v[8:9], v[6:7], 2, v[8:9]
	global_store_dword v[8:9], v10, off
.LBB64_351:
	s_or_b64 exec, exec, s[10:11]
	v_add_u32_e32 v12, 0x78, v12
	v_cmp_gt_i32_e64 s[10:11], s13, v12
	v_mad_i64_i32 v[8:9], s[12:13], v12, s25, 0
	v_lshl_add_u64 v[10:11], v[8:9], 2, s[20:21]
	v_mad_i64_i32 v[8:9], s[12:13], v12, s24, 0
	v_lshl_add_u64 v[8:9], v[8:9], 2, s[14:15]
	s_and_b64 s[12:13], s[2:3], s[10:11]
	s_and_saveexec_b64 s[2:3], s[12:13]
	s_cbranch_execnz .LBB64_356
; %bb.352:
	s_or_b64 exec, exec, s[2:3]
	s_and_b64 s[4:5], s[4:5], s[10:11]
	s_and_saveexec_b64 s[2:3], s[4:5]
	s_cbranch_execnz .LBB64_360
.LBB64_353:
	s_or_b64 exec, exec, s[2:3]
	s_and_b64 s[4:5], s[6:7], s[10:11]
	s_and_saveexec_b64 s[2:3], s[4:5]
	s_cbranch_execnz .LBB64_364
.LBB64_354:
	s_or_b64 exec, exec, s[2:3]
	s_and_b64 s[2:3], s[8:9], s[10:11]
	s_and_saveexec_b64 s[4:5], s[2:3]
	s_cbranch_execnz .LBB64_368
.LBB64_355:
	s_endpgm
.LBB64_356:
	s_and_b64 vcc, exec, s[0:1]
	s_cbranch_vccnz .LBB64_358
; %bb.357:
	v_lshl_add_u64 v[12:13], v[0:1], 2, v[10:11]
	global_load_dword v12, v[12:13], off
	s_waitcnt vmcnt(0)
	v_mul_f32_e32 v12, s28, v12
	s_branch .LBB64_359
.LBB64_358:
	v_mov_b32_e32 v12, 0
.LBB64_359:
	v_max_f32_e32 v13, v41, v41
	v_max_f32_e32 v12, v12, v12
	v_min_f32_e32 v12, v12, v13
	v_lshl_add_u64 v[0:1], v[0:1], 2, v[8:9]
	global_store_dword v[0:1], v12, off
	s_or_b64 exec, exec, s[2:3]
	s_and_b64 s[4:5], s[4:5], s[10:11]
	s_and_saveexec_b64 s[2:3], s[4:5]
	s_cbranch_execz .LBB64_353
.LBB64_360:
	s_and_b64 vcc, exec, s[0:1]
	s_cbranch_vccnz .LBB64_362
; %bb.361:
	v_lshl_add_u64 v[0:1], v[2:3], 2, v[10:11]
	global_load_dword v0, v[0:1], off
	s_waitcnt vmcnt(0)
	v_mul_f32_e32 v0, s28, v0
	s_branch .LBB64_363
.LBB64_362:
	v_mov_b32_e32 v0, 0
.LBB64_363:
	v_max_f32_e32 v1, v40, v40
	v_max_f32_e32 v0, v0, v0
	v_min_f32_e32 v12, v0, v1
	v_lshl_add_u64 v[0:1], v[2:3], 2, v[8:9]
	global_store_dword v[0:1], v12, off
	s_or_b64 exec, exec, s[2:3]
	s_and_b64 s[4:5], s[6:7], s[10:11]
	s_and_saveexec_b64 s[2:3], s[4:5]
	s_cbranch_execz .LBB64_354
.LBB64_364:
	s_and_b64 vcc, exec, s[0:1]
	s_cbranch_vccnz .LBB64_366
; %bb.365:
	v_lshl_add_u64 v[0:1], v[4:5], 2, v[10:11]
	global_load_dword v0, v[0:1], off
	s_waitcnt vmcnt(0)
	v_mul_f32_e32 v0, s28, v0
	s_branch .LBB64_367
.LBB64_366:
	v_mov_b32_e32 v0, 0
.LBB64_367:
	v_max_f32_e32 v1, v39, v39
	v_max_f32_e32 v0, v0, v0
	v_min_f32_e32 v2, v0, v1
	v_lshl_add_u64 v[0:1], v[4:5], 2, v[8:9]
	global_store_dword v[0:1], v2, off
	s_or_b64 exec, exec, s[2:3]
	s_and_b64 s[2:3], s[8:9], s[10:11]
	s_and_saveexec_b64 s[4:5], s[2:3]
	s_cbranch_execz .LBB64_355
.LBB64_368:
	s_and_b64 vcc, exec, s[0:1]
	s_cbranch_vccnz .LBB64_370
; %bb.369:
	v_lshl_add_u64 v[0:1], v[6:7], 2, v[10:11]
	global_load_dword v0, v[0:1], off
	s_waitcnt vmcnt(0)
	v_mul_f32_e32 v0, s28, v0
	s_branch .LBB64_371
.LBB64_370:
	v_mov_b32_e32 v0, 0
.LBB64_371:
	v_max_f32_e32 v1, v38, v38
	v_max_f32_e32 v0, v0, v0
	v_min_f32_e32 v2, v0, v1
	v_lshl_add_u64 v[0:1], v[6:7], 2, v[8:9]
	global_store_dword v[0:1], v2, off
	s_endpgm
	.section	.rodata,"a",@progbits
	.p2align	6, 0x0
	.amdhsa_kernel _ZN12_GLOBAL__N_120geam_min_plus_kernelIf15HIP_vector_typeIfLj2EEfLi32ELi8ELi128ELi128ELi4ELi4ELi64ELi4ELi64ELc84ELc78ELb1ELb1ELb1EfKffEEviiiT16_PT17_ilS6_ilS4_S6_ilPT18_ili26rocblas_geam_ex_operation_
		.amdhsa_group_segment_fixed_size 8192
		.amdhsa_private_segment_fixed_size 0
		.amdhsa_kernarg_size 128
		.amdhsa_user_sgpr_count 2
		.amdhsa_user_sgpr_dispatch_ptr 0
		.amdhsa_user_sgpr_queue_ptr 0
		.amdhsa_user_sgpr_kernarg_segment_ptr 1
		.amdhsa_user_sgpr_dispatch_id 0
		.amdhsa_user_sgpr_kernarg_preload_length 0
		.amdhsa_user_sgpr_kernarg_preload_offset 0
		.amdhsa_user_sgpr_private_segment_size 0
		.amdhsa_uses_dynamic_stack 0
		.amdhsa_enable_private_segment 0
		.amdhsa_system_sgpr_workgroup_id_x 1
		.amdhsa_system_sgpr_workgroup_id_y 0
		.amdhsa_system_sgpr_workgroup_id_z 1
		.amdhsa_system_sgpr_workgroup_info 0
		.amdhsa_system_vgpr_workitem_id 1
		.amdhsa_next_free_vgpr 140
		.amdhsa_next_free_sgpr 36
		.amdhsa_accum_offset 140
		.amdhsa_reserve_vcc 1
		.amdhsa_float_round_mode_32 0
		.amdhsa_float_round_mode_16_64 0
		.amdhsa_float_denorm_mode_32 3
		.amdhsa_float_denorm_mode_16_64 3
		.amdhsa_dx10_clamp 1
		.amdhsa_ieee_mode 1
		.amdhsa_fp16_overflow 0
		.amdhsa_tg_split 0
		.amdhsa_exception_fp_ieee_invalid_op 0
		.amdhsa_exception_fp_denorm_src 0
		.amdhsa_exception_fp_ieee_div_zero 0
		.amdhsa_exception_fp_ieee_overflow 0
		.amdhsa_exception_fp_ieee_underflow 0
		.amdhsa_exception_fp_ieee_inexact 0
		.amdhsa_exception_int_div_zero 0
	.end_amdhsa_kernel
	.section	.text._ZN12_GLOBAL__N_120geam_min_plus_kernelIf15HIP_vector_typeIfLj2EEfLi32ELi8ELi128ELi128ELi4ELi4ELi64ELi4ELi64ELc84ELc78ELb1ELb1ELb1EfKffEEviiiT16_PT17_ilS6_ilS4_S6_ilPT18_ili26rocblas_geam_ex_operation_,"axG",@progbits,_ZN12_GLOBAL__N_120geam_min_plus_kernelIf15HIP_vector_typeIfLj2EEfLi32ELi8ELi128ELi128ELi4ELi4ELi64ELi4ELi64ELc84ELc78ELb1ELb1ELb1EfKffEEviiiT16_PT17_ilS6_ilS4_S6_ilPT18_ili26rocblas_geam_ex_operation_,comdat
.Lfunc_end64:
	.size	_ZN12_GLOBAL__N_120geam_min_plus_kernelIf15HIP_vector_typeIfLj2EEfLi32ELi8ELi128ELi128ELi4ELi4ELi64ELi4ELi64ELc84ELc78ELb1ELb1ELb1EfKffEEviiiT16_PT17_ilS6_ilS4_S6_ilPT18_ili26rocblas_geam_ex_operation_, .Lfunc_end64-_ZN12_GLOBAL__N_120geam_min_plus_kernelIf15HIP_vector_typeIfLj2EEfLi32ELi8ELi128ELi128ELi4ELi4ELi64ELi4ELi64ELc84ELc78ELb1ELb1ELb1EfKffEEviiiT16_PT17_ilS6_ilS4_S6_ilPT18_ili26rocblas_geam_ex_operation_
                                        ; -- End function
	.set _ZN12_GLOBAL__N_120geam_min_plus_kernelIf15HIP_vector_typeIfLj2EEfLi32ELi8ELi128ELi128ELi4ELi4ELi64ELi4ELi64ELc84ELc78ELb1ELb1ELb1EfKffEEviiiT16_PT17_ilS6_ilS4_S6_ilPT18_ili26rocblas_geam_ex_operation_.num_vgpr, 140
	.set _ZN12_GLOBAL__N_120geam_min_plus_kernelIf15HIP_vector_typeIfLj2EEfLi32ELi8ELi128ELi128ELi4ELi4ELi64ELi4ELi64ELc84ELc78ELb1ELb1ELb1EfKffEEviiiT16_PT17_ilS6_ilS4_S6_ilPT18_ili26rocblas_geam_ex_operation_.num_agpr, 0
	.set _ZN12_GLOBAL__N_120geam_min_plus_kernelIf15HIP_vector_typeIfLj2EEfLi32ELi8ELi128ELi128ELi4ELi4ELi64ELi4ELi64ELc84ELc78ELb1ELb1ELb1EfKffEEviiiT16_PT17_ilS6_ilS4_S6_ilPT18_ili26rocblas_geam_ex_operation_.numbered_sgpr, 36
	.set _ZN12_GLOBAL__N_120geam_min_plus_kernelIf15HIP_vector_typeIfLj2EEfLi32ELi8ELi128ELi128ELi4ELi4ELi64ELi4ELi64ELc84ELc78ELb1ELb1ELb1EfKffEEviiiT16_PT17_ilS6_ilS4_S6_ilPT18_ili26rocblas_geam_ex_operation_.num_named_barrier, 0
	.set _ZN12_GLOBAL__N_120geam_min_plus_kernelIf15HIP_vector_typeIfLj2EEfLi32ELi8ELi128ELi128ELi4ELi4ELi64ELi4ELi64ELc84ELc78ELb1ELb1ELb1EfKffEEviiiT16_PT17_ilS6_ilS4_S6_ilPT18_ili26rocblas_geam_ex_operation_.private_seg_size, 0
	.set _ZN12_GLOBAL__N_120geam_min_plus_kernelIf15HIP_vector_typeIfLj2EEfLi32ELi8ELi128ELi128ELi4ELi4ELi64ELi4ELi64ELc84ELc78ELb1ELb1ELb1EfKffEEviiiT16_PT17_ilS6_ilS4_S6_ilPT18_ili26rocblas_geam_ex_operation_.uses_vcc, 1
	.set _ZN12_GLOBAL__N_120geam_min_plus_kernelIf15HIP_vector_typeIfLj2EEfLi32ELi8ELi128ELi128ELi4ELi4ELi64ELi4ELi64ELc84ELc78ELb1ELb1ELb1EfKffEEviiiT16_PT17_ilS6_ilS4_S6_ilPT18_ili26rocblas_geam_ex_operation_.uses_flat_scratch, 0
	.set _ZN12_GLOBAL__N_120geam_min_plus_kernelIf15HIP_vector_typeIfLj2EEfLi32ELi8ELi128ELi128ELi4ELi4ELi64ELi4ELi64ELc84ELc78ELb1ELb1ELb1EfKffEEviiiT16_PT17_ilS6_ilS4_S6_ilPT18_ili26rocblas_geam_ex_operation_.has_dyn_sized_stack, 0
	.set _ZN12_GLOBAL__N_120geam_min_plus_kernelIf15HIP_vector_typeIfLj2EEfLi32ELi8ELi128ELi128ELi4ELi4ELi64ELi4ELi64ELc84ELc78ELb1ELb1ELb1EfKffEEviiiT16_PT17_ilS6_ilS4_S6_ilPT18_ili26rocblas_geam_ex_operation_.has_recursion, 0
	.set _ZN12_GLOBAL__N_120geam_min_plus_kernelIf15HIP_vector_typeIfLj2EEfLi32ELi8ELi128ELi128ELi4ELi4ELi64ELi4ELi64ELc84ELc78ELb1ELb1ELb1EfKffEEviiiT16_PT17_ilS6_ilS4_S6_ilPT18_ili26rocblas_geam_ex_operation_.has_indirect_call, 0
	.section	.AMDGPU.csdata,"",@progbits
; Kernel info:
; codeLenInByte = 14648
; TotalNumSgprs: 42
; NumVgprs: 140
; NumAgprs: 0
; TotalNumVgprs: 140
; ScratchSize: 0
; MemoryBound: 0
; FloatMode: 240
; IeeeMode: 1
; LDSByteSize: 8192 bytes/workgroup (compile time only)
; SGPRBlocks: 5
; VGPRBlocks: 17
; NumSGPRsForWavesPerEU: 42
; NumVGPRsForWavesPerEU: 140
; AccumOffset: 140
; Occupancy: 3
; WaveLimiterHint : 0
; COMPUTE_PGM_RSRC2:SCRATCH_EN: 0
; COMPUTE_PGM_RSRC2:USER_SGPR: 2
; COMPUTE_PGM_RSRC2:TRAP_HANDLER: 0
; COMPUTE_PGM_RSRC2:TGID_X_EN: 1
; COMPUTE_PGM_RSRC2:TGID_Y_EN: 0
; COMPUTE_PGM_RSRC2:TGID_Z_EN: 1
; COMPUTE_PGM_RSRC2:TIDIG_COMP_CNT: 1
; COMPUTE_PGM_RSRC3_GFX90A:ACCUM_OFFSET: 34
; COMPUTE_PGM_RSRC3_GFX90A:TG_SPLIT: 0
	.section	.text._ZN12_GLOBAL__N_120geam_min_plus_kernelIf15HIP_vector_typeIfLj2EEfLi32ELi8ELi128ELi128ELi4ELi4ELi64ELi4ELi64ELc84ELc78ELb0ELb1ELb1EfKffEEviiiT16_PT17_ilS6_ilS4_S6_ilPT18_ili26rocblas_geam_ex_operation_,"axG",@progbits,_ZN12_GLOBAL__N_120geam_min_plus_kernelIf15HIP_vector_typeIfLj2EEfLi32ELi8ELi128ELi128ELi4ELi4ELi64ELi4ELi64ELc84ELc78ELb0ELb1ELb1EfKffEEviiiT16_PT17_ilS6_ilS4_S6_ilPT18_ili26rocblas_geam_ex_operation_,comdat
	.globl	_ZN12_GLOBAL__N_120geam_min_plus_kernelIf15HIP_vector_typeIfLj2EEfLi32ELi8ELi128ELi128ELi4ELi4ELi64ELi4ELi64ELc84ELc78ELb0ELb1ELb1EfKffEEviiiT16_PT17_ilS6_ilS4_S6_ilPT18_ili26rocblas_geam_ex_operation_ ; -- Begin function _ZN12_GLOBAL__N_120geam_min_plus_kernelIf15HIP_vector_typeIfLj2EEfLi32ELi8ELi128ELi128ELi4ELi4ELi64ELi4ELi64ELc84ELc78ELb0ELb1ELb1EfKffEEviiiT16_PT17_ilS6_ilS4_S6_ilPT18_ili26rocblas_geam_ex_operation_
	.p2align	8
	.type	_ZN12_GLOBAL__N_120geam_min_plus_kernelIf15HIP_vector_typeIfLj2EEfLi32ELi8ELi128ELi128ELi4ELi4ELi64ELi4ELi64ELc84ELc78ELb0ELb1ELb1EfKffEEviiiT16_PT17_ilS6_ilS4_S6_ilPT18_ili26rocblas_geam_ex_operation_,@function
_ZN12_GLOBAL__N_120geam_min_plus_kernelIf15HIP_vector_typeIfLj2EEfLi32ELi8ELi128ELi128ELi4ELi4ELi64ELi4ELi64ELc84ELc78ELb0ELb1ELb1EfKffEEviiiT16_PT17_ilS6_ilS4_S6_ilPT18_ili26rocblas_geam_ex_operation_: ; @_ZN12_GLOBAL__N_120geam_min_plus_kernelIf15HIP_vector_typeIfLj2EEfLi32ELi8ELi128ELi128ELi4ELi4ELi64ELi4ELi64ELc84ELc78ELb0ELb1ELb1EfKffEEviiiT16_PT17_ilS6_ilS4_S6_ilPT18_ili26rocblas_geam_ex_operation_
; %bb.0:
	s_load_dwordx4 s[16:19], s[0:1], 0x0
	s_load_dwordx4 s[4:7], s[0:1], 0x20
	s_waitcnt lgkmcnt(0)
	v_cmp_eq_f32_e64 s[8:9], s19, 0
	s_and_b64 vcc, exec, s[8:9]
	s_cbranch_vccnz .LBB65_53
; %bb.1:
	s_load_dwordx2 s[10:11], s[0:1], 0x10
	s_mul_i32 s5, s5, s3
	s_mul_hi_u32 s12, s4, s3
	s_add_i32 s5, s12, s5
	s_mul_i32 s4, s4, s3
	s_lshl_b64 s[4:5], s[4:5], 2
	s_waitcnt lgkmcnt(0)
	s_add_u32 s24, s10, s4
	s_addc_u32 s25, s11, s5
	s_andn2_b64 vcc, exec, s[8:9]
	s_mov_b64 s[4:5], -1
	s_cbranch_vccnz .LBB65_3
.LBB65_2:
	s_mov_b64 s[4:5], 0
.LBB65_3:
	s_mov_b64 s[20:21], 0
	s_andn2_b64 vcc, exec, s[4:5]
	s_mov_b64 s[26:27], 0
	s_cbranch_vccnz .LBB65_5
; %bb.4:
	s_load_dwordx2 s[4:5], s[0:1], 0x38
	s_waitcnt lgkmcnt(0)
	s_mul_i32 s5, s5, s3
	s_mul_hi_u32 s8, s4, s3
	s_add_i32 s5, s8, s5
	s_mul_i32 s4, s4, s3
	s_lshl_b64 s[4:5], s[4:5], 2
	s_add_u32 s26, s6, s4
	s_addc_u32 s27, s7, s5
.LBB65_5:
	s_load_dword s30, s[0:1], 0x40
	s_load_dwordx4 s[12:15], s[0:1], 0x58
	s_waitcnt lgkmcnt(0)
	v_cmp_eq_f32_e64 s[4:5], s30, 0
	v_cmp_neq_f32_e64 s[22:23], s30, 0
	s_and_b64 vcc, exec, s[4:5]
	s_cbranch_vccnz .LBB65_7
; %bb.6:
	s_load_dwordx2 s[4:5], s[0:1], 0x48
	s_mul_i32 s6, s13, s3
	s_mul_hi_u32 s7, s12, s3
	s_add_i32 s7, s7, s6
	s_mul_i32 s6, s12, s3
	s_lshl_b64 s[6:7], s[6:7], 2
	s_waitcnt lgkmcnt(0)
	s_add_u32 s20, s4, s6
	s_addc_u32 s21, s5, s7
.LBB65_7:
	s_add_i32 s4, s16, -1
	s_ashr_i32 s5, s4, 31
	s_lshr_b32 s5, s5, 25
	s_add_i32 s4, s4, s5
	s_ashr_i32 s4, s4, 7
	s_add_i32 s5, s4, 1
	v_cvt_f32_u32_e32 v1, s5
	v_and_b32_e32 v85, 0x3ff, v0
	v_bfe_u32 v86, v0, 10, 10
	v_and_b32_e32 v94, 3, v0
	v_rcp_iflag_f32_e32 v1, v1
	s_not_b32 s4, s4
	s_load_dword s35, s[0:1], 0x18
	v_cmp_le_i32_e32 vcc, s18, v94
	v_mul_f32_e32 v0, 0x4f7ffffe, v1
	v_cvt_u32_f32_e32 v0, v0
	v_lshl_add_u32 v1, v86, 5, v85
	v_lshrrev_b32_e32 v12, 2, v1
	v_cmp_eq_f32_e64 s[28:29], s19, 0
	v_readfirstlane_b32 s6, v0
	s_mul_i32 s4, s4, s6
	s_mul_hi_u32 s4, s6, s4
	s_add_i32 s6, s6, s4
	s_mul_hi_u32 s4, s2, s6
	s_mul_i32 s6, s4, s5
	s_sub_i32 s6, s2, s6
	s_add_i32 s7, s4, 1
	s_sub_i32 s8, s6, s5
	s_cmp_ge_u32 s6, s5
	s_cselect_b32 s4, s7, s4
	s_cselect_b32 s6, s8, s6
	s_add_i32 s7, s4, 1
	s_cmp_ge_u32 s6, s5
	s_cselect_b32 s8, s7, s4
	s_mul_i32 s4, s8, s5
	s_sub_i32 s2, s2, s4
	s_lshl_b32 s2, s2, 7
	v_add_u32_e32 v13, s2, v12
	s_add_i32 s33, s18, -1
	v_min_i32_e32 v0, s33, v94
	v_cmp_le_i32_e64 s[10:11], s16, v13
	v_ashrrev_i32_e32 v1, 31, v0
	v_mov_b32_e32 v5, 0x7f7fffff
	s_or_b64 s[4:5], vcc, s[10:11]
	v_lshl_add_u64 v[2:3], v[0:1], 2, s[24:25]
	v_cndmask_b32_e64 v4, 0, v5, s[4:5]
	s_nor_b64 s[6:7], s[28:29], s[4:5]
	s_and_saveexec_b64 s[4:5], s[6:7]
	s_cbranch_execz .LBB65_9
; %bb.8:
	s_waitcnt lgkmcnt(0)
	v_mad_i64_i32 v[6:7], s[6:7], v13, s35, 0
	v_lshl_add_u64 v[6:7], v[6:7], 2, v[2:3]
	global_load_dword v4, v[6:7], off
	s_waitcnt vmcnt(0)
	v_mul_f32_e32 v4, s19, v4
.LBB65_9:
	s_or_b64 exec, exec, s[4:5]
	v_add_u32_e32 v14, 64, v13
	v_cmp_le_i32_e64 s[4:5], s16, v14
	s_or_b64 s[6:7], vcc, s[4:5]
	v_cndmask_b32_e64 v5, 0, v5, s[6:7]
	s_nor_b64 s[12:13], s[28:29], s[6:7]
	s_and_saveexec_b64 s[6:7], s[12:13]
	s_cbranch_execz .LBB65_11
; %bb.10:
	s_waitcnt lgkmcnt(0)
	v_mad_i64_i32 v[6:7], s[12:13], v14, s35, 0
	v_lshl_add_u64 v[2:3], v[6:7], 2, v[2:3]
	global_load_dword v2, v[2:3], off
	s_waitcnt vmcnt(0)
	v_mul_f32_e32 v5, s19, v2
.LBB65_11:
	s_or_b64 exec, exec, s[6:7]
	s_load_dword s36, s[0:1], 0x30
	s_lshl_b32 s31, s8, 7
	v_add_u32_e32 v15, s31, v12
	v_cmp_le_i32_e64 s[6:7], s17, v15
	v_mov_b32_e32 v2, 0x7f7fffff
	s_or_b64 s[8:9], vcc, s[6:7]
	v_lshl_add_u64 v[0:1], v[0:1], 2, s[26:27]
	v_cndmask_b32_e64 v6, 0, v2, s[8:9]
	s_nor_b64 s[12:13], s[28:29], s[8:9]
	s_and_saveexec_b64 s[8:9], s[12:13]
	s_cbranch_execz .LBB65_13
; %bb.12:
	s_waitcnt lgkmcnt(0)
	v_mad_i64_i32 v[6:7], s[12:13], v15, s36, 0
	v_lshl_add_u64 v[6:7], v[6:7], 2, v[0:1]
	global_load_dword v3, v[6:7], off
	s_waitcnt vmcnt(0)
	v_mul_f32_e32 v6, s19, v3
.LBB65_13:
	s_or_b64 exec, exec, s[8:9]
	v_add_u32_e32 v16, 64, v15
	v_cmp_le_i32_e64 s[8:9], s17, v16
	s_or_b64 vcc, vcc, s[8:9]
	v_cndmask_b32_e32 v7, 0, v2, vcc
	s_nor_b64 s[38:39], s[28:29], vcc
	s_and_saveexec_b64 s[12:13], s[38:39]
	s_cbranch_execz .LBB65_15
; %bb.14:
	s_waitcnt lgkmcnt(0)
	v_mad_i64_i32 v[2:3], s[38:39], v16, s36, 0
	v_lshl_add_u64 v[0:1], v[2:3], 2, v[0:1]
	global_load_dword v0, v[0:1], off
	s_waitcnt vmcnt(0)
	v_mul_f32_e32 v7, s19, v0
.LBB65_15:
	s_or_b64 exec, exec, s[12:13]
	v_or_b32_e32 v0, 4, v94
	v_cmp_le_i32_e32 vcc, s18, v0
	v_min_i32_e32 v0, s33, v0
	v_ashrrev_i32_e32 v1, 31, v0
	v_mov_b32_e32 v8, 0x7f7fffff
	s_or_b64 s[12:13], vcc, s[10:11]
	v_lshl_add_u64 v[2:3], v[0:1], 2, s[24:25]
	v_cndmask_b32_e64 v17, 0, v8, s[12:13]
	s_nor_b64 s[38:39], s[28:29], s[12:13]
	s_and_saveexec_b64 s[12:13], s[38:39]
	s_cbranch_execz .LBB65_17
; %bb.16:
	s_waitcnt lgkmcnt(0)
	v_mad_i64_i32 v[10:11], s[38:39], v13, s35, 0
	v_lshl_add_u64 v[10:11], v[10:11], 2, v[2:3]
	global_load_dword v9, v[10:11], off
	s_waitcnt vmcnt(0)
	v_mul_f32_e32 v17, s19, v9
.LBB65_17:
	s_or_b64 exec, exec, s[12:13]
	s_or_b64 s[12:13], vcc, s[4:5]
	v_cndmask_b32_e64 v18, 0, v8, s[12:13]
	s_nor_b64 s[38:39], s[28:29], s[12:13]
	s_and_saveexec_b64 s[12:13], s[38:39]
	s_cbranch_execz .LBB65_19
; %bb.18:
	s_waitcnt lgkmcnt(0)
	v_mad_i64_i32 v[8:9], s[38:39], v14, s35, 0
	v_lshl_add_u64 v[2:3], v[8:9], 2, v[2:3]
	global_load_dword v2, v[2:3], off
	s_waitcnt vmcnt(0)
	v_mul_f32_e32 v18, s19, v2
.LBB65_19:
	s_or_b64 exec, exec, s[12:13]
	v_mov_b32_e32 v2, 0x7f7fffff
	s_or_b64 s[12:13], vcc, s[6:7]
	v_lshl_add_u64 v[0:1], v[0:1], 2, s[26:27]
	v_cndmask_b32_e64 v19, 0, v2, s[12:13]
	s_nor_b64 s[38:39], s[28:29], s[12:13]
	s_and_saveexec_b64 s[12:13], s[38:39]
	s_cbranch_execz .LBB65_21
; %bb.20:
	s_waitcnt lgkmcnt(0)
	v_mad_i64_i32 v[8:9], s[38:39], v15, s36, 0
	v_lshl_add_u64 v[8:9], v[8:9], 2, v[0:1]
	global_load_dword v3, v[8:9], off
	s_waitcnt vmcnt(0)
	v_mul_f32_e32 v19, s19, v3
.LBB65_21:
	s_or_b64 exec, exec, s[12:13]
	s_or_b64 vcc, vcc, s[8:9]
	v_cndmask_b32_e32 v20, 0, v2, vcc
	s_nor_b64 s[38:39], s[28:29], vcc
	s_mov_b32 s34, 0
	s_and_saveexec_b64 s[12:13], s[38:39]
	s_cbranch_execz .LBB65_23
; %bb.22:
	s_waitcnt lgkmcnt(0)
	v_mad_i64_i32 v[2:3], s[38:39], v16, s36, 0
	v_lshl_add_u64 v[0:1], v[2:3], 2, v[0:1]
	global_load_dword v0, v[0:1], off
	s_waitcnt vmcnt(0)
	v_mul_f32_e32 v20, s19, v0
.LBB65_23:
	s_or_b64 exec, exec, s[12:13]
	v_lshlrev_b32_e32 v0, 4, v12
	v_lshl_or_b32 v95, v94, 2, v0
	v_mov_b32_e32 v0, 0x1000
	v_add_u32_e32 v96, 0x1000, v95
	v_lshlrev_b32_e32 v97, 4, v85
	v_lshl_add_u32 v98, v86, 4, v0
	v_mov_b32_e32 v93, 0x7f7fffff
	s_mov_b64 s[12:13], -1
	v_mov_b32_e32 v92, 0x7f7fffff
	v_mov_b32_e32 v91, 0x7f7fffff
	;; [unrolled: 1-line block ×63, first 2 shown]
	ds_write2st64_b32 v95, v4, v5 offset1:4
	ds_write2st64_b32 v95, v6, v7 offset0:16 offset1:20
	s_waitcnt lgkmcnt(0)
	s_barrier
.LBB65_24:                              ; =>This Inner Loop Header: Depth=1
	v_cndmask_b32_e64 v0, 0, 1, s[12:13]
	s_lshl_b32 s12, s34, 2
	v_cmp_ne_u32_e32 vcc, 1, v0
	v_add_u32_e32 v0, s12, v97
	ds_read2st64_b64 v[4:7], v0 offset1:1
	ds_read2st64_b64 v[0:3], v0 offset0:2 offset1:3
	v_add_u32_e32 v8, s12, v98
	ds_read2_b64 v[22:25], v8 offset1:16
	ds_read2_b64 v[100:103], v8 offset0:32 offset1:48
	ds_read2_b64 v[104:107], v8 offset0:64 offset1:80
	;; [unrolled: 1-line block ×7, first 2 shown]
	s_mov_b64 s[12:13], 0
	s_waitcnt lgkmcnt(7)
	v_pk_add_f32 v[26:27], v[4:5], v[22:23]
	s_and_b64 vcc, exec, vcc
	v_min3_f32 v93, v26, v27, v93
	v_pk_add_f32 v[26:27], v[6:7], v[22:23]
	s_mov_b32 s34, 2
	v_min3_f32 v92, v26, v27, v92
	v_pk_add_f32 v[26:27], v[0:1], v[22:23]
	v_pk_add_f32 v[22:23], v[2:3], v[22:23]
	v_min3_f32 v91, v26, v27, v91
	v_min3_f32 v90, v22, v23, v90
	v_pk_add_f32 v[22:23], v[4:5], v[24:25]
	s_nop 0
	v_min3_f32 v89, v22, v23, v89
	v_pk_add_f32 v[22:23], v[6:7], v[24:25]
	s_nop 0
	v_min3_f32 v88, v22, v23, v88
	v_pk_add_f32 v[22:23], v[0:1], v[24:25]
	s_nop 0
	v_min3_f32 v87, v22, v23, v87
	v_pk_add_f32 v[22:23], v[2:3], v[24:25]
	s_nop 0
	v_min3_f32 v84, v22, v23, v84
	s_waitcnt lgkmcnt(6)
	v_pk_add_f32 v[22:23], v[4:5], v[100:101]
	s_nop 0
	v_min3_f32 v83, v22, v23, v83
	v_pk_add_f32 v[22:23], v[6:7], v[100:101]
	s_nop 0
	v_min3_f32 v82, v22, v23, v82
	v_pk_add_f32 v[22:23], v[0:1], v[100:101]
	s_nop 0
	v_min3_f32 v81, v22, v23, v81
	v_pk_add_f32 v[22:23], v[2:3], v[100:101]
	s_nop 0
	v_min3_f32 v80, v22, v23, v80
	v_pk_add_f32 v[22:23], v[4:5], v[102:103]
	s_nop 0
	v_min3_f32 v79, v22, v23, v79
	v_pk_add_f32 v[22:23], v[6:7], v[102:103]
	s_nop 0
	v_min3_f32 v78, v22, v23, v78
	v_pk_add_f32 v[22:23], v[0:1], v[102:103]
	s_nop 0
	v_min3_f32 v77, v22, v23, v77
	v_pk_add_f32 v[22:23], v[2:3], v[102:103]
	s_nop 0
	v_min3_f32 v76, v22, v23, v76
	s_waitcnt lgkmcnt(5)
	v_pk_add_f32 v[22:23], v[4:5], v[104:105]
	s_nop 0
	v_min3_f32 v75, v22, v23, v75
	v_pk_add_f32 v[22:23], v[6:7], v[104:105]
	s_nop 0
	v_min3_f32 v74, v22, v23, v74
	v_pk_add_f32 v[22:23], v[0:1], v[104:105]
	s_nop 0
	v_min3_f32 v73, v22, v23, v73
	v_pk_add_f32 v[22:23], v[2:3], v[104:105]
	s_nop 0
	;; [unrolled: 25-line block ×6, first 2 shown]
	v_min3_f32 v40, v22, v23, v40
	v_pk_add_f32 v[22:23], v[4:5], v[122:123]
	s_nop 0
	v_min3_f32 v39, v22, v23, v39
	v_pk_add_f32 v[22:23], v[6:7], v[122:123]
	s_nop 0
	;; [unrolled: 3-line block ×4, first 2 shown]
	v_min3_f32 v36, v22, v23, v36
	s_waitcnt lgkmcnt(0)
	v_pk_add_f32 v[22:23], v[4:5], v[8:9]
	v_pk_add_f32 v[4:5], v[4:5], v[10:11]
	v_min3_f32 v35, v22, v23, v35
	v_pk_add_f32 v[22:23], v[6:7], v[8:9]
	v_min3_f32 v31, v4, v5, v31
	v_min3_f32 v34, v22, v23, v34
	v_pk_add_f32 v[22:23], v[0:1], v[8:9]
	v_pk_add_f32 v[0:1], v[0:1], v[10:11]
	;; [unrolled: 1-line block ×4, first 2 shown]
	v_min3_f32 v29, v0, v1, v29
	v_pk_add_f32 v[0:1], v[2:3], v[10:11]
	v_min3_f32 v33, v22, v23, v33
	v_min3_f32 v32, v8, v9, v32
	;; [unrolled: 1-line block ×4, first 2 shown]
	s_cbranch_vccz .LBB65_24
; %bb.25:
	v_lshlrev_b32_e32 v0, 2, v94
	v_lshl_or_b32 v0, v12, 4, v0
	s_cmp_lt_i32 s18, 9
	ds_write2st64_b32 v0, v17, v18 offset0:8 offset1:12
	ds_write2st64_b32 v0, v19, v20 offset0:24 offset1:28
	s_waitcnt lgkmcnt(0)
	s_barrier
	s_cbranch_scc1 .LBB65_48
; %bb.26:
	v_add_u32_e32 v99, 0x800, v0
	v_add_u32_e32 v100, 0x1800, v0
	v_mov_b32_e32 v0, 0x800
	v_lshl_add_u32 v101, v85, 4, v0
	v_mov_b32_e32 v0, 0x1800
	s_add_i32 s34, s18, -8
	v_mad_i64_i32 v[20:21], s[12:13], v13, s35, 0
	v_mad_i64_i32 v[22:23], s[12:13], v14, s35, 0
	;; [unrolled: 1-line block ×4, first 2 shown]
	v_lshl_add_u32 v102, v86, 4, v0
	s_mov_b32 s35, 8
	s_mov_b32 s36, 0
	v_mov_b32_e32 v103, 0x7f7fffff
.LBB65_27:                              ; =>This Loop Header: Depth=1
                                        ;     Child Loop BB65_36 Depth 2
                                        ;     Child Loop BB65_46 Depth 2
	v_or_b32_e32 v104, s35, v94
	v_cmp_le_i32_e32 vcc, s18, v104
	v_min_i32_e32 v0, s33, v104
	v_ashrrev_i32_e32 v1, 31, v0
	s_or_b64 s[12:13], s[10:11], vcc
	v_lshl_add_u64 v[2:3], v[0:1], 2, s[24:25]
	v_cndmask_b32_e64 v105, 0, v103, s[12:13]
	s_nor_b64 s[38:39], s[28:29], s[12:13]
	s_and_saveexec_b64 s[12:13], s[38:39]
	s_cbranch_execz .LBB65_29
; %bb.28:                               ;   in Loop: Header=BB65_27 Depth=1
	v_lshl_add_u64 v[4:5], v[20:21], 2, v[2:3]
	global_load_dword v4, v[4:5], off
	s_waitcnt vmcnt(0)
	v_mul_f32_e32 v105, s19, v4
.LBB65_29:                              ;   in Loop: Header=BB65_27 Depth=1
	s_or_b64 exec, exec, s[12:13]
	s_or_b64 s[12:13], s[4:5], vcc
	v_cndmask_b32_e64 v106, 0, v103, s[12:13]
	s_nor_b64 s[38:39], s[28:29], s[12:13]
	s_and_saveexec_b64 s[12:13], s[38:39]
	s_cbranch_execz .LBB65_31
; %bb.30:                               ;   in Loop: Header=BB65_27 Depth=1
	v_lshl_add_u64 v[2:3], v[22:23], 2, v[2:3]
	global_load_dword v2, v[2:3], off
	s_waitcnt vmcnt(0)
	v_mul_f32_e32 v106, s19, v2
.LBB65_31:                              ;   in Loop: Header=BB65_27 Depth=1
	s_or_b64 exec, exec, s[12:13]
	s_or_b64 s[12:13], s[6:7], vcc
	v_lshl_add_u64 v[0:1], v[0:1], 2, s[26:27]
	v_cndmask_b32_e64 v107, 0, v103, s[12:13]
	s_nor_b64 s[38:39], s[28:29], s[12:13]
	s_and_saveexec_b64 s[12:13], s[38:39]
	s_cbranch_execz .LBB65_33
; %bb.32:                               ;   in Loop: Header=BB65_27 Depth=1
	v_lshl_add_u64 v[2:3], v[24:25], 2, v[0:1]
	global_load_dword v2, v[2:3], off
	s_waitcnt vmcnt(0)
	v_mul_f32_e32 v107, s19, v2
.LBB65_33:                              ;   in Loop: Header=BB65_27 Depth=1
	s_or_b64 exec, exec, s[12:13]
	s_or_b64 vcc, s[8:9], vcc
	v_cndmask_b32_e32 v108, 0, v103, vcc
	s_nor_b64 s[38:39], s[28:29], vcc
	s_and_saveexec_b64 s[12:13], s[38:39]
	s_cbranch_execz .LBB65_35
; %bb.34:                               ;   in Loop: Header=BB65_27 Depth=1
	v_lshl_add_u64 v[0:1], v[26:27], 2, v[0:1]
	global_load_dword v0, v[0:1], off
	s_waitcnt vmcnt(0)
	v_mul_f32_e32 v108, s19, v0
.LBB65_35:                              ;   in Loop: Header=BB65_27 Depth=1
	s_or_b64 exec, exec, s[12:13]
	s_mov_b32 s37, 0
	s_mov_b64 s[12:13], -1
.LBB65_36:                              ;   Parent Loop BB65_27 Depth=1
                                        ; =>  This Inner Loop Header: Depth=2
	v_cndmask_b32_e64 v0, 0, 1, s[12:13]
	s_lshl_b32 s12, s37, 2
	v_cmp_ne_u32_e32 vcc, 1, v0
	v_add_u32_e32 v0, s12, v101
	ds_read2st64_b64 v[4:7], v0 offset1:1
	ds_read2st64_b64 v[0:3], v0 offset0:2 offset1:3
	v_add_u32_e32 v8, s12, v102
	ds_read2_b64 v[110:113], v8 offset1:16
	ds_read2_b64 v[114:117], v8 offset0:32 offset1:48
	ds_read2_b64 v[118:121], v8 offset0:64 offset1:80
	ds_read2_b64 v[122:125], v8 offset0:96 offset1:112
	ds_read2_b64 v[126:129], v8 offset0:128 offset1:144
	ds_read2_b64 v[16:19], v8 offset0:160 offset1:176
	ds_read2_b64 v[12:15], v8 offset0:192 offset1:208
	ds_read2_b64 v[8:11], v8 offset0:224 offset1:240
	s_mov_b64 s[12:13], 0
	s_waitcnt lgkmcnt(7)
	v_pk_add_f32 v[130:131], v[4:5], v[110:111]
	s_and_b64 vcc, exec, vcc
	v_min3_f32 v93, v130, v131, v93
	v_pk_add_f32 v[130:131], v[6:7], v[110:111]
	s_mov_b32 s37, 2
	v_min3_f32 v92, v130, v131, v92
	v_pk_add_f32 v[130:131], v[0:1], v[110:111]
	v_pk_add_f32 v[110:111], v[2:3], v[110:111]
	v_min3_f32 v91, v130, v131, v91
	v_min3_f32 v90, v110, v111, v90
	v_pk_add_f32 v[110:111], v[4:5], v[112:113]
	s_nop 0
	v_min3_f32 v89, v110, v111, v89
	v_pk_add_f32 v[110:111], v[6:7], v[112:113]
	s_nop 0
	v_min3_f32 v88, v110, v111, v88
	v_pk_add_f32 v[110:111], v[0:1], v[112:113]
	s_nop 0
	v_min3_f32 v87, v110, v111, v87
	v_pk_add_f32 v[110:111], v[2:3], v[112:113]
	s_nop 0
	v_min3_f32 v84, v110, v111, v84
	s_waitcnt lgkmcnt(6)
	v_pk_add_f32 v[110:111], v[4:5], v[114:115]
	s_nop 0
	v_min3_f32 v83, v110, v111, v83
	v_pk_add_f32 v[110:111], v[6:7], v[114:115]
	s_nop 0
	v_min3_f32 v82, v110, v111, v82
	v_pk_add_f32 v[110:111], v[0:1], v[114:115]
	s_nop 0
	v_min3_f32 v81, v110, v111, v81
	v_pk_add_f32 v[110:111], v[2:3], v[114:115]
	s_nop 0
	v_min3_f32 v80, v110, v111, v80
	v_pk_add_f32 v[110:111], v[4:5], v[116:117]
	s_nop 0
	v_min3_f32 v79, v110, v111, v79
	v_pk_add_f32 v[110:111], v[6:7], v[116:117]
	s_nop 0
	v_min3_f32 v78, v110, v111, v78
	v_pk_add_f32 v[110:111], v[0:1], v[116:117]
	s_nop 0
	v_min3_f32 v77, v110, v111, v77
	v_pk_add_f32 v[110:111], v[2:3], v[116:117]
	s_nop 0
	v_min3_f32 v76, v110, v111, v76
	s_waitcnt lgkmcnt(5)
	v_pk_add_f32 v[110:111], v[4:5], v[118:119]
	s_nop 0
	v_min3_f32 v75, v110, v111, v75
	v_pk_add_f32 v[110:111], v[6:7], v[118:119]
	s_nop 0
	v_min3_f32 v74, v110, v111, v74
	v_pk_add_f32 v[110:111], v[0:1], v[118:119]
	s_nop 0
	v_min3_f32 v73, v110, v111, v73
	v_pk_add_f32 v[110:111], v[2:3], v[118:119]
	s_nop 0
	;; [unrolled: 25-line block ×4, first 2 shown]
	v_min3_f32 v56, v110, v111, v56
	v_pk_add_f32 v[110:111], v[4:5], v[128:129]
	s_nop 0
	v_min3_f32 v55, v110, v111, v55
	v_pk_add_f32 v[110:111], v[6:7], v[128:129]
	s_nop 0
	;; [unrolled: 3-line block ×4, first 2 shown]
	v_min3_f32 v52, v110, v111, v52
	s_waitcnt lgkmcnt(2)
	v_pk_add_f32 v[110:111], v[4:5], v[16:17]
	s_nop 0
	v_min3_f32 v51, v110, v111, v51
	v_pk_add_f32 v[110:111], v[6:7], v[16:17]
	s_nop 0
	v_min3_f32 v50, v110, v111, v50
	v_pk_add_f32 v[110:111], v[0:1], v[16:17]
	v_pk_add_f32 v[16:17], v[2:3], v[16:17]
	v_min3_f32 v49, v110, v111, v49
	v_min3_f32 v48, v16, v17, v48
	v_pk_add_f32 v[16:17], v[4:5], v[18:19]
	s_nop 0
	v_min3_f32 v47, v16, v17, v47
	v_pk_add_f32 v[16:17], v[6:7], v[18:19]
	s_nop 0
	;; [unrolled: 3-line block ×4, first 2 shown]
	v_min3_f32 v44, v16, v17, v44
	s_waitcnt lgkmcnt(1)
	v_pk_add_f32 v[16:17], v[4:5], v[12:13]
	s_nop 0
	v_min3_f32 v43, v16, v17, v43
	v_pk_add_f32 v[16:17], v[6:7], v[12:13]
	s_nop 0
	v_min3_f32 v42, v16, v17, v42
	v_pk_add_f32 v[16:17], v[0:1], v[12:13]
	v_pk_add_f32 v[12:13], v[2:3], v[12:13]
	v_min3_f32 v41, v16, v17, v41
	v_min3_f32 v40, v12, v13, v40
	v_pk_add_f32 v[12:13], v[4:5], v[14:15]
	s_nop 0
	v_min3_f32 v39, v12, v13, v39
	v_pk_add_f32 v[12:13], v[6:7], v[14:15]
	s_nop 0
	;; [unrolled: 3-line block ×4, first 2 shown]
	v_min3_f32 v36, v12, v13, v36
	s_waitcnt lgkmcnt(0)
	v_pk_add_f32 v[12:13], v[4:5], v[8:9]
	v_pk_add_f32 v[4:5], v[4:5], v[10:11]
	v_min3_f32 v35, v12, v13, v35
	v_pk_add_f32 v[12:13], v[6:7], v[8:9]
	v_min3_f32 v31, v4, v5, v31
	v_min3_f32 v34, v12, v13, v34
	v_pk_add_f32 v[12:13], v[0:1], v[8:9]
	v_pk_add_f32 v[0:1], v[0:1], v[10:11]
	;; [unrolled: 1-line block ×4, first 2 shown]
	v_min3_f32 v29, v0, v1, v29
	v_pk_add_f32 v[0:1], v[2:3], v[10:11]
	v_min3_f32 v33, v12, v13, v33
	v_min3_f32 v32, v8, v9, v32
	;; [unrolled: 1-line block ×4, first 2 shown]
	s_cbranch_vccz .LBB65_36
; %bb.37:                               ;   in Loop: Header=BB65_27 Depth=1
	v_or_b32_e32 v0, 4, v104
	v_cmp_le_i32_e32 vcc, s18, v0
	v_min_i32_e32 v0, s33, v0
	v_ashrrev_i32_e32 v1, 31, v0
	s_or_b64 s[12:13], s[10:11], vcc
	v_lshl_add_u64 v[2:3], v[0:1], 2, s[24:25]
	v_cndmask_b32_e64 v12, 0, v103, s[12:13]
	s_nor_b64 s[38:39], s[28:29], s[12:13]
	ds_write2st64_b32 v95, v105, v106 offset1:4
	ds_write2st64_b32 v96, v107, v108 offset1:4
	s_waitcnt lgkmcnt(0)
	s_barrier
	s_and_saveexec_b64 s[12:13], s[38:39]
	s_cbranch_execz .LBB65_39
; %bb.38:                               ;   in Loop: Header=BB65_27 Depth=1
	v_lshl_add_u64 v[4:5], v[20:21], 2, v[2:3]
	global_load_dword v4, v[4:5], off
	s_waitcnt vmcnt(0)
	v_mul_f32_e32 v12, s19, v4
.LBB65_39:                              ;   in Loop: Header=BB65_27 Depth=1
	s_or_b64 exec, exec, s[12:13]
	s_or_b64 s[12:13], s[4:5], vcc
	v_cndmask_b32_e64 v13, 0, v103, s[12:13]
	s_nor_b64 s[38:39], s[28:29], s[12:13]
	s_and_saveexec_b64 s[12:13], s[38:39]
	s_cbranch_execz .LBB65_41
; %bb.40:                               ;   in Loop: Header=BB65_27 Depth=1
	v_lshl_add_u64 v[2:3], v[22:23], 2, v[2:3]
	global_load_dword v2, v[2:3], off
	s_waitcnt vmcnt(0)
	v_mul_f32_e32 v13, s19, v2
.LBB65_41:                              ;   in Loop: Header=BB65_27 Depth=1
	s_or_b64 exec, exec, s[12:13]
	s_or_b64 s[12:13], s[6:7], vcc
	v_lshl_add_u64 v[0:1], v[0:1], 2, s[26:27]
	v_cndmask_b32_e64 v14, 0, v103, s[12:13]
	s_nor_b64 s[38:39], s[28:29], s[12:13]
	s_and_saveexec_b64 s[12:13], s[38:39]
	s_cbranch_execz .LBB65_43
; %bb.42:                               ;   in Loop: Header=BB65_27 Depth=1
	v_lshl_add_u64 v[2:3], v[24:25], 2, v[0:1]
	global_load_dword v2, v[2:3], off
	s_waitcnt vmcnt(0)
	v_mul_f32_e32 v14, s19, v2
.LBB65_43:                              ;   in Loop: Header=BB65_27 Depth=1
	s_or_b64 exec, exec, s[12:13]
	s_or_b64 vcc, s[8:9], vcc
	v_cndmask_b32_e32 v15, 0, v103, vcc
	s_nor_b64 s[38:39], s[28:29], vcc
	s_and_saveexec_b64 s[12:13], s[38:39]
	s_cbranch_execz .LBB65_45
; %bb.44:                               ;   in Loop: Header=BB65_27 Depth=1
	v_lshl_add_u64 v[0:1], v[26:27], 2, v[0:1]
	global_load_dword v0, v[0:1], off
	s_waitcnt vmcnt(0)
	v_mul_f32_e32 v15, s19, v0
.LBB65_45:                              ;   in Loop: Header=BB65_27 Depth=1
	s_or_b64 exec, exec, s[12:13]
	s_mov_b32 s37, 0
	s_mov_b64 s[12:13], -1
.LBB65_46:                              ;   Parent Loop BB65_27 Depth=1
                                        ; =>  This Inner Loop Header: Depth=2
	v_cndmask_b32_e64 v0, 0, 1, s[12:13]
	s_lshl_b32 s12, s37, 2
	v_cmp_ne_u32_e32 vcc, 1, v0
	v_add_u32_e32 v0, s12, v97
	ds_read2st64_b64 v[4:7], v0 offset1:1
	ds_read2st64_b64 v[0:3], v0 offset0:2 offset1:3
	v_add_u32_e32 v8, s12, v98
	ds_read2_b64 v[16:19], v8 offset1:16
	ds_read2_b64 v[104:107], v8 offset0:32 offset1:48
	ds_read2_b64 v[108:111], v8 offset0:64 offset1:80
	;; [unrolled: 1-line block ×7, first 2 shown]
	s_mov_b64 s[12:13], 0
	s_waitcnt lgkmcnt(7)
	v_pk_add_f32 v[128:129], v[4:5], v[16:17]
	s_and_b64 vcc, exec, vcc
	v_min3_f32 v93, v128, v129, v93
	v_pk_add_f32 v[128:129], v[6:7], v[16:17]
	s_mov_b32 s37, 2
	v_min3_f32 v92, v128, v129, v92
	v_pk_add_f32 v[128:129], v[0:1], v[16:17]
	v_pk_add_f32 v[16:17], v[2:3], v[16:17]
	v_min3_f32 v91, v128, v129, v91
	v_min3_f32 v90, v16, v17, v90
	v_pk_add_f32 v[16:17], v[4:5], v[18:19]
	s_nop 0
	v_min3_f32 v89, v16, v17, v89
	v_pk_add_f32 v[16:17], v[6:7], v[18:19]
	s_nop 0
	v_min3_f32 v88, v16, v17, v88
	v_pk_add_f32 v[16:17], v[0:1], v[18:19]
	s_nop 0
	v_min3_f32 v87, v16, v17, v87
	v_pk_add_f32 v[16:17], v[2:3], v[18:19]
	s_nop 0
	v_min3_f32 v84, v16, v17, v84
	s_waitcnt lgkmcnt(6)
	v_pk_add_f32 v[16:17], v[4:5], v[104:105]
	s_nop 0
	v_min3_f32 v83, v16, v17, v83
	v_pk_add_f32 v[16:17], v[6:7], v[104:105]
	s_nop 0
	v_min3_f32 v82, v16, v17, v82
	v_pk_add_f32 v[16:17], v[0:1], v[104:105]
	s_nop 0
	v_min3_f32 v81, v16, v17, v81
	v_pk_add_f32 v[16:17], v[2:3], v[104:105]
	s_nop 0
	v_min3_f32 v80, v16, v17, v80
	v_pk_add_f32 v[16:17], v[4:5], v[106:107]
	s_nop 0
	v_min3_f32 v79, v16, v17, v79
	v_pk_add_f32 v[16:17], v[6:7], v[106:107]
	s_nop 0
	v_min3_f32 v78, v16, v17, v78
	v_pk_add_f32 v[16:17], v[0:1], v[106:107]
	s_nop 0
	v_min3_f32 v77, v16, v17, v77
	v_pk_add_f32 v[16:17], v[2:3], v[106:107]
	s_nop 0
	v_min3_f32 v76, v16, v17, v76
	s_waitcnt lgkmcnt(5)
	v_pk_add_f32 v[16:17], v[4:5], v[108:109]
	s_nop 0
	v_min3_f32 v75, v16, v17, v75
	v_pk_add_f32 v[16:17], v[6:7], v[108:109]
	s_nop 0
	v_min3_f32 v74, v16, v17, v74
	v_pk_add_f32 v[16:17], v[0:1], v[108:109]
	s_nop 0
	v_min3_f32 v73, v16, v17, v73
	v_pk_add_f32 v[16:17], v[2:3], v[108:109]
	s_nop 0
	;; [unrolled: 25-line block ×6, first 2 shown]
	v_min3_f32 v40, v16, v17, v40
	v_pk_add_f32 v[16:17], v[4:5], v[126:127]
	s_nop 0
	v_min3_f32 v39, v16, v17, v39
	v_pk_add_f32 v[16:17], v[6:7], v[126:127]
	s_nop 0
	;; [unrolled: 3-line block ×4, first 2 shown]
	v_min3_f32 v36, v16, v17, v36
	s_waitcnt lgkmcnt(0)
	v_pk_add_f32 v[16:17], v[4:5], v[8:9]
	v_pk_add_f32 v[4:5], v[4:5], v[10:11]
	v_min3_f32 v35, v16, v17, v35
	v_pk_add_f32 v[16:17], v[6:7], v[8:9]
	v_min3_f32 v31, v4, v5, v31
	v_min3_f32 v34, v16, v17, v34
	v_pk_add_f32 v[16:17], v[0:1], v[8:9]
	v_pk_add_f32 v[0:1], v[0:1], v[10:11]
	;; [unrolled: 1-line block ×4, first 2 shown]
	v_min3_f32 v29, v0, v1, v29
	v_pk_add_f32 v[0:1], v[2:3], v[10:11]
	v_min3_f32 v33, v16, v17, v33
	v_min3_f32 v32, v8, v9, v32
	;; [unrolled: 1-line block ×4, first 2 shown]
	s_cbranch_vccz .LBB65_46
; %bb.47:                               ;   in Loop: Header=BB65_27 Depth=1
	s_add_i32 s35, s35, 8
	s_add_i32 s36, s36, 8
	s_cmp_ge_i32 s36, s34
	ds_write2st64_b32 v99, v12, v13 offset1:4
	ds_write2st64_b32 v100, v14, v15 offset1:4
	s_waitcnt lgkmcnt(0)
	s_barrier
	s_cbranch_scc0 .LBB65_27
.LBB65_48:
	v_mov_b32_e32 v0, 0x800
	v_lshl_add_u32 v12, v85, 4, v0
	v_mov_b32_e32 v0, 0x1800
	v_lshl_add_u32 v13, v86, 4, v0
	s_mov_b32 s6, 0
	s_mov_b64 s[4:5], -1
.LBB65_49:                              ; =>This Inner Loop Header: Depth=1
	v_cndmask_b32_e64 v0, 0, 1, s[4:5]
	s_lshl_b32 s4, s6, 2
	v_cmp_ne_u32_e32 vcc, 1, v0
	v_add_u32_e32 v0, s4, v12
	ds_read2st64_b64 v[4:7], v0 offset1:1
	ds_read2st64_b64 v[0:3], v0 offset0:2 offset1:3
	v_add_u32_e32 v8, s4, v13
	ds_read2_b64 v[14:17], v8 offset1:16
	ds_read2_b64 v[18:21], v8 offset0:32 offset1:48
	ds_read2_b64 v[22:25], v8 offset0:64 offset1:80
	;; [unrolled: 1-line block ×7, first 2 shown]
	s_mov_b64 s[4:5], 0
	s_waitcnt lgkmcnt(7)
	v_pk_add_f32 v[26:27], v[4:5], v[14:15]
	s_and_b64 vcc, exec, vcc
	v_min3_f32 v93, v26, v27, v93
	v_pk_add_f32 v[26:27], v[6:7], v[14:15]
	s_mov_b32 s6, 2
	v_min3_f32 v92, v26, v27, v92
	v_pk_add_f32 v[26:27], v[0:1], v[14:15]
	v_pk_add_f32 v[14:15], v[2:3], v[14:15]
	v_min3_f32 v91, v26, v27, v91
	v_min3_f32 v90, v14, v15, v90
	v_pk_add_f32 v[14:15], v[4:5], v[16:17]
	s_nop 0
	v_min3_f32 v89, v14, v15, v89
	v_pk_add_f32 v[14:15], v[6:7], v[16:17]
	s_nop 0
	v_min3_f32 v88, v14, v15, v88
	v_pk_add_f32 v[14:15], v[0:1], v[16:17]
	s_nop 0
	v_min3_f32 v87, v14, v15, v87
	v_pk_add_f32 v[14:15], v[2:3], v[16:17]
	s_nop 0
	v_min3_f32 v84, v14, v15, v84
	s_waitcnt lgkmcnt(6)
	v_pk_add_f32 v[14:15], v[4:5], v[18:19]
	s_nop 0
	v_min3_f32 v83, v14, v15, v83
	v_pk_add_f32 v[14:15], v[6:7], v[18:19]
	s_nop 0
	v_min3_f32 v82, v14, v15, v82
	v_pk_add_f32 v[14:15], v[0:1], v[18:19]
	s_nop 0
	v_min3_f32 v81, v14, v15, v81
	v_pk_add_f32 v[14:15], v[2:3], v[18:19]
	s_nop 0
	v_min3_f32 v80, v14, v15, v80
	v_pk_add_f32 v[14:15], v[4:5], v[20:21]
	s_nop 0
	v_min3_f32 v79, v14, v15, v79
	v_pk_add_f32 v[14:15], v[6:7], v[20:21]
	s_nop 0
	v_min3_f32 v78, v14, v15, v78
	v_pk_add_f32 v[14:15], v[0:1], v[20:21]
	s_nop 0
	v_min3_f32 v77, v14, v15, v77
	v_pk_add_f32 v[14:15], v[2:3], v[20:21]
	s_nop 0
	v_min3_f32 v76, v14, v15, v76
	s_waitcnt lgkmcnt(5)
	v_pk_add_f32 v[14:15], v[4:5], v[22:23]
	s_nop 0
	v_min3_f32 v75, v14, v15, v75
	v_pk_add_f32 v[14:15], v[6:7], v[22:23]
	s_nop 0
	v_min3_f32 v74, v14, v15, v74
	v_pk_add_f32 v[14:15], v[0:1], v[22:23]
	s_nop 0
	v_min3_f32 v73, v14, v15, v73
	v_pk_add_f32 v[14:15], v[2:3], v[22:23]
	s_nop 0
	;; [unrolled: 25-line block ×6, first 2 shown]
	v_min3_f32 v40, v14, v15, v40
	v_pk_add_f32 v[14:15], v[4:5], v[108:109]
	s_nop 0
	v_min3_f32 v39, v14, v15, v39
	v_pk_add_f32 v[14:15], v[6:7], v[108:109]
	s_nop 0
	;; [unrolled: 3-line block ×4, first 2 shown]
	v_min3_f32 v36, v14, v15, v36
	s_waitcnt lgkmcnt(0)
	v_pk_add_f32 v[14:15], v[4:5], v[8:9]
	v_pk_add_f32 v[4:5], v[4:5], v[10:11]
	v_min3_f32 v35, v14, v15, v35
	v_pk_add_f32 v[14:15], v[6:7], v[8:9]
	v_min3_f32 v31, v4, v5, v31
	v_min3_f32 v34, v14, v15, v34
	v_pk_add_f32 v[14:15], v[0:1], v[8:9]
	v_pk_add_f32 v[0:1], v[0:1], v[10:11]
	;; [unrolled: 1-line block ×4, first 2 shown]
	v_min3_f32 v29, v0, v1, v29
	v_pk_add_f32 v[0:1], v[2:3], v[10:11]
	v_min3_f32 v33, v14, v15, v33
	v_min3_f32 v32, v8, v9, v32
	;; [unrolled: 1-line block ×4, first 2 shown]
	s_cbranch_vccz .LBB65_49
; %bb.50:
	s_load_dwordx2 s[4:5], s[0:1], 0x70
	s_load_dword s19, s[0:1], 0x50
	s_load_dword s18, s[0:1], 0x68
	v_add_u32_e32 v12, s31, v86
	v_add_u32_e32 v0, s2, v85
	s_waitcnt lgkmcnt(0)
	s_mul_i32 s1, s5, s3
	s_mul_hi_u32 s5, s4, s3
	s_mul_i32 s0, s4, s3
	s_add_i32 s1, s5, s1
	s_lshl_b64 s[0:1], s[0:1], 2
	s_add_u32 s12, s14, s0
	s_addc_u32 s13, s15, s1
	v_mad_i64_i32 v[2:3], s[0:1], v12, s19, 0
	v_lshl_add_u64 v[10:11], v[2:3], 2, s[20:21]
	v_mad_i64_i32 v[2:3], s[0:1], v12, s18, 0
	v_cmp_gt_i32_e64 s[2:3], s16, v0
	v_cmp_gt_i32_e64 s[10:11], s17, v12
	v_lshl_add_u64 v[8:9], v[2:3], 2, s[12:13]
	v_cndmask_b32_e64 v2, 0, 1, s[22:23]
	v_ashrrev_i32_e32 v1, 31, v0
	s_and_b64 s[6:7], s[2:3], s[10:11]
	v_cmp_ne_u32_e64 s[0:1], 1, v2
	s_and_saveexec_b64 s[4:5], s[6:7]
	s_cbranch_execz .LBB65_56
; %bb.51:
	s_and_b64 vcc, exec, s[0:1]
	s_cbranch_vccnz .LBB65_54
; %bb.52:
	v_lshl_add_u64 v[2:3], v[0:1], 2, v[10:11]
	global_load_dword v2, v[2:3], off
	s_waitcnt vmcnt(0)
	v_mul_f32_e32 v2, s30, v2
	s_branch .LBB65_55
.LBB65_53:
	s_mov_b64 s[24:25], 0
	s_andn2_b64 vcc, exec, s[8:9]
	s_mov_b64 s[4:5], -1
	s_cbranch_vccz .LBB65_2
	s_branch .LBB65_3
.LBB65_54:
	v_mov_b32_e32 v2, 0
.LBB65_55:
	v_max_f32_e32 v3, v93, v93
	v_max_f32_e32 v2, v2, v2
	v_min_f32_e32 v4, v2, v3
	v_lshl_add_u64 v[2:3], v[0:1], 2, v[8:9]
	global_store_dword v[2:3], v4, off
.LBB65_56:
	s_or_b64 exec, exec, s[4:5]
	v_add_u32_e32 v2, 32, v0
	v_cmp_gt_i32_e64 s[4:5], s16, v2
	v_ashrrev_i32_e32 v3, 31, v2
	s_and_b64 s[8:9], s[4:5], s[10:11]
	s_and_saveexec_b64 s[6:7], s[8:9]
	s_cbranch_execz .LBB65_61
; %bb.57:
	s_and_b64 vcc, exec, s[0:1]
	s_cbranch_vccnz .LBB65_59
; %bb.58:
	v_lshl_add_u64 v[4:5], v[2:3], 2, v[10:11]
	global_load_dword v4, v[4:5], off
	s_waitcnt vmcnt(0)
	v_mul_f32_e32 v4, s30, v4
	s_branch .LBB65_60
.LBB65_59:
	v_mov_b32_e32 v4, 0
.LBB65_60:
	v_max_f32_e32 v5, v92, v92
	v_max_f32_e32 v4, v4, v4
	v_min_f32_e32 v6, v4, v5
	v_lshl_add_u64 v[4:5], v[2:3], 2, v[8:9]
	global_store_dword v[4:5], v6, off
.LBB65_61:
	s_or_b64 exec, exec, s[6:7]
	v_add_u32_e32 v4, 64, v0
	v_cmp_gt_i32_e64 s[6:7], s16, v4
	v_ashrrev_i32_e32 v5, 31, v4
	s_and_b64 s[14:15], s[6:7], s[10:11]
	s_and_saveexec_b64 s[8:9], s[14:15]
	s_cbranch_execz .LBB65_66
; %bb.62:
	s_and_b64 vcc, exec, s[0:1]
	s_cbranch_vccnz .LBB65_64
; %bb.63:
	v_lshl_add_u64 v[6:7], v[4:5], 2, v[10:11]
	global_load_dword v6, v[6:7], off
	s_waitcnt vmcnt(0)
	v_mul_f32_e32 v6, s30, v6
	s_branch .LBB65_65
.LBB65_64:
	v_mov_b32_e32 v6, 0
.LBB65_65:
	v_max_f32_e32 v7, v91, v91
	v_max_f32_e32 v6, v6, v6
	v_min_f32_e32 v13, v6, v7
	v_lshl_add_u64 v[6:7], v[4:5], 2, v[8:9]
	global_store_dword v[6:7], v13, off
.LBB65_66:
	;; [unrolled: 25-line block ×3, first 2 shown]
	s_or_b64 exec, exec, s[10:11]
	v_add_u32_e32 v13, 8, v12
	v_mad_i64_i32 v[8:9], s[14:15], v13, s19, 0
	v_cmp_gt_i32_e64 s[10:11], s17, v13
	v_lshl_add_u64 v[10:11], v[8:9], 2, s[20:21]
	v_mad_i64_i32 v[8:9], s[14:15], v13, s18, 0
	v_lshl_add_u64 v[8:9], v[8:9], 2, s[12:13]
	s_and_b64 s[22:23], s[2:3], s[10:11]
	s_and_saveexec_b64 s[14:15], s[22:23]
	s_cbranch_execnz .LBB65_75
; %bb.72:
	s_or_b64 exec, exec, s[14:15]
	s_and_b64 s[22:23], s[4:5], s[10:11]
	s_and_saveexec_b64 s[14:15], s[22:23]
	s_cbranch_execnz .LBB65_79
.LBB65_73:
	s_or_b64 exec, exec, s[14:15]
	s_and_b64 s[22:23], s[6:7], s[10:11]
	s_and_saveexec_b64 s[14:15], s[22:23]
	s_cbranch_execnz .LBB65_83
.LBB65_74:
	s_or_b64 exec, exec, s[14:15]
	s_and_b64 s[14:15], s[8:9], s[10:11]
	s_and_saveexec_b64 s[10:11], s[14:15]
	s_cbranch_execnz .LBB65_87
	s_branch .LBB65_91
.LBB65_75:
	s_and_b64 vcc, exec, s[0:1]
	s_cbranch_vccnz .LBB65_77
; %bb.76:
	v_lshl_add_u64 v[14:15], v[0:1], 2, v[10:11]
	global_load_dword v13, v[14:15], off
	s_waitcnt vmcnt(0)
	v_mul_f32_e32 v13, s30, v13
	s_branch .LBB65_78
.LBB65_77:
	v_mov_b32_e32 v13, 0
.LBB65_78:
	v_max_f32_e32 v14, v89, v89
	v_max_f32_e32 v13, v13, v13
	v_min_f32_e32 v13, v13, v14
	v_lshl_add_u64 v[14:15], v[0:1], 2, v[8:9]
	global_store_dword v[14:15], v13, off
	s_or_b64 exec, exec, s[14:15]
	s_and_b64 s[22:23], s[4:5], s[10:11]
	s_and_saveexec_b64 s[14:15], s[22:23]
	s_cbranch_execz .LBB65_73
.LBB65_79:
	s_and_b64 vcc, exec, s[0:1]
	s_cbranch_vccnz .LBB65_81
; %bb.80:
	v_lshl_add_u64 v[14:15], v[2:3], 2, v[10:11]
	global_load_dword v13, v[14:15], off
	s_waitcnt vmcnt(0)
	v_mul_f32_e32 v13, s30, v13
	s_branch .LBB65_82
.LBB65_81:
	v_mov_b32_e32 v13, 0
.LBB65_82:
	v_max_f32_e32 v14, v88, v88
	v_max_f32_e32 v13, v13, v13
	v_min_f32_e32 v13, v13, v14
	v_lshl_add_u64 v[14:15], v[2:3], 2, v[8:9]
	global_store_dword v[14:15], v13, off
	s_or_b64 exec, exec, s[14:15]
	s_and_b64 s[22:23], s[6:7], s[10:11]
	s_and_saveexec_b64 s[14:15], s[22:23]
	s_cbranch_execz .LBB65_74
.LBB65_83:
	s_and_b64 vcc, exec, s[0:1]
	s_cbranch_vccnz .LBB65_85
; %bb.84:
	v_lshl_add_u64 v[14:15], v[4:5], 2, v[10:11]
	global_load_dword v13, v[14:15], off
	s_waitcnt vmcnt(0)
	v_mul_f32_e32 v13, s30, v13
	s_branch .LBB65_86
.LBB65_85:
	v_mov_b32_e32 v13, 0
.LBB65_86:
	v_max_f32_e32 v14, v87, v87
	v_max_f32_e32 v13, v13, v13
	v_min_f32_e32 v13, v13, v14
	v_lshl_add_u64 v[14:15], v[4:5], 2, v[8:9]
	global_store_dword v[14:15], v13, off
	s_or_b64 exec, exec, s[14:15]
	s_and_b64 s[14:15], s[8:9], s[10:11]
	s_and_saveexec_b64 s[10:11], s[14:15]
	s_cbranch_execz .LBB65_91
.LBB65_87:
	s_and_b64 vcc, exec, s[0:1]
	s_cbranch_vccnz .LBB65_89
; %bb.88:
	v_lshl_add_u64 v[10:11], v[6:7], 2, v[10:11]
	global_load_dword v10, v[10:11], off
	s_waitcnt vmcnt(0)
	v_mul_f32_e32 v10, s30, v10
	s_branch .LBB65_90
.LBB65_89:
	v_mov_b32_e32 v10, 0
.LBB65_90:
	v_max_f32_e32 v11, v84, v84
	v_max_f32_e32 v10, v10, v10
	v_min_f32_e32 v10, v10, v11
	v_lshl_add_u64 v[8:9], v[6:7], 2, v[8:9]
	global_store_dword v[8:9], v10, off
.LBB65_91:
	s_or_b64 exec, exec, s[10:11]
	v_add_u32_e32 v13, 16, v12
	v_mad_i64_i32 v[8:9], s[14:15], v13, s19, 0
	v_cmp_gt_i32_e64 s[10:11], s17, v13
	v_lshl_add_u64 v[10:11], v[8:9], 2, s[20:21]
	v_mad_i64_i32 v[8:9], s[14:15], v13, s18, 0
	v_lshl_add_u64 v[8:9], v[8:9], 2, s[12:13]
	s_and_b64 s[22:23], s[2:3], s[10:11]
	s_and_saveexec_b64 s[14:15], s[22:23]
	s_cbranch_execnz .LBB65_95
; %bb.92:
	s_or_b64 exec, exec, s[14:15]
	s_and_b64 s[22:23], s[4:5], s[10:11]
	s_and_saveexec_b64 s[14:15], s[22:23]
	s_cbranch_execnz .LBB65_99
.LBB65_93:
	s_or_b64 exec, exec, s[14:15]
	s_and_b64 s[22:23], s[6:7], s[10:11]
	s_and_saveexec_b64 s[14:15], s[22:23]
	s_cbranch_execnz .LBB65_103
.LBB65_94:
	s_or_b64 exec, exec, s[14:15]
	s_and_b64 s[14:15], s[8:9], s[10:11]
	s_and_saveexec_b64 s[10:11], s[14:15]
	s_cbranch_execnz .LBB65_107
	s_branch .LBB65_111
.LBB65_95:
	s_and_b64 vcc, exec, s[0:1]
	s_cbranch_vccnz .LBB65_97
; %bb.96:
	v_lshl_add_u64 v[14:15], v[0:1], 2, v[10:11]
	global_load_dword v13, v[14:15], off
	s_waitcnt vmcnt(0)
	v_mul_f32_e32 v13, s30, v13
	s_branch .LBB65_98
.LBB65_97:
	v_mov_b32_e32 v13, 0
.LBB65_98:
	v_max_f32_e32 v14, v83, v83
	v_max_f32_e32 v13, v13, v13
	v_min_f32_e32 v13, v13, v14
	v_lshl_add_u64 v[14:15], v[0:1], 2, v[8:9]
	global_store_dword v[14:15], v13, off
	s_or_b64 exec, exec, s[14:15]
	s_and_b64 s[22:23], s[4:5], s[10:11]
	s_and_saveexec_b64 s[14:15], s[22:23]
	s_cbranch_execz .LBB65_93
.LBB65_99:
	s_and_b64 vcc, exec, s[0:1]
	s_cbranch_vccnz .LBB65_101
; %bb.100:
	v_lshl_add_u64 v[14:15], v[2:3], 2, v[10:11]
	global_load_dword v13, v[14:15], off
	s_waitcnt vmcnt(0)
	v_mul_f32_e32 v13, s30, v13
	s_branch .LBB65_102
.LBB65_101:
	v_mov_b32_e32 v13, 0
.LBB65_102:
	v_max_f32_e32 v14, v82, v82
	v_max_f32_e32 v13, v13, v13
	v_min_f32_e32 v13, v13, v14
	v_lshl_add_u64 v[14:15], v[2:3], 2, v[8:9]
	global_store_dword v[14:15], v13, off
	s_or_b64 exec, exec, s[14:15]
	s_and_b64 s[22:23], s[6:7], s[10:11]
	s_and_saveexec_b64 s[14:15], s[22:23]
	s_cbranch_execz .LBB65_94
.LBB65_103:
	s_and_b64 vcc, exec, s[0:1]
	s_cbranch_vccnz .LBB65_105
; %bb.104:
	v_lshl_add_u64 v[14:15], v[4:5], 2, v[10:11]
	global_load_dword v13, v[14:15], off
	s_waitcnt vmcnt(0)
	v_mul_f32_e32 v13, s30, v13
	s_branch .LBB65_106
.LBB65_105:
	v_mov_b32_e32 v13, 0
.LBB65_106:
	v_max_f32_e32 v14, v81, v81
	v_max_f32_e32 v13, v13, v13
	v_min_f32_e32 v13, v13, v14
	v_lshl_add_u64 v[14:15], v[4:5], 2, v[8:9]
	global_store_dword v[14:15], v13, off
	s_or_b64 exec, exec, s[14:15]
	s_and_b64 s[14:15], s[8:9], s[10:11]
	s_and_saveexec_b64 s[10:11], s[14:15]
	s_cbranch_execz .LBB65_111
.LBB65_107:
	s_and_b64 vcc, exec, s[0:1]
	s_cbranch_vccnz .LBB65_109
; %bb.108:
	v_lshl_add_u64 v[10:11], v[6:7], 2, v[10:11]
	global_load_dword v10, v[10:11], off
	s_waitcnt vmcnt(0)
	v_mul_f32_e32 v10, s30, v10
	s_branch .LBB65_110
.LBB65_109:
	v_mov_b32_e32 v10, 0
.LBB65_110:
	v_max_f32_e32 v11, v80, v80
	v_max_f32_e32 v10, v10, v10
	v_min_f32_e32 v10, v10, v11
	v_lshl_add_u64 v[8:9], v[6:7], 2, v[8:9]
	global_store_dword v[8:9], v10, off
.LBB65_111:
	s_or_b64 exec, exec, s[10:11]
	v_add_u32_e32 v13, 24, v12
	v_mad_i64_i32 v[8:9], s[14:15], v13, s19, 0
	v_cmp_gt_i32_e64 s[10:11], s17, v13
	v_lshl_add_u64 v[10:11], v[8:9], 2, s[20:21]
	v_mad_i64_i32 v[8:9], s[14:15], v13, s18, 0
	v_lshl_add_u64 v[8:9], v[8:9], 2, s[12:13]
	s_and_b64 s[22:23], s[2:3], s[10:11]
	s_and_saveexec_b64 s[14:15], s[22:23]
	s_cbranch_execnz .LBB65_115
; %bb.112:
	s_or_b64 exec, exec, s[14:15]
	s_and_b64 s[22:23], s[4:5], s[10:11]
	s_and_saveexec_b64 s[14:15], s[22:23]
	s_cbranch_execnz .LBB65_119
.LBB65_113:
	s_or_b64 exec, exec, s[14:15]
	s_and_b64 s[22:23], s[6:7], s[10:11]
	s_and_saveexec_b64 s[14:15], s[22:23]
	s_cbranch_execnz .LBB65_123
.LBB65_114:
	s_or_b64 exec, exec, s[14:15]
	s_and_b64 s[14:15], s[8:9], s[10:11]
	s_and_saveexec_b64 s[10:11], s[14:15]
	s_cbranch_execnz .LBB65_127
	s_branch .LBB65_131
.LBB65_115:
	s_and_b64 vcc, exec, s[0:1]
	s_cbranch_vccnz .LBB65_117
; %bb.116:
	v_lshl_add_u64 v[14:15], v[0:1], 2, v[10:11]
	global_load_dword v13, v[14:15], off
	s_waitcnt vmcnt(0)
	v_mul_f32_e32 v13, s30, v13
	s_branch .LBB65_118
.LBB65_117:
	v_mov_b32_e32 v13, 0
.LBB65_118:
	v_max_f32_e32 v14, v79, v79
	v_max_f32_e32 v13, v13, v13
	v_min_f32_e32 v13, v13, v14
	v_lshl_add_u64 v[14:15], v[0:1], 2, v[8:9]
	global_store_dword v[14:15], v13, off
	s_or_b64 exec, exec, s[14:15]
	s_and_b64 s[22:23], s[4:5], s[10:11]
	s_and_saveexec_b64 s[14:15], s[22:23]
	s_cbranch_execz .LBB65_113
.LBB65_119:
	s_and_b64 vcc, exec, s[0:1]
	s_cbranch_vccnz .LBB65_121
; %bb.120:
	v_lshl_add_u64 v[14:15], v[2:3], 2, v[10:11]
	global_load_dword v13, v[14:15], off
	s_waitcnt vmcnt(0)
	v_mul_f32_e32 v13, s30, v13
	s_branch .LBB65_122
.LBB65_121:
	v_mov_b32_e32 v13, 0
.LBB65_122:
	v_max_f32_e32 v14, v78, v78
	v_max_f32_e32 v13, v13, v13
	v_min_f32_e32 v13, v13, v14
	v_lshl_add_u64 v[14:15], v[2:3], 2, v[8:9]
	global_store_dword v[14:15], v13, off
	s_or_b64 exec, exec, s[14:15]
	s_and_b64 s[22:23], s[6:7], s[10:11]
	s_and_saveexec_b64 s[14:15], s[22:23]
	s_cbranch_execz .LBB65_114
.LBB65_123:
	s_and_b64 vcc, exec, s[0:1]
	s_cbranch_vccnz .LBB65_125
; %bb.124:
	v_lshl_add_u64 v[14:15], v[4:5], 2, v[10:11]
	global_load_dword v13, v[14:15], off
	s_waitcnt vmcnt(0)
	v_mul_f32_e32 v13, s30, v13
	s_branch .LBB65_126
.LBB65_125:
	v_mov_b32_e32 v13, 0
.LBB65_126:
	v_max_f32_e32 v14, v77, v77
	v_max_f32_e32 v13, v13, v13
	v_min_f32_e32 v13, v13, v14
	v_lshl_add_u64 v[14:15], v[4:5], 2, v[8:9]
	global_store_dword v[14:15], v13, off
	s_or_b64 exec, exec, s[14:15]
	s_and_b64 s[14:15], s[8:9], s[10:11]
	s_and_saveexec_b64 s[10:11], s[14:15]
	s_cbranch_execz .LBB65_131
.LBB65_127:
	s_and_b64 vcc, exec, s[0:1]
	s_cbranch_vccnz .LBB65_129
; %bb.128:
	v_lshl_add_u64 v[10:11], v[6:7], 2, v[10:11]
	global_load_dword v10, v[10:11], off
	s_waitcnt vmcnt(0)
	v_mul_f32_e32 v10, s30, v10
	s_branch .LBB65_130
.LBB65_129:
	v_mov_b32_e32 v10, 0
.LBB65_130:
	v_max_f32_e32 v11, v76, v76
	v_max_f32_e32 v10, v10, v10
	v_min_f32_e32 v10, v10, v11
	v_lshl_add_u64 v[8:9], v[6:7], 2, v[8:9]
	global_store_dword v[8:9], v10, off
.LBB65_131:
	s_or_b64 exec, exec, s[10:11]
	v_add_u32_e32 v13, 32, v12
	v_mad_i64_i32 v[8:9], s[14:15], v13, s19, 0
	v_cmp_gt_i32_e64 s[10:11], s17, v13
	v_lshl_add_u64 v[10:11], v[8:9], 2, s[20:21]
	v_mad_i64_i32 v[8:9], s[14:15], v13, s18, 0
	v_lshl_add_u64 v[8:9], v[8:9], 2, s[12:13]
	s_and_b64 s[22:23], s[2:3], s[10:11]
	s_and_saveexec_b64 s[14:15], s[22:23]
	s_cbranch_execnz .LBB65_135
; %bb.132:
	s_or_b64 exec, exec, s[14:15]
	s_and_b64 s[22:23], s[4:5], s[10:11]
	s_and_saveexec_b64 s[14:15], s[22:23]
	s_cbranch_execnz .LBB65_139
.LBB65_133:
	s_or_b64 exec, exec, s[14:15]
	s_and_b64 s[22:23], s[6:7], s[10:11]
	s_and_saveexec_b64 s[14:15], s[22:23]
	s_cbranch_execnz .LBB65_143
.LBB65_134:
	s_or_b64 exec, exec, s[14:15]
	s_and_b64 s[14:15], s[8:9], s[10:11]
	s_and_saveexec_b64 s[10:11], s[14:15]
	s_cbranch_execnz .LBB65_147
	s_branch .LBB65_151
.LBB65_135:
	s_and_b64 vcc, exec, s[0:1]
	s_cbranch_vccnz .LBB65_137
; %bb.136:
	v_lshl_add_u64 v[14:15], v[0:1], 2, v[10:11]
	global_load_dword v13, v[14:15], off
	s_waitcnt vmcnt(0)
	v_mul_f32_e32 v13, s30, v13
	s_branch .LBB65_138
.LBB65_137:
	v_mov_b32_e32 v13, 0
.LBB65_138:
	v_max_f32_e32 v14, v75, v75
	v_max_f32_e32 v13, v13, v13
	v_min_f32_e32 v13, v13, v14
	v_lshl_add_u64 v[14:15], v[0:1], 2, v[8:9]
	global_store_dword v[14:15], v13, off
	s_or_b64 exec, exec, s[14:15]
	s_and_b64 s[22:23], s[4:5], s[10:11]
	s_and_saveexec_b64 s[14:15], s[22:23]
	s_cbranch_execz .LBB65_133
.LBB65_139:
	s_and_b64 vcc, exec, s[0:1]
	s_cbranch_vccnz .LBB65_141
; %bb.140:
	v_lshl_add_u64 v[14:15], v[2:3], 2, v[10:11]
	global_load_dword v13, v[14:15], off
	s_waitcnt vmcnt(0)
	v_mul_f32_e32 v13, s30, v13
	s_branch .LBB65_142
.LBB65_141:
	v_mov_b32_e32 v13, 0
.LBB65_142:
	v_max_f32_e32 v14, v74, v74
	v_max_f32_e32 v13, v13, v13
	v_min_f32_e32 v13, v13, v14
	v_lshl_add_u64 v[14:15], v[2:3], 2, v[8:9]
	global_store_dword v[14:15], v13, off
	s_or_b64 exec, exec, s[14:15]
	s_and_b64 s[22:23], s[6:7], s[10:11]
	s_and_saveexec_b64 s[14:15], s[22:23]
	s_cbranch_execz .LBB65_134
.LBB65_143:
	s_and_b64 vcc, exec, s[0:1]
	s_cbranch_vccnz .LBB65_145
; %bb.144:
	v_lshl_add_u64 v[14:15], v[4:5], 2, v[10:11]
	global_load_dword v13, v[14:15], off
	s_waitcnt vmcnt(0)
	v_mul_f32_e32 v13, s30, v13
	s_branch .LBB65_146
.LBB65_145:
	v_mov_b32_e32 v13, 0
.LBB65_146:
	v_max_f32_e32 v14, v73, v73
	v_max_f32_e32 v13, v13, v13
	v_min_f32_e32 v13, v13, v14
	v_lshl_add_u64 v[14:15], v[4:5], 2, v[8:9]
	global_store_dword v[14:15], v13, off
	s_or_b64 exec, exec, s[14:15]
	s_and_b64 s[14:15], s[8:9], s[10:11]
	s_and_saveexec_b64 s[10:11], s[14:15]
	s_cbranch_execz .LBB65_151
.LBB65_147:
	s_and_b64 vcc, exec, s[0:1]
	s_cbranch_vccnz .LBB65_149
; %bb.148:
	v_lshl_add_u64 v[10:11], v[6:7], 2, v[10:11]
	global_load_dword v10, v[10:11], off
	s_waitcnt vmcnt(0)
	v_mul_f32_e32 v10, s30, v10
	s_branch .LBB65_150
.LBB65_149:
	v_mov_b32_e32 v10, 0
.LBB65_150:
	v_max_f32_e32 v11, v72, v72
	v_max_f32_e32 v10, v10, v10
	v_min_f32_e32 v10, v10, v11
	v_lshl_add_u64 v[8:9], v[6:7], 2, v[8:9]
	global_store_dword v[8:9], v10, off
.LBB65_151:
	s_or_b64 exec, exec, s[10:11]
	v_add_u32_e32 v13, 40, v12
	v_mad_i64_i32 v[8:9], s[14:15], v13, s19, 0
	v_cmp_gt_i32_e64 s[10:11], s17, v13
	v_lshl_add_u64 v[10:11], v[8:9], 2, s[20:21]
	v_mad_i64_i32 v[8:9], s[14:15], v13, s18, 0
	v_lshl_add_u64 v[8:9], v[8:9], 2, s[12:13]
	s_and_b64 s[22:23], s[2:3], s[10:11]
	s_and_saveexec_b64 s[14:15], s[22:23]
	s_cbranch_execnz .LBB65_155
; %bb.152:
	s_or_b64 exec, exec, s[14:15]
	s_and_b64 s[22:23], s[4:5], s[10:11]
	s_and_saveexec_b64 s[14:15], s[22:23]
	s_cbranch_execnz .LBB65_159
.LBB65_153:
	s_or_b64 exec, exec, s[14:15]
	s_and_b64 s[22:23], s[6:7], s[10:11]
	s_and_saveexec_b64 s[14:15], s[22:23]
	s_cbranch_execnz .LBB65_163
.LBB65_154:
	s_or_b64 exec, exec, s[14:15]
	s_and_b64 s[14:15], s[8:9], s[10:11]
	s_and_saveexec_b64 s[10:11], s[14:15]
	s_cbranch_execnz .LBB65_167
	s_branch .LBB65_171
.LBB65_155:
	s_and_b64 vcc, exec, s[0:1]
	s_cbranch_vccnz .LBB65_157
; %bb.156:
	v_lshl_add_u64 v[14:15], v[0:1], 2, v[10:11]
	global_load_dword v13, v[14:15], off
	s_waitcnt vmcnt(0)
	v_mul_f32_e32 v13, s30, v13
	s_branch .LBB65_158
.LBB65_157:
	v_mov_b32_e32 v13, 0
.LBB65_158:
	v_max_f32_e32 v14, v71, v71
	v_max_f32_e32 v13, v13, v13
	v_min_f32_e32 v13, v13, v14
	v_lshl_add_u64 v[14:15], v[0:1], 2, v[8:9]
	global_store_dword v[14:15], v13, off
	s_or_b64 exec, exec, s[14:15]
	s_and_b64 s[22:23], s[4:5], s[10:11]
	s_and_saveexec_b64 s[14:15], s[22:23]
	s_cbranch_execz .LBB65_153
.LBB65_159:
	s_and_b64 vcc, exec, s[0:1]
	s_cbranch_vccnz .LBB65_161
; %bb.160:
	v_lshl_add_u64 v[14:15], v[2:3], 2, v[10:11]
	global_load_dword v13, v[14:15], off
	s_waitcnt vmcnt(0)
	v_mul_f32_e32 v13, s30, v13
	s_branch .LBB65_162
.LBB65_161:
	v_mov_b32_e32 v13, 0
.LBB65_162:
	v_max_f32_e32 v14, v70, v70
	v_max_f32_e32 v13, v13, v13
	v_min_f32_e32 v13, v13, v14
	v_lshl_add_u64 v[14:15], v[2:3], 2, v[8:9]
	global_store_dword v[14:15], v13, off
	s_or_b64 exec, exec, s[14:15]
	s_and_b64 s[22:23], s[6:7], s[10:11]
	s_and_saveexec_b64 s[14:15], s[22:23]
	s_cbranch_execz .LBB65_154
.LBB65_163:
	s_and_b64 vcc, exec, s[0:1]
	s_cbranch_vccnz .LBB65_165
; %bb.164:
	v_lshl_add_u64 v[14:15], v[4:5], 2, v[10:11]
	global_load_dword v13, v[14:15], off
	s_waitcnt vmcnt(0)
	v_mul_f32_e32 v13, s30, v13
	s_branch .LBB65_166
.LBB65_165:
	v_mov_b32_e32 v13, 0
.LBB65_166:
	v_max_f32_e32 v14, v69, v69
	v_max_f32_e32 v13, v13, v13
	v_min_f32_e32 v13, v13, v14
	v_lshl_add_u64 v[14:15], v[4:5], 2, v[8:9]
	global_store_dword v[14:15], v13, off
	s_or_b64 exec, exec, s[14:15]
	s_and_b64 s[14:15], s[8:9], s[10:11]
	s_and_saveexec_b64 s[10:11], s[14:15]
	s_cbranch_execz .LBB65_171
.LBB65_167:
	s_and_b64 vcc, exec, s[0:1]
	s_cbranch_vccnz .LBB65_169
; %bb.168:
	v_lshl_add_u64 v[10:11], v[6:7], 2, v[10:11]
	global_load_dword v10, v[10:11], off
	s_waitcnt vmcnt(0)
	v_mul_f32_e32 v10, s30, v10
	s_branch .LBB65_170
.LBB65_169:
	v_mov_b32_e32 v10, 0
.LBB65_170:
	v_max_f32_e32 v11, v68, v68
	v_max_f32_e32 v10, v10, v10
	v_min_f32_e32 v10, v10, v11
	v_lshl_add_u64 v[8:9], v[6:7], 2, v[8:9]
	global_store_dword v[8:9], v10, off
.LBB65_171:
	s_or_b64 exec, exec, s[10:11]
	v_add_u32_e32 v13, 48, v12
	v_mad_i64_i32 v[8:9], s[14:15], v13, s19, 0
	v_cmp_gt_i32_e64 s[10:11], s17, v13
	v_lshl_add_u64 v[10:11], v[8:9], 2, s[20:21]
	v_mad_i64_i32 v[8:9], s[14:15], v13, s18, 0
	v_lshl_add_u64 v[8:9], v[8:9], 2, s[12:13]
	s_and_b64 s[22:23], s[2:3], s[10:11]
	s_and_saveexec_b64 s[14:15], s[22:23]
	s_cbranch_execnz .LBB65_175
; %bb.172:
	s_or_b64 exec, exec, s[14:15]
	s_and_b64 s[22:23], s[4:5], s[10:11]
	s_and_saveexec_b64 s[14:15], s[22:23]
	s_cbranch_execnz .LBB65_179
.LBB65_173:
	s_or_b64 exec, exec, s[14:15]
	s_and_b64 s[22:23], s[6:7], s[10:11]
	s_and_saveexec_b64 s[14:15], s[22:23]
	s_cbranch_execnz .LBB65_183
.LBB65_174:
	s_or_b64 exec, exec, s[14:15]
	s_and_b64 s[14:15], s[8:9], s[10:11]
	s_and_saveexec_b64 s[10:11], s[14:15]
	s_cbranch_execnz .LBB65_187
	s_branch .LBB65_191
.LBB65_175:
	s_and_b64 vcc, exec, s[0:1]
	s_cbranch_vccnz .LBB65_177
; %bb.176:
	v_lshl_add_u64 v[14:15], v[0:1], 2, v[10:11]
	global_load_dword v13, v[14:15], off
	s_waitcnt vmcnt(0)
	v_mul_f32_e32 v13, s30, v13
	s_branch .LBB65_178
.LBB65_177:
	v_mov_b32_e32 v13, 0
.LBB65_178:
	v_max_f32_e32 v14, v67, v67
	v_max_f32_e32 v13, v13, v13
	v_min_f32_e32 v13, v13, v14
	v_lshl_add_u64 v[14:15], v[0:1], 2, v[8:9]
	global_store_dword v[14:15], v13, off
	s_or_b64 exec, exec, s[14:15]
	s_and_b64 s[22:23], s[4:5], s[10:11]
	s_and_saveexec_b64 s[14:15], s[22:23]
	s_cbranch_execz .LBB65_173
.LBB65_179:
	s_and_b64 vcc, exec, s[0:1]
	s_cbranch_vccnz .LBB65_181
; %bb.180:
	v_lshl_add_u64 v[14:15], v[2:3], 2, v[10:11]
	global_load_dword v13, v[14:15], off
	s_waitcnt vmcnt(0)
	v_mul_f32_e32 v13, s30, v13
	s_branch .LBB65_182
.LBB65_181:
	v_mov_b32_e32 v13, 0
.LBB65_182:
	v_max_f32_e32 v14, v66, v66
	v_max_f32_e32 v13, v13, v13
	v_min_f32_e32 v13, v13, v14
	v_lshl_add_u64 v[14:15], v[2:3], 2, v[8:9]
	global_store_dword v[14:15], v13, off
	s_or_b64 exec, exec, s[14:15]
	s_and_b64 s[22:23], s[6:7], s[10:11]
	s_and_saveexec_b64 s[14:15], s[22:23]
	s_cbranch_execz .LBB65_174
.LBB65_183:
	s_and_b64 vcc, exec, s[0:1]
	s_cbranch_vccnz .LBB65_185
; %bb.184:
	v_lshl_add_u64 v[14:15], v[4:5], 2, v[10:11]
	global_load_dword v13, v[14:15], off
	s_waitcnt vmcnt(0)
	v_mul_f32_e32 v13, s30, v13
	s_branch .LBB65_186
.LBB65_185:
	v_mov_b32_e32 v13, 0
.LBB65_186:
	v_max_f32_e32 v14, v65, v65
	v_max_f32_e32 v13, v13, v13
	v_min_f32_e32 v13, v13, v14
	v_lshl_add_u64 v[14:15], v[4:5], 2, v[8:9]
	global_store_dword v[14:15], v13, off
	s_or_b64 exec, exec, s[14:15]
	s_and_b64 s[14:15], s[8:9], s[10:11]
	s_and_saveexec_b64 s[10:11], s[14:15]
	s_cbranch_execz .LBB65_191
.LBB65_187:
	s_and_b64 vcc, exec, s[0:1]
	s_cbranch_vccnz .LBB65_189
; %bb.188:
	v_lshl_add_u64 v[10:11], v[6:7], 2, v[10:11]
	global_load_dword v10, v[10:11], off
	s_waitcnt vmcnt(0)
	v_mul_f32_e32 v10, s30, v10
	s_branch .LBB65_190
.LBB65_189:
	v_mov_b32_e32 v10, 0
.LBB65_190:
	v_max_f32_e32 v11, v64, v64
	v_max_f32_e32 v10, v10, v10
	v_min_f32_e32 v10, v10, v11
	v_lshl_add_u64 v[8:9], v[6:7], 2, v[8:9]
	global_store_dword v[8:9], v10, off
.LBB65_191:
	s_or_b64 exec, exec, s[10:11]
	v_add_u32_e32 v13, 56, v12
	v_mad_i64_i32 v[8:9], s[14:15], v13, s19, 0
	v_cmp_gt_i32_e64 s[10:11], s17, v13
	v_lshl_add_u64 v[10:11], v[8:9], 2, s[20:21]
	v_mad_i64_i32 v[8:9], s[14:15], v13, s18, 0
	v_lshl_add_u64 v[8:9], v[8:9], 2, s[12:13]
	s_and_b64 s[22:23], s[2:3], s[10:11]
	s_and_saveexec_b64 s[14:15], s[22:23]
	s_cbranch_execnz .LBB65_195
; %bb.192:
	s_or_b64 exec, exec, s[14:15]
	s_and_b64 s[22:23], s[4:5], s[10:11]
	s_and_saveexec_b64 s[14:15], s[22:23]
	s_cbranch_execnz .LBB65_199
.LBB65_193:
	s_or_b64 exec, exec, s[14:15]
	s_and_b64 s[22:23], s[6:7], s[10:11]
	s_and_saveexec_b64 s[14:15], s[22:23]
	s_cbranch_execnz .LBB65_203
.LBB65_194:
	s_or_b64 exec, exec, s[14:15]
	s_and_b64 s[14:15], s[8:9], s[10:11]
	s_and_saveexec_b64 s[10:11], s[14:15]
	s_cbranch_execnz .LBB65_207
	s_branch .LBB65_211
.LBB65_195:
	s_and_b64 vcc, exec, s[0:1]
	s_cbranch_vccnz .LBB65_197
; %bb.196:
	v_lshl_add_u64 v[14:15], v[0:1], 2, v[10:11]
	global_load_dword v13, v[14:15], off
	s_waitcnt vmcnt(0)
	v_mul_f32_e32 v13, s30, v13
	s_branch .LBB65_198
.LBB65_197:
	v_mov_b32_e32 v13, 0
.LBB65_198:
	v_max_f32_e32 v14, v63, v63
	v_max_f32_e32 v13, v13, v13
	v_min_f32_e32 v13, v13, v14
	v_lshl_add_u64 v[14:15], v[0:1], 2, v[8:9]
	global_store_dword v[14:15], v13, off
	s_or_b64 exec, exec, s[14:15]
	s_and_b64 s[22:23], s[4:5], s[10:11]
	s_and_saveexec_b64 s[14:15], s[22:23]
	s_cbranch_execz .LBB65_193
.LBB65_199:
	s_and_b64 vcc, exec, s[0:1]
	s_cbranch_vccnz .LBB65_201
; %bb.200:
	v_lshl_add_u64 v[14:15], v[2:3], 2, v[10:11]
	global_load_dword v13, v[14:15], off
	s_waitcnt vmcnt(0)
	v_mul_f32_e32 v13, s30, v13
	s_branch .LBB65_202
.LBB65_201:
	v_mov_b32_e32 v13, 0
.LBB65_202:
	v_max_f32_e32 v14, v62, v62
	v_max_f32_e32 v13, v13, v13
	v_min_f32_e32 v13, v13, v14
	v_lshl_add_u64 v[14:15], v[2:3], 2, v[8:9]
	global_store_dword v[14:15], v13, off
	s_or_b64 exec, exec, s[14:15]
	s_and_b64 s[22:23], s[6:7], s[10:11]
	s_and_saveexec_b64 s[14:15], s[22:23]
	s_cbranch_execz .LBB65_194
.LBB65_203:
	s_and_b64 vcc, exec, s[0:1]
	s_cbranch_vccnz .LBB65_205
; %bb.204:
	v_lshl_add_u64 v[14:15], v[4:5], 2, v[10:11]
	global_load_dword v13, v[14:15], off
	s_waitcnt vmcnt(0)
	v_mul_f32_e32 v13, s30, v13
	s_branch .LBB65_206
.LBB65_205:
	v_mov_b32_e32 v13, 0
.LBB65_206:
	v_max_f32_e32 v14, v61, v61
	v_max_f32_e32 v13, v13, v13
	v_min_f32_e32 v13, v13, v14
	v_lshl_add_u64 v[14:15], v[4:5], 2, v[8:9]
	global_store_dword v[14:15], v13, off
	s_or_b64 exec, exec, s[14:15]
	s_and_b64 s[14:15], s[8:9], s[10:11]
	s_and_saveexec_b64 s[10:11], s[14:15]
	s_cbranch_execz .LBB65_211
.LBB65_207:
	s_and_b64 vcc, exec, s[0:1]
	s_cbranch_vccnz .LBB65_209
; %bb.208:
	v_lshl_add_u64 v[10:11], v[6:7], 2, v[10:11]
	global_load_dword v10, v[10:11], off
	s_waitcnt vmcnt(0)
	v_mul_f32_e32 v10, s30, v10
	s_branch .LBB65_210
.LBB65_209:
	v_mov_b32_e32 v10, 0
.LBB65_210:
	v_max_f32_e32 v11, v60, v60
	v_max_f32_e32 v10, v10, v10
	v_min_f32_e32 v10, v10, v11
	v_lshl_add_u64 v[8:9], v[6:7], 2, v[8:9]
	global_store_dword v[8:9], v10, off
.LBB65_211:
	s_or_b64 exec, exec, s[10:11]
	v_add_u32_e32 v13, 64, v12
	v_mad_i64_i32 v[8:9], s[14:15], v13, s19, 0
	v_cmp_gt_i32_e64 s[10:11], s17, v13
	v_lshl_add_u64 v[10:11], v[8:9], 2, s[20:21]
	v_mad_i64_i32 v[8:9], s[14:15], v13, s18, 0
	v_lshl_add_u64 v[8:9], v[8:9], 2, s[12:13]
	s_and_b64 s[22:23], s[2:3], s[10:11]
	s_and_saveexec_b64 s[14:15], s[22:23]
	s_cbranch_execnz .LBB65_215
; %bb.212:
	s_or_b64 exec, exec, s[14:15]
	s_and_b64 s[22:23], s[4:5], s[10:11]
	s_and_saveexec_b64 s[14:15], s[22:23]
	s_cbranch_execnz .LBB65_219
.LBB65_213:
	s_or_b64 exec, exec, s[14:15]
	s_and_b64 s[22:23], s[6:7], s[10:11]
	s_and_saveexec_b64 s[14:15], s[22:23]
	s_cbranch_execnz .LBB65_223
.LBB65_214:
	s_or_b64 exec, exec, s[14:15]
	s_and_b64 s[14:15], s[8:9], s[10:11]
	s_and_saveexec_b64 s[10:11], s[14:15]
	s_cbranch_execnz .LBB65_227
	s_branch .LBB65_231
.LBB65_215:
	s_and_b64 vcc, exec, s[0:1]
	s_cbranch_vccnz .LBB65_217
; %bb.216:
	v_lshl_add_u64 v[14:15], v[0:1], 2, v[10:11]
	global_load_dword v13, v[14:15], off
	s_waitcnt vmcnt(0)
	v_mul_f32_e32 v13, s30, v13
	s_branch .LBB65_218
.LBB65_217:
	v_mov_b32_e32 v13, 0
.LBB65_218:
	v_max_f32_e32 v14, v59, v59
	v_max_f32_e32 v13, v13, v13
	v_min_f32_e32 v13, v13, v14
	v_lshl_add_u64 v[14:15], v[0:1], 2, v[8:9]
	global_store_dword v[14:15], v13, off
	s_or_b64 exec, exec, s[14:15]
	s_and_b64 s[22:23], s[4:5], s[10:11]
	s_and_saveexec_b64 s[14:15], s[22:23]
	s_cbranch_execz .LBB65_213
.LBB65_219:
	s_and_b64 vcc, exec, s[0:1]
	s_cbranch_vccnz .LBB65_221
; %bb.220:
	v_lshl_add_u64 v[14:15], v[2:3], 2, v[10:11]
	global_load_dword v13, v[14:15], off
	s_waitcnt vmcnt(0)
	v_mul_f32_e32 v13, s30, v13
	s_branch .LBB65_222
.LBB65_221:
	v_mov_b32_e32 v13, 0
.LBB65_222:
	v_max_f32_e32 v14, v58, v58
	v_max_f32_e32 v13, v13, v13
	v_min_f32_e32 v13, v13, v14
	v_lshl_add_u64 v[14:15], v[2:3], 2, v[8:9]
	global_store_dword v[14:15], v13, off
	s_or_b64 exec, exec, s[14:15]
	s_and_b64 s[22:23], s[6:7], s[10:11]
	s_and_saveexec_b64 s[14:15], s[22:23]
	s_cbranch_execz .LBB65_214
.LBB65_223:
	s_and_b64 vcc, exec, s[0:1]
	s_cbranch_vccnz .LBB65_225
; %bb.224:
	v_lshl_add_u64 v[14:15], v[4:5], 2, v[10:11]
	global_load_dword v13, v[14:15], off
	s_waitcnt vmcnt(0)
	v_mul_f32_e32 v13, s30, v13
	s_branch .LBB65_226
.LBB65_225:
	v_mov_b32_e32 v13, 0
.LBB65_226:
	v_max_f32_e32 v14, v57, v57
	v_max_f32_e32 v13, v13, v13
	v_min_f32_e32 v13, v13, v14
	v_lshl_add_u64 v[14:15], v[4:5], 2, v[8:9]
	global_store_dword v[14:15], v13, off
	s_or_b64 exec, exec, s[14:15]
	s_and_b64 s[14:15], s[8:9], s[10:11]
	s_and_saveexec_b64 s[10:11], s[14:15]
	s_cbranch_execz .LBB65_231
.LBB65_227:
	s_and_b64 vcc, exec, s[0:1]
	s_cbranch_vccnz .LBB65_229
; %bb.228:
	v_lshl_add_u64 v[10:11], v[6:7], 2, v[10:11]
	global_load_dword v10, v[10:11], off
	s_waitcnt vmcnt(0)
	v_mul_f32_e32 v10, s30, v10
	s_branch .LBB65_230
.LBB65_229:
	v_mov_b32_e32 v10, 0
.LBB65_230:
	v_max_f32_e32 v11, v56, v56
	v_max_f32_e32 v10, v10, v10
	v_min_f32_e32 v10, v10, v11
	v_lshl_add_u64 v[8:9], v[6:7], 2, v[8:9]
	global_store_dword v[8:9], v10, off
.LBB65_231:
	s_or_b64 exec, exec, s[10:11]
	v_add_u32_e32 v13, 0x48, v12
	v_mad_i64_i32 v[8:9], s[14:15], v13, s19, 0
	v_cmp_gt_i32_e64 s[10:11], s17, v13
	v_lshl_add_u64 v[10:11], v[8:9], 2, s[20:21]
	v_mad_i64_i32 v[8:9], s[14:15], v13, s18, 0
	v_lshl_add_u64 v[8:9], v[8:9], 2, s[12:13]
	s_and_b64 s[22:23], s[2:3], s[10:11]
	s_and_saveexec_b64 s[14:15], s[22:23]
	s_cbranch_execnz .LBB65_235
; %bb.232:
	s_or_b64 exec, exec, s[14:15]
	s_and_b64 s[22:23], s[4:5], s[10:11]
	s_and_saveexec_b64 s[14:15], s[22:23]
	s_cbranch_execnz .LBB65_239
.LBB65_233:
	s_or_b64 exec, exec, s[14:15]
	s_and_b64 s[22:23], s[6:7], s[10:11]
	s_and_saveexec_b64 s[14:15], s[22:23]
	s_cbranch_execnz .LBB65_243
.LBB65_234:
	s_or_b64 exec, exec, s[14:15]
	s_and_b64 s[14:15], s[8:9], s[10:11]
	s_and_saveexec_b64 s[10:11], s[14:15]
	s_cbranch_execnz .LBB65_247
	s_branch .LBB65_251
.LBB65_235:
	s_and_b64 vcc, exec, s[0:1]
	s_cbranch_vccnz .LBB65_237
; %bb.236:
	v_lshl_add_u64 v[14:15], v[0:1], 2, v[10:11]
	global_load_dword v13, v[14:15], off
	s_waitcnt vmcnt(0)
	v_mul_f32_e32 v13, s30, v13
	s_branch .LBB65_238
.LBB65_237:
	v_mov_b32_e32 v13, 0
.LBB65_238:
	v_max_f32_e32 v14, v55, v55
	v_max_f32_e32 v13, v13, v13
	v_min_f32_e32 v13, v13, v14
	v_lshl_add_u64 v[14:15], v[0:1], 2, v[8:9]
	global_store_dword v[14:15], v13, off
	s_or_b64 exec, exec, s[14:15]
	s_and_b64 s[22:23], s[4:5], s[10:11]
	s_and_saveexec_b64 s[14:15], s[22:23]
	s_cbranch_execz .LBB65_233
.LBB65_239:
	s_and_b64 vcc, exec, s[0:1]
	s_cbranch_vccnz .LBB65_241
; %bb.240:
	v_lshl_add_u64 v[14:15], v[2:3], 2, v[10:11]
	global_load_dword v13, v[14:15], off
	s_waitcnt vmcnt(0)
	v_mul_f32_e32 v13, s30, v13
	s_branch .LBB65_242
.LBB65_241:
	v_mov_b32_e32 v13, 0
.LBB65_242:
	v_max_f32_e32 v14, v54, v54
	v_max_f32_e32 v13, v13, v13
	v_min_f32_e32 v13, v13, v14
	v_lshl_add_u64 v[14:15], v[2:3], 2, v[8:9]
	global_store_dword v[14:15], v13, off
	s_or_b64 exec, exec, s[14:15]
	s_and_b64 s[22:23], s[6:7], s[10:11]
	s_and_saveexec_b64 s[14:15], s[22:23]
	s_cbranch_execz .LBB65_234
.LBB65_243:
	s_and_b64 vcc, exec, s[0:1]
	s_cbranch_vccnz .LBB65_245
; %bb.244:
	v_lshl_add_u64 v[14:15], v[4:5], 2, v[10:11]
	global_load_dword v13, v[14:15], off
	s_waitcnt vmcnt(0)
	v_mul_f32_e32 v13, s30, v13
	s_branch .LBB65_246
.LBB65_245:
	v_mov_b32_e32 v13, 0
.LBB65_246:
	v_max_f32_e32 v14, v53, v53
	v_max_f32_e32 v13, v13, v13
	v_min_f32_e32 v13, v13, v14
	v_lshl_add_u64 v[14:15], v[4:5], 2, v[8:9]
	global_store_dword v[14:15], v13, off
	s_or_b64 exec, exec, s[14:15]
	s_and_b64 s[14:15], s[8:9], s[10:11]
	s_and_saveexec_b64 s[10:11], s[14:15]
	s_cbranch_execz .LBB65_251
.LBB65_247:
	s_and_b64 vcc, exec, s[0:1]
	s_cbranch_vccnz .LBB65_249
; %bb.248:
	v_lshl_add_u64 v[10:11], v[6:7], 2, v[10:11]
	global_load_dword v10, v[10:11], off
	s_waitcnt vmcnt(0)
	v_mul_f32_e32 v10, s30, v10
	s_branch .LBB65_250
.LBB65_249:
	v_mov_b32_e32 v10, 0
.LBB65_250:
	v_max_f32_e32 v11, v52, v52
	v_max_f32_e32 v10, v10, v10
	v_min_f32_e32 v10, v10, v11
	v_lshl_add_u64 v[8:9], v[6:7], 2, v[8:9]
	global_store_dword v[8:9], v10, off
.LBB65_251:
	s_or_b64 exec, exec, s[10:11]
	v_add_u32_e32 v13, 0x50, v12
	v_mad_i64_i32 v[8:9], s[14:15], v13, s19, 0
	v_cmp_gt_i32_e64 s[10:11], s17, v13
	v_lshl_add_u64 v[10:11], v[8:9], 2, s[20:21]
	v_mad_i64_i32 v[8:9], s[14:15], v13, s18, 0
	v_lshl_add_u64 v[8:9], v[8:9], 2, s[12:13]
	s_and_b64 s[22:23], s[2:3], s[10:11]
	s_and_saveexec_b64 s[14:15], s[22:23]
	s_cbranch_execnz .LBB65_255
; %bb.252:
	s_or_b64 exec, exec, s[14:15]
	s_and_b64 s[22:23], s[4:5], s[10:11]
	s_and_saveexec_b64 s[14:15], s[22:23]
	s_cbranch_execnz .LBB65_259
.LBB65_253:
	s_or_b64 exec, exec, s[14:15]
	s_and_b64 s[22:23], s[6:7], s[10:11]
	s_and_saveexec_b64 s[14:15], s[22:23]
	s_cbranch_execnz .LBB65_263
.LBB65_254:
	s_or_b64 exec, exec, s[14:15]
	s_and_b64 s[14:15], s[8:9], s[10:11]
	s_and_saveexec_b64 s[10:11], s[14:15]
	s_cbranch_execnz .LBB65_267
	s_branch .LBB65_271
.LBB65_255:
	s_and_b64 vcc, exec, s[0:1]
	s_cbranch_vccnz .LBB65_257
; %bb.256:
	v_lshl_add_u64 v[14:15], v[0:1], 2, v[10:11]
	global_load_dword v13, v[14:15], off
	s_waitcnt vmcnt(0)
	v_mul_f32_e32 v13, s30, v13
	s_branch .LBB65_258
.LBB65_257:
	v_mov_b32_e32 v13, 0
.LBB65_258:
	v_max_f32_e32 v14, v51, v51
	v_max_f32_e32 v13, v13, v13
	v_min_f32_e32 v13, v13, v14
	v_lshl_add_u64 v[14:15], v[0:1], 2, v[8:9]
	global_store_dword v[14:15], v13, off
	s_or_b64 exec, exec, s[14:15]
	s_and_b64 s[22:23], s[4:5], s[10:11]
	s_and_saveexec_b64 s[14:15], s[22:23]
	s_cbranch_execz .LBB65_253
.LBB65_259:
	s_and_b64 vcc, exec, s[0:1]
	s_cbranch_vccnz .LBB65_261
; %bb.260:
	v_lshl_add_u64 v[14:15], v[2:3], 2, v[10:11]
	global_load_dword v13, v[14:15], off
	s_waitcnt vmcnt(0)
	v_mul_f32_e32 v13, s30, v13
	s_branch .LBB65_262
.LBB65_261:
	v_mov_b32_e32 v13, 0
.LBB65_262:
	v_max_f32_e32 v14, v50, v50
	v_max_f32_e32 v13, v13, v13
	v_min_f32_e32 v13, v13, v14
	v_lshl_add_u64 v[14:15], v[2:3], 2, v[8:9]
	global_store_dword v[14:15], v13, off
	s_or_b64 exec, exec, s[14:15]
	s_and_b64 s[22:23], s[6:7], s[10:11]
	s_and_saveexec_b64 s[14:15], s[22:23]
	s_cbranch_execz .LBB65_254
.LBB65_263:
	s_and_b64 vcc, exec, s[0:1]
	s_cbranch_vccnz .LBB65_265
; %bb.264:
	v_lshl_add_u64 v[14:15], v[4:5], 2, v[10:11]
	global_load_dword v13, v[14:15], off
	s_waitcnt vmcnt(0)
	v_mul_f32_e32 v13, s30, v13
	s_branch .LBB65_266
.LBB65_265:
	v_mov_b32_e32 v13, 0
.LBB65_266:
	v_max_f32_e32 v14, v49, v49
	v_max_f32_e32 v13, v13, v13
	v_min_f32_e32 v13, v13, v14
	v_lshl_add_u64 v[14:15], v[4:5], 2, v[8:9]
	global_store_dword v[14:15], v13, off
	s_or_b64 exec, exec, s[14:15]
	s_and_b64 s[14:15], s[8:9], s[10:11]
	s_and_saveexec_b64 s[10:11], s[14:15]
	s_cbranch_execz .LBB65_271
.LBB65_267:
	s_and_b64 vcc, exec, s[0:1]
	s_cbranch_vccnz .LBB65_269
; %bb.268:
	v_lshl_add_u64 v[10:11], v[6:7], 2, v[10:11]
	global_load_dword v10, v[10:11], off
	s_waitcnt vmcnt(0)
	v_mul_f32_e32 v10, s30, v10
	s_branch .LBB65_270
.LBB65_269:
	v_mov_b32_e32 v10, 0
.LBB65_270:
	v_max_f32_e32 v11, v48, v48
	v_max_f32_e32 v10, v10, v10
	v_min_f32_e32 v10, v10, v11
	v_lshl_add_u64 v[8:9], v[6:7], 2, v[8:9]
	global_store_dword v[8:9], v10, off
.LBB65_271:
	s_or_b64 exec, exec, s[10:11]
	v_add_u32_e32 v13, 0x58, v12
	v_mad_i64_i32 v[8:9], s[14:15], v13, s19, 0
	v_cmp_gt_i32_e64 s[10:11], s17, v13
	v_lshl_add_u64 v[10:11], v[8:9], 2, s[20:21]
	v_mad_i64_i32 v[8:9], s[14:15], v13, s18, 0
	v_lshl_add_u64 v[8:9], v[8:9], 2, s[12:13]
	s_and_b64 s[22:23], s[2:3], s[10:11]
	s_and_saveexec_b64 s[14:15], s[22:23]
	s_cbranch_execnz .LBB65_275
; %bb.272:
	s_or_b64 exec, exec, s[14:15]
	s_and_b64 s[22:23], s[4:5], s[10:11]
	s_and_saveexec_b64 s[14:15], s[22:23]
	s_cbranch_execnz .LBB65_279
.LBB65_273:
	s_or_b64 exec, exec, s[14:15]
	s_and_b64 s[22:23], s[6:7], s[10:11]
	s_and_saveexec_b64 s[14:15], s[22:23]
	s_cbranch_execnz .LBB65_283
.LBB65_274:
	s_or_b64 exec, exec, s[14:15]
	s_and_b64 s[14:15], s[8:9], s[10:11]
	s_and_saveexec_b64 s[10:11], s[14:15]
	s_cbranch_execnz .LBB65_287
	s_branch .LBB65_291
.LBB65_275:
	s_and_b64 vcc, exec, s[0:1]
	s_cbranch_vccnz .LBB65_277
; %bb.276:
	v_lshl_add_u64 v[14:15], v[0:1], 2, v[10:11]
	global_load_dword v13, v[14:15], off
	s_waitcnt vmcnt(0)
	v_mul_f32_e32 v13, s30, v13
	s_branch .LBB65_278
.LBB65_277:
	v_mov_b32_e32 v13, 0
.LBB65_278:
	v_max_f32_e32 v14, v47, v47
	v_max_f32_e32 v13, v13, v13
	v_min_f32_e32 v13, v13, v14
	v_lshl_add_u64 v[14:15], v[0:1], 2, v[8:9]
	global_store_dword v[14:15], v13, off
	s_or_b64 exec, exec, s[14:15]
	s_and_b64 s[22:23], s[4:5], s[10:11]
	s_and_saveexec_b64 s[14:15], s[22:23]
	s_cbranch_execz .LBB65_273
.LBB65_279:
	s_and_b64 vcc, exec, s[0:1]
	s_cbranch_vccnz .LBB65_281
; %bb.280:
	v_lshl_add_u64 v[14:15], v[2:3], 2, v[10:11]
	global_load_dword v13, v[14:15], off
	s_waitcnt vmcnt(0)
	v_mul_f32_e32 v13, s30, v13
	s_branch .LBB65_282
.LBB65_281:
	v_mov_b32_e32 v13, 0
.LBB65_282:
	v_max_f32_e32 v14, v46, v46
	v_max_f32_e32 v13, v13, v13
	v_min_f32_e32 v13, v13, v14
	v_lshl_add_u64 v[14:15], v[2:3], 2, v[8:9]
	global_store_dword v[14:15], v13, off
	s_or_b64 exec, exec, s[14:15]
	s_and_b64 s[22:23], s[6:7], s[10:11]
	s_and_saveexec_b64 s[14:15], s[22:23]
	s_cbranch_execz .LBB65_274
.LBB65_283:
	s_and_b64 vcc, exec, s[0:1]
	s_cbranch_vccnz .LBB65_285
; %bb.284:
	v_lshl_add_u64 v[14:15], v[4:5], 2, v[10:11]
	global_load_dword v13, v[14:15], off
	s_waitcnt vmcnt(0)
	v_mul_f32_e32 v13, s30, v13
	s_branch .LBB65_286
.LBB65_285:
	v_mov_b32_e32 v13, 0
.LBB65_286:
	v_max_f32_e32 v14, v45, v45
	v_max_f32_e32 v13, v13, v13
	v_min_f32_e32 v13, v13, v14
	v_lshl_add_u64 v[14:15], v[4:5], 2, v[8:9]
	global_store_dword v[14:15], v13, off
	s_or_b64 exec, exec, s[14:15]
	s_and_b64 s[14:15], s[8:9], s[10:11]
	s_and_saveexec_b64 s[10:11], s[14:15]
	s_cbranch_execz .LBB65_291
.LBB65_287:
	s_and_b64 vcc, exec, s[0:1]
	s_cbranch_vccnz .LBB65_289
; %bb.288:
	v_lshl_add_u64 v[10:11], v[6:7], 2, v[10:11]
	global_load_dword v10, v[10:11], off
	s_waitcnt vmcnt(0)
	v_mul_f32_e32 v10, s30, v10
	s_branch .LBB65_290
.LBB65_289:
	v_mov_b32_e32 v10, 0
.LBB65_290:
	v_max_f32_e32 v11, v44, v44
	v_max_f32_e32 v10, v10, v10
	v_min_f32_e32 v10, v10, v11
	v_lshl_add_u64 v[8:9], v[6:7], 2, v[8:9]
	global_store_dword v[8:9], v10, off
.LBB65_291:
	s_or_b64 exec, exec, s[10:11]
	v_add_u32_e32 v13, 0x60, v12
	v_mad_i64_i32 v[8:9], s[14:15], v13, s19, 0
	v_cmp_gt_i32_e64 s[10:11], s17, v13
	v_lshl_add_u64 v[10:11], v[8:9], 2, s[20:21]
	v_mad_i64_i32 v[8:9], s[14:15], v13, s18, 0
	v_lshl_add_u64 v[8:9], v[8:9], 2, s[12:13]
	s_and_b64 s[22:23], s[2:3], s[10:11]
	s_and_saveexec_b64 s[14:15], s[22:23]
	s_cbranch_execnz .LBB65_295
; %bb.292:
	s_or_b64 exec, exec, s[14:15]
	s_and_b64 s[22:23], s[4:5], s[10:11]
	s_and_saveexec_b64 s[14:15], s[22:23]
	s_cbranch_execnz .LBB65_299
.LBB65_293:
	s_or_b64 exec, exec, s[14:15]
	s_and_b64 s[22:23], s[6:7], s[10:11]
	s_and_saveexec_b64 s[14:15], s[22:23]
	s_cbranch_execnz .LBB65_303
.LBB65_294:
	s_or_b64 exec, exec, s[14:15]
	s_and_b64 s[14:15], s[8:9], s[10:11]
	s_and_saveexec_b64 s[10:11], s[14:15]
	s_cbranch_execnz .LBB65_307
	s_branch .LBB65_311
.LBB65_295:
	s_and_b64 vcc, exec, s[0:1]
	s_cbranch_vccnz .LBB65_297
; %bb.296:
	v_lshl_add_u64 v[14:15], v[0:1], 2, v[10:11]
	global_load_dword v13, v[14:15], off
	s_waitcnt vmcnt(0)
	v_mul_f32_e32 v13, s30, v13
	s_branch .LBB65_298
.LBB65_297:
	v_mov_b32_e32 v13, 0
.LBB65_298:
	v_max_f32_e32 v14, v43, v43
	v_max_f32_e32 v13, v13, v13
	v_min_f32_e32 v13, v13, v14
	v_lshl_add_u64 v[14:15], v[0:1], 2, v[8:9]
	global_store_dword v[14:15], v13, off
	s_or_b64 exec, exec, s[14:15]
	s_and_b64 s[22:23], s[4:5], s[10:11]
	s_and_saveexec_b64 s[14:15], s[22:23]
	s_cbranch_execz .LBB65_293
.LBB65_299:
	s_and_b64 vcc, exec, s[0:1]
	s_cbranch_vccnz .LBB65_301
; %bb.300:
	v_lshl_add_u64 v[14:15], v[2:3], 2, v[10:11]
	global_load_dword v13, v[14:15], off
	s_waitcnt vmcnt(0)
	v_mul_f32_e32 v13, s30, v13
	s_branch .LBB65_302
.LBB65_301:
	v_mov_b32_e32 v13, 0
.LBB65_302:
	v_max_f32_e32 v14, v42, v42
	v_max_f32_e32 v13, v13, v13
	v_min_f32_e32 v13, v13, v14
	v_lshl_add_u64 v[14:15], v[2:3], 2, v[8:9]
	global_store_dword v[14:15], v13, off
	s_or_b64 exec, exec, s[14:15]
	s_and_b64 s[22:23], s[6:7], s[10:11]
	s_and_saveexec_b64 s[14:15], s[22:23]
	s_cbranch_execz .LBB65_294
.LBB65_303:
	s_and_b64 vcc, exec, s[0:1]
	s_cbranch_vccnz .LBB65_305
; %bb.304:
	v_lshl_add_u64 v[14:15], v[4:5], 2, v[10:11]
	global_load_dword v13, v[14:15], off
	s_waitcnt vmcnt(0)
	v_mul_f32_e32 v13, s30, v13
	s_branch .LBB65_306
.LBB65_305:
	v_mov_b32_e32 v13, 0
.LBB65_306:
	v_max_f32_e32 v14, v41, v41
	v_max_f32_e32 v13, v13, v13
	v_min_f32_e32 v13, v13, v14
	v_lshl_add_u64 v[14:15], v[4:5], 2, v[8:9]
	global_store_dword v[14:15], v13, off
	s_or_b64 exec, exec, s[14:15]
	s_and_b64 s[14:15], s[8:9], s[10:11]
	s_and_saveexec_b64 s[10:11], s[14:15]
	s_cbranch_execz .LBB65_311
.LBB65_307:
	s_and_b64 vcc, exec, s[0:1]
	s_cbranch_vccnz .LBB65_309
; %bb.308:
	v_lshl_add_u64 v[10:11], v[6:7], 2, v[10:11]
	global_load_dword v10, v[10:11], off
	s_waitcnt vmcnt(0)
	v_mul_f32_e32 v10, s30, v10
	s_branch .LBB65_310
.LBB65_309:
	v_mov_b32_e32 v10, 0
.LBB65_310:
	v_max_f32_e32 v11, v40, v40
	v_max_f32_e32 v10, v10, v10
	v_min_f32_e32 v10, v10, v11
	v_lshl_add_u64 v[8:9], v[6:7], 2, v[8:9]
	global_store_dword v[8:9], v10, off
.LBB65_311:
	s_or_b64 exec, exec, s[10:11]
	v_add_u32_e32 v13, 0x68, v12
	v_mad_i64_i32 v[8:9], s[14:15], v13, s19, 0
	v_cmp_gt_i32_e64 s[10:11], s17, v13
	v_lshl_add_u64 v[10:11], v[8:9], 2, s[20:21]
	v_mad_i64_i32 v[8:9], s[14:15], v13, s18, 0
	v_lshl_add_u64 v[8:9], v[8:9], 2, s[12:13]
	s_and_b64 s[22:23], s[2:3], s[10:11]
	s_and_saveexec_b64 s[14:15], s[22:23]
	s_cbranch_execnz .LBB65_315
; %bb.312:
	s_or_b64 exec, exec, s[14:15]
	s_and_b64 s[22:23], s[4:5], s[10:11]
	s_and_saveexec_b64 s[14:15], s[22:23]
	s_cbranch_execnz .LBB65_319
.LBB65_313:
	s_or_b64 exec, exec, s[14:15]
	s_and_b64 s[22:23], s[6:7], s[10:11]
	s_and_saveexec_b64 s[14:15], s[22:23]
	s_cbranch_execnz .LBB65_323
.LBB65_314:
	s_or_b64 exec, exec, s[14:15]
	s_and_b64 s[14:15], s[8:9], s[10:11]
	s_and_saveexec_b64 s[10:11], s[14:15]
	s_cbranch_execnz .LBB65_327
	s_branch .LBB65_331
.LBB65_315:
	s_and_b64 vcc, exec, s[0:1]
	s_cbranch_vccnz .LBB65_317
; %bb.316:
	v_lshl_add_u64 v[14:15], v[0:1], 2, v[10:11]
	global_load_dword v13, v[14:15], off
	s_waitcnt vmcnt(0)
	v_mul_f32_e32 v13, s30, v13
	s_branch .LBB65_318
.LBB65_317:
	v_mov_b32_e32 v13, 0
.LBB65_318:
	v_max_f32_e32 v14, v39, v39
	v_max_f32_e32 v13, v13, v13
	v_min_f32_e32 v13, v13, v14
	v_lshl_add_u64 v[14:15], v[0:1], 2, v[8:9]
	global_store_dword v[14:15], v13, off
	s_or_b64 exec, exec, s[14:15]
	s_and_b64 s[22:23], s[4:5], s[10:11]
	s_and_saveexec_b64 s[14:15], s[22:23]
	s_cbranch_execz .LBB65_313
.LBB65_319:
	s_and_b64 vcc, exec, s[0:1]
	s_cbranch_vccnz .LBB65_321
; %bb.320:
	v_lshl_add_u64 v[14:15], v[2:3], 2, v[10:11]
	global_load_dword v13, v[14:15], off
	s_waitcnt vmcnt(0)
	v_mul_f32_e32 v13, s30, v13
	s_branch .LBB65_322
.LBB65_321:
	v_mov_b32_e32 v13, 0
.LBB65_322:
	v_max_f32_e32 v14, v38, v38
	v_max_f32_e32 v13, v13, v13
	v_min_f32_e32 v13, v13, v14
	v_lshl_add_u64 v[14:15], v[2:3], 2, v[8:9]
	global_store_dword v[14:15], v13, off
	s_or_b64 exec, exec, s[14:15]
	s_and_b64 s[22:23], s[6:7], s[10:11]
	s_and_saveexec_b64 s[14:15], s[22:23]
	s_cbranch_execz .LBB65_314
.LBB65_323:
	s_and_b64 vcc, exec, s[0:1]
	s_cbranch_vccnz .LBB65_325
; %bb.324:
	v_lshl_add_u64 v[14:15], v[4:5], 2, v[10:11]
	global_load_dword v13, v[14:15], off
	s_waitcnt vmcnt(0)
	v_mul_f32_e32 v13, s30, v13
	s_branch .LBB65_326
.LBB65_325:
	v_mov_b32_e32 v13, 0
.LBB65_326:
	v_max_f32_e32 v14, v37, v37
	v_max_f32_e32 v13, v13, v13
	v_min_f32_e32 v13, v13, v14
	v_lshl_add_u64 v[14:15], v[4:5], 2, v[8:9]
	global_store_dword v[14:15], v13, off
	s_or_b64 exec, exec, s[14:15]
	s_and_b64 s[14:15], s[8:9], s[10:11]
	s_and_saveexec_b64 s[10:11], s[14:15]
	s_cbranch_execz .LBB65_331
.LBB65_327:
	s_and_b64 vcc, exec, s[0:1]
	s_cbranch_vccnz .LBB65_329
; %bb.328:
	v_lshl_add_u64 v[10:11], v[6:7], 2, v[10:11]
	global_load_dword v10, v[10:11], off
	s_waitcnt vmcnt(0)
	v_mul_f32_e32 v10, s30, v10
	s_branch .LBB65_330
.LBB65_329:
	v_mov_b32_e32 v10, 0
.LBB65_330:
	v_max_f32_e32 v11, v36, v36
	v_max_f32_e32 v10, v10, v10
	v_min_f32_e32 v10, v10, v11
	v_lshl_add_u64 v[8:9], v[6:7], 2, v[8:9]
	global_store_dword v[8:9], v10, off
.LBB65_331:
	s_or_b64 exec, exec, s[10:11]
	v_add_u32_e32 v13, 0x70, v12
	v_mad_i64_i32 v[8:9], s[14:15], v13, s19, 0
	v_cmp_gt_i32_e64 s[10:11], s17, v13
	v_lshl_add_u64 v[10:11], v[8:9], 2, s[20:21]
	v_mad_i64_i32 v[8:9], s[14:15], v13, s18, 0
	v_lshl_add_u64 v[8:9], v[8:9], 2, s[12:13]
	s_and_b64 s[22:23], s[2:3], s[10:11]
	s_and_saveexec_b64 s[14:15], s[22:23]
	s_cbranch_execnz .LBB65_335
; %bb.332:
	s_or_b64 exec, exec, s[14:15]
	s_and_b64 s[22:23], s[4:5], s[10:11]
	s_and_saveexec_b64 s[14:15], s[22:23]
	s_cbranch_execnz .LBB65_339
.LBB65_333:
	s_or_b64 exec, exec, s[14:15]
	s_and_b64 s[22:23], s[6:7], s[10:11]
	s_and_saveexec_b64 s[14:15], s[22:23]
	s_cbranch_execnz .LBB65_343
.LBB65_334:
	s_or_b64 exec, exec, s[14:15]
	s_and_b64 s[14:15], s[8:9], s[10:11]
	s_and_saveexec_b64 s[10:11], s[14:15]
	s_cbranch_execnz .LBB65_347
	s_branch .LBB65_351
.LBB65_335:
	s_and_b64 vcc, exec, s[0:1]
	s_cbranch_vccnz .LBB65_337
; %bb.336:
	v_lshl_add_u64 v[14:15], v[0:1], 2, v[10:11]
	global_load_dword v13, v[14:15], off
	s_waitcnt vmcnt(0)
	v_mul_f32_e32 v13, s30, v13
	s_branch .LBB65_338
.LBB65_337:
	v_mov_b32_e32 v13, 0
.LBB65_338:
	v_max_f32_e32 v14, v35, v35
	v_max_f32_e32 v13, v13, v13
	v_min_f32_e32 v13, v13, v14
	v_lshl_add_u64 v[14:15], v[0:1], 2, v[8:9]
	global_store_dword v[14:15], v13, off
	s_or_b64 exec, exec, s[14:15]
	s_and_b64 s[22:23], s[4:5], s[10:11]
	s_and_saveexec_b64 s[14:15], s[22:23]
	s_cbranch_execz .LBB65_333
.LBB65_339:
	s_and_b64 vcc, exec, s[0:1]
	s_cbranch_vccnz .LBB65_341
; %bb.340:
	v_lshl_add_u64 v[14:15], v[2:3], 2, v[10:11]
	global_load_dword v13, v[14:15], off
	s_waitcnt vmcnt(0)
	v_mul_f32_e32 v13, s30, v13
	s_branch .LBB65_342
.LBB65_341:
	v_mov_b32_e32 v13, 0
.LBB65_342:
	v_max_f32_e32 v14, v34, v34
	v_max_f32_e32 v13, v13, v13
	v_min_f32_e32 v13, v13, v14
	v_lshl_add_u64 v[14:15], v[2:3], 2, v[8:9]
	global_store_dword v[14:15], v13, off
	s_or_b64 exec, exec, s[14:15]
	s_and_b64 s[22:23], s[6:7], s[10:11]
	s_and_saveexec_b64 s[14:15], s[22:23]
	s_cbranch_execz .LBB65_334
.LBB65_343:
	s_and_b64 vcc, exec, s[0:1]
	s_cbranch_vccnz .LBB65_345
; %bb.344:
	v_lshl_add_u64 v[14:15], v[4:5], 2, v[10:11]
	global_load_dword v13, v[14:15], off
	s_waitcnt vmcnt(0)
	v_mul_f32_e32 v13, s30, v13
	s_branch .LBB65_346
.LBB65_345:
	v_mov_b32_e32 v13, 0
.LBB65_346:
	v_max_f32_e32 v14, v33, v33
	v_max_f32_e32 v13, v13, v13
	v_min_f32_e32 v13, v13, v14
	v_lshl_add_u64 v[14:15], v[4:5], 2, v[8:9]
	global_store_dword v[14:15], v13, off
	s_or_b64 exec, exec, s[14:15]
	s_and_b64 s[14:15], s[8:9], s[10:11]
	s_and_saveexec_b64 s[10:11], s[14:15]
	s_cbranch_execz .LBB65_351
.LBB65_347:
	s_and_b64 vcc, exec, s[0:1]
	s_cbranch_vccnz .LBB65_349
; %bb.348:
	v_lshl_add_u64 v[10:11], v[6:7], 2, v[10:11]
	global_load_dword v10, v[10:11], off
	s_waitcnt vmcnt(0)
	v_mul_f32_e32 v10, s30, v10
	s_branch .LBB65_350
.LBB65_349:
	v_mov_b32_e32 v10, 0
.LBB65_350:
	v_max_f32_e32 v11, v32, v32
	v_max_f32_e32 v10, v10, v10
	v_min_f32_e32 v10, v10, v11
	v_lshl_add_u64 v[8:9], v[6:7], 2, v[8:9]
	global_store_dword v[8:9], v10, off
.LBB65_351:
	s_or_b64 exec, exec, s[10:11]
	v_add_u32_e32 v12, 0x78, v12
	v_mad_i64_i32 v[8:9], s[14:15], v12, s19, 0
	v_cmp_gt_i32_e64 s[10:11], s17, v12
	v_lshl_add_u64 v[10:11], v[8:9], 2, s[20:21]
	v_mad_i64_i32 v[8:9], s[14:15], v12, s18, 0
	v_lshl_add_u64 v[8:9], v[8:9], 2, s[12:13]
	s_and_b64 s[12:13], s[2:3], s[10:11]
	s_and_saveexec_b64 s[2:3], s[12:13]
	s_cbranch_execnz .LBB65_356
; %bb.352:
	s_or_b64 exec, exec, s[2:3]
	s_and_b64 s[4:5], s[4:5], s[10:11]
	s_and_saveexec_b64 s[2:3], s[4:5]
	s_cbranch_execnz .LBB65_360
.LBB65_353:
	s_or_b64 exec, exec, s[2:3]
	s_and_b64 s[4:5], s[6:7], s[10:11]
	s_and_saveexec_b64 s[2:3], s[4:5]
	s_cbranch_execnz .LBB65_364
.LBB65_354:
	s_or_b64 exec, exec, s[2:3]
	s_and_b64 s[2:3], s[8:9], s[10:11]
	s_and_saveexec_b64 s[4:5], s[2:3]
	s_cbranch_execnz .LBB65_368
.LBB65_355:
	s_endpgm
.LBB65_356:
	s_and_b64 vcc, exec, s[0:1]
	s_cbranch_vccnz .LBB65_358
; %bb.357:
	v_lshl_add_u64 v[12:13], v[0:1], 2, v[10:11]
	global_load_dword v12, v[12:13], off
	s_waitcnt vmcnt(0)
	v_mul_f32_e32 v12, s30, v12
	s_branch .LBB65_359
.LBB65_358:
	v_mov_b32_e32 v12, 0
.LBB65_359:
	v_max_f32_e32 v13, v31, v31
	v_max_f32_e32 v12, v12, v12
	v_min_f32_e32 v12, v12, v13
	v_lshl_add_u64 v[0:1], v[0:1], 2, v[8:9]
	global_store_dword v[0:1], v12, off
	s_or_b64 exec, exec, s[2:3]
	s_and_b64 s[4:5], s[4:5], s[10:11]
	s_and_saveexec_b64 s[2:3], s[4:5]
	s_cbranch_execz .LBB65_353
.LBB65_360:
	s_and_b64 vcc, exec, s[0:1]
	s_cbranch_vccnz .LBB65_362
; %bb.361:
	v_lshl_add_u64 v[0:1], v[2:3], 2, v[10:11]
	global_load_dword v0, v[0:1], off
	s_waitcnt vmcnt(0)
	v_mul_f32_e32 v0, s30, v0
	s_branch .LBB65_363
.LBB65_362:
	v_mov_b32_e32 v0, 0
.LBB65_363:
	v_max_f32_e32 v1, v30, v30
	v_max_f32_e32 v0, v0, v0
	v_min_f32_e32 v12, v0, v1
	v_lshl_add_u64 v[0:1], v[2:3], 2, v[8:9]
	global_store_dword v[0:1], v12, off
	s_or_b64 exec, exec, s[2:3]
	s_and_b64 s[4:5], s[6:7], s[10:11]
	s_and_saveexec_b64 s[2:3], s[4:5]
	s_cbranch_execz .LBB65_354
.LBB65_364:
	s_and_b64 vcc, exec, s[0:1]
	s_cbranch_vccnz .LBB65_366
; %bb.365:
	v_lshl_add_u64 v[0:1], v[4:5], 2, v[10:11]
	global_load_dword v0, v[0:1], off
	s_waitcnt vmcnt(0)
	v_mul_f32_e32 v0, s30, v0
	s_branch .LBB65_367
.LBB65_366:
	v_mov_b32_e32 v0, 0
.LBB65_367:
	v_max_f32_e32 v1, v29, v29
	v_max_f32_e32 v0, v0, v0
	v_min_f32_e32 v2, v0, v1
	v_lshl_add_u64 v[0:1], v[4:5], 2, v[8:9]
	global_store_dword v[0:1], v2, off
	s_or_b64 exec, exec, s[2:3]
	s_and_b64 s[2:3], s[8:9], s[10:11]
	s_and_saveexec_b64 s[4:5], s[2:3]
	s_cbranch_execz .LBB65_355
.LBB65_368:
	s_and_b64 vcc, exec, s[0:1]
	s_cbranch_vccnz .LBB65_370
; %bb.369:
	v_lshl_add_u64 v[0:1], v[6:7], 2, v[10:11]
	global_load_dword v0, v[0:1], off
	s_waitcnt vmcnt(0)
	v_mul_f32_e32 v0, s30, v0
	s_branch .LBB65_371
.LBB65_370:
	v_mov_b32_e32 v0, 0
.LBB65_371:
	v_max_f32_e32 v1, v28, v28
	v_max_f32_e32 v0, v0, v0
	v_min_f32_e32 v2, v0, v1
	v_lshl_add_u64 v[0:1], v[6:7], 2, v[8:9]
	global_store_dword v[0:1], v2, off
	s_endpgm
	.section	.rodata,"a",@progbits
	.p2align	6, 0x0
	.amdhsa_kernel _ZN12_GLOBAL__N_120geam_min_plus_kernelIf15HIP_vector_typeIfLj2EEfLi32ELi8ELi128ELi128ELi4ELi4ELi64ELi4ELi64ELc84ELc78ELb0ELb1ELb1EfKffEEviiiT16_PT17_ilS6_ilS4_S6_ilPT18_ili26rocblas_geam_ex_operation_
		.amdhsa_group_segment_fixed_size 8192
		.amdhsa_private_segment_fixed_size 0
		.amdhsa_kernarg_size 128
		.amdhsa_user_sgpr_count 2
		.amdhsa_user_sgpr_dispatch_ptr 0
		.amdhsa_user_sgpr_queue_ptr 0
		.amdhsa_user_sgpr_kernarg_segment_ptr 1
		.amdhsa_user_sgpr_dispatch_id 0
		.amdhsa_user_sgpr_kernarg_preload_length 0
		.amdhsa_user_sgpr_kernarg_preload_offset 0
		.amdhsa_user_sgpr_private_segment_size 0
		.amdhsa_uses_dynamic_stack 0
		.amdhsa_enable_private_segment 0
		.amdhsa_system_sgpr_workgroup_id_x 1
		.amdhsa_system_sgpr_workgroup_id_y 0
		.amdhsa_system_sgpr_workgroup_id_z 1
		.amdhsa_system_sgpr_workgroup_info 0
		.amdhsa_system_vgpr_workitem_id 1
		.amdhsa_next_free_vgpr 132
		.amdhsa_next_free_sgpr 40
		.amdhsa_accum_offset 132
		.amdhsa_reserve_vcc 1
		.amdhsa_float_round_mode_32 0
		.amdhsa_float_round_mode_16_64 0
		.amdhsa_float_denorm_mode_32 3
		.amdhsa_float_denorm_mode_16_64 3
		.amdhsa_dx10_clamp 1
		.amdhsa_ieee_mode 1
		.amdhsa_fp16_overflow 0
		.amdhsa_tg_split 0
		.amdhsa_exception_fp_ieee_invalid_op 0
		.amdhsa_exception_fp_denorm_src 0
		.amdhsa_exception_fp_ieee_div_zero 0
		.amdhsa_exception_fp_ieee_overflow 0
		.amdhsa_exception_fp_ieee_underflow 0
		.amdhsa_exception_fp_ieee_inexact 0
		.amdhsa_exception_int_div_zero 0
	.end_amdhsa_kernel
	.section	.text._ZN12_GLOBAL__N_120geam_min_plus_kernelIf15HIP_vector_typeIfLj2EEfLi32ELi8ELi128ELi128ELi4ELi4ELi64ELi4ELi64ELc84ELc78ELb0ELb1ELb1EfKffEEviiiT16_PT17_ilS6_ilS4_S6_ilPT18_ili26rocblas_geam_ex_operation_,"axG",@progbits,_ZN12_GLOBAL__N_120geam_min_plus_kernelIf15HIP_vector_typeIfLj2EEfLi32ELi8ELi128ELi128ELi4ELi4ELi64ELi4ELi64ELc84ELc78ELb0ELb1ELb1EfKffEEviiiT16_PT17_ilS6_ilS4_S6_ilPT18_ili26rocblas_geam_ex_operation_,comdat
.Lfunc_end65:
	.size	_ZN12_GLOBAL__N_120geam_min_plus_kernelIf15HIP_vector_typeIfLj2EEfLi32ELi8ELi128ELi128ELi4ELi4ELi64ELi4ELi64ELc84ELc78ELb0ELb1ELb1EfKffEEviiiT16_PT17_ilS6_ilS4_S6_ilPT18_ili26rocblas_geam_ex_operation_, .Lfunc_end65-_ZN12_GLOBAL__N_120geam_min_plus_kernelIf15HIP_vector_typeIfLj2EEfLi32ELi8ELi128ELi128ELi4ELi4ELi64ELi4ELi64ELc84ELc78ELb0ELb1ELb1EfKffEEviiiT16_PT17_ilS6_ilS4_S6_ilPT18_ili26rocblas_geam_ex_operation_
                                        ; -- End function
	.set _ZN12_GLOBAL__N_120geam_min_plus_kernelIf15HIP_vector_typeIfLj2EEfLi32ELi8ELi128ELi128ELi4ELi4ELi64ELi4ELi64ELc84ELc78ELb0ELb1ELb1EfKffEEviiiT16_PT17_ilS6_ilS4_S6_ilPT18_ili26rocblas_geam_ex_operation_.num_vgpr, 132
	.set _ZN12_GLOBAL__N_120geam_min_plus_kernelIf15HIP_vector_typeIfLj2EEfLi32ELi8ELi128ELi128ELi4ELi4ELi64ELi4ELi64ELc84ELc78ELb0ELb1ELb1EfKffEEviiiT16_PT17_ilS6_ilS4_S6_ilPT18_ili26rocblas_geam_ex_operation_.num_agpr, 0
	.set _ZN12_GLOBAL__N_120geam_min_plus_kernelIf15HIP_vector_typeIfLj2EEfLi32ELi8ELi128ELi128ELi4ELi4ELi64ELi4ELi64ELc84ELc78ELb0ELb1ELb1EfKffEEviiiT16_PT17_ilS6_ilS4_S6_ilPT18_ili26rocblas_geam_ex_operation_.numbered_sgpr, 40
	.set _ZN12_GLOBAL__N_120geam_min_plus_kernelIf15HIP_vector_typeIfLj2EEfLi32ELi8ELi128ELi128ELi4ELi4ELi64ELi4ELi64ELc84ELc78ELb0ELb1ELb1EfKffEEviiiT16_PT17_ilS6_ilS4_S6_ilPT18_ili26rocblas_geam_ex_operation_.num_named_barrier, 0
	.set _ZN12_GLOBAL__N_120geam_min_plus_kernelIf15HIP_vector_typeIfLj2EEfLi32ELi8ELi128ELi128ELi4ELi4ELi64ELi4ELi64ELc84ELc78ELb0ELb1ELb1EfKffEEviiiT16_PT17_ilS6_ilS4_S6_ilPT18_ili26rocblas_geam_ex_operation_.private_seg_size, 0
	.set _ZN12_GLOBAL__N_120geam_min_plus_kernelIf15HIP_vector_typeIfLj2EEfLi32ELi8ELi128ELi128ELi4ELi4ELi64ELi4ELi64ELc84ELc78ELb0ELb1ELb1EfKffEEviiiT16_PT17_ilS6_ilS4_S6_ilPT18_ili26rocblas_geam_ex_operation_.uses_vcc, 1
	.set _ZN12_GLOBAL__N_120geam_min_plus_kernelIf15HIP_vector_typeIfLj2EEfLi32ELi8ELi128ELi128ELi4ELi4ELi64ELi4ELi64ELc84ELc78ELb0ELb1ELb1EfKffEEviiiT16_PT17_ilS6_ilS4_S6_ilPT18_ili26rocblas_geam_ex_operation_.uses_flat_scratch, 0
	.set _ZN12_GLOBAL__N_120geam_min_plus_kernelIf15HIP_vector_typeIfLj2EEfLi32ELi8ELi128ELi128ELi4ELi4ELi64ELi4ELi64ELc84ELc78ELb0ELb1ELb1EfKffEEviiiT16_PT17_ilS6_ilS4_S6_ilPT18_ili26rocblas_geam_ex_operation_.has_dyn_sized_stack, 0
	.set _ZN12_GLOBAL__N_120geam_min_plus_kernelIf15HIP_vector_typeIfLj2EEfLi32ELi8ELi128ELi128ELi4ELi4ELi64ELi4ELi64ELc84ELc78ELb0ELb1ELb1EfKffEEviiiT16_PT17_ilS6_ilS4_S6_ilPT18_ili26rocblas_geam_ex_operation_.has_recursion, 0
	.set _ZN12_GLOBAL__N_120geam_min_plus_kernelIf15HIP_vector_typeIfLj2EEfLi32ELi8ELi128ELi128ELi4ELi4ELi64ELi4ELi64ELc84ELc78ELb0ELb1ELb1EfKffEEviiiT16_PT17_ilS6_ilS4_S6_ilPT18_ili26rocblas_geam_ex_operation_.has_indirect_call, 0
	.section	.AMDGPU.csdata,"",@progbits
; Kernel info:
; codeLenInByte = 14948
; TotalNumSgprs: 46
; NumVgprs: 132
; NumAgprs: 0
; TotalNumVgprs: 132
; ScratchSize: 0
; MemoryBound: 0
; FloatMode: 240
; IeeeMode: 1
; LDSByteSize: 8192 bytes/workgroup (compile time only)
; SGPRBlocks: 5
; VGPRBlocks: 16
; NumSGPRsForWavesPerEU: 46
; NumVGPRsForWavesPerEU: 132
; AccumOffset: 132
; Occupancy: 3
; WaveLimiterHint : 0
; COMPUTE_PGM_RSRC2:SCRATCH_EN: 0
; COMPUTE_PGM_RSRC2:USER_SGPR: 2
; COMPUTE_PGM_RSRC2:TRAP_HANDLER: 0
; COMPUTE_PGM_RSRC2:TGID_X_EN: 1
; COMPUTE_PGM_RSRC2:TGID_Y_EN: 0
; COMPUTE_PGM_RSRC2:TGID_Z_EN: 1
; COMPUTE_PGM_RSRC2:TIDIG_COMP_CNT: 1
; COMPUTE_PGM_RSRC3_GFX90A:ACCUM_OFFSET: 32
; COMPUTE_PGM_RSRC3_GFX90A:TG_SPLIT: 0
	.section	.text._ZN12_GLOBAL__N_120geam_min_plus_kernelIf15HIP_vector_typeIfLj2EEfLi8ELi32ELi64ELi256ELi4ELi64ELi4ELi64ELi4ELc78ELc84ELb0ELb0ELb1EPKfS3_fEEviiiT16_PT17_ilS7_ilS5_S7_ilPT18_ili26rocblas_geam_ex_operation_,"axG",@progbits,_ZN12_GLOBAL__N_120geam_min_plus_kernelIf15HIP_vector_typeIfLj2EEfLi8ELi32ELi64ELi256ELi4ELi64ELi4ELi64ELi4ELc78ELc84ELb0ELb0ELb1EPKfS3_fEEviiiT16_PT17_ilS7_ilS5_S7_ilPT18_ili26rocblas_geam_ex_operation_,comdat
	.globl	_ZN12_GLOBAL__N_120geam_min_plus_kernelIf15HIP_vector_typeIfLj2EEfLi8ELi32ELi64ELi256ELi4ELi64ELi4ELi64ELi4ELc78ELc84ELb0ELb0ELb1EPKfS3_fEEviiiT16_PT17_ilS7_ilS5_S7_ilPT18_ili26rocblas_geam_ex_operation_ ; -- Begin function _ZN12_GLOBAL__N_120geam_min_plus_kernelIf15HIP_vector_typeIfLj2EEfLi8ELi32ELi64ELi256ELi4ELi64ELi4ELi64ELi4ELc78ELc84ELb0ELb0ELb1EPKfS3_fEEviiiT16_PT17_ilS7_ilS5_S7_ilPT18_ili26rocblas_geam_ex_operation_
	.p2align	8
	.type	_ZN12_GLOBAL__N_120geam_min_plus_kernelIf15HIP_vector_typeIfLj2EEfLi8ELi32ELi64ELi256ELi4ELi64ELi4ELi64ELi4ELc78ELc84ELb0ELb0ELb1EPKfS3_fEEviiiT16_PT17_ilS7_ilS5_S7_ilPT18_ili26rocblas_geam_ex_operation_,@function
_ZN12_GLOBAL__N_120geam_min_plus_kernelIf15HIP_vector_typeIfLj2EEfLi8ELi32ELi64ELi256ELi4ELi64ELi4ELi64ELi4ELc78ELc84ELb0ELb0ELb1EPKfS3_fEEviiiT16_PT17_ilS7_ilS5_S7_ilPT18_ili26rocblas_geam_ex_operation_: ; @_ZN12_GLOBAL__N_120geam_min_plus_kernelIf15HIP_vector_typeIfLj2EEfLi8ELi32ELi64ELi256ELi4ELi64ELi4ELi64ELi4ELc78ELc84ELb0ELb0ELb1EPKfS3_fEEviiiT16_PT17_ilS7_ilS5_S7_ilPT18_ili26rocblas_geam_ex_operation_
; %bb.0:
	s_load_dwordx4 s[4:7], s[0:1], 0x10
	s_load_dwordx4 s[8:11], s[0:1], 0x28
	;; [unrolled: 1-line block ×3, first 2 shown]
	s_mov_b32 s16, s3
	s_mov_b32 s17, 0
	s_lshl_b64 s[18:19], s[16:17], 2
	s_waitcnt lgkmcnt(0)
	s_add_u32 s4, s4, s18
	s_addc_u32 s5, s5, s19
	s_load_dword s28, s[4:5], 0x0
	s_load_dwordx2 s[22:23], s[0:1], 0x50
	s_add_u32 s14, s14, s18
	s_addc_u32 s15, s15, s19
	s_mov_b64 s[18:19], 0
	s_waitcnt lgkmcnt(0)
	v_cmp_eq_f32_e64 s[4:5], s28, 0
	s_and_b64 s[4:5], exec, s[4:5]
	v_cmp_neq_f32_e64 s[24:25], s28, 0
	s_mov_b64 s[20:21], 0
	s_mov_b64 vcc, s[4:5]
	s_cbranch_vccnz .LBB66_2
; %bb.1:
	s_mul_i32 s3, s9, s16
	s_mul_hi_u32 s9, s8, s16
	s_add_i32 s9, s9, s3
	s_mul_i32 s8, s8, s16
	s_lshl_b64 s[8:9], s[8:9], 2
	s_add_u32 s20, s6, s8
	s_addc_u32 s21, s7, s9
.LBB66_2:
	s_load_dword s17, s[14:15], 0x0
	v_cndmask_b32_e64 v1, 0, 1, s[24:25]
	v_cmp_ne_u32_e64 s[6:7], 1, v1
	s_andn2_b64 vcc, exec, s[24:25]
	s_cbranch_vccnz .LBB66_4
; %bb.3:
	s_mul_i32 s3, s13, s16
	s_mul_hi_u32 s8, s12, s16
	s_add_i32 s9, s8, s3
	s_mul_i32 s8, s12, s16
	s_lshl_b64 s[8:9], s[8:9], 2
	s_add_u32 s18, s10, s8
	s_addc_u32 s19, s11, s9
.LBB66_4:
	s_load_dwordx4 s[12:15], s[0:1], 0x60
	s_waitcnt lgkmcnt(0)
	v_cmp_eq_f32_e64 s[8:9], s17, 0
	s_and_b64 s[8:9], exec, s[8:9]
	s_mov_b64 vcc, s[8:9]
	s_cbranch_vccnz .LBB66_6
; %bb.5:
	s_mul_i32 s3, s13, s16
	s_mul_hi_u32 s10, s12, s16
	s_add_i32 s11, s10, s3
	s_mul_i32 s10, s12, s16
	s_lshl_b64 s[10:11], s[10:11], 2
	s_add_u32 s10, s22, s10
	s_addc_u32 s11, s23, s11
	s_branch .LBB66_7
.LBB66_6:
	s_mov_b64 s[10:11], 0
.LBB66_7:
	s_load_dword s3, s[0:1], 0x0
	s_load_dword s12, s[0:1], 0x20
	v_and_b32_e32 v82, 0x3ff, v0
	v_bfe_u32 v83, v0, 10, 10
	v_mov_b32_e32 v3, 0
	s_waitcnt lgkmcnt(0)
	s_add_i32 s3, s3, -1
	s_ashr_i32 s13, s3, 31
	s_lshr_b32 s13, s13, 26
	s_add_i32 s3, s3, s13
	s_ashr_i32 s3, s3, 6
	s_add_i32 s22, s3, 1
	v_cvt_f32_u32_e32 v1, s22
	s_not_b32 s3, s3
	s_ashr_i32 s13, s12, 31
	v_mov_b32_e32 v5, 0
	v_rcp_iflag_f32_e32 v0, v1
	v_lshl_add_u32 v1, v83, 3, v82
	v_and_b32_e32 v45, 63, v1
	v_lshrrev_b32_e32 v44, 6, v1
	v_mul_f32_e32 v0, 0x4f7ffffe, v0
	v_cvt_u32_f32_e32 v0, v0
	s_nop 0
	v_readfirstlane_b32 s23, v0
	s_mul_i32 s3, s3, s23
	s_mul_hi_u32 s3, s23, s3
	s_add_i32 s23, s23, s3
	s_mul_hi_u32 s3, s2, s23
	s_mul_i32 s23, s3, s22
	s_sub_i32 s23, s2, s23
	s_add_i32 s24, s3, 1
	s_sub_i32 s25, s23, s22
	s_cmp_ge_u32 s23, s22
	s_cselect_b32 s3, s24, s3
	s_cselect_b32 s23, s25, s23
	s_add_i32 s24, s3, 1
	s_cmp_ge_u32 s23, s22
	s_cselect_b32 s23, s24, s3
	s_mul_i32 s3, s23, s22
	s_sub_i32 s22, s2, s3
	s_lshl_b32 s26, s22, 6
	v_or_b32_e32 v10, s26, v45
	s_and_b64 vcc, exec, s[6:7]
	v_ashrrev_i32_e32 v11, 31, v10
	s_cbranch_vccnz .LBB66_9
; %bb.8:
	v_mad_i64_i32 v[0:1], s[24:25], s12, v44, 0
	v_lshl_add_u64 v[0:1], v[0:1], 2, s[20:21]
	v_lshl_add_u64 v[0:1], v[10:11], 2, v[0:1]
	global_load_dword v0, v[0:1], off
	s_waitcnt vmcnt(0)
	v_mul_f32_e32 v5, s28, v0
.LBB66_9:
	s_load_dword s22, s[0:1], 0x38
	s_lshl_b32 s27, s23, 8
	v_or_b32_e32 v8, s27, v45
	s_and_b64 vcc, exec, s[6:7]
	v_ashrrev_i32_e32 v9, 31, v8
	s_waitcnt lgkmcnt(0)
	v_mad_i64_i32 v[0:1], s[24:25], v44, s22, 0
	v_lshl_add_u64 v[0:1], v[0:1], 2, s[18:19]
	v_mov_b32_e32 v4, 0
	s_cbranch_vccnz .LBB66_11
; %bb.10:
	v_lshl_add_u64 v[2:3], v[8:9], 2, v[0:1]
	global_load_dword v4, v[2:3], off
	global_load_dword v6, v[2:3], off offset:256
	s_waitcnt vmcnt(1)
	v_mul_f32_e32 v4, s28, v4
	s_waitcnt vmcnt(0)
	v_mul_f32_e32 v3, s28, v6
.LBB66_11:
	s_ashr_i32 s23, s22, 31
	v_mov_b32_e32 v7, 0
	s_mov_b64 vcc, s[4:5]
	s_cbranch_vccz .LBB66_13
; %bb.12:
	s_mov_b32 s24, 0
	v_mov_b32_e32 v6, s24
	s_cbranch_execz .LBB66_14
	s_branch .LBB66_15
.LBB66_13:
                                        ; implicit-def: $vgpr6
.LBB66_14:
	v_lshl_add_u64 v[0:1], v[8:9], 2, v[0:1]
	global_load_dword v2, v[0:1], off offset:512
	global_load_dword v7, v[0:1], off offset:768
	s_waitcnt vmcnt(1)
	v_mul_f32_e32 v6, s28, v2
	s_waitcnt vmcnt(0)
	v_mul_f32_e32 v7, s28, v7
.LBB66_15:
	v_add_u32_e32 v0, 4, v44
	v_mov_b32_e32 v1, 0
	s_and_b64 vcc, exec, s[6:7]
	v_mov_b32_e32 v47, 0
	s_cbranch_vccnz .LBB66_17
; %bb.16:
	v_mad_i64_i32 v[12:13], s[24:25], s12, v0, 0
	v_lshl_add_u64 v[12:13], v[12:13], 2, s[20:21]
	v_lshl_add_u64 v[10:11], v[10:11], 2, v[12:13]
	global_load_dword v2, v[10:11], off
	s_waitcnt vmcnt(0)
	v_mul_f32_e32 v47, s28, v2
.LBB66_17:
	v_mad_i64_i32 v[10:11], s[24:25], v0, s22, 0
	v_lshl_add_u64 v[10:11], v[10:11], 2, s[18:19]
	s_and_b64 vcc, exec, s[6:7]
	v_mov_b32_e32 v0, 0
	s_cbranch_vccnz .LBB66_19
; %bb.18:
	v_lshl_add_u64 v[0:1], v[8:9], 2, v[10:11]
	global_load_dword v2, v[0:1], off
	global_load_dword v12, v[0:1], off offset:256
	s_waitcnt vmcnt(1)
	v_mul_f32_e32 v0, s28, v2
	s_waitcnt vmcnt(0)
	v_mul_f32_e32 v1, s28, v12
.LBB66_19:
	v_mov_b32_e32 v46, 0
	s_mov_b64 vcc, s[4:5]
	s_cbranch_vccz .LBB66_21
; %bb.20:
	s_mov_b32 s24, 0
	v_mov_b32_e32 v2, s24
	s_cbranch_execz .LBB66_22
	s_branch .LBB66_23
.LBB66_21:
                                        ; implicit-def: $vgpr2
.LBB66_22:
	v_lshl_add_u64 v[8:9], v[8:9], 2, v[10:11]
	global_load_dword v2, v[8:9], off offset:512
	global_load_dword v10, v[8:9], off offset:768
	s_waitcnt vmcnt(1)
	v_mul_f32_e32 v2, s28, v2
	s_waitcnt vmcnt(0)
	v_mul_f32_e32 v46, s28, v10
.LBB66_23:
	v_lshlrev_b32_e32 v8, 4, v45
	v_lshl_add_u32 v86, v44, 2, v8
	v_lshlrev_b32_e32 v85, 4, v82
	ds_write_b32 v86, v5 offset:8192
	ds_write2st64_b32 v86, v4, v3 offset1:4
	ds_write2st64_b32 v86, v6, v7 offset0:8 offset1:12
	s_waitcnt lgkmcnt(0)
	s_barrier
	v_lshlrev_b32_e32 v84, 4, v83
	ds_read_b128 v[32:35], v85 offset:8192
	ds_read_b128 v[28:31], v85 offset:8320
	;; [unrolled: 1-line block ×8, first 2 shown]
	ds_read_b128 v[48:51], v84
	ds_read_b128 v[52:55], v84 offset:512
	ds_read_b128 v[56:59], v84 offset:1024
	ds_read_b128 v[40:43], v84 offset:1536
	ds_read_b128 v[36:39], v84 offset:2048
	s_waitcnt lgkmcnt(4)
	v_pk_add_f32 v[60:61], v[32:33], v[48:49]
	s_mov_b32 s24, 0x7f7fffff
	v_min3_f32 v3, v60, v61, s24
	v_pk_add_f32 v[60:61], v[28:29], v[48:49]
	s_nop 0
	v_min3_f32 v64, v60, v61, s24
	v_pk_add_f32 v[60:61], v[24:25], v[48:49]
	s_nop 0
	;; [unrolled: 3-line block ×5, first 2 shown]
	v_min3_f32 v68, v60, v61, s24
	v_pk_add_f32 v[60:61], v[8:9], v[48:49]
	v_pk_add_f32 v[48:49], v[4:5], v[48:49]
	v_min3_f32 v69, v60, v61, s24
	v_min3_f32 v70, v48, v49, s24
	s_waitcnt lgkmcnt(3)
	v_pk_add_f32 v[48:49], v[32:33], v[52:53]
	ds_read_b128 v[60:63], v84 offset:2560
	v_min3_f32 v71, v48, v49, s24
	v_pk_add_f32 v[48:49], v[28:29], v[52:53]
	s_nop 0
	v_min3_f32 v72, v48, v49, s24
	v_pk_add_f32 v[48:49], v[24:25], v[52:53]
	s_nop 0
	;; [unrolled: 3-line block ×7, first 2 shown]
	v_min3_f32 v52, v48, v49, s24
	s_waitcnt lgkmcnt(3)
	v_pk_add_f32 v[48:49], v[32:33], v[56:57]
	s_nop 0
	v_min3_f32 v53, v48, v49, s24
	v_pk_add_f32 v[48:49], v[28:29], v[56:57]
	s_nop 0
	v_min3_f32 v78, v48, v49, s24
	;; [unrolled: 3-line block ×8, first 2 shown]
	s_waitcnt lgkmcnt(2)
	v_pk_add_f32 v[48:49], v[32:33], v[40:41]
	s_nop 0
	v_min3_f32 v57, v48, v49, s24
	v_pk_add_f32 v[48:49], v[28:29], v[40:41]
	s_nop 0
	v_min3_f32 v91, v48, v49, s24
	;; [unrolled: 3-line block ×6, first 2 shown]
	v_pk_add_f32 v[48:49], v[8:9], v[40:41]
	v_pk_add_f32 v[40:41], v[4:5], v[40:41]
	v_min3_f32 v96, v48, v49, s24
	v_min3_f32 v97, v40, v41, s24
	s_waitcnt lgkmcnt(1)
	v_pk_add_f32 v[40:41], v[32:33], v[36:37]
	s_nop 0
	v_min3_f32 v98, v40, v41, s24
	v_pk_add_f32 v[40:41], v[28:29], v[36:37]
	s_nop 0
	v_min3_f32 v99, v40, v41, s24
	;; [unrolled: 3-line block ×6, first 2 shown]
	v_pk_add_f32 v[40:41], v[8:9], v[36:37]
	v_pk_add_f32 v[36:37], v[4:5], v[36:37]
	v_min3_f32 v104, v40, v41, s24
	v_min3_f32 v105, v36, v37, s24
	v_pk_add_f32 v[36:37], v[34:35], v[50:51]
	s_nop 0
	v_min3_f32 v88, v36, v37, v3
	v_pk_add_f32 v[36:37], v[30:31], v[50:51]
	s_nop 0
	;; [unrolled: 3-line block ×7, first 2 shown]
	v_min3_f32 v87, v36, v37, v69
	v_pk_add_f32 v[36:37], v[6:7], v[50:51]
	ds_read_b128 v[48:51], v84 offset:3072
	v_min3_f32 v148, v36, v37, v70
	v_pk_add_f32 v[36:37], v[34:35], v[54:55]
	s_waitcnt lgkmcnt(1)
	v_pk_add_f32 v[40:41], v[32:33], v[60:61]
	v_min3_f32 v147, v36, v37, v71
	v_pk_add_f32 v[36:37], v[30:31], v[54:55]
	v_min3_f32 v3, v40, v41, s24
	v_min3_f32 v146, v36, v37, v72
	v_pk_add_f32 v[36:37], v[26:27], v[54:55]
	v_pk_add_f32 v[40:41], v[28:29], v[60:61]
	v_min3_f32 v145, v36, v37, v73
	v_pk_add_f32 v[36:37], v[22:23], v[54:55]
	v_min3_f32 v64, v40, v41, s24
	v_min3_f32 v144, v36, v37, v74
	v_pk_add_f32 v[36:37], v[18:19], v[54:55]
	v_pk_add_f32 v[40:41], v[16:17], v[60:61]
	v_min3_f32 v143, v36, v37, v75
	v_pk_add_f32 v[36:37], v[14:15], v[54:55]
	s_nop 0
	v_min3_f32 v142, v36, v37, v76
	v_pk_add_f32 v[36:37], v[10:11], v[54:55]
	s_nop 0
	;; [unrolled: 3-line block ×4, first 2 shown]
	v_min3_f32 v66, v36, v37, s24
	v_pk_add_f32 v[36:37], v[6:7], v[54:55]
	v_min3_f32 v54, v40, v41, s24
	v_min3_f32 v140, v36, v37, v52
	v_pk_add_f32 v[36:37], v[34:35], v[58:59]
	v_pk_add_f32 v[40:41], v[12:13], v[60:61]
	v_min3_f32 v139, v36, v37, v53
	v_pk_add_f32 v[36:37], v[30:31], v[58:59]
	s_waitcnt lgkmcnt(0)
	v_pk_add_f32 v[52:53], v[32:33], v[48:49]
	v_min3_f32 v138, v36, v37, v78
	v_pk_add_f32 v[36:37], v[26:27], v[58:59]
	v_min3_f32 v55, v40, v41, s24
	v_min3_f32 v137, v36, v37, v79
	v_pk_add_f32 v[36:37], v[22:23], v[58:59]
	s_nop 0
	v_min3_f32 v136, v36, v37, v80
	v_pk_add_f32 v[36:37], v[18:19], v[58:59]
	s_nop 0
	;; [unrolled: 3-line block ×7, first 2 shown]
	v_min3_f32 v132, v36, v37, v56
	v_pk_add_f32 v[36:37], v[34:35], v[42:43]
	v_min3_f32 v56, v52, v53, s24
	v_min3_f32 v131, v36, v37, v57
	v_pk_add_f32 v[36:37], v[30:31], v[42:43]
	v_pk_add_f32 v[52:53], v[28:29], v[48:49]
	v_min3_f32 v130, v36, v37, v91
	v_pk_add_f32 v[36:37], v[26:27], v[42:43]
	v_min3_f32 v52, v52, v53, s24
	v_min3_f32 v129, v36, v37, v92
	v_pk_add_f32 v[36:37], v[22:23], v[42:43]
	s_nop 0
	v_min3_f32 v128, v36, v37, v93
	v_pk_add_f32 v[36:37], v[18:19], v[42:43]
	s_nop 0
	;; [unrolled: 3-line block ×4, first 2 shown]
	v_min3_f32 v124, v36, v37, v96
	v_pk_add_f32 v[36:37], v[6:7], v[42:43]
	ds_read_b128 v[40:43], v84 offset:3584
	v_min3_f32 v126, v36, v37, v97
	v_pk_add_f32 v[36:37], v[34:35], v[38:39]
	ds_write_b32 v86, v47 offset:9216
	ds_write2st64_b32 v86, v0, v1 offset0:16 offset1:20
	ds_write2st64_b32 v86, v2, v46 offset0:24 offset1:28
	v_min3_f32 v125, v36, v37, v98
	v_pk_add_f32 v[36:37], v[30:31], v[38:39]
	s_waitcnt lgkmcnt(3)
	v_pk_add_f32 v[32:33], v[32:33], v[40:41]
	v_min3_f32 v122, v36, v37, v99
	v_pk_add_f32 v[36:37], v[26:27], v[38:39]
	v_pk_add_f32 v[28:29], v[28:29], v[40:41]
	v_min3_f32 v121, v36, v37, v100
	v_pk_add_f32 v[36:37], v[22:23], v[38:39]
	v_min3_f32 v28, v28, v29, s24
	v_min3_f32 v120, v36, v37, v101
	v_pk_add_f32 v[36:37], v[18:19], v[38:39]
	s_waitcnt lgkmcnt(0)
	v_min3_f32 v119, v36, v37, v102
	v_pk_add_f32 v[36:37], v[14:15], v[38:39]
	s_barrier
	v_min3_f32 v118, v36, v37, v103
	v_pk_add_f32 v[36:37], v[10:11], v[38:39]
	s_nop 0
	v_min3_f32 v117, v36, v37, v104
	v_pk_add_f32 v[36:37], v[24:25], v[48:49]
	v_pk_add_f32 v[24:25], v[24:25], v[40:41]
	v_min3_f32 v53, v36, v37, s24
	v_pk_add_f32 v[36:37], v[20:21], v[48:49]
	v_pk_add_f32 v[20:21], v[20:21], v[40:41]
	;; [unrolled: 3-line block ×3, first 2 shown]
	v_min3_f32 v116, v36, v37, v105
	v_pk_add_f32 v[36:37], v[34:35], v[62:63]
	v_min3_f32 v58, v38, v39, s24
	v_min3_f32 v115, v36, v37, v3
	v_pk_add_f32 v[36:37], v[30:31], v[62:63]
	v_pk_add_f32 v[38:39], v[12:13], v[48:49]
	v_min3_f32 v114, v36, v37, v64
	v_pk_add_f32 v[36:37], v[26:27], v[62:63]
	v_min3_f32 v38, v38, v39, s24
	v_min3_f32 v113, v36, v37, v65
	v_pk_add_f32 v[36:37], v[22:23], v[62:63]
	v_min3_f32 v24, v24, v25, s24
	;; [unrolled: 3-line block ×3, first 2 shown]
	v_min3_f32 v111, v36, v37, v54
	v_pk_add_f32 v[36:37], v[14:15], v[62:63]
	v_pk_add_f32 v[20:21], v[34:35], v[42:43]
	v_min3_f32 v110, v36, v37, v55
	v_pk_add_f32 v[36:37], v[10:11], v[62:63]
	v_pk_add_f32 v[16:17], v[16:17], v[40:41]
	v_min3_f32 v109, v36, v37, v67
	v_pk_add_f32 v[36:37], v[8:9], v[48:49]
	v_pk_add_f32 v[8:9], v[8:9], v[40:41]
	v_min3_f32 v3, v36, v37, s24
	v_pk_add_f32 v[36:37], v[4:5], v[48:49]
	v_pk_add_f32 v[4:5], v[4:5], v[40:41]
	v_min3_f32 v39, v36, v37, s24
	v_pk_add_f32 v[36:37], v[6:7], v[62:63]
	v_pk_add_f32 v[12:13], v[12:13], v[40:41]
	v_min3_f32 v108, v36, v37, v60
	v_pk_add_f32 v[36:37], v[34:35], v[50:51]
	v_min3_f32 v16, v16, v17, s24
	v_min3_f32 v107, v36, v37, v56
	v_pk_add_f32 v[36:37], v[30:31], v[50:51]
	v_min3_f32 v12, v12, v13, s24
	v_min3_f32 v106, v36, v37, v52
	v_pk_add_f32 v[36:37], v[26:27], v[50:51]
	s_nop 0
	v_min3_f32 v105, v36, v37, v53
	v_pk_add_f32 v[36:37], v[22:23], v[50:51]
	s_nop 0
	;; [unrolled: 3-line block ×5, first 2 shown]
	v_min3_f32 v101, v36, v37, v3
	v_min3_f32 v3, v32, v33, s24
	;; [unrolled: 1-line block ×5, first 2 shown]
	v_pk_add_f32 v[4:5], v[30:31], v[42:43]
	s_load_dword s24, s[0:1], 0x8
	v_min3_f32 v98, v4, v5, v28
	v_pk_add_f32 v[4:5], v[26:27], v[42:43]
	v_pk_add_f32 v[36:37], v[6:7], v[50:51]
	v_min3_f32 v97, v4, v5, v24
	v_pk_add_f32 v[4:5], v[22:23], v[42:43]
	v_min3_f32 v99, v36, v37, v39
	v_min3_f32 v96, v4, v5, v25
	v_pk_add_f32 v[4:5], v[18:19], v[42:43]
	s_waitcnt lgkmcnt(0)
	s_cmp_lt_i32 s24, 9
	v_min3_f32 v95, v4, v5, v16
	v_pk_add_f32 v[4:5], v[14:15], v[42:43]
	s_nop 0
	v_min3_f32 v94, v4, v5, v12
	v_pk_add_f32 v[4:5], v[10:11], v[42:43]
	s_nop 0
	;; [unrolled: 3-line block ×3, first 2 shown]
	v_min3_f32 v92, v4, v5, v8
	s_cbranch_scc1 .LBB66_46
; %bb.24:
	v_mov_b32_e32 v0, 0x2400
	v_lshl_add_u32 v155, v82, 4, v0
	v_mov_b32_e32 v0, 0x1000
	v_add_u32_e32 v2, 12, v44
	v_lshl_add_u32 v156, v83, 4, v0
	v_mad_i64_i32 v[0:1], s[30:31], v2, s12, 0
	v_lshlrev_b64 v[68:69], 2, v[0:1]
	v_lshl_or_b32 v0, s2, 6, v45
	s_lshl_b32 s2, s3, 6
	v_subrev_u32_e32 v0, s2, v0
	v_ashrrev_i32_e32 v1, 31, v0
	v_lshl_add_u64 v[70:71], v[0:1], 2, s[20:21]
	v_add_u32_e32 v0, s27, v45
	v_ashrrev_i32_e32 v1, 31, v0
	v_lshlrev_b64 v[72:73], 2, v[0:1]
	v_mad_i64_i32 v[0:1], s[20:21], v2, s22, 0
	v_add_u32_e32 v2, 8, v44
	v_lshl_add_u64 v[74:75], v[0:1], 2, s[18:19]
	s_lshl_b64 s[20:21], s[22:23], 5
	v_mad_i64_i32 v[0:1], s[22:23], v2, s22, 0
	s_lshl_b64 s[2:3], s[12:13], 5
	v_lshl_add_u64 v[76:77], v[0:1], 2, s[18:19]
	v_mad_i64_i32 v[0:1], s[12:13], v2, s12, 0
	v_or_b32_e32 v89, 0x2000, v86
	v_add_u32_e32 v90, 0x2000, v85
	v_add_u32_e32 v91, 0x2400, v86
	v_or_b32_e32 v154, 0x1000, v86
	s_add_i32 s24, s24, -8
	v_lshlrev_b64 v[78:79], 2, v[0:1]
	s_mov_b32 s18, 0
	s_mov_b32 s19, 0
	s_branch .LBB66_26
.LBB66_25:                              ;   in Loop: Header=BB66_26 Depth=1
	v_pk_add_f32 v[80:81], v[32:33], v[64:65]
	s_add_i32 s19, s19, 8
	v_min3_f32 v88, v80, v81, v88
	v_pk_add_f32 v[80:81], v[28:29], v[64:65]
	v_lshl_add_u64 v[70:71], v[70:71], 0, s[2:3]
	v_min3_f32 v153, v80, v81, v153
	v_pk_add_f32 v[80:81], v[24:25], v[64:65]
	v_lshl_add_u64 v[74:75], v[74:75], 0, s[20:21]
	v_min3_f32 v152, v80, v81, v152
	v_pk_add_f32 v[80:81], v[20:21], v[64:65]
	s_cmp_ge_i32 s19, s24
	v_min3_f32 v151, v80, v81, v151
	v_pk_add_f32 v[80:81], v[16:17], v[64:65]
	v_lshl_add_u64 v[76:77], v[76:77], 0, s[20:21]
	v_min3_f32 v150, v80, v81, v150
	v_pk_add_f32 v[80:81], v[12:13], v[64:65]
	s_nop 0
	v_min3_f32 v149, v80, v81, v149
	v_pk_add_f32 v[80:81], v[8:9], v[64:65]
	v_pk_add_f32 v[64:65], v[4:5], v[64:65]
	v_min3_f32 v80, v80, v81, v87
	v_min3_f32 v81, v64, v65, v148
	v_pk_add_f32 v[64:65], v[32:33], v[60:61]
	s_nop 0
	v_min3_f32 v87, v64, v65, v147
	v_pk_add_f32 v[64:65], v[28:29], v[60:61]
	s_nop 0
	v_min3_f32 v146, v64, v65, v146
	v_pk_add_f32 v[64:65], v[24:25], v[60:61]
	s_nop 0
	v_min3_f32 v145, v64, v65, v145
	v_pk_add_f32 v[64:65], v[20:21], v[60:61]
	s_nop 0
	v_min3_f32 v144, v64, v65, v144
	v_pk_add_f32 v[64:65], v[16:17], v[60:61]
	s_nop 0
	v_min3_f32 v143, v64, v65, v143
	v_pk_add_f32 v[64:65], v[12:13], v[60:61]
	s_nop 0
	v_min3_f32 v142, v64, v65, v142
	v_pk_add_f32 v[64:65], v[8:9], v[60:61]
	v_pk_add_f32 v[60:61], v[4:5], v[60:61]
	v_min3_f32 v64, v64, v65, v141
	v_min3_f32 v65, v60, v61, v140
	v_pk_add_f32 v[60:61], v[32:33], v[56:57]
	s_nop 0
	v_min3_f32 v139, v60, v61, v139
	v_pk_add_f32 v[60:61], v[28:29], v[56:57]
	s_nop 0
	v_min3_f32 v138, v60, v61, v138
	v_pk_add_f32 v[60:61], v[24:25], v[56:57]
	s_nop 0
	v_min3_f32 v137, v60, v61, v137
	v_pk_add_f32 v[60:61], v[20:21], v[56:57]
	s_nop 0
	v_min3_f32 v136, v60, v61, v136
	v_pk_add_f32 v[60:61], v[16:17], v[56:57]
	s_nop 0
	;; [unrolled: 22-line block ×5, first 2 shown]
	v_min3_f32 v111, v48, v49, v111
	v_pk_add_f32 v[48:49], v[12:13], v[44:45]
	s_nop 0
	v_min3_f32 v110, v48, v49, v110
	v_pk_add_f32 v[48:49], v[8:9], v[44:45]
	v_pk_add_f32 v[44:45], v[4:5], v[44:45]
	v_min3_f32 v48, v48, v49, v109
	v_min3_f32 v49, v44, v45, v108
	v_pk_add_f32 v[44:45], v[32:33], v[40:41]
	v_pk_add_f32 v[32:33], v[32:33], v[36:37]
	v_min3_f32 v107, v44, v45, v107
	v_pk_add_f32 v[44:45], v[28:29], v[40:41]
	v_pk_add_f32 v[28:29], v[28:29], v[36:37]
	;; [unrolled: 3-line block ×7, first 2 shown]
	v_pk_add_f32 v[8:9], v[8:9], v[36:37]
	v_pk_add_f32 v[4:5], v[4:5], v[36:37]
	v_min3_f32 v8, v8, v9, v93
	v_min3_f32 v9, v4, v5, v92
	v_pk_add_f32 v[4:5], v[34:35], v[66:67]
	v_min3_f32 v12, v12, v13, v94
	v_min3_f32 v88, v4, v5, v88
	;; [unrolled: 3-line block ×9, first 2 shown]
	v_pk_add_f32 v[4:5], v[34:35], v[62:63]
	s_nop 0
	v_min3_f32 v87, v4, v5, v87
	v_pk_add_f32 v[4:5], v[30:31], v[62:63]
	s_nop 0
	v_min3_f32 v99, v4, v5, v146
	;; [unrolled: 3-line block ×56, first 2 shown]
	ds_read_b128 v[4:7], v90
	ds_read_b128 v[8:11], v90 offset:128
	ds_read_b128 v[12:15], v90 offset:256
	;; [unrolled: 1-line block ×7, first 2 shown]
	ds_read_b128 v[40:43], v84
	ds_read_b128 v[44:47], v84 offset:512
	ds_read_b128 v[48:51], v84 offset:1024
	;; [unrolled: 1-line block ×7, first 2 shown]
	s_waitcnt lgkmcnt(7)
	v_pk_add_f32 v[80:81], v[4:5], v[40:41]
	ds_write_b32 v91, v157
	ds_write2st64_b32 v154, v0, v1 offset1:4
	ds_write2st64_b32 v154, v2, v3 offset0:8 offset1:12
	v_min3_f32 v88, v80, v81, v88
	v_pk_add_f32 v[80:81], v[8:9], v[40:41]
	s_waitcnt lgkmcnt(0)
	v_min3_f32 v92, v80, v81, v92
	v_pk_add_f32 v[80:81], v[12:13], v[40:41]
	s_barrier
	v_min3_f32 v93, v80, v81, v93
	v_pk_add_f32 v[80:81], v[16:17], v[40:41]
	s_nop 0
	v_min3_f32 v94, v80, v81, v94
	v_pk_add_f32 v[80:81], v[20:21], v[40:41]
	s_nop 0
	;; [unrolled: 3-line block ×3, first 2 shown]
	v_min3_f32 v96, v80, v81, v96
	v_pk_add_f32 v[80:81], v[28:29], v[40:41]
	v_pk_add_f32 v[40:41], v[32:33], v[40:41]
	v_min3_f32 v80, v80, v81, v97
	v_min3_f32 v81, v40, v41, v98
	v_pk_add_f32 v[40:41], v[4:5], v[44:45]
	s_nop 0
	v_min3_f32 v97, v40, v41, v87
	v_pk_add_f32 v[40:41], v[8:9], v[44:45]
	s_nop 0
	v_min3_f32 v98, v40, v41, v99
	v_pk_add_f32 v[40:41], v[12:13], v[44:45]
	s_nop 0
	v_min3_f32 v99, v40, v41, v100
	v_pk_add_f32 v[40:41], v[16:17], v[44:45]
	s_nop 0
	v_min3_f32 v100, v40, v41, v101
	v_pk_add_f32 v[40:41], v[20:21], v[44:45]
	s_nop 0
	v_min3_f32 v101, v40, v41, v108
	v_pk_add_f32 v[40:41], v[24:25], v[44:45]
	s_nop 0
	v_min3_f32 v108, v40, v41, v109
	v_pk_add_f32 v[40:41], v[28:29], v[44:45]
	s_nop 0
	v_min3_f32 v109, v40, v41, v116
	v_pk_add_f32 v[40:41], v[32:33], v[44:45]
	s_nop 0
	v_min3_f32 v44, v40, v41, v117
	v_pk_add_f32 v[40:41], v[4:5], v[48:49]
	s_nop 0
	v_min3_f32 v45, v40, v41, v125
	v_pk_add_f32 v[40:41], v[8:9], v[48:49]
	s_nop 0
	v_min3_f32 v116, v40, v41, v126
	v_pk_add_f32 v[40:41], v[12:13], v[48:49]
	s_nop 0
	v_min3_f32 v117, v40, v41, v132
	v_pk_add_f32 v[40:41], v[16:17], v[48:49]
	s_nop 0
	v_min3_f32 v125, v40, v41, v133
	v_pk_add_f32 v[40:41], v[20:21], v[48:49]
	s_nop 0
	v_min3_f32 v126, v40, v41, v135
	v_pk_add_f32 v[40:41], v[24:25], v[48:49]
	s_nop 0
	v_min3_f32 v132, v40, v41, v134
	v_pk_add_f32 v[40:41], v[28:29], v[48:49]
	s_nop 0
	v_min3_f32 v133, v40, v41, v136
	v_pk_add_f32 v[40:41], v[32:33], v[48:49]
	s_nop 0
	v_min3_f32 v48, v40, v41, v137
	v_pk_add_f32 v[40:41], v[4:5], v[52:53]
	s_nop 0
	v_min3_f32 v49, v40, v41, v131
	v_pk_add_f32 v[40:41], v[8:9], v[52:53]
	s_nop 0
	v_min3_f32 v130, v40, v41, v130
	v_pk_add_f32 v[40:41], v[12:13], v[52:53]
	s_nop 0
	v_min3_f32 v129, v40, v41, v129
	v_pk_add_f32 v[40:41], v[16:17], v[52:53]
	s_nop 0
	v_min3_f32 v128, v40, v41, v128
	v_pk_add_f32 v[40:41], v[20:21], v[52:53]
	s_nop 0
	v_min3_f32 v127, v40, v41, v127
	v_pk_add_f32 v[40:41], v[24:25], v[52:53]
	s_nop 0
	v_min3_f32 v123, v40, v41, v123
	v_pk_add_f32 v[40:41], v[28:29], v[52:53]
	s_nop 0
	v_min3_f32 v158, v40, v41, v138
	v_pk_add_f32 v[40:41], v[32:33], v[52:53]
	s_nop 0
	v_min3_f32 v52, v40, v41, v139
	v_pk_add_f32 v[40:41], v[4:5], v[56:57]
	s_nop 0
	v_min3_f32 v53, v40, v41, v124
	v_pk_add_f32 v[40:41], v[8:9], v[56:57]
	s_nop 0
	v_min3_f32 v122, v40, v41, v122
	v_pk_add_f32 v[40:41], v[12:13], v[56:57]
	s_nop 0
	v_min3_f32 v121, v40, v41, v121
	v_pk_add_f32 v[40:41], v[16:17], v[56:57]
	s_nop 0
	v_min3_f32 v120, v40, v41, v120
	v_pk_add_f32 v[40:41], v[20:21], v[56:57]
	s_nop 0
	v_min3_f32 v119, v40, v41, v119
	v_pk_add_f32 v[40:41], v[24:25], v[56:57]
	s_nop 0
	v_min3_f32 v118, v40, v41, v118
	v_pk_add_f32 v[40:41], v[28:29], v[56:57]
	s_nop 0
	v_min3_f32 v159, v40, v41, v140
	v_pk_add_f32 v[40:41], v[32:33], v[56:57]
	s_nop 0
	v_min3_f32 v56, v40, v41, v141
	v_pk_add_f32 v[40:41], v[4:5], v[60:61]
	s_nop 0
	v_min3_f32 v57, v40, v41, v115
	v_pk_add_f32 v[40:41], v[8:9], v[60:61]
	s_nop 0
	v_min3_f32 v114, v40, v41, v114
	v_pk_add_f32 v[40:41], v[12:13], v[60:61]
	s_nop 0
	v_min3_f32 v113, v40, v41, v113
	v_pk_add_f32 v[40:41], v[16:17], v[60:61]
	s_nop 0
	v_min3_f32 v112, v40, v41, v112
	v_pk_add_f32 v[40:41], v[20:21], v[60:61]
	s_nop 0
	v_min3_f32 v111, v40, v41, v111
	v_pk_add_f32 v[40:41], v[24:25], v[60:61]
	s_nop 0
	v_min3_f32 v110, v40, v41, v110
	v_pk_add_f32 v[40:41], v[28:29], v[60:61]
	s_nop 0
	v_min3_f32 v160, v40, v41, v142
	v_pk_add_f32 v[40:41], v[32:33], v[60:61]
	s_nop 0
	v_min3_f32 v60, v40, v41, v143
	v_pk_add_f32 v[40:41], v[4:5], v[64:65]
	v_pk_add_f32 v[4:5], v[4:5], v[36:37]
	v_min3_f32 v61, v40, v41, v107
	v_pk_add_f32 v[40:41], v[8:9], v[64:65]
	s_nop 0
	v_min3_f32 v106, v40, v41, v106
	v_pk_add_f32 v[40:41], v[12:13], v[64:65]
	s_nop 0
	v_min3_f32 v105, v40, v41, v105
	v_pk_add_f32 v[40:41], v[16:17], v[64:65]
	s_nop 0
	v_min3_f32 v104, v40, v41, v104
	v_pk_add_f32 v[40:41], v[20:21], v[64:65]
	s_nop 0
	v_min3_f32 v103, v40, v41, v103
	v_pk_add_f32 v[40:41], v[24:25], v[64:65]
	s_nop 0
	v_min3_f32 v102, v40, v41, v102
	v_pk_add_f32 v[40:41], v[28:29], v[64:65]
	s_nop 0
	v_min3_f32 v161, v40, v41, v144
	v_pk_add_f32 v[40:41], v[32:33], v[64:65]
	s_nop 0
	v_min3_f32 v40, v40, v41, v145
	v_min3_f32 v41, v4, v5, v146
	v_pk_add_f32 v[4:5], v[8:9], v[36:37]
	s_nop 0
	v_min3_f32 v8, v4, v5, v147
	v_pk_add_f32 v[4:5], v[12:13], v[36:37]
	s_nop 0
	;; [unrolled: 3-line block ×71, first 2 shown]
	v_min3_f32 v92, v4, v5, v20
	s_cbranch_scc1 .LBB66_46
.LBB66_26:                              ; =>This Inner Loop Header: Depth=1
	s_and_b64 vcc, exec, s[6:7]
	s_cbranch_vccnz .LBB66_45
; %bb.27:                               ;   in Loop: Header=BB66_26 Depth=1
	v_lshl_add_u64 v[0:1], v[70:71], 0, v[78:79]
	global_load_dword v0, v[0:1], off
	s_waitcnt vmcnt(0)
	v_mul_f32_e32 v80, s28, v0
	s_mov_b64 s[12:13], -1
	s_mov_b64 vcc, s[4:5]
                                        ; implicit-def: $vgpr0_vgpr1_vgpr2_vgpr3
	s_cbranch_vccz .LBB66_29
.LBB66_28:                              ;   in Loop: Header=BB66_26 Depth=1
	v_mov_b32_e32 v0, s18
	s_mov_b64 s[12:13], 0
.LBB66_29:                              ;   in Loop: Header=BB66_26 Depth=1
	v_mov_b32_e32 v1, 0
	s_andn2_b64 vcc, exec, s[12:13]
	v_lshl_add_u64 v[4:5], v[76:77], 0, v[72:73]
	s_cbranch_vccz .LBB66_39
; %bb.30:                               ;   in Loop: Header=BB66_26 Depth=1
	s_mov_b64 s[12:13], -1
	s_mov_b64 vcc, s[4:5]
                                        ; implicit-def: $vgpr2
	s_cbranch_vccnz .LBB66_40
.LBB66_31:                              ;   in Loop: Header=BB66_26 Depth=1
	v_mov_b32_e32 v157, 0
	s_andn2_b64 vcc, exec, s[12:13]
	v_mov_b32_e32 v3, 0
	s_cbranch_vccnz .LBB66_33
.LBB66_32:                              ;   in Loop: Header=BB66_26 Depth=1
	global_load_dword v2, v[4:5], off offset:512
	global_load_dword v3, v[4:5], off offset:768
	s_waitcnt vmcnt(1)
	v_mul_f32_e32 v2, s28, v2
	s_waitcnt vmcnt(0)
	v_mul_f32_e32 v3, s28, v3
.LBB66_33:                              ;   in Loop: Header=BB66_26 Depth=1
	ds_read_b128 v[32:35], v155
	ds_read_b128 v[28:31], v155 offset:128
	ds_read_b128 v[24:27], v155 offset:256
	;; [unrolled: 1-line block ×7, first 2 shown]
	ds_read_b128 v[64:67], v156
	ds_read_b128 v[60:63], v156 offset:512
	ds_read_b128 v[56:59], v156 offset:1024
	;; [unrolled: 1-line block ×7, first 2 shown]
	s_and_b64 vcc, exec, s[6:7]
	ds_write_b32 v89, v80
	ds_write2st64_b32 v86, v0, v1 offset1:4
	ds_write2st64_b32 v86, v2, v3 offset0:8 offset1:12
	s_waitcnt lgkmcnt(0)
	s_barrier
	s_cbranch_vccnz .LBB66_35
; %bb.34:                               ;   in Loop: Header=BB66_26 Depth=1
	v_lshl_add_u64 v[0:1], v[70:71], 0, v[68:69]
	global_load_dword v0, v[0:1], off
	s_waitcnt vmcnt(0)
	v_mul_f32_e32 v157, s28, v0
.LBB66_35:                              ;   in Loop: Header=BB66_26 Depth=1
	s_mov_b64 s[12:13], -1
	s_mov_b64 vcc, s[4:5]
                                        ; implicit-def: $vgpr0_vgpr1_vgpr2_vgpr3
	s_cbranch_vccnz .LBB66_41
; %bb.36:                               ;   in Loop: Header=BB66_26 Depth=1
	v_mov_b32_e32 v1, 0
	s_andn2_b64 vcc, exec, s[12:13]
	v_lshl_add_u64 v[80:81], v[74:75], 0, v[72:73]
	s_cbranch_vccz .LBB66_42
.LBB66_37:                              ;   in Loop: Header=BB66_26 Depth=1
	s_mov_b64 s[12:13], -1
	s_mov_b64 vcc, s[4:5]
                                        ; implicit-def: $vgpr2
	s_cbranch_vccnz .LBB66_43
.LBB66_38:                              ;   in Loop: Header=BB66_26 Depth=1
	s_andn2_b64 vcc, exec, s[12:13]
	v_mov_b32_e32 v3, 0
	s_cbranch_vccnz .LBB66_25
	s_branch .LBB66_44
.LBB66_39:                              ;   in Loop: Header=BB66_26 Depth=1
	global_load_dword v0, v[4:5], off
	global_load_dword v1, v[4:5], off offset:256
	s_waitcnt vmcnt(1)
	v_mul_f32_e32 v0, s28, v0
	s_waitcnt vmcnt(0)
	v_mul_f32_e32 v1, s28, v1
	s_mov_b64 s[12:13], -1
	s_mov_b64 vcc, s[4:5]
                                        ; implicit-def: $vgpr2
	s_cbranch_vccz .LBB66_31
.LBB66_40:                              ;   in Loop: Header=BB66_26 Depth=1
	v_mov_b32_e32 v2, s18
	v_mov_b32_e32 v157, 0
	;; [unrolled: 1-line block ×3, first 2 shown]
	s_cbranch_execz .LBB66_32
	s_branch .LBB66_33
.LBB66_41:                              ;   in Loop: Header=BB66_26 Depth=1
	v_mov_b32_e32 v0, s18
	v_mov_b32_e32 v1, 0
	v_lshl_add_u64 v[80:81], v[74:75], 0, v[72:73]
	s_cbranch_execnz .LBB66_37
.LBB66_42:                              ;   in Loop: Header=BB66_26 Depth=1
	global_load_dword v0, v[80:81], off
	global_load_dword v1, v[80:81], off offset:256
	s_waitcnt vmcnt(1)
	v_mul_f32_e32 v0, s28, v0
	s_waitcnt vmcnt(0)
	v_mul_f32_e32 v1, s28, v1
	s_mov_b64 s[12:13], -1
	s_mov_b64 vcc, s[4:5]
                                        ; implicit-def: $vgpr2
	s_cbranch_vccz .LBB66_38
.LBB66_43:                              ;   in Loop: Header=BB66_26 Depth=1
	v_mov_b32_e32 v2, s18
	v_mov_b32_e32 v3, 0
	s_cbranch_execnz .LBB66_25
.LBB66_44:                              ;   in Loop: Header=BB66_26 Depth=1
	global_load_dword v2, v[80:81], off offset:512
	global_load_dword v3, v[80:81], off offset:768
	s_waitcnt vmcnt(1)
	v_mul_f32_e32 v2, s28, v2
	s_waitcnt vmcnt(0)
	v_mul_f32_e32 v3, s28, v3
	s_branch .LBB66_25
.LBB66_45:                              ;   in Loop: Header=BB66_26 Depth=1
	v_mov_b32_e32 v80, 0
	s_mov_b64 s[12:13], -1
	s_mov_b64 vcc, s[4:5]
                                        ; implicit-def: $vgpr0_vgpr1_vgpr2_vgpr3
	s_cbranch_vccnz .LBB66_28
	s_branch .LBB66_29
.LBB66_46:
	s_load_dwordx2 s[2:3], s[0:1], 0x78
	s_load_dword s4, s[0:1], 0x58
	s_load_dword s5, s[0:1], 0x70
	ds_read_b128 v[32:35], v85 offset:9216
	ds_read_b128 v[60:63], v84 offset:4096
	s_waitcnt lgkmcnt(0)
	s_mul_i32 s0, s3, s16
	s_mul_hi_u32 s1, s2, s16
	s_add_i32 s1, s1, s0
	s_mul_i32 s0, s2, s16
	s_lshl_b64 s[0:1], s[0:1], 2
	v_pk_add_f32 v[0:1], v[32:33], v[60:61]
	s_add_u32 s0, s14, s0
	v_min3_f32 v2, v0, v1, v88
	v_pk_add_f32 v[0:1], v[34:35], v[62:63]
	v_add_u32_e32 v154, s27, v83
	s_addc_u32 s1, s15, s1
	v_min3_f32 v2, v0, v1, v2
	v_add_u32_e32 v68, s26, v82
	v_mad_i64_i32 v[0:1], s[2:3], v154, s5, 0
	v_add_u32_e32 v64, 8, v68
	v_lshl_add_u64 v[88:89], v[0:1], 2, s[0:1]
	v_mad_i64_i32 v[0:1], s[2:3], v154, s4, 0
	v_ashrrev_i32_e32 v69, 31, v68
	v_ashrrev_i32_e32 v65, 31, v64
	s_mov_b64 s[2:3], -1
	v_max_f32_e32 v2, v2, v2
	s_mov_b64 vcc, s[8:9]
	s_cbranch_vccz .LBB66_48
; %bb.47:
	v_min_f32_e32 v3, 0, v2
	v_lshl_add_u64 v[4:5], v[68:69], 2, v[88:89]
	global_store_dword v[4:5], v3, off
	s_mov_b64 s[2:3], 0
.LBB66_48:
	ds_read_b128 v[28:31], v85 offset:9344
	ds_read_b128 v[24:27], v85 offset:9472
	v_lshl_add_u64 v[90:91], v[0:1], 2, s[10:11]
	v_mov_b32_e32 v70, 0
	s_andn2_b64 vcc, exec, s[2:3]
	v_lshlrev_b64 v[72:73], 2, v[68:69]
	s_cbranch_vccnz .LBB66_50
; %bb.49:
	v_lshl_add_u64 v[0:1], v[90:91], 0, v[72:73]
	global_load_dword v3, v[0:1], off
	v_lshl_add_u64 v[0:1], v[88:89], 0, v[72:73]
	s_waitcnt vmcnt(0)
	v_mul_f32_e32 v3, s17, v3
	v_min_f32_e32 v2, v3, v2
	global_store_dword v[0:1], v2, off
	v_lshl_add_u64 v[0:1], v[64:65], 2, v[90:91]
	global_load_dword v0, v[0:1], off
	s_waitcnt vmcnt(0)
	v_mul_f32_e32 v70, s17, v0
.LBB66_50:
	ds_read_b128 v[16:19], v85 offset:9728
	ds_read_b128 v[12:15], v85 offset:9856
	;; [unrolled: 1-line block ×12, first 2 shown]
	s_waitcnt lgkmcnt(13)
	v_pk_add_f32 v[66:67], v[28:29], v[60:61]
	v_add_u32_e32 v76, 16, v68
	v_min3_f32 v71, v66, v67, v153
	s_waitcnt lgkmcnt(12)
	v_pk_add_f32 v[66:67], v[24:25], v[60:61]
	v_ashrrev_i32_e32 v77, 31, v76
	v_min3_f32 v74, v66, v67, v152
	v_pk_add_f32 v[66:67], v[30:31], v[62:63]
	s_mov_b64 s[2:3], -1
	v_min_f32_e32 v75, v66, v67
	v_pk_add_f32 v[66:67], v[26:27], v[62:63]
	v_min3_f32 v75, v70, v75, v71
	v_min3_f32 v74, v66, v67, v74
	v_add_u32_e32 v66, 24, v68
	v_lshl_add_u64 v[70:71], v[64:65], 2, v[88:89]
	v_ashrrev_i32_e32 v67, 31, v66
	global_store_dword v[70:71], v75, off
	v_max_f32_e32 v70, v74, v74
	s_mov_b64 vcc, s[8:9]
	s_cbranch_vccz .LBB66_52
; %bb.51:
	v_min_f32_e32 v71, 0, v70
	v_lshl_add_u64 v[74:75], v[76:77], 2, v[88:89]
	global_store_dword v[74:75], v71, off
	s_mov_b64 s[2:3], 0
.LBB66_52:
	v_mov_b32_e32 v74, 0
	s_andn2_b64 vcc, exec, s[2:3]
	v_lshlrev_b64 v[80:81], 2, v[76:77]
	s_cbranch_vccnz .LBB66_54
; %bb.53:
	v_lshl_add_u64 v[74:75], v[90:91], 0, v[80:81]
	global_load_dword v71, v[74:75], off
	v_lshl_add_u64 v[74:75], v[88:89], 0, v[80:81]
	s_waitcnt vmcnt(0)
	v_mul_f32_e32 v71, s17, v71
	v_min_f32_e32 v70, v71, v70
	global_store_dword v[74:75], v70, off
	v_lshl_add_u64 v[70:71], v[66:67], 2, v[90:91]
	global_load_dword v70, v[70:71], off
	s_waitcnt vmcnt(0)
	v_mul_f32_e32 v74, s17, v70
.LBB66_54:
	s_waitcnt lgkmcnt(1)
	v_pk_add_f32 v[70:71], v[20:21], v[60:61]
	s_mov_b64 s[2:3], -1
	v_min3_f32 v75, v70, v71, v151
	v_pk_add_f32 v[70:71], v[16:17], v[60:61]
	s_mov_b64 vcc, s[8:9]
	v_min3_f32 v78, v70, v71, v150
	v_pk_add_f32 v[70:71], v[22:23], v[62:63]
	s_nop 0
	v_min_f32_e32 v82, v70, v71
	v_pk_add_f32 v[70:71], v[18:19], v[62:63]
	v_min3_f32 v82, v74, v82, v75
	v_min3_f32 v83, v70, v71, v78
	v_add_u32_e32 v78, 32, v68
	v_add_u32_e32 v70, 40, v68
	v_lshl_add_u64 v[74:75], v[66:67], 2, v[88:89]
	v_ashrrev_i32_e32 v79, 31, v78
	v_ashrrev_i32_e32 v71, 31, v70
	global_store_dword v[74:75], v82, off
	v_max_f32_e32 v74, v83, v83
	s_cbranch_vccz .LBB66_56
; %bb.55:
	v_min_f32_e32 v75, 0, v74
	v_lshl_add_u64 v[82:83], v[78:79], 2, v[88:89]
	global_store_dword v[82:83], v75, off
	s_mov_b64 s[2:3], 0
.LBB66_56:
	v_mov_b32_e32 v86, 0
	s_andn2_b64 vcc, exec, s[2:3]
	v_lshlrev_b64 v[82:83], 2, v[78:79]
	s_cbranch_vccnz .LBB66_58
; %bb.57:
	v_lshl_add_u64 v[84:85], v[90:91], 0, v[82:83]
	global_load_dword v75, v[84:85], off
	v_lshl_add_u64 v[84:85], v[88:89], 0, v[82:83]
	s_waitcnt vmcnt(0)
	v_mul_f32_e32 v75, s17, v75
	v_min_f32_e32 v74, v75, v74
	global_store_dword v[84:85], v74, off
	v_lshl_add_u64 v[74:75], v[70:71], 2, v[90:91]
	global_load_dword v74, v[74:75], off
	s_waitcnt vmcnt(0)
	v_mul_f32_e32 v86, s17, v74
.LBB66_58:
	v_pk_add_f32 v[74:75], v[12:13], v[60:61]
	s_mov_b64 s[2:3], -1
	v_min3_f32 v149, v74, v75, v149
	v_pk_add_f32 v[74:75], v[8:9], v[60:61]
	s_mov_b64 vcc, s[8:9]
	v_min3_f32 v84, v74, v75, v87
	v_pk_add_f32 v[74:75], v[14:15], v[62:63]
	s_nop 0
	v_min_f32_e32 v87, v74, v75
	v_pk_add_f32 v[74:75], v[10:11], v[62:63]
	v_min3_f32 v149, v86, v87, v149
	v_min3_f32 v150, v74, v75, v84
	v_add_u32_e32 v84, 48, v68
	v_add_u32_e32 v74, 56, v68
	v_lshl_add_u64 v[86:87], v[70:71], 2, v[88:89]
	v_ashrrev_i32_e32 v85, 31, v84
	v_ashrrev_i32_e32 v75, 31, v74
	global_store_dword v[86:87], v149, off
	v_max_f32_e32 v149, v150, v150
	s_cbranch_vccz .LBB66_60
; %bb.59:
	v_min_f32_e32 v150, 0, v149
	v_lshl_add_u64 v[86:87], v[84:85], 2, v[88:89]
	global_store_dword v[86:87], v150, off
	s_mov_b64 s[2:3], 0
.LBB66_60:
	v_mov_b32_e32 v150, 0
	s_andn2_b64 vcc, exec, s[2:3]
	v_lshlrev_b64 v[86:87], 2, v[84:85]
	s_cbranch_vccnz .LBB66_62
; %bb.61:
	v_lshl_add_u64 v[150:151], v[90:91], 0, v[86:87]
	global_load_dword v152, v[150:151], off
	v_lshl_add_u64 v[150:151], v[88:89], 0, v[86:87]
	v_lshl_add_u64 v[90:91], v[74:75], 2, v[90:91]
	s_waitcnt vmcnt(0)
	v_mul_f32_e32 v152, s17, v152
	v_min_f32_e32 v149, v152, v149
	global_store_dword v[150:151], v149, off
	global_load_dword v90, v[90:91], off
	s_waitcnt vmcnt(0)
	v_mul_f32_e32 v150, s17, v90
.LBB66_62:
	v_pk_add_f32 v[60:61], v[0:1], v[60:61]
	s_mov_b64 vcc, s[8:9]
	v_min3_f32 v90, v60, v61, v148
	v_pk_add_f32 v[60:61], v[32:33], v[56:57]
	s_nop 0
	v_min3_f32 v91, v60, v61, v147
	v_pk_add_f32 v[60:61], v[2:3], v[62:63]
	s_nop 0
	v_min_f32_e32 v62, v60, v61
	v_pk_add_f32 v[60:61], v[34:35], v[58:59]
	v_min3_f32 v62, v150, v62, v90
	v_min3_f32 v91, v60, v61, v91
	v_lshl_add_u64 v[60:61], v[74:75], 2, v[88:89]
	global_store_dword v[60:61], v62, off
	v_add_u32_e32 v62, 32, v154
	v_mad_i64_i32 v[60:61], s[2:3], v62, s5, 0
	v_mad_i64_i32 v[62:63], s[2:3], v62, s4, 0
	v_lshl_add_u64 v[60:61], v[60:61], 2, s[0:1]
	s_mov_b64 s[2:3], -1
	v_max_f32_e32 v88, v91, v91
	s_cbranch_vccz .LBB66_64
; %bb.63:
	v_min_f32_e32 v89, 0, v88
	v_lshl_add_u64 v[90:91], v[68:69], 2, v[60:61]
	global_store_dword v[90:91], v89, off
	s_mov_b64 s[2:3], 0
.LBB66_64:
	v_lshl_add_u64 v[62:63], v[62:63], 2, s[10:11]
	s_andn2_b64 vcc, exec, s[2:3]
	v_mov_b32_e32 v89, 0
	s_cbranch_vccnz .LBB66_66
; %bb.65:
	v_lshl_add_u64 v[90:91], v[62:63], 0, v[72:73]
	global_load_dword v89, v[90:91], off
	v_lshl_add_u64 v[90:91], v[60:61], 0, v[72:73]
	s_waitcnt vmcnt(0)
	v_mul_f32_e32 v89, s17, v89
	v_min_f32_e32 v88, v89, v88
	global_store_dword v[90:91], v88, off
	v_lshl_add_u64 v[88:89], v[64:65], 2, v[62:63]
	global_load_dword v88, v[88:89], off
	s_waitcnt vmcnt(0)
	v_mul_f32_e32 v89, s17, v88
.LBB66_66:
	v_pk_add_f32 v[90:91], v[28:29], v[56:57]
	s_mov_b64 s[2:3], -1
	v_min3_f32 v88, v90, v91, v146
	v_pk_add_f32 v[90:91], v[24:25], v[56:57]
	s_mov_b64 vcc, s[8:9]
	v_min3_f32 v145, v90, v91, v145
	v_pk_add_f32 v[90:91], v[30:31], v[58:59]
	s_nop 0
	v_min_f32_e32 v146, v90, v91
	v_pk_add_f32 v[90:91], v[26:27], v[58:59]
	s_nop 0
	v_min3_f32 v90, v90, v91, v145
	v_min3_f32 v91, v89, v146, v88
	v_lshl_add_u64 v[88:89], v[64:65], 2, v[60:61]
	global_store_dword v[88:89], v91, off
	v_max_f32_e32 v88, v90, v90
	s_cbranch_vccz .LBB66_68
; %bb.67:
	v_min_f32_e32 v89, 0, v88
	v_lshl_add_u64 v[90:91], v[76:77], 2, v[60:61]
	global_store_dword v[90:91], v89, off
	s_mov_b64 s[2:3], 0
.LBB66_68:
	s_andn2_b64 vcc, exec, s[2:3]
	v_mov_b32_e32 v89, 0
	s_cbranch_vccnz .LBB66_70
; %bb.69:
	v_lshl_add_u64 v[90:91], v[62:63], 0, v[80:81]
	global_load_dword v89, v[90:91], off
	v_lshl_add_u64 v[90:91], v[60:61], 0, v[80:81]
	s_waitcnt vmcnt(0)
	v_mul_f32_e32 v89, s17, v89
	v_min_f32_e32 v88, v89, v88
	global_store_dword v[90:91], v88, off
	v_lshl_add_u64 v[88:89], v[66:67], 2, v[62:63]
	global_load_dword v88, v[88:89], off
	s_waitcnt vmcnt(0)
	v_mul_f32_e32 v89, s17, v88
.LBB66_70:
	v_pk_add_f32 v[90:91], v[20:21], v[56:57]
	s_mov_b64 s[2:3], -1
	v_min3_f32 v88, v90, v91, v144
	v_pk_add_f32 v[90:91], v[16:17], v[56:57]
	s_mov_b64 vcc, s[8:9]
	v_min3_f32 v143, v90, v91, v143
	v_pk_add_f32 v[90:91], v[22:23], v[58:59]
	s_nop 0
	v_min_f32_e32 v144, v90, v91
	v_pk_add_f32 v[90:91], v[18:19], v[58:59]
	s_nop 0
	v_min3_f32 v90, v90, v91, v143
	v_min3_f32 v91, v89, v144, v88
	v_lshl_add_u64 v[88:89], v[66:67], 2, v[60:61]
	global_store_dword v[88:89], v91, off
	v_max_f32_e32 v88, v90, v90
	s_cbranch_vccz .LBB66_72
; %bb.71:
	v_min_f32_e32 v89, 0, v88
	v_lshl_add_u64 v[90:91], v[78:79], 2, v[60:61]
	global_store_dword v[90:91], v89, off
	s_mov_b64 s[2:3], 0
.LBB66_72:
	;; [unrolled: 39-line block ×3, first 2 shown]
	s_andn2_b64 vcc, exec, s[2:3]
	v_mov_b32_e32 v89, 0
	s_cbranch_vccnz .LBB66_78
; %bb.77:
	v_lshl_add_u64 v[90:91], v[62:63], 0, v[86:87]
	global_load_dword v89, v[90:91], off
	v_lshl_add_u64 v[90:91], v[60:61], 0, v[86:87]
	v_lshl_add_u64 v[62:63], v[74:75], 2, v[62:63]
	s_waitcnt vmcnt(0)
	v_mul_f32_e32 v89, s17, v89
	v_min_f32_e32 v88, v89, v88
	global_store_dword v[90:91], v88, off
	global_load_dword v62, v[62:63], off
	s_waitcnt vmcnt(0)
	v_mul_f32_e32 v89, s17, v62
.LBB66_78:
	v_pk_add_f32 v[56:57], v[0:1], v[56:57]
	s_mov_b64 vcc, s[8:9]
	v_min3_f32 v62, v56, v57, v140
	v_pk_add_f32 v[56:57], v[32:33], v[52:53]
	s_nop 0
	v_min3_f32 v63, v56, v57, v139
	v_pk_add_f32 v[56:57], v[2:3], v[58:59]
	s_nop 0
	v_min_f32_e32 v58, v56, v57
	v_pk_add_f32 v[56:57], v[34:35], v[54:55]
	v_min3_f32 v58, v89, v58, v62
	v_min3_f32 v63, v56, v57, v63
	v_lshl_add_u64 v[56:57], v[74:75], 2, v[60:61]
	global_store_dword v[56:57], v58, off
	v_add_u32_e32 v58, 64, v154
	v_mad_i64_i32 v[56:57], s[2:3], v58, s5, 0
	v_mad_i64_i32 v[58:59], s[2:3], v58, s4, 0
	v_lshl_add_u64 v[56:57], v[56:57], 2, s[0:1]
	s_mov_b64 s[2:3], -1
	v_max_f32_e32 v60, v63, v63
	s_cbranch_vccz .LBB66_80
; %bb.79:
	v_min_f32_e32 v61, 0, v60
	v_lshl_add_u64 v[62:63], v[68:69], 2, v[56:57]
	global_store_dword v[62:63], v61, off
	s_mov_b64 s[2:3], 0
.LBB66_80:
	v_lshl_add_u64 v[58:59], v[58:59], 2, s[10:11]
	s_andn2_b64 vcc, exec, s[2:3]
	v_mov_b32_e32 v61, 0
	s_cbranch_vccnz .LBB66_82
; %bb.81:
	v_lshl_add_u64 v[62:63], v[58:59], 0, v[72:73]
	global_load_dword v61, v[62:63], off
	v_lshl_add_u64 v[62:63], v[56:57], 0, v[72:73]
	s_waitcnt vmcnt(0)
	v_mul_f32_e32 v61, s17, v61
	v_min_f32_e32 v60, v61, v60
	global_store_dword v[62:63], v60, off
	v_lshl_add_u64 v[60:61], v[64:65], 2, v[58:59]
	global_load_dword v60, v[60:61], off
	s_waitcnt vmcnt(0)
	v_mul_f32_e32 v61, s17, v60
.LBB66_82:
	v_pk_add_f32 v[62:63], v[28:29], v[52:53]
	s_mov_b64 s[2:3], -1
	v_min3_f32 v60, v62, v63, v138
	v_pk_add_f32 v[62:63], v[24:25], v[52:53]
	s_mov_b64 vcc, s[8:9]
	v_min3_f32 v88, v62, v63, v137
	v_pk_add_f32 v[62:63], v[30:31], v[54:55]
	s_nop 0
	v_min_f32_e32 v89, v62, v63
	v_pk_add_f32 v[62:63], v[26:27], v[54:55]
	s_nop 0
	v_min3_f32 v62, v62, v63, v88
	v_min3_f32 v63, v61, v89, v60
	v_lshl_add_u64 v[60:61], v[64:65], 2, v[56:57]
	global_store_dword v[60:61], v63, off
	v_max_f32_e32 v60, v62, v62
	s_cbranch_vccz .LBB66_84
; %bb.83:
	v_min_f32_e32 v61, 0, v60
	v_lshl_add_u64 v[62:63], v[76:77], 2, v[56:57]
	global_store_dword v[62:63], v61, off
	s_mov_b64 s[2:3], 0
.LBB66_84:
	s_andn2_b64 vcc, exec, s[2:3]
	v_mov_b32_e32 v61, 0
	s_cbranch_vccnz .LBB66_86
; %bb.85:
	v_lshl_add_u64 v[62:63], v[58:59], 0, v[80:81]
	global_load_dword v61, v[62:63], off
	v_lshl_add_u64 v[62:63], v[56:57], 0, v[80:81]
	s_waitcnt vmcnt(0)
	v_mul_f32_e32 v61, s17, v61
	v_min_f32_e32 v60, v61, v60
	global_store_dword v[62:63], v60, off
	v_lshl_add_u64 v[60:61], v[66:67], 2, v[58:59]
	global_load_dword v60, v[60:61], off
	s_waitcnt vmcnt(0)
	v_mul_f32_e32 v61, s17, v60
.LBB66_86:
	v_pk_add_f32 v[62:63], v[20:21], v[52:53]
	s_mov_b64 s[2:3], -1
	v_min3_f32 v60, v62, v63, v136
	v_pk_add_f32 v[62:63], v[16:17], v[52:53]
	s_mov_b64 vcc, s[8:9]
	v_min3_f32 v88, v62, v63, v135
	v_pk_add_f32 v[62:63], v[22:23], v[54:55]
	s_nop 0
	v_min_f32_e32 v89, v62, v63
	v_pk_add_f32 v[62:63], v[18:19], v[54:55]
	s_nop 0
	v_min3_f32 v62, v62, v63, v88
	v_min3_f32 v63, v61, v89, v60
	v_lshl_add_u64 v[60:61], v[66:67], 2, v[56:57]
	global_store_dword v[60:61], v63, off
	v_max_f32_e32 v60, v62, v62
	s_cbranch_vccz .LBB66_88
; %bb.87:
	v_min_f32_e32 v61, 0, v60
	v_lshl_add_u64 v[62:63], v[78:79], 2, v[56:57]
	global_store_dword v[62:63], v61, off
	s_mov_b64 s[2:3], 0
.LBB66_88:
	s_andn2_b64 vcc, exec, s[2:3]
	v_mov_b32_e32 v61, 0
	s_cbranch_vccnz .LBB66_90
; %bb.89:
	v_lshl_add_u64 v[62:63], v[58:59], 0, v[82:83]
	global_load_dword v61, v[62:63], off
	v_lshl_add_u64 v[62:63], v[56:57], 0, v[82:83]
	s_waitcnt vmcnt(0)
	v_mul_f32_e32 v61, s17, v61
	v_min_f32_e32 v60, v61, v60
	global_store_dword v[62:63], v60, off
	v_lshl_add_u64 v[60:61], v[70:71], 2, v[58:59]
	global_load_dword v60, v[60:61], off
	s_waitcnt vmcnt(0)
	v_mul_f32_e32 v61, s17, v60
.LBB66_90:
	v_pk_add_f32 v[62:63], v[12:13], v[52:53]
	s_mov_b64 s[2:3], -1
	v_min3_f32 v60, v62, v63, v134
	v_pk_add_f32 v[62:63], v[8:9], v[52:53]
	s_mov_b64 vcc, s[8:9]
	v_min3_f32 v88, v62, v63, v133
	v_pk_add_f32 v[62:63], v[14:15], v[54:55]
	s_nop 0
	v_min_f32_e32 v89, v62, v63
	v_pk_add_f32 v[62:63], v[10:11], v[54:55]
	s_nop 0
	v_min3_f32 v62, v62, v63, v88
	v_min3_f32 v63, v61, v89, v60
	v_lshl_add_u64 v[60:61], v[70:71], 2, v[56:57]
	global_store_dword v[60:61], v63, off
	v_max_f32_e32 v60, v62, v62
	s_cbranch_vccz .LBB66_92
; %bb.91:
	v_min_f32_e32 v61, 0, v60
	v_lshl_add_u64 v[62:63], v[84:85], 2, v[56:57]
	global_store_dword v[62:63], v61, off
	s_mov_b64 s[2:3], 0
.LBB66_92:
	s_andn2_b64 vcc, exec, s[2:3]
	v_mov_b32_e32 v61, 0
	s_cbranch_vccnz .LBB66_94
; %bb.93:
	v_lshl_add_u64 v[62:63], v[58:59], 0, v[86:87]
	global_load_dword v61, v[62:63], off
	v_lshl_add_u64 v[62:63], v[56:57], 0, v[86:87]
	v_lshl_add_u64 v[58:59], v[74:75], 2, v[58:59]
	s_waitcnt vmcnt(0)
	v_mul_f32_e32 v61, s17, v61
	v_min_f32_e32 v60, v61, v60
	global_store_dword v[62:63], v60, off
	global_load_dword v58, v[58:59], off
	s_waitcnt vmcnt(0)
	v_mul_f32_e32 v61, s17, v58
.LBB66_94:
	v_pk_add_f32 v[52:53], v[0:1], v[52:53]
	s_mov_b64 vcc, s[8:9]
	v_min3_f32 v58, v52, v53, v132
	v_pk_add_f32 v[52:53], v[32:33], v[48:49]
	s_nop 0
	v_min3_f32 v59, v52, v53, v131
	v_pk_add_f32 v[52:53], v[2:3], v[54:55]
	s_nop 0
	v_min_f32_e32 v54, v52, v53
	v_pk_add_f32 v[52:53], v[34:35], v[50:51]
	v_min3_f32 v54, v61, v54, v58
	v_min3_f32 v59, v52, v53, v59
	v_lshl_add_u64 v[52:53], v[74:75], 2, v[56:57]
	global_store_dword v[52:53], v54, off
	v_add_u32_e32 v54, 0x60, v154
	v_mad_i64_i32 v[52:53], s[2:3], v54, s5, 0
	v_mad_i64_i32 v[54:55], s[2:3], v54, s4, 0
	v_lshl_add_u64 v[52:53], v[52:53], 2, s[0:1]
	s_mov_b64 s[2:3], -1
	v_max_f32_e32 v56, v59, v59
	s_cbranch_vccz .LBB66_96
; %bb.95:
	v_min_f32_e32 v57, 0, v56
	v_lshl_add_u64 v[58:59], v[68:69], 2, v[52:53]
	global_store_dword v[58:59], v57, off
	s_mov_b64 s[2:3], 0
.LBB66_96:
	v_lshl_add_u64 v[54:55], v[54:55], 2, s[10:11]
	s_andn2_b64 vcc, exec, s[2:3]
	v_mov_b32_e32 v57, 0
	s_cbranch_vccnz .LBB66_98
; %bb.97:
	v_lshl_add_u64 v[58:59], v[54:55], 0, v[72:73]
	global_load_dword v57, v[58:59], off
	v_lshl_add_u64 v[58:59], v[52:53], 0, v[72:73]
	s_waitcnt vmcnt(0)
	v_mul_f32_e32 v57, s17, v57
	v_min_f32_e32 v56, v57, v56
	global_store_dword v[58:59], v56, off
	v_lshl_add_u64 v[56:57], v[64:65], 2, v[54:55]
	global_load_dword v56, v[56:57], off
	s_waitcnt vmcnt(0)
	v_mul_f32_e32 v57, s17, v56
.LBB66_98:
	v_pk_add_f32 v[58:59], v[28:29], v[48:49]
	s_mov_b64 s[2:3], -1
	v_min3_f32 v56, v58, v59, v130
	v_pk_add_f32 v[58:59], v[24:25], v[48:49]
	s_mov_b64 vcc, s[8:9]
	v_min3_f32 v60, v58, v59, v129
	v_pk_add_f32 v[58:59], v[30:31], v[50:51]
	s_nop 0
	v_min_f32_e32 v61, v58, v59
	v_pk_add_f32 v[58:59], v[26:27], v[50:51]
	s_nop 0
	v_min3_f32 v58, v58, v59, v60
	v_min3_f32 v59, v57, v61, v56
	v_lshl_add_u64 v[56:57], v[64:65], 2, v[52:53]
	global_store_dword v[56:57], v59, off
	v_max_f32_e32 v56, v58, v58
	s_cbranch_vccz .LBB66_100
; %bb.99:
	v_min_f32_e32 v57, 0, v56
	v_lshl_add_u64 v[58:59], v[76:77], 2, v[52:53]
	global_store_dword v[58:59], v57, off
	s_mov_b64 s[2:3], 0
.LBB66_100:
	s_andn2_b64 vcc, exec, s[2:3]
	v_mov_b32_e32 v57, 0
	s_cbranch_vccnz .LBB66_102
; %bb.101:
	v_lshl_add_u64 v[58:59], v[54:55], 0, v[80:81]
	global_load_dword v57, v[58:59], off
	v_lshl_add_u64 v[58:59], v[52:53], 0, v[80:81]
	s_waitcnt vmcnt(0)
	v_mul_f32_e32 v57, s17, v57
	v_min_f32_e32 v56, v57, v56
	global_store_dword v[58:59], v56, off
	v_lshl_add_u64 v[56:57], v[66:67], 2, v[54:55]
	global_load_dword v56, v[56:57], off
	s_waitcnt vmcnt(0)
	v_mul_f32_e32 v57, s17, v56
.LBB66_102:
	v_pk_add_f32 v[58:59], v[20:21], v[48:49]
	s_mov_b64 s[2:3], -1
	v_min3_f32 v56, v58, v59, v128
	v_pk_add_f32 v[58:59], v[16:17], v[48:49]
	s_mov_b64 vcc, s[8:9]
	v_min3_f32 v60, v58, v59, v127
	v_pk_add_f32 v[58:59], v[22:23], v[50:51]
	s_nop 0
	v_min_f32_e32 v61, v58, v59
	v_pk_add_f32 v[58:59], v[18:19], v[50:51]
	s_nop 0
	v_min3_f32 v58, v58, v59, v60
	v_min3_f32 v59, v57, v61, v56
	v_lshl_add_u64 v[56:57], v[66:67], 2, v[52:53]
	global_store_dword v[56:57], v59, off
	v_max_f32_e32 v56, v58, v58
	s_cbranch_vccz .LBB66_104
; %bb.103:
	v_min_f32_e32 v57, 0, v56
	v_lshl_add_u64 v[58:59], v[78:79], 2, v[52:53]
	global_store_dword v[58:59], v57, off
	s_mov_b64 s[2:3], 0
.LBB66_104:
	;; [unrolled: 39-line block ×3, first 2 shown]
	s_andn2_b64 vcc, exec, s[2:3]
	v_mov_b32_e32 v57, 0
	s_cbranch_vccnz .LBB66_110
; %bb.109:
	v_lshl_add_u64 v[58:59], v[54:55], 0, v[86:87]
	global_load_dword v57, v[58:59], off
	v_lshl_add_u64 v[58:59], v[52:53], 0, v[86:87]
	v_lshl_add_u64 v[54:55], v[74:75], 2, v[54:55]
	s_waitcnt vmcnt(0)
	v_mul_f32_e32 v57, s17, v57
	v_min_f32_e32 v56, v57, v56
	global_store_dword v[58:59], v56, off
	global_load_dword v54, v[54:55], off
	s_waitcnt vmcnt(0)
	v_mul_f32_e32 v57, s17, v54
.LBB66_110:
	v_pk_add_f32 v[48:49], v[0:1], v[48:49]
	s_mov_b64 vcc, s[8:9]
	v_min3_f32 v54, v48, v49, v126
	v_pk_add_f32 v[48:49], v[32:33], v[44:45]
	s_nop 0
	v_min3_f32 v55, v48, v49, v125
	v_pk_add_f32 v[48:49], v[2:3], v[50:51]
	s_nop 0
	v_min_f32_e32 v50, v48, v49
	v_pk_add_f32 v[48:49], v[34:35], v[46:47]
	v_min3_f32 v50, v57, v50, v54
	v_min3_f32 v55, v48, v49, v55
	v_lshl_add_u64 v[48:49], v[74:75], 2, v[52:53]
	global_store_dword v[48:49], v50, off
	v_add_u32_e32 v50, 0x80, v154
	v_mad_i64_i32 v[48:49], s[2:3], v50, s5, 0
	v_mad_i64_i32 v[50:51], s[2:3], v50, s4, 0
	v_lshl_add_u64 v[48:49], v[48:49], 2, s[0:1]
	s_mov_b64 s[2:3], -1
	v_max_f32_e32 v52, v55, v55
	s_cbranch_vccz .LBB66_112
; %bb.111:
	v_min_f32_e32 v53, 0, v52
	v_lshl_add_u64 v[54:55], v[68:69], 2, v[48:49]
	global_store_dword v[54:55], v53, off
	s_mov_b64 s[2:3], 0
.LBB66_112:
	v_lshl_add_u64 v[50:51], v[50:51], 2, s[10:11]
	s_andn2_b64 vcc, exec, s[2:3]
	v_mov_b32_e32 v53, 0
	s_cbranch_vccnz .LBB66_114
; %bb.113:
	v_lshl_add_u64 v[54:55], v[50:51], 0, v[72:73]
	global_load_dword v53, v[54:55], off
	v_lshl_add_u64 v[54:55], v[48:49], 0, v[72:73]
	s_waitcnt vmcnt(0)
	v_mul_f32_e32 v53, s17, v53
	v_min_f32_e32 v52, v53, v52
	global_store_dword v[54:55], v52, off
	v_lshl_add_u64 v[52:53], v[64:65], 2, v[50:51]
	global_load_dword v52, v[52:53], off
	s_waitcnt vmcnt(0)
	v_mul_f32_e32 v53, s17, v52
.LBB66_114:
	v_pk_add_f32 v[54:55], v[28:29], v[44:45]
	s_mov_b64 s[2:3], -1
	v_min3_f32 v52, v54, v55, v122
	v_pk_add_f32 v[54:55], v[24:25], v[44:45]
	s_mov_b64 vcc, s[8:9]
	v_min3_f32 v56, v54, v55, v121
	v_pk_add_f32 v[54:55], v[30:31], v[46:47]
	s_nop 0
	v_min_f32_e32 v57, v54, v55
	v_pk_add_f32 v[54:55], v[26:27], v[46:47]
	s_nop 0
	v_min3_f32 v54, v54, v55, v56
	v_min3_f32 v55, v53, v57, v52
	v_lshl_add_u64 v[52:53], v[64:65], 2, v[48:49]
	global_store_dword v[52:53], v55, off
	v_max_f32_e32 v52, v54, v54
	s_cbranch_vccz .LBB66_116
; %bb.115:
	v_min_f32_e32 v53, 0, v52
	v_lshl_add_u64 v[54:55], v[76:77], 2, v[48:49]
	global_store_dword v[54:55], v53, off
	s_mov_b64 s[2:3], 0
.LBB66_116:
	s_andn2_b64 vcc, exec, s[2:3]
	v_mov_b32_e32 v53, 0
	s_cbranch_vccnz .LBB66_118
; %bb.117:
	v_lshl_add_u64 v[54:55], v[50:51], 0, v[80:81]
	global_load_dword v53, v[54:55], off
	v_lshl_add_u64 v[54:55], v[48:49], 0, v[80:81]
	s_waitcnt vmcnt(0)
	v_mul_f32_e32 v53, s17, v53
	v_min_f32_e32 v52, v53, v52
	global_store_dword v[54:55], v52, off
	v_lshl_add_u64 v[52:53], v[66:67], 2, v[50:51]
	global_load_dword v52, v[52:53], off
	s_waitcnt vmcnt(0)
	v_mul_f32_e32 v53, s17, v52
.LBB66_118:
	v_pk_add_f32 v[54:55], v[20:21], v[44:45]
	s_mov_b64 s[2:3], -1
	v_min3_f32 v52, v54, v55, v120
	v_pk_add_f32 v[54:55], v[16:17], v[44:45]
	s_mov_b64 vcc, s[8:9]
	v_min3_f32 v56, v54, v55, v119
	v_pk_add_f32 v[54:55], v[22:23], v[46:47]
	s_nop 0
	v_min_f32_e32 v57, v54, v55
	v_pk_add_f32 v[54:55], v[18:19], v[46:47]
	s_nop 0
	v_min3_f32 v54, v54, v55, v56
	v_min3_f32 v55, v53, v57, v52
	v_lshl_add_u64 v[52:53], v[66:67], 2, v[48:49]
	global_store_dword v[52:53], v55, off
	v_max_f32_e32 v52, v54, v54
	s_cbranch_vccz .LBB66_120
; %bb.119:
	v_min_f32_e32 v53, 0, v52
	v_lshl_add_u64 v[54:55], v[78:79], 2, v[48:49]
	global_store_dword v[54:55], v53, off
	s_mov_b64 s[2:3], 0
.LBB66_120:
	;; [unrolled: 39-line block ×3, first 2 shown]
	s_andn2_b64 vcc, exec, s[2:3]
	v_mov_b32_e32 v53, 0
	s_cbranch_vccnz .LBB66_126
; %bb.125:
	v_lshl_add_u64 v[54:55], v[50:51], 0, v[86:87]
	global_load_dword v53, v[54:55], off
	v_lshl_add_u64 v[54:55], v[48:49], 0, v[86:87]
	v_lshl_add_u64 v[50:51], v[74:75], 2, v[50:51]
	s_waitcnt vmcnt(0)
	v_mul_f32_e32 v53, s17, v53
	v_min_f32_e32 v52, v53, v52
	global_store_dword v[54:55], v52, off
	global_load_dword v50, v[50:51], off
	s_waitcnt vmcnt(0)
	v_mul_f32_e32 v53, s17, v50
.LBB66_126:
	v_pk_add_f32 v[44:45], v[0:1], v[44:45]
	s_mov_b64 vcc, s[8:9]
	v_min3_f32 v50, v44, v45, v116
	v_pk_add_f32 v[44:45], v[32:33], v[40:41]
	s_nop 0
	v_min3_f32 v51, v44, v45, v115
	v_pk_add_f32 v[44:45], v[2:3], v[46:47]
	s_nop 0
	v_min_f32_e32 v46, v44, v45
	v_pk_add_f32 v[44:45], v[34:35], v[42:43]
	v_min3_f32 v46, v53, v46, v50
	v_min3_f32 v51, v44, v45, v51
	v_lshl_add_u64 v[44:45], v[74:75], 2, v[48:49]
	global_store_dword v[44:45], v46, off
	v_add_u32_e32 v46, 0xa0, v154
	v_mad_i64_i32 v[44:45], s[2:3], v46, s5, 0
	v_mad_i64_i32 v[46:47], s[2:3], v46, s4, 0
	v_lshl_add_u64 v[44:45], v[44:45], 2, s[0:1]
	s_mov_b64 s[2:3], -1
	v_max_f32_e32 v48, v51, v51
	s_cbranch_vccz .LBB66_128
; %bb.127:
	v_min_f32_e32 v49, 0, v48
	v_lshl_add_u64 v[50:51], v[68:69], 2, v[44:45]
	global_store_dword v[50:51], v49, off
	s_mov_b64 s[2:3], 0
.LBB66_128:
	v_lshl_add_u64 v[46:47], v[46:47], 2, s[10:11]
	s_andn2_b64 vcc, exec, s[2:3]
	v_mov_b32_e32 v49, 0
	s_cbranch_vccnz .LBB66_130
; %bb.129:
	v_lshl_add_u64 v[50:51], v[46:47], 0, v[72:73]
	global_load_dword v49, v[50:51], off
	v_lshl_add_u64 v[50:51], v[44:45], 0, v[72:73]
	s_waitcnt vmcnt(0)
	v_mul_f32_e32 v49, s17, v49
	v_min_f32_e32 v48, v49, v48
	global_store_dword v[50:51], v48, off
	v_lshl_add_u64 v[48:49], v[64:65], 2, v[46:47]
	global_load_dword v48, v[48:49], off
	s_waitcnt vmcnt(0)
	v_mul_f32_e32 v49, s17, v48
.LBB66_130:
	v_pk_add_f32 v[50:51], v[28:29], v[40:41]
	s_mov_b64 s[2:3], -1
	v_min3_f32 v48, v50, v51, v114
	v_pk_add_f32 v[50:51], v[24:25], v[40:41]
	s_mov_b64 vcc, s[8:9]
	v_min3_f32 v52, v50, v51, v113
	v_pk_add_f32 v[50:51], v[30:31], v[42:43]
	s_nop 0
	v_min_f32_e32 v53, v50, v51
	v_pk_add_f32 v[50:51], v[26:27], v[42:43]
	s_nop 0
	v_min3_f32 v50, v50, v51, v52
	v_min3_f32 v51, v49, v53, v48
	v_lshl_add_u64 v[48:49], v[64:65], 2, v[44:45]
	global_store_dword v[48:49], v51, off
	v_max_f32_e32 v48, v50, v50
	s_cbranch_vccz .LBB66_132
; %bb.131:
	v_min_f32_e32 v49, 0, v48
	v_lshl_add_u64 v[50:51], v[76:77], 2, v[44:45]
	global_store_dword v[50:51], v49, off
	s_mov_b64 s[2:3], 0
.LBB66_132:
	s_andn2_b64 vcc, exec, s[2:3]
	v_mov_b32_e32 v49, 0
	s_cbranch_vccnz .LBB66_134
; %bb.133:
	v_lshl_add_u64 v[50:51], v[46:47], 0, v[80:81]
	global_load_dword v49, v[50:51], off
	v_lshl_add_u64 v[50:51], v[44:45], 0, v[80:81]
	s_waitcnt vmcnt(0)
	v_mul_f32_e32 v49, s17, v49
	v_min_f32_e32 v48, v49, v48
	global_store_dword v[50:51], v48, off
	v_lshl_add_u64 v[48:49], v[66:67], 2, v[46:47]
	global_load_dword v48, v[48:49], off
	s_waitcnt vmcnt(0)
	v_mul_f32_e32 v49, s17, v48
.LBB66_134:
	v_pk_add_f32 v[50:51], v[20:21], v[40:41]
	s_mov_b64 s[2:3], -1
	v_min3_f32 v48, v50, v51, v112
	v_pk_add_f32 v[50:51], v[16:17], v[40:41]
	s_mov_b64 vcc, s[8:9]
	v_min3_f32 v52, v50, v51, v111
	v_pk_add_f32 v[50:51], v[22:23], v[42:43]
	s_nop 0
	v_min_f32_e32 v53, v50, v51
	v_pk_add_f32 v[50:51], v[18:19], v[42:43]
	s_nop 0
	v_min3_f32 v50, v50, v51, v52
	v_min3_f32 v51, v49, v53, v48
	v_lshl_add_u64 v[48:49], v[66:67], 2, v[44:45]
	global_store_dword v[48:49], v51, off
	v_max_f32_e32 v48, v50, v50
	s_cbranch_vccz .LBB66_136
; %bb.135:
	v_min_f32_e32 v49, 0, v48
	v_lshl_add_u64 v[50:51], v[78:79], 2, v[44:45]
	global_store_dword v[50:51], v49, off
	s_mov_b64 s[2:3], 0
.LBB66_136:
	;; [unrolled: 39-line block ×3, first 2 shown]
	s_andn2_b64 vcc, exec, s[2:3]
	v_mov_b32_e32 v49, 0
	s_cbranch_vccnz .LBB66_142
; %bb.141:
	v_lshl_add_u64 v[50:51], v[46:47], 0, v[86:87]
	global_load_dword v49, v[50:51], off
	v_lshl_add_u64 v[50:51], v[44:45], 0, v[86:87]
	v_lshl_add_u64 v[46:47], v[74:75], 2, v[46:47]
	s_waitcnt vmcnt(0)
	v_mul_f32_e32 v49, s17, v49
	v_min_f32_e32 v48, v49, v48
	global_store_dword v[50:51], v48, off
	global_load_dword v46, v[46:47], off
	s_waitcnt vmcnt(0)
	v_mul_f32_e32 v49, s17, v46
.LBB66_142:
	v_pk_add_f32 v[40:41], v[0:1], v[40:41]
	s_mov_b64 vcc, s[8:9]
	v_min3_f32 v46, v40, v41, v108
	v_pk_add_f32 v[40:41], v[32:33], v[36:37]
	s_nop 0
	v_min3_f32 v47, v40, v41, v107
	v_pk_add_f32 v[40:41], v[2:3], v[42:43]
	s_nop 0
	v_min_f32_e32 v42, v40, v41
	v_pk_add_f32 v[40:41], v[34:35], v[38:39]
	v_min3_f32 v42, v49, v42, v46
	v_min3_f32 v47, v40, v41, v47
	v_lshl_add_u64 v[40:41], v[74:75], 2, v[44:45]
	global_store_dword v[40:41], v42, off
	v_add_u32_e32 v42, 0xc0, v154
	v_mad_i64_i32 v[40:41], s[2:3], v42, s5, 0
	v_mad_i64_i32 v[42:43], s[2:3], v42, s4, 0
	v_lshl_add_u64 v[40:41], v[40:41], 2, s[0:1]
	s_mov_b64 s[2:3], -1
	v_max_f32_e32 v44, v47, v47
	s_cbranch_vccz .LBB66_144
; %bb.143:
	v_min_f32_e32 v45, 0, v44
	v_lshl_add_u64 v[46:47], v[68:69], 2, v[40:41]
	global_store_dword v[46:47], v45, off
	s_mov_b64 s[2:3], 0
.LBB66_144:
	v_lshl_add_u64 v[42:43], v[42:43], 2, s[10:11]
	s_andn2_b64 vcc, exec, s[2:3]
	v_mov_b32_e32 v45, 0
	s_cbranch_vccnz .LBB66_146
; %bb.145:
	v_lshl_add_u64 v[46:47], v[42:43], 0, v[72:73]
	global_load_dword v45, v[46:47], off
	v_lshl_add_u64 v[46:47], v[40:41], 0, v[72:73]
	s_waitcnt vmcnt(0)
	v_mul_f32_e32 v45, s17, v45
	v_min_f32_e32 v44, v45, v44
	global_store_dword v[46:47], v44, off
	v_lshl_add_u64 v[44:45], v[64:65], 2, v[42:43]
	global_load_dword v44, v[44:45], off
	s_waitcnt vmcnt(0)
	v_mul_f32_e32 v45, s17, v44
.LBB66_146:
	v_pk_add_f32 v[46:47], v[28:29], v[36:37]
	s_mov_b64 s[2:3], -1
	v_min3_f32 v44, v46, v47, v106
	v_pk_add_f32 v[46:47], v[24:25], v[36:37]
	s_mov_b64 vcc, s[8:9]
	v_min3_f32 v48, v46, v47, v105
	v_pk_add_f32 v[46:47], v[30:31], v[38:39]
	s_nop 0
	v_min_f32_e32 v49, v46, v47
	v_pk_add_f32 v[46:47], v[26:27], v[38:39]
	s_nop 0
	v_min3_f32 v46, v46, v47, v48
	v_min3_f32 v47, v45, v49, v44
	v_lshl_add_u64 v[44:45], v[64:65], 2, v[40:41]
	global_store_dword v[44:45], v47, off
	v_max_f32_e32 v44, v46, v46
	s_cbranch_vccz .LBB66_148
; %bb.147:
	v_min_f32_e32 v45, 0, v44
	v_lshl_add_u64 v[46:47], v[76:77], 2, v[40:41]
	global_store_dword v[46:47], v45, off
	s_mov_b64 s[2:3], 0
.LBB66_148:
	s_andn2_b64 vcc, exec, s[2:3]
	v_mov_b32_e32 v45, 0
	s_cbranch_vccnz .LBB66_150
; %bb.149:
	v_lshl_add_u64 v[46:47], v[42:43], 0, v[80:81]
	global_load_dword v45, v[46:47], off
	v_lshl_add_u64 v[46:47], v[40:41], 0, v[80:81]
	s_waitcnt vmcnt(0)
	v_mul_f32_e32 v45, s17, v45
	v_min_f32_e32 v44, v45, v44
	global_store_dword v[46:47], v44, off
	v_lshl_add_u64 v[44:45], v[66:67], 2, v[42:43]
	global_load_dword v44, v[44:45], off
	s_waitcnt vmcnt(0)
	v_mul_f32_e32 v45, s17, v44
.LBB66_150:
	v_pk_add_f32 v[46:47], v[20:21], v[36:37]
	s_mov_b64 s[2:3], -1
	v_min3_f32 v44, v46, v47, v104
	v_pk_add_f32 v[46:47], v[16:17], v[36:37]
	s_mov_b64 vcc, s[8:9]
	v_min3_f32 v48, v46, v47, v103
	v_pk_add_f32 v[46:47], v[22:23], v[38:39]
	s_nop 0
	v_min_f32_e32 v49, v46, v47
	v_pk_add_f32 v[46:47], v[18:19], v[38:39]
	s_nop 0
	v_min3_f32 v46, v46, v47, v48
	v_min3_f32 v47, v45, v49, v44
	v_lshl_add_u64 v[44:45], v[66:67], 2, v[40:41]
	global_store_dword v[44:45], v47, off
	v_max_f32_e32 v44, v46, v46
	s_cbranch_vccz .LBB66_152
; %bb.151:
	v_min_f32_e32 v45, 0, v44
	v_lshl_add_u64 v[46:47], v[78:79], 2, v[40:41]
	global_store_dword v[46:47], v45, off
	s_mov_b64 s[2:3], 0
.LBB66_152:
	;; [unrolled: 39-line block ×3, first 2 shown]
	s_andn2_b64 vcc, exec, s[2:3]
	v_mov_b32_e32 v45, 0
	s_cbranch_vccnz .LBB66_158
; %bb.157:
	v_lshl_add_u64 v[46:47], v[42:43], 0, v[86:87]
	global_load_dword v45, v[46:47], off
	v_lshl_add_u64 v[46:47], v[40:41], 0, v[86:87]
	v_lshl_add_u64 v[42:43], v[74:75], 2, v[42:43]
	s_waitcnt vmcnt(0)
	v_mul_f32_e32 v45, s17, v45
	v_min_f32_e32 v44, v45, v44
	global_store_dword v[46:47], v44, off
	global_load_dword v42, v[42:43], off
	s_waitcnt vmcnt(0)
	v_mul_f32_e32 v45, s17, v42
.LBB66_158:
	v_pk_add_f32 v[36:37], v[0:1], v[36:37]
	s_waitcnt lgkmcnt(0)
	v_pk_add_f32 v[32:33], v[32:33], v[4:5]
	v_min3_f32 v36, v36, v37, v99
	v_min3_f32 v37, v32, v33, v100
	v_pk_add_f32 v[32:33], v[2:3], v[38:39]
	s_mov_b64 vcc, s[8:9]
	v_min_f32_e32 v38, v32, v33
	v_pk_add_f32 v[32:33], v[34:35], v[6:7]
	v_min3_f32 v34, v45, v38, v36
	v_min3_f32 v37, v32, v33, v37
	v_lshl_add_u64 v[32:33], v[74:75], 2, v[40:41]
	global_store_dword v[32:33], v34, off
	v_add_u32_e32 v34, 0xe0, v154
	v_mad_i64_i32 v[32:33], s[2:3], v34, s5, 0
	v_lshl_add_u64 v[32:33], v[32:33], 2, s[0:1]
	v_mad_i64_i32 v[34:35], s[0:1], v34, s4, 0
	s_mov_b64 s[0:1], -1
	v_max_f32_e32 v36, v37, v37
	s_cbranch_vccz .LBB66_160
; %bb.159:
	v_min_f32_e32 v37, 0, v36
	v_lshl_add_u64 v[38:39], v[68:69], 2, v[32:33]
	global_store_dword v[38:39], v37, off
	s_mov_b64 s[0:1], 0
.LBB66_160:
	v_lshl_add_u64 v[34:35], v[34:35], 2, s[10:11]
	s_andn2_b64 vcc, exec, s[0:1]
	v_mov_b32_e32 v37, 0
	s_cbranch_vccnz .LBB66_162
; %bb.161:
	v_lshl_add_u64 v[38:39], v[34:35], 0, v[72:73]
	global_load_dword v37, v[38:39], off
	v_lshl_add_u64 v[38:39], v[32:33], 0, v[72:73]
	s_waitcnt vmcnt(0)
	v_mul_f32_e32 v37, s17, v37
	v_min_f32_e32 v36, v37, v36
	global_store_dword v[38:39], v36, off
	v_lshl_add_u64 v[36:37], v[64:65], 2, v[34:35]
	global_load_dword v36, v[36:37], off
	s_waitcnt vmcnt(0)
	v_mul_f32_e32 v37, s17, v36
.LBB66_162:
	v_pk_add_f32 v[28:29], v[28:29], v[4:5]
	v_pk_add_f32 v[24:25], v[24:25], v[4:5]
	v_min3_f32 v28, v28, v29, v98
	v_min3_f32 v29, v24, v25, v97
	v_pk_add_f32 v[24:25], v[30:31], v[6:7]
	s_mov_b64 s[0:1], -1
	v_min_f32_e32 v30, v24, v25
	v_pk_add_f32 v[24:25], v[26:27], v[6:7]
	v_min3_f32 v27, v37, v30, v28
	v_min3_f32 v26, v24, v25, v29
	v_lshl_add_u64 v[24:25], v[64:65], 2, v[32:33]
	global_store_dword v[24:25], v27, off
	v_max_f32_e32 v24, v26, v26
	s_mov_b64 vcc, s[8:9]
	s_cbranch_vccz .LBB66_164
; %bb.163:
	v_min_f32_e32 v25, 0, v24
	v_lshl_add_u64 v[26:27], v[76:77], 2, v[32:33]
	global_store_dword v[26:27], v25, off
	s_mov_b64 s[0:1], 0
.LBB66_164:
	s_andn2_b64 vcc, exec, s[0:1]
	v_mov_b32_e32 v25, 0
	s_cbranch_vccnz .LBB66_166
; %bb.165:
	v_lshl_add_u64 v[26:27], v[34:35], 0, v[80:81]
	global_load_dword v25, v[26:27], off
	v_lshl_add_u64 v[26:27], v[32:33], 0, v[80:81]
	s_waitcnt vmcnt(0)
	v_mul_f32_e32 v25, s17, v25
	v_min_f32_e32 v24, v25, v24
	global_store_dword v[26:27], v24, off
	v_lshl_add_u64 v[24:25], v[66:67], 2, v[34:35]
	global_load_dword v24, v[24:25], off
	s_waitcnt vmcnt(0)
	v_mul_f32_e32 v25, s17, v24
.LBB66_166:
	v_pk_add_f32 v[20:21], v[20:21], v[4:5]
	v_pk_add_f32 v[16:17], v[16:17], v[4:5]
	v_min3_f32 v20, v20, v21, v96
	v_min3_f32 v21, v16, v17, v95
	v_pk_add_f32 v[16:17], v[22:23], v[6:7]
	s_mov_b64 s[0:1], -1
	v_min_f32_e32 v22, v16, v17
	v_pk_add_f32 v[16:17], v[18:19], v[6:7]
	v_min3_f32 v19, v25, v22, v20
	v_min3_f32 v18, v16, v17, v21
	v_lshl_add_u64 v[16:17], v[66:67], 2, v[32:33]
	global_store_dword v[16:17], v19, off
	v_max_f32_e32 v16, v18, v18
	s_mov_b64 vcc, s[8:9]
	s_cbranch_vccz .LBB66_168
; %bb.167:
	v_min_f32_e32 v17, 0, v16
	v_lshl_add_u64 v[18:19], v[78:79], 2, v[32:33]
	global_store_dword v[18:19], v17, off
	s_mov_b64 s[0:1], 0
.LBB66_168:
	;; [unrolled: 37-line block ×3, first 2 shown]
	s_andn2_b64 vcc, exec, s[0:1]
	v_mov_b32_e32 v9, 0
	s_cbranch_vccnz .LBB66_174
; %bb.173:
	v_lshl_add_u64 v[10:11], v[34:35], 0, v[86:87]
	global_load_dword v9, v[10:11], off
	v_lshl_add_u64 v[10:11], v[32:33], 0, v[86:87]
	s_waitcnt vmcnt(0)
	v_mul_f32_e32 v9, s17, v9
	v_min_f32_e32 v8, v9, v8
	global_store_dword v[10:11], v8, off
	v_lshl_add_u64 v[8:9], v[74:75], 2, v[34:35]
	global_load_dword v8, v[8:9], off
	s_waitcnt vmcnt(0)
	v_mul_f32_e32 v9, s17, v8
.LBB66_174:
	v_pk_add_f32 v[2:3], v[2:3], v[6:7]
	v_pk_add_f32 v[0:1], v[0:1], v[4:5]
	v_min_f32_e32 v2, v2, v3
	v_min3_f32 v0, v0, v1, v92
	v_min3_f32 v2, v9, v2, v0
	v_lshl_add_u64 v[0:1], v[74:75], 2, v[32:33]
	global_store_dword v[0:1], v2, off
	s_endpgm
	.section	.rodata,"a",@progbits
	.p2align	6, 0x0
	.amdhsa_kernel _ZN12_GLOBAL__N_120geam_min_plus_kernelIf15HIP_vector_typeIfLj2EEfLi8ELi32ELi64ELi256ELi4ELi64ELi4ELi64ELi4ELc78ELc84ELb0ELb0ELb1EPKfS3_fEEviiiT16_PT17_ilS7_ilS5_S7_ilPT18_ili26rocblas_geam_ex_operation_
		.amdhsa_group_segment_fixed_size 10240
		.amdhsa_private_segment_fixed_size 0
		.amdhsa_kernarg_size 136
		.amdhsa_user_sgpr_count 2
		.amdhsa_user_sgpr_dispatch_ptr 0
		.amdhsa_user_sgpr_queue_ptr 0
		.amdhsa_user_sgpr_kernarg_segment_ptr 1
		.amdhsa_user_sgpr_dispatch_id 0
		.amdhsa_user_sgpr_kernarg_preload_length 0
		.amdhsa_user_sgpr_kernarg_preload_offset 0
		.amdhsa_user_sgpr_private_segment_size 0
		.amdhsa_uses_dynamic_stack 0
		.amdhsa_enable_private_segment 0
		.amdhsa_system_sgpr_workgroup_id_x 1
		.amdhsa_system_sgpr_workgroup_id_y 0
		.amdhsa_system_sgpr_workgroup_id_z 1
		.amdhsa_system_sgpr_workgroup_info 0
		.amdhsa_system_vgpr_workitem_id 1
		.amdhsa_next_free_vgpr 162
		.amdhsa_next_free_sgpr 32
		.amdhsa_accum_offset 164
		.amdhsa_reserve_vcc 1
		.amdhsa_float_round_mode_32 0
		.amdhsa_float_round_mode_16_64 0
		.amdhsa_float_denorm_mode_32 3
		.amdhsa_float_denorm_mode_16_64 3
		.amdhsa_dx10_clamp 1
		.amdhsa_ieee_mode 1
		.amdhsa_fp16_overflow 0
		.amdhsa_tg_split 0
		.amdhsa_exception_fp_ieee_invalid_op 0
		.amdhsa_exception_fp_denorm_src 0
		.amdhsa_exception_fp_ieee_div_zero 0
		.amdhsa_exception_fp_ieee_overflow 0
		.amdhsa_exception_fp_ieee_underflow 0
		.amdhsa_exception_fp_ieee_inexact 0
		.amdhsa_exception_int_div_zero 0
	.end_amdhsa_kernel
	.section	.text._ZN12_GLOBAL__N_120geam_min_plus_kernelIf15HIP_vector_typeIfLj2EEfLi8ELi32ELi64ELi256ELi4ELi64ELi4ELi64ELi4ELc78ELc84ELb0ELb0ELb1EPKfS3_fEEviiiT16_PT17_ilS7_ilS5_S7_ilPT18_ili26rocblas_geam_ex_operation_,"axG",@progbits,_ZN12_GLOBAL__N_120geam_min_plus_kernelIf15HIP_vector_typeIfLj2EEfLi8ELi32ELi64ELi256ELi4ELi64ELi4ELi64ELi4ELc78ELc84ELb0ELb0ELb1EPKfS3_fEEviiiT16_PT17_ilS7_ilS5_S7_ilPT18_ili26rocblas_geam_ex_operation_,comdat
.Lfunc_end66:
	.size	_ZN12_GLOBAL__N_120geam_min_plus_kernelIf15HIP_vector_typeIfLj2EEfLi8ELi32ELi64ELi256ELi4ELi64ELi4ELi64ELi4ELc78ELc84ELb0ELb0ELb1EPKfS3_fEEviiiT16_PT17_ilS7_ilS5_S7_ilPT18_ili26rocblas_geam_ex_operation_, .Lfunc_end66-_ZN12_GLOBAL__N_120geam_min_plus_kernelIf15HIP_vector_typeIfLj2EEfLi8ELi32ELi64ELi256ELi4ELi64ELi4ELi64ELi4ELc78ELc84ELb0ELb0ELb1EPKfS3_fEEviiiT16_PT17_ilS7_ilS5_S7_ilPT18_ili26rocblas_geam_ex_operation_
                                        ; -- End function
	.set _ZN12_GLOBAL__N_120geam_min_plus_kernelIf15HIP_vector_typeIfLj2EEfLi8ELi32ELi64ELi256ELi4ELi64ELi4ELi64ELi4ELc78ELc84ELb0ELb0ELb1EPKfS3_fEEviiiT16_PT17_ilS7_ilS5_S7_ilPT18_ili26rocblas_geam_ex_operation_.num_vgpr, 162
	.set _ZN12_GLOBAL__N_120geam_min_plus_kernelIf15HIP_vector_typeIfLj2EEfLi8ELi32ELi64ELi256ELi4ELi64ELi4ELi64ELi4ELc78ELc84ELb0ELb0ELb1EPKfS3_fEEviiiT16_PT17_ilS7_ilS5_S7_ilPT18_ili26rocblas_geam_ex_operation_.num_agpr, 0
	.set _ZN12_GLOBAL__N_120geam_min_plus_kernelIf15HIP_vector_typeIfLj2EEfLi8ELi32ELi64ELi256ELi4ELi64ELi4ELi64ELi4ELc78ELc84ELb0ELb0ELb1EPKfS3_fEEviiiT16_PT17_ilS7_ilS5_S7_ilPT18_ili26rocblas_geam_ex_operation_.numbered_sgpr, 32
	.set _ZN12_GLOBAL__N_120geam_min_plus_kernelIf15HIP_vector_typeIfLj2EEfLi8ELi32ELi64ELi256ELi4ELi64ELi4ELi64ELi4ELc78ELc84ELb0ELb0ELb1EPKfS3_fEEviiiT16_PT17_ilS7_ilS5_S7_ilPT18_ili26rocblas_geam_ex_operation_.num_named_barrier, 0
	.set _ZN12_GLOBAL__N_120geam_min_plus_kernelIf15HIP_vector_typeIfLj2EEfLi8ELi32ELi64ELi256ELi4ELi64ELi4ELi64ELi4ELc78ELc84ELb0ELb0ELb1EPKfS3_fEEviiiT16_PT17_ilS7_ilS5_S7_ilPT18_ili26rocblas_geam_ex_operation_.private_seg_size, 0
	.set _ZN12_GLOBAL__N_120geam_min_plus_kernelIf15HIP_vector_typeIfLj2EEfLi8ELi32ELi64ELi256ELi4ELi64ELi4ELi64ELi4ELc78ELc84ELb0ELb0ELb1EPKfS3_fEEviiiT16_PT17_ilS7_ilS5_S7_ilPT18_ili26rocblas_geam_ex_operation_.uses_vcc, 1
	.set _ZN12_GLOBAL__N_120geam_min_plus_kernelIf15HIP_vector_typeIfLj2EEfLi8ELi32ELi64ELi256ELi4ELi64ELi4ELi64ELi4ELc78ELc84ELb0ELb0ELb1EPKfS3_fEEviiiT16_PT17_ilS7_ilS5_S7_ilPT18_ili26rocblas_geam_ex_operation_.uses_flat_scratch, 0
	.set _ZN12_GLOBAL__N_120geam_min_plus_kernelIf15HIP_vector_typeIfLj2EEfLi8ELi32ELi64ELi256ELi4ELi64ELi4ELi64ELi4ELc78ELc84ELb0ELb0ELb1EPKfS3_fEEviiiT16_PT17_ilS7_ilS5_S7_ilPT18_ili26rocblas_geam_ex_operation_.has_dyn_sized_stack, 0
	.set _ZN12_GLOBAL__N_120geam_min_plus_kernelIf15HIP_vector_typeIfLj2EEfLi8ELi32ELi64ELi256ELi4ELi64ELi4ELi64ELi4ELc78ELc84ELb0ELb0ELb1EPKfS3_fEEviiiT16_PT17_ilS7_ilS5_S7_ilPT18_ili26rocblas_geam_ex_operation_.has_recursion, 0
	.set _ZN12_GLOBAL__N_120geam_min_plus_kernelIf15HIP_vector_typeIfLj2EEfLi8ELi32ELi64ELi256ELi4ELi64ELi4ELi64ELi4ELc78ELc84ELb0ELb0ELb1EPKfS3_fEEviiiT16_PT17_ilS7_ilS5_S7_ilPT18_ili26rocblas_geam_ex_operation_.has_indirect_call, 0
	.section	.AMDGPU.csdata,"",@progbits
; Kernel info:
; codeLenInByte = 16692
; TotalNumSgprs: 38
; NumVgprs: 162
; NumAgprs: 0
; TotalNumVgprs: 162
; ScratchSize: 0
; MemoryBound: 0
; FloatMode: 240
; IeeeMode: 1
; LDSByteSize: 10240 bytes/workgroup (compile time only)
; SGPRBlocks: 4
; VGPRBlocks: 20
; NumSGPRsForWavesPerEU: 38
; NumVGPRsForWavesPerEU: 162
; AccumOffset: 164
; Occupancy: 3
; WaveLimiterHint : 1
; COMPUTE_PGM_RSRC2:SCRATCH_EN: 0
; COMPUTE_PGM_RSRC2:USER_SGPR: 2
; COMPUTE_PGM_RSRC2:TRAP_HANDLER: 0
; COMPUTE_PGM_RSRC2:TGID_X_EN: 1
; COMPUTE_PGM_RSRC2:TGID_Y_EN: 0
; COMPUTE_PGM_RSRC2:TGID_Z_EN: 1
; COMPUTE_PGM_RSRC2:TIDIG_COMP_CNT: 1
; COMPUTE_PGM_RSRC3_GFX90A:ACCUM_OFFSET: 40
; COMPUTE_PGM_RSRC3_GFX90A:TG_SPLIT: 0
	.section	.text._ZN12_GLOBAL__N_120geam_min_plus_kernelIf15HIP_vector_typeIfLj2EEfLi8ELi32ELi64ELi256ELi4ELi64ELi4ELi64ELi4ELc78ELc84ELb1ELb0ELb1EfKffEEviiiT16_PT17_ilS6_ilS4_S6_ilPT18_ili26rocblas_geam_ex_operation_,"axG",@progbits,_ZN12_GLOBAL__N_120geam_min_plus_kernelIf15HIP_vector_typeIfLj2EEfLi8ELi32ELi64ELi256ELi4ELi64ELi4ELi64ELi4ELc78ELc84ELb1ELb0ELb1EfKffEEviiiT16_PT17_ilS6_ilS4_S6_ilPT18_ili26rocblas_geam_ex_operation_,comdat
	.globl	_ZN12_GLOBAL__N_120geam_min_plus_kernelIf15HIP_vector_typeIfLj2EEfLi8ELi32ELi64ELi256ELi4ELi64ELi4ELi64ELi4ELc78ELc84ELb1ELb0ELb1EfKffEEviiiT16_PT17_ilS6_ilS4_S6_ilPT18_ili26rocblas_geam_ex_operation_ ; -- Begin function _ZN12_GLOBAL__N_120geam_min_plus_kernelIf15HIP_vector_typeIfLj2EEfLi8ELi32ELi64ELi256ELi4ELi64ELi4ELi64ELi4ELc78ELc84ELb1ELb0ELb1EfKffEEviiiT16_PT17_ilS6_ilS4_S6_ilPT18_ili26rocblas_geam_ex_operation_
	.p2align	8
	.type	_ZN12_GLOBAL__N_120geam_min_plus_kernelIf15HIP_vector_typeIfLj2EEfLi8ELi32ELi64ELi256ELi4ELi64ELi4ELi64ELi4ELc78ELc84ELb1ELb0ELb1EfKffEEviiiT16_PT17_ilS6_ilS4_S6_ilPT18_ili26rocblas_geam_ex_operation_,@function
_ZN12_GLOBAL__N_120geam_min_plus_kernelIf15HIP_vector_typeIfLj2EEfLi8ELi32ELi64ELi256ELi4ELi64ELi4ELi64ELi4ELc78ELc84ELb1ELb0ELb1EfKffEEviiiT16_PT17_ilS6_ilS4_S6_ilPT18_ili26rocblas_geam_ex_operation_: ; @_ZN12_GLOBAL__N_120geam_min_plus_kernelIf15HIP_vector_typeIfLj2EEfLi8ELi32ELi64ELi256ELi4ELi64ELi4ELi64ELi4ELc78ELc84ELb1ELb0ELb1EfKffEEviiiT16_PT17_ilS6_ilS4_S6_ilPT18_ili26rocblas_geam_ex_operation_
; %bb.0:
	s_load_dwordx2 s[14:15], s[0:1], 0x8
	s_load_dwordx4 s[4:7], s[0:1], 0x20
	s_waitcnt lgkmcnt(0)
	v_cmp_eq_f32_e64 s[8:9], s15, 0
	s_and_b64 vcc, exec, s[8:9]
	s_cbranch_vccnz .LBB67_139
; %bb.1:
	s_load_dwordx2 s[10:11], s[0:1], 0x10
	s_mul_i32 s5, s5, s3
	s_mul_hi_u32 s12, s4, s3
	s_add_i32 s5, s12, s5
	s_mul_i32 s4, s4, s3
	s_lshl_b64 s[4:5], s[4:5], 2
	s_waitcnt lgkmcnt(0)
	s_add_u32 s16, s10, s4
	s_addc_u32 s17, s11, s5
	s_andn2_b64 vcc, exec, s[8:9]
	s_mov_b64 s[4:5], -1
	s_cbranch_vccnz .LBB67_3
.LBB67_2:
	s_mov_b64 s[4:5], 0
.LBB67_3:
	s_mov_b64 s[12:13], 0
	s_andn2_b64 vcc, exec, s[4:5]
	s_mov_b64 s[18:19], 0
	s_cbranch_vccnz .LBB67_5
; %bb.4:
	s_load_dwordx2 s[4:5], s[0:1], 0x38
	s_waitcnt lgkmcnt(0)
	s_mul_i32 s5, s5, s3
	s_mul_hi_u32 s8, s4, s3
	s_add_i32 s5, s8, s5
	s_mul_i32 s4, s4, s3
	s_lshl_b64 s[4:5], s[4:5], 2
	s_add_u32 s18, s6, s4
	s_addc_u32 s19, s7, s5
.LBB67_5:
	s_load_dword s15, s[0:1], 0x40
	s_load_dwordx4 s[8:11], s[0:1], 0x58
	s_waitcnt lgkmcnt(0)
	v_cmp_eq_f32_e64 s[4:5], s15, 0
	s_and_b64 s[4:5], exec, s[4:5]
	s_mov_b64 vcc, s[4:5]
	s_cbranch_vccnz .LBB67_7
; %bb.6:
	s_load_dwordx2 s[6:7], s[0:1], 0x48
	s_mul_i32 s9, s9, s3
	s_mul_hi_u32 s12, s8, s3
	s_add_i32 s9, s12, s9
	s_mul_i32 s8, s8, s3
	s_lshl_b64 s[8:9], s[8:9], 2
	s_waitcnt lgkmcnt(0)
	s_add_u32 s12, s6, s8
	s_addc_u32 s13, s7, s9
.LBB67_7:
	s_load_dword s6, s[0:1], 0x0
	s_load_dword s20, s[0:1], 0x18
	;; [unrolled: 1-line block ×3, first 2 shown]
	v_and_b32_e32 v76, 0x3ff, v0
	v_bfe_u32 v77, v0, 10, 10
	s_waitcnt lgkmcnt(0)
	s_add_i32 s6, s6, -1
	s_ashr_i32 s7, s6, 31
	s_lshr_b32 s7, s7, 26
	s_add_i32 s6, s6, s7
	s_ashr_i32 s8, s6, 6
	s_add_i32 s9, s8, 1
	v_cvt_f32_u32_e32 v1, s9
	v_lshlrev_b32_e32 v79, 4, v76
	v_lshlrev_b32_e32 v78, 4, v77
	v_rcp_iflag_f32_e32 v0, v1
	v_lshl_add_u32 v1, v77, 3, v76
	v_lshrrev_b32_e32 v58, 6, v1
	v_and_b32_e32 v8, 63, v1
	v_mul_f32_e32 v0, 0x4f7ffffe, v0
	v_cvt_u32_f32_e32 v2, v0
	v_mad_i64_i32 v[0:1], s[6:7], s20, v58, 0
	s_not_b32 s6, s8
	v_readfirstlane_b32 s7, v2
	s_mul_i32 s6, s6, s7
	s_mul_hi_u32 s6, s7, s6
	s_add_i32 s7, s7, s6
	s_mul_hi_u32 s6, s2, s7
	s_mul_i32 s7, s6, s9
	s_sub_i32 s7, s2, s7
	s_add_i32 s8, s6, 1
	s_sub_i32 s21, s7, s9
	s_cmp_ge_u32 s7, s9
	s_cselect_b32 s6, s8, s6
	s_cselect_b32 s7, s21, s7
	s_add_i32 s8, s6, 1
	s_cmp_ge_u32 s7, s9
	s_cselect_b32 s6, s8, s6
	s_mul_i32 s7, s6, s9
	s_lshl_b32 s24, s6, 8
	s_sub_i32 s2, s2, s7
	s_lshl_b32 s2, s2, 6
	v_or_b32_e32 v4, s24, v8
	v_or_b32_e32 v56, s2, v8
	v_mad_i64_i32 v[6:7], s[6:7], s22, v58, 0
	v_ashrrev_i32_e32 v5, 31, v4
	v_ashrrev_i32_e32 v57, 31, v56
	v_lshl_add_u64 v[6:7], v[6:7], 2, s[18:19]
	v_lshlrev_b64 v[64:65], 2, v[4:5]
	v_lshl_add_u64 v[0:1], v[0:1], 2, s[16:17]
	v_lshlrev_b64 v[2:3], 2, v[56:57]
	v_lshl_add_u64 v[4:5], v[6:7], 0, v[64:65]
	v_lshl_add_u64 v[0:1], v[0:1], 0, v[2:3]
	global_load_dword v6, v[4:5], off
	global_load_dword v7, v[4:5], off offset:256
	global_load_dword v9, v[4:5], off offset:512
	;; [unrolled: 1-line block ×3, first 2 shown]
	global_load_dword v11, v[0:1], off
	v_add_u32_e32 v4, 4, v58
	v_lshlrev_b32_e32 v0, 4, v8
	v_lshl_add_u32 v80, v58, 2, v0
	v_mad_i64_i32 v[0:1], s[8:9], s20, v4, 0
	v_mad_i64_i32 v[4:5], s[8:9], s22, v4, 0
	v_lshl_add_u64 v[0:1], v[0:1], 2, s[16:17]
	v_lshl_add_u64 v[4:5], v[4:5], 2, s[18:19]
	;; [unrolled: 1-line block ×4, first 2 shown]
	global_load_dword v59, v[4:5], off
	global_load_dword v60, v[4:5], off offset:256
	global_load_dword v61, v[4:5], off offset:512
	;; [unrolled: 1-line block ×3, first 2 shown]
	global_load_dword v63, v[0:1], off
	s_mov_b32 s6, 0x7f7fffff
	s_cmp_lt_i32 s14, 9
	s_waitcnt vmcnt(8)
	ds_write2st64_b32 v80, v6, v7 offset1:4
	s_waitcnt vmcnt(6)
	ds_write2st64_b32 v80, v9, v10 offset0:8 offset1:12
	s_waitcnt vmcnt(5)
	ds_write_b32 v80, v11 offset:8192
	s_waitcnt lgkmcnt(0)
	s_barrier
	ds_read_b128 v[28:31], v79 offset:8192
	ds_read_b128 v[24:27], v79 offset:8320
	;; [unrolled: 1-line block ×8, first 2 shown]
	ds_read_b128 v[52:55], v78
	ds_read_b128 v[48:51], v78 offset:512
	ds_read_b128 v[44:47], v78 offset:1024
	;; [unrolled: 1-line block ×5, first 2 shown]
	s_waitcnt lgkmcnt(5)
	v_pk_add_f32 v[66:67], v[28:29], v[52:53]
	v_pk_add_f32 v[68:69], v[24:25], v[52:53]
	;; [unrolled: 1-line block ×4, first 2 shown]
	s_waitcnt lgkmcnt(4)
	v_pk_add_f32 v[86:87], v[28:29], v[48:49]
	v_pk_add_f32 v[88:89], v[24:25], v[48:49]
	;; [unrolled: 1-line block ×8, first 2 shown]
	v_min3_f32 v66, v66, v67, s6
	v_min3_f32 v67, v68, v69, s6
	;; [unrolled: 1-line block ×5, first 2 shown]
	s_waitcnt lgkmcnt(3)
	v_pk_add_f32 v[48:49], v[20:21], v[44:45]
	v_pk_add_f32 v[70:71], v[20:21], v[52:53]
	;; [unrolled: 1-line block ×3, first 2 shown]
	v_min3_f32 v73, v88, v89, s6
	v_min3_f32 v89, v48, v49, s6
	v_pk_add_f32 v[48:49], v[16:17], v[44:45]
	v_min3_f32 v68, v70, v71, s6
	v_min3_f32 v70, v74, v75, s6
	;; [unrolled: 1-line block ×4, first 2 shown]
	v_pk_add_f32 v[48:49], v[12:13], v[44:45]
	v_pk_add_f32 v[100:101], v[28:29], v[44:45]
	v_min3_f32 v91, v48, v49, s6
	v_pk_add_f32 v[48:49], v[8:9], v[44:45]
	v_pk_add_f32 v[102:103], v[24:25], v[44:45]
	v_min3_f32 v75, v92, v93, s6
	v_min3_f32 v92, v48, v49, s6
	v_pk_add_f32 v[48:49], v[4:5], v[44:45]
	v_pk_add_f32 v[44:45], v[0:1], v[44:45]
	v_min3_f32 v81, v94, v95, s6
	v_min3_f32 v94, v44, v45, s6
	s_waitcnt lgkmcnt(2)
	v_pk_add_f32 v[44:45], v[28:29], v[40:41]
	v_pk_add_f32 v[82:83], v[8:9], v[52:53]
	v_min3_f32 v95, v44, v45, s6
	v_pk_add_f32 v[44:45], v[24:25], v[40:41]
	v_min3_f32 v71, v82, v83, s6
	v_min3_f32 v82, v96, v97, s6
	v_min3_f32 v96, v44, v45, s6
	v_pk_add_f32 v[44:45], v[20:21], v[40:41]
	v_min3_f32 v83, v98, v99, s6
	v_min3_f32 v97, v44, v45, s6
	v_pk_add_f32 v[44:45], v[16:17], v[40:41]
	v_min3_f32 v85, v100, v101, s6
	v_min3_f32 v98, v44, v45, s6
	v_pk_add_f32 v[44:45], v[12:13], v[40:41]
	v_pk_add_f32 v[52:53], v[0:1], v[52:53]
	v_min3_f32 v99, v44, v45, s6
	v_pk_add_f32 v[44:45], v[8:9], v[40:41]
	v_min3_f32 v52, v52, v53, s6
	v_min3_f32 v100, v44, v45, s6
	v_pk_add_f32 v[44:45], v[4:5], v[40:41]
	v_pk_add_f32 v[40:41], v[0:1], v[40:41]
	v_min3_f32 v44, v44, v45, s6
	v_min3_f32 v45, v40, v41, s6
	s_waitcnt lgkmcnt(1)
	v_pk_add_f32 v[40:41], v[28:29], v[36:37]
	v_min3_f32 v53, v86, v87, s6
	v_min3_f32 v101, v40, v41, s6
	v_pk_add_f32 v[40:41], v[24:25], v[36:37]
	v_min3_f32 v86, v102, v103, s6
	v_min3_f32 v102, v40, v41, s6
	;; [unrolled: 3-line block ×3, first 2 shown]
	v_pk_add_f32 v[40:41], v[16:17], v[36:37]
	s_nop 0
	v_min3_f32 v104, v40, v41, s6
	v_pk_add_f32 v[40:41], v[12:13], v[36:37]
	s_nop 0
	v_min3_f32 v105, v40, v41, s6
	;; [unrolled: 3-line block ×3, first 2 shown]
	v_pk_add_f32 v[40:41], v[4:5], v[36:37]
	v_pk_add_f32 v[36:37], v[0:1], v[36:37]
	v_min3_f32 v107, v40, v41, s6
	v_min3_f32 v108, v36, v37, s6
	s_waitcnt lgkmcnt(0)
	v_pk_add_f32 v[36:37], v[28:29], v[32:33]
	v_pk_add_f32 v[40:41], v[4:5], v[32:33]
	v_min3_f32 v109, v36, v37, s6
	v_pk_add_f32 v[36:37], v[24:25], v[32:33]
	v_min3_f32 v40, v40, v41, s6
	v_min3_f32 v110, v36, v37, s6
	v_pk_add_f32 v[36:37], v[20:21], v[32:33]
	s_nop 0
	v_min3_f32 v111, v36, v37, s6
	v_pk_add_f32 v[36:37], v[16:17], v[32:33]
	s_nop 0
	;; [unrolled: 3-line block ×10, first 2 shown]
	v_min3_f32 v66, v36, v37, s6
	v_pk_add_f32 v[36:37], v[8:9], v[32:33]
	v_pk_add_f32 v[32:33], v[0:1], v[32:33]
	v_min3_f32 v67, v36, v37, s6
	v_min3_f32 v41, v32, v33, s6
	v_pk_add_f32 v[32:33], v[30:31], v[50:51]
	v_pk_add_f32 v[36:37], v[2:3], v[54:55]
	v_min3_f32 v148, v32, v33, v53
	v_pk_add_f32 v[32:33], v[26:27], v[50:51]
	v_min3_f32 v147, v36, v37, v52
	v_min3_f32 v145, v32, v33, v73
	v_pk_add_f32 v[32:33], v[22:23], v[50:51]
	ds_read_b128 v[52:55], v78 offset:3584
	v_min3_f32 v146, v32, v33, v74
	v_pk_add_f32 v[32:33], v[18:19], v[50:51]
	s_nop 0
	v_min3_f32 v143, v32, v33, v75
	v_pk_add_f32 v[32:33], v[14:15], v[50:51]
	s_nop 0
	;; [unrolled: 3-line block ×4, first 2 shown]
	v_min3_f32 v142, v32, v33, v83
	v_pk_add_f32 v[32:33], v[2:3], v[50:51]
	ds_read_b128 v[48:51], v78 offset:3072
	v_min3_f32 v139, v32, v33, v84
	v_pk_add_f32 v[32:33], v[30:31], v[46:47]
	s_waitcnt vmcnt(0)
	ds_write_b32 v80, v63 offset:9216
	ds_write2st64_b32 v80, v59, v60 offset0:16 offset1:20
	ds_write2st64_b32 v80, v61, v62 offset0:24 offset1:28
	v_min3_f32 v141, v32, v33, v85
	v_pk_add_f32 v[32:33], v[26:27], v[46:47]
	s_waitcnt lgkmcnt(3)
	v_pk_add_f32 v[36:37], v[20:21], v[48:49]
	v_min3_f32 v136, v32, v33, v86
	v_pk_add_f32 v[32:33], v[22:23], v[46:47]
	v_pk_add_f32 v[20:21], v[20:21], v[52:53]
	v_min3_f32 v138, v32, v33, v89
	v_pk_add_f32 v[32:33], v[18:19], v[46:47]
	v_min3_f32 v20, v20, v21, s6
	v_min3_f32 v133, v32, v33, v90
	v_pk_add_f32 v[32:33], v[14:15], v[46:47]
	s_waitcnt lgkmcnt(0)
	v_min3_f32 v134, v32, v33, v91
	v_pk_add_f32 v[32:33], v[10:11], v[46:47]
	s_barrier
	v_min3_f32 v129, v32, v33, v92
	v_pk_add_f32 v[32:33], v[6:7], v[46:47]
	s_nop 0
	v_min3_f32 v130, v32, v33, v93
	v_pk_add_f32 v[32:33], v[28:29], v[48:49]
	v_pk_add_f32 v[28:29], v[28:29], v[52:53]
	v_min3_f32 v68, v32, v33, s6
	v_pk_add_f32 v[32:33], v[24:25], v[48:49]
	v_min3_f32 v28, v28, v29, s6
	v_min3_f32 v69, v32, v33, s6
	v_pk_add_f32 v[32:33], v[2:3], v[46:47]
	v_min3_f32 v46, v36, v37, s6
	v_min3_f32 v135, v32, v33, v94
	v_pk_add_f32 v[32:33], v[30:31], v[42:43]
	v_pk_add_f32 v[36:37], v[16:17], v[48:49]
	v_min3_f32 v137, v32, v33, v95
	v_pk_add_f32 v[32:33], v[26:27], v[42:43]
	v_min3_f32 v47, v36, v37, s6
	v_min3_f32 v131, v32, v33, v96
	v_pk_add_f32 v[32:33], v[22:23], v[42:43]
	v_pk_add_f32 v[36:37], v[4:5], v[48:49]
	v_min3_f32 v132, v32, v33, v97
	v_pk_add_f32 v[32:33], v[18:19], v[42:43]
	v_pk_add_f32 v[4:5], v[4:5], v[52:53]
	;; [unrolled: 3-line block ×4, first 2 shown]
	v_min3_f32 v125, v32, v33, v100
	v_pk_add_f32 v[32:33], v[6:7], v[42:43]
	v_min3_f32 v4, v4, v5, s6
	v_min3_f32 v126, v32, v33, v44
	v_pk_add_f32 v[32:33], v[12:13], v[48:49]
	v_min3_f32 v29, v24, v25, s6
	;; [unrolled: 3-line block ×4, first 2 shown]
	v_min3_f32 v123, v32, v33, v45
	v_pk_add_f32 v[32:33], v[30:31], v[38:39]
	v_pk_add_f32 v[36:37], v[0:1], v[48:49]
	v_min3_f32 v124, v32, v33, v101
	v_pk_add_f32 v[32:33], v[26:27], v[38:39]
	v_pk_add_f32 v[0:1], v[0:1], v[52:53]
	v_min3_f32 v121, v32, v33, v102
	v_pk_add_f32 v[32:33], v[22:23], v[38:39]
	v_min3_f32 v5, v0, v1, s6
	v_min3_f32 v122, v32, v33, v103
	v_pk_add_f32 v[32:33], v[18:19], v[38:39]
	v_pk_add_f32 v[0:1], v[30:31], v[54:55]
	v_min3_f32 v119, v32, v33, v104
	v_pk_add_f32 v[32:33], v[14:15], v[38:39]
	v_pk_add_f32 v[16:17], v[30:31], v[50:51]
	v_min3_f32 v120, v32, v33, v105
	v_pk_add_f32 v[32:33], v[10:11], v[38:39]
	v_min3_f32 v100, v0, v1, v28
	v_min3_f32 v117, v32, v33, v106
	v_pk_add_f32 v[32:33], v[6:7], v[38:39]
	v_pk_add_f32 v[0:1], v[26:27], v[54:55]
	v_min3_f32 v118, v32, v33, v107
	v_pk_add_f32 v[32:33], v[2:3], v[38:39]
	v_min3_f32 v96, v0, v1, v29
	v_min3_f32 v115, v32, v33, v108
	v_pk_add_f32 v[32:33], v[30:31], v[34:35]
	v_pk_add_f32 v[0:1], v[22:23], v[54:55]
	v_min3_f32 v116, v32, v33, v109
	v_pk_add_f32 v[32:33], v[26:27], v[34:35]
	v_pk_add_f32 v[12:13], v[12:13], v[52:53]
	v_min3_f32 v113, v32, v33, v110
	v_min3_f32 v110, v16, v17, v68
	v_pk_add_f32 v[16:17], v[26:27], v[50:51]
	v_pk_add_f32 v[32:33], v[22:23], v[34:35]
	v_min3_f32 v105, v16, v17, v69
	v_pk_add_f32 v[16:17], v[22:23], v[50:51]
	v_min3_f32 v97, v0, v1, v20
	;; [unrolled: 2-line block ×9, first 2 shown]
	v_min3_f32 v95, v0, v1, v12
	v_pk_add_f32 v[0:1], v[10:11], v[54:55]
	v_min3_f32 v112, v32, v33, v66
	v_pk_add_f32 v[32:33], v[10:11], v[34:35]
	;; [unrolled: 2-line block ×4, first 2 shown]
	v_min3_f32 v36, v36, v37, s6
	v_min3_f32 v108, v32, v33, v67
	v_pk_add_f32 v[32:33], v[6:7], v[34:35]
	v_pk_add_f32 v[24:25], v[2:3], v[34:35]
	v_min3_f32 v101, v16, v17, v70
	v_pk_add_f32 v[16:17], v[6:7], v[50:51]
	v_pk_add_f32 v[8:9], v[2:3], v[50:51]
	v_min3_f32 v93, v0, v1, v4
	v_pk_add_f32 v[0:1], v[2:3], v[54:55]
	v_min3_f32 v109, v32, v33, v40
	v_min3_f32 v107, v24, v25, v41
	;; [unrolled: 1-line block ×5, first 2 shown]
	s_cbranch_scc1 .LBB67_10
; %bb.8:
	v_mov_b32_e32 v0, 0x2400
	v_lshl_add_u32 v85, v76, 4, v0
	v_mov_b32_e32 v0, 0x1000
	v_add_u32_e32 v2, 12, v58
	v_lshl_add_u32 v86, v77, 4, v0
	v_mad_i64_i32 v[0:1], s[6:7], v2, s20, 0
	v_add_u32_e32 v3, 8, v58
	v_lshlrev_b64 v[68:69], 2, v[0:1]
	v_mad_i64_i32 v[0:1], s[8:9], v3, s22, 0
	v_lshl_add_u64 v[66:67], v[56:57], 2, s[16:17]
	v_lshl_add_u64 v[70:71], v[0:1], 2, s[18:19]
	v_mad_i64_i32 v[0:1], s[16:17], v3, s20, 0
	s_ashr_i32 s21, s20, 31
	s_ashr_i32 s23, s22, 31
	v_lshlrev_b64 v[72:73], 2, v[0:1]
	v_mad_i64_i32 v[0:1], s[16:17], v2, s22, 0
	v_or_b32_e32 v81, 0x2000, v80
	v_add_u32_e32 v82, 0x2000, v79
	v_add_u32_e32 v83, 0x2400, v80
	v_or_b32_e32 v84, 0x1000, v80
	s_add_i32 s14, s14, -8
	s_lshl_b64 s[6:7], s[20:21], 5
	s_lshl_b64 s[8:9], s[22:23], 5
	v_lshl_add_u64 v[74:75], v[0:1], 2, s[18:19]
	s_mov_b32 s16, 0
.LBB67_9:                               ; =>This Inner Loop Header: Depth=1
	v_lshl_add_u64 v[0:1], v[66:67], 0, v[72:73]
	global_load_dword v155, v[0:1], off
	v_lshl_add_u64 v[0:1], v[70:71], 0, v[64:65]
	global_load_dword v90, v[0:1], off
	global_load_dword v154, v[0:1], off offset:256
	global_load_dword v89, v[0:1], off offset:512
	;; [unrolled: 1-line block ×3, first 2 shown]
	ds_read_b128 v[32:35], v85
	ds_read_b128 v[24:27], v85 offset:128
	ds_read_b128 v[20:23], v85 offset:256
	;; [unrolled: 1-line block ×7, first 2 shown]
	ds_read_b128 v[60:63], v86
	ds_read_b128 v[56:59], v86 offset:512
	ds_read_b128 v[52:55], v86 offset:1024
	;; [unrolled: 1-line block ×7, first 2 shown]
	s_waitcnt lgkmcnt(7)
	v_pk_add_f32 v[156:157], v[32:33], v[60:61]
	s_add_i32 s16, s16, 8
	v_min3_f32 v158, v156, v157, v88
	v_pk_add_f32 v[156:157], v[24:25], v[60:61]
	v_lshl_add_u64 v[70:71], v[70:71], 0, s[8:9]
	v_min3_f32 v159, v156, v157, v152
	v_pk_add_f32 v[156:157], v[20:21], v[60:61]
	s_cmp_ge_i32 s16, s14
	v_min3_f32 v156, v156, v157, v153
	v_pk_add_f32 v[152:153], v[16:17], v[60:61]
	s_waitcnt vmcnt(4)
	ds_write_b32 v81, v155
	s_waitcnt vmcnt(2)
	ds_write2st64_b32 v80, v90, v154 offset1:4
	s_waitcnt vmcnt(0)
	ds_write2st64_b32 v80, v89, v91 offset0:8 offset1:12
	v_min3_f32 v157, v152, v153, v150
	v_pk_add_f32 v[152:153], v[12:13], v[60:61]
	s_waitcnt lgkmcnt(0)
	v_min3_f32 v152, v152, v153, v151
	v_pk_add_f32 v[150:151], v[8:9], v[60:61]
	s_barrier
	v_min3_f32 v149, v150, v151, v149
	v_pk_add_f32 v[150:151], v[4:5], v[60:61]
	v_pk_add_f32 v[60:61], v[0:1], v[60:61]
	v_min3_f32 v150, v150, v151, v87
	v_min3_f32 v151, v60, v61, v147
	v_pk_add_f32 v[60:61], v[32:33], v[56:57]
	s_nop 0
	v_min3_f32 v148, v60, v61, v148
	v_pk_add_f32 v[60:61], v[24:25], v[56:57]
	s_nop 0
	v_min3_f32 v153, v60, v61, v145
	v_pk_add_f32 v[60:61], v[20:21], v[56:57]
	s_nop 0
	v_min3_f32 v160, v60, v61, v146
	v_pk_add_f32 v[60:61], v[16:17], v[56:57]
	s_nop 0
	v_min3_f32 v161, v60, v61, v143
	v_pk_add_f32 v[60:61], v[12:13], v[56:57]
	s_nop 0
	v_min3_f32 v147, v60, v61, v144
	v_pk_add_f32 v[60:61], v[8:9], v[56:57]
	s_nop 0
	v_min3_f32 v146, v60, v61, v140
	v_pk_add_f32 v[60:61], v[4:5], v[56:57]
	v_pk_add_f32 v[56:57], v[0:1], v[56:57]
	v_min3_f32 v145, v60, v61, v142
	v_min3_f32 v144, v56, v57, v139
	v_pk_add_f32 v[56:57], v[32:33], v[52:53]
	s_nop 0
	v_min3_f32 v143, v56, v57, v141
	v_pk_add_f32 v[56:57], v[24:25], v[52:53]
	s_nop 0
	v_min3_f32 v142, v56, v57, v136
	v_pk_add_f32 v[56:57], v[20:21], v[52:53]
	s_nop 0
	v_min3_f32 v141, v56, v57, v138
	v_pk_add_f32 v[56:57], v[16:17], v[52:53]
	s_nop 0
	v_min3_f32 v140, v56, v57, v133
	v_pk_add_f32 v[56:57], v[12:13], v[52:53]
	s_nop 0
	v_min3_f32 v139, v56, v57, v134
	v_pk_add_f32 v[56:57], v[8:9], v[52:53]
	s_nop 0
	;; [unrolled: 22-line block ×5, first 2 shown]
	v_min3_f32 v57, v44, v45, v108
	v_pk_add_f32 v[44:45], v[4:5], v[40:41]
	v_pk_add_f32 v[40:41], v[0:1], v[40:41]
	v_min3_f32 v56, v44, v45, v109
	v_min3_f32 v53, v40, v41, v107
	v_pk_add_f32 v[40:41], v[32:33], v[36:37]
	v_pk_add_f32 v[32:33], v[32:33], v[28:29]
	v_min3_f32 v52, v40, v41, v110
	v_pk_add_f32 v[40:41], v[24:25], v[36:37]
	v_pk_add_f32 v[24:25], v[24:25], v[28:29]
	;; [unrolled: 3-line block ×6, first 2 shown]
	v_pk_add_f32 v[36:37], v[0:1], v[36:37]
	v_pk_add_f32 v[8:9], v[8:9], v[28:29]
	;; [unrolled: 1-line block ×5, first 2 shown]
	v_min3_f32 v36, v36, v37, v99
	v_min3_f32 v99, v28, v29, v158
	v_pk_add_f32 v[28:29], v[26:27], v[62:63]
	v_min3_f32 v0, v0, v1, v98
	v_min3_f32 v98, v28, v29, v159
	v_pk_add_f32 v[28:29], v[22:23], v[62:63]
	;; [unrolled: 3-line block ×11, first 2 shown]
	s_nop 0
	v_min3_f32 v103, v28, v29, v161
	v_pk_add_f32 v[28:29], v[14:15], v[58:59]
	s_nop 0
	v_min3_f32 v104, v28, v29, v147
	v_pk_add_f32 v[28:29], v[10:11], v[58:59]
	s_nop 0
	v_min3_f32 v105, v28, v29, v146
	v_pk_add_f32 v[28:29], v[6:7], v[58:59]
	s_nop 0
	v_min3_f32 v106, v28, v29, v145
	v_pk_add_f32 v[28:29], v[2:3], v[58:59]
	s_nop 0
	v_min3_f32 v107, v28, v29, v144
	v_pk_add_f32 v[28:29], v[34:35], v[54:55]
	s_nop 0
	v_min3_f32 v108, v28, v29, v143
	v_pk_add_f32 v[28:29], v[26:27], v[54:55]
	s_nop 0
	v_min3_f32 v109, v28, v29, v142
	v_pk_add_f32 v[28:29], v[22:23], v[54:55]
	s_nop 0
	v_min3_f32 v110, v28, v29, v141
	v_pk_add_f32 v[28:29], v[18:19], v[54:55]
	s_nop 0
	v_min3_f32 v111, v28, v29, v140
	v_pk_add_f32 v[28:29], v[14:15], v[54:55]
	s_nop 0
	v_min3_f32 v112, v28, v29, v139
	v_pk_add_f32 v[28:29], v[10:11], v[54:55]
	s_nop 0
	v_min3_f32 v113, v28, v29, v138
	v_pk_add_f32 v[28:29], v[6:7], v[54:55]
	s_nop 0
	v_min3_f32 v114, v28, v29, v136
	v_pk_add_f32 v[28:29], v[2:3], v[54:55]
	s_nop 0
	v_min3_f32 v116, v28, v29, v134
	v_pk_add_f32 v[28:29], v[34:35], v[50:51]
	s_nop 0
	v_min3_f32 v132, v28, v29, v133
	v_pk_add_f32 v[28:29], v[26:27], v[50:51]
	s_nop 0
	v_min3_f32 v131, v28, v29, v131
	v_pk_add_f32 v[28:29], v[22:23], v[50:51]
	s_nop 0
	v_min3_f32 v130, v28, v29, v130
	v_pk_add_f32 v[28:29], v[18:19], v[50:51]
	s_nop 0
	v_min3_f32 v129, v28, v29, v129
	v_pk_add_f32 v[28:29], v[14:15], v[50:51]
	s_nop 0
	v_min3_f32 v128, v28, v29, v128
	v_pk_add_f32 v[28:29], v[10:11], v[50:51]
	s_nop 0
	v_min3_f32 v127, v28, v29, v127
	v_pk_add_f32 v[28:29], v[6:7], v[50:51]
	s_nop 0
	v_min3_f32 v126, v28, v29, v126
	v_pk_add_f32 v[28:29], v[2:3], v[50:51]
	s_nop 0
	v_min3_f32 v125, v28, v29, v125
	v_pk_add_f32 v[28:29], v[34:35], v[46:47]
	s_nop 0
	v_min3_f32 v137, v28, v29, v124
	v_pk_add_f32 v[28:29], v[26:27], v[46:47]
	s_nop 0
	v_min3_f32 v138, v28, v29, v123
	v_pk_add_f32 v[28:29], v[22:23], v[46:47]
	s_nop 0
	v_min3_f32 v139, v28, v29, v122
	v_pk_add_f32 v[28:29], v[18:19], v[46:47]
	s_nop 0
	v_min3_f32 v140, v28, v29, v121
	v_pk_add_f32 v[28:29], v[14:15], v[46:47]
	s_nop 0
	v_min3_f32 v141, v28, v29, v120
	v_pk_add_f32 v[28:29], v[10:11], v[46:47]
	s_nop 0
	v_min3_f32 v142, v28, v29, v119
	v_pk_add_f32 v[28:29], v[6:7], v[46:47]
	s_nop 0
	v_min3_f32 v143, v28, v29, v118
	v_pk_add_f32 v[28:29], v[2:3], v[46:47]
	s_nop 0
	v_min3_f32 v144, v28, v29, v117
	v_pk_add_f32 v[28:29], v[34:35], v[42:43]
	s_nop 0
	v_min3_f32 v145, v28, v29, v115
	v_pk_add_f32 v[28:29], v[26:27], v[42:43]
	s_nop 0
	v_min3_f32 v88, v28, v29, v88
	v_pk_add_f32 v[28:29], v[22:23], v[42:43]
	s_nop 0
	v_min3_f32 v87, v28, v29, v87
	v_pk_add_f32 v[28:29], v[18:19], v[42:43]
	s_nop 0
	v_min3_f32 v146, v28, v29, v61
	v_pk_add_f32 v[28:29], v[14:15], v[42:43]
	s_nop 0
	v_min3_f32 v147, v28, v29, v60
	v_pk_add_f32 v[28:29], v[10:11], v[42:43]
	s_nop 0
	v_min3_f32 v148, v28, v29, v57
	v_pk_add_f32 v[28:29], v[6:7], v[42:43]
	s_nop 0
	v_min3_f32 v149, v28, v29, v56
	v_pk_add_f32 v[28:29], v[2:3], v[42:43]
	s_nop 0
	v_min3_f32 v150, v28, v29, v53
	v_pk_add_f32 v[28:29], v[34:35], v[38:39]
	s_nop 0
	v_min3_f32 v151, v28, v29, v52
	v_pk_add_f32 v[28:29], v[26:27], v[38:39]
	v_pk_add_f32 v[26:27], v[26:27], v[30:31]
	v_min3_f32 v152, v28, v29, v49
	v_pk_add_f32 v[28:29], v[22:23], v[38:39]
	v_pk_add_f32 v[22:23], v[22:23], v[30:31]
	v_min3_f32 v153, v28, v29, v48
	v_pk_add_f32 v[28:29], v[18:19], v[38:39]
	;; [unrolled: 3-line block ×6, first 2 shown]
	v_pk_add_f32 v[2:3], v[2:3], v[30:31]
	v_min3_f32 v160, v28, v29, v36
	v_min3_f32 v168, v2, v3, v0
	v_lshl_add_u64 v[0:1], v[66:67], 0, v[68:69]
	v_pk_add_f32 v[28:29], v[34:35], v[30:31]
	global_load_dword v89, v[0:1], off
	v_lshl_add_u64 v[0:1], v[74:75], 0, v[64:65]
	v_min3_f32 v161, v28, v29, v32
	v_min3_f32 v162, v26, v27, v24
	v_min3_f32 v163, v22, v23, v20
	v_min3_f32 v164, v18, v19, v16
	v_min3_f32 v165, v14, v15, v12
	v_min3_f32 v166, v10, v11, v8
	v_min3_f32 v167, v6, v7, v4
	global_load_dword v90, v[0:1], off
	global_load_dword v91, v[0:1], off offset:256
	global_load_dword v154, v[0:1], off offset:512
	;; [unrolled: 1-line block ×3, first 2 shown]
	ds_read_b128 v[28:31], v82
	ds_read_b128 v[24:27], v82 offset:128
	ds_read_b128 v[20:23], v82 offset:256
	;; [unrolled: 1-line block ×7, first 2 shown]
	ds_read_b128 v[60:63], v78
	ds_read_b128 v[56:59], v78 offset:512
	ds_read_b128 v[52:55], v78 offset:1024
	;; [unrolled: 1-line block ×7, first 2 shown]
	s_waitcnt lgkmcnt(7)
	v_pk_add_f32 v[118:119], v[28:29], v[60:61]
	v_lshl_add_u64 v[66:67], v[66:67], 0, s[6:7]
	v_min3_f32 v169, v118, v119, v99
	v_pk_add_f32 v[118:119], v[24:25], v[60:61]
	v_lshl_add_u64 v[74:75], v[74:75], 0, s[8:9]
	v_min3_f32 v170, v118, v119, v98
	v_pk_add_f32 v[98:99], v[20:21], v[60:61]
	s_waitcnt vmcnt(4)
	ds_write_b32 v83, v89
	s_waitcnt vmcnt(2)
	ds_write2st64_b32 v84, v90, v91 offset1:4
	s_waitcnt vmcnt(0)
	ds_write2st64_b32 v84, v154, v155 offset0:8 offset1:12
	v_min3_f32 v171, v98, v99, v97
	v_pk_add_f32 v[98:99], v[16:17], v[60:61]
	s_waitcnt lgkmcnt(0)
	v_min3_f32 v172, v98, v99, v96
	v_pk_add_f32 v[96:97], v[12:13], v[60:61]
	s_barrier
	v_min3_f32 v173, v96, v97, v95
	v_pk_add_f32 v[96:97], v[8:9], v[60:61]
	s_nop 0
	v_min3_f32 v174, v96, v97, v94
	v_pk_add_f32 v[94:95], v[4:5], v[60:61]
	v_pk_add_f32 v[60:61], v[0:1], v[60:61]
	v_min3_f32 v175, v94, v95, v93
	v_min3_f32 v176, v60, v61, v92
	v_pk_add_f32 v[60:61], v[28:29], v[56:57]
	s_nop 0
	v_min3_f32 v136, v60, v61, v100
	v_pk_add_f32 v[60:61], v[24:25], v[56:57]
	s_nop 0
	v_min3_f32 v135, v60, v61, v101
	v_pk_add_f32 v[60:61], v[20:21], v[56:57]
	s_nop 0
	v_min3_f32 v134, v60, v61, v102
	v_pk_add_f32 v[60:61], v[16:17], v[56:57]
	s_nop 0
	v_min3_f32 v133, v60, v61, v103
	v_pk_add_f32 v[60:61], v[12:13], v[56:57]
	s_nop 0
	v_min3_f32 v124, v60, v61, v104
	v_pk_add_f32 v[60:61], v[8:9], v[56:57]
	s_nop 0
	v_min3_f32 v123, v60, v61, v105
	v_pk_add_f32 v[60:61], v[4:5], v[56:57]
	v_pk_add_f32 v[56:57], v[0:1], v[56:57]
	v_min3_f32 v122, v60, v61, v106
	v_min3_f32 v121, v56, v57, v107
	v_pk_add_f32 v[56:57], v[28:29], v[52:53]
	s_nop 0
	v_min3_f32 v120, v56, v57, v108
	v_pk_add_f32 v[56:57], v[24:25], v[52:53]
	s_nop 0
	v_min3_f32 v119, v56, v57, v109
	v_pk_add_f32 v[56:57], v[20:21], v[52:53]
	s_nop 0
	v_min3_f32 v118, v56, v57, v110
	v_pk_add_f32 v[56:57], v[16:17], v[52:53]
	s_nop 0
	v_min3_f32 v117, v56, v57, v111
	v_pk_add_f32 v[56:57], v[12:13], v[52:53]
	s_nop 0
	;; [unrolled: 22-line block ×3, first 2 shown]
	v_min3_f32 v106, v52, v53, v128
	v_pk_add_f32 v[52:53], v[8:9], v[48:49]
	s_nop 0
	v_min3_f32 v105, v52, v53, v127
	v_pk_add_f32 v[52:53], v[4:5], v[48:49]
	v_pk_add_f32 v[48:49], v[0:1], v[48:49]
	v_min3_f32 v104, v52, v53, v126
	v_min3_f32 v103, v48, v49, v125
	v_pk_add_f32 v[48:49], v[28:29], v[44:45]
	v_pk_add_f32 v[126:127], v[4:5], v[36:37]
	v_min3_f32 v102, v48, v49, v137
	v_pk_add_f32 v[48:49], v[24:25], v[44:45]
	s_nop 0
	v_min3_f32 v101, v48, v49, v138
	v_pk_add_f32 v[48:49], v[20:21], v[44:45]
	s_nop 0
	v_min3_f32 v100, v48, v49, v139
	v_pk_add_f32 v[48:49], v[16:17], v[44:45]
	s_nop 0
	v_min3_f32 v99, v48, v49, v140
	v_pk_add_f32 v[48:49], v[12:13], v[44:45]
	s_nop 0
	v_min3_f32 v98, v48, v49, v141
	v_pk_add_f32 v[48:49], v[8:9], v[44:45]
	s_nop 0
	v_min3_f32 v97, v48, v49, v142
	v_pk_add_f32 v[48:49], v[4:5], v[44:45]
	v_pk_add_f32 v[44:45], v[0:1], v[44:45]
	v_min3_f32 v96, v48, v49, v143
	v_min3_f32 v95, v44, v45, v144
	v_pk_add_f32 v[44:45], v[28:29], v[40:41]
	s_nop 0
	v_min3_f32 v94, v44, v45, v145
	v_pk_add_f32 v[44:45], v[24:25], v[40:41]
	s_nop 0
	;; [unrolled: 3-line block ×6, first 2 shown]
	v_min3_f32 v57, v44, v45, v148
	v_pk_add_f32 v[44:45], v[4:5], v[40:41]
	v_pk_add_f32 v[40:41], v[0:1], v[40:41]
	v_min3_f32 v56, v44, v45, v149
	v_min3_f32 v53, v40, v41, v150
	v_pk_add_f32 v[40:41], v[28:29], v[36:37]
	v_pk_add_f32 v[28:29], v[28:29], v[32:33]
	v_min3_f32 v52, v40, v41, v151
	v_pk_add_f32 v[40:41], v[24:25], v[36:37]
	v_pk_add_f32 v[24:25], v[24:25], v[32:33]
	;; [unrolled: 3-line block ×6, first 2 shown]
	v_pk_add_f32 v[8:9], v[8:9], v[32:33]
	v_pk_add_f32 v[4:5], v[4:5], v[32:33]
	;; [unrolled: 1-line block ×4, first 2 shown]
	v_min3_f32 v41, v40, v41, v158
	v_min3_f32 v88, v32, v33, v169
	v_pk_add_f32 v[32:33], v[26:27], v[62:63]
	v_min3_f32 v40, v126, v127, v159
	v_min3_f32 v152, v32, v33, v170
	v_pk_add_f32 v[32:33], v[22:23], v[62:63]
	;; [unrolled: 3-line block ×11, first 2 shown]
	s_nop 0
	v_min3_f32 v143, v32, v33, v133
	v_pk_add_f32 v[32:33], v[14:15], v[58:59]
	s_nop 0
	v_min3_f32 v144, v32, v33, v124
	v_pk_add_f32 v[32:33], v[10:11], v[58:59]
	;; [unrolled: 3-line block ×37, first 2 shown]
	v_pk_add_f32 v[30:31], v[30:31], v[34:35]
	v_min3_f32 v110, v32, v33, v52
	v_pk_add_f32 v[32:33], v[26:27], v[38:39]
	v_pk_add_f32 v[26:27], v[26:27], v[34:35]
	v_min3_f32 v105, v32, v33, v49
	v_pk_add_f32 v[32:33], v[22:23], v[38:39]
	;; [unrolled: 3-line block ×7, first 2 shown]
	v_pk_add_f32 v[2:3], v[2:3], v[34:35]
	v_min3_f32 v99, v32, v33, v36
	v_min3_f32 v100, v30, v31, v28
	;; [unrolled: 1-line block ×9, first 2 shown]
	s_cbranch_scc0 .LBB67_9
.LBB67_10:
	s_load_dwordx2 s[8:9], s[0:1], 0x70
	s_load_dword s6, s[0:1], 0x50
	s_load_dword s7, s[0:1], 0x68
	ds_read_b128 v[32:35], v79 offset:9216
	ds_read_b128 v[60:63], v78 offset:4096
	s_waitcnt lgkmcnt(0)
	s_mul_i32 s0, s9, s3
	s_mul_hi_u32 s1, s8, s3
	s_add_i32 s1, s1, s0
	s_mul_i32 s0, s8, s3
	s_lshl_b64 s[0:1], s[0:1], 2
	v_pk_add_f32 v[0:1], v[32:33], v[60:61]
	s_add_u32 s0, s10, s0
	v_min3_f32 v2, v0, v1, v88
	v_pk_add_f32 v[0:1], v[34:35], v[62:63]
	v_add_u32_e32 v154, s24, v77
	s_addc_u32 s1, s11, s1
	v_min3_f32 v2, v0, v1, v2
	v_add_u32_e32 v68, s2, v76
	v_mad_i64_i32 v[0:1], s[2:3], v154, s7, 0
	v_add_u32_e32 v64, 8, v68
	v_lshl_add_u64 v[88:89], v[0:1], 2, s[0:1]
	v_mad_i64_i32 v[0:1], s[2:3], v154, s6, 0
	v_ashrrev_i32_e32 v69, 31, v68
	v_ashrrev_i32_e32 v65, 31, v64
	s_mov_b64 s[2:3], -1
	v_max_f32_e32 v2, v2, v2
	s_mov_b64 vcc, s[4:5]
	s_cbranch_vccz .LBB67_12
; %bb.11:
	v_min_f32_e32 v3, 0, v2
	v_lshl_add_u64 v[4:5], v[68:69], 2, v[88:89]
	global_store_dword v[4:5], v3, off
	s_mov_b64 s[2:3], 0
.LBB67_12:
	ds_read_b128 v[28:31], v79 offset:9344
	ds_read_b128 v[24:27], v79 offset:9472
	v_lshl_add_u64 v[90:91], v[0:1], 2, s[12:13]
	v_mov_b32_e32 v70, 0
	s_andn2_b64 vcc, exec, s[2:3]
	v_lshlrev_b64 v[72:73], 2, v[68:69]
	s_cbranch_vccnz .LBB67_14
; %bb.13:
	v_lshl_add_u64 v[0:1], v[90:91], 0, v[72:73]
	global_load_dword v3, v[0:1], off
	v_lshl_add_u64 v[0:1], v[88:89], 0, v[72:73]
	s_waitcnt vmcnt(0)
	v_mul_f32_e32 v3, s15, v3
	v_min_f32_e32 v2, v3, v2
	global_store_dword v[0:1], v2, off
	v_lshl_add_u64 v[0:1], v[64:65], 2, v[90:91]
	global_load_dword v0, v[0:1], off
	s_waitcnt vmcnt(0)
	v_mul_f32_e32 v70, s15, v0
.LBB67_14:
	ds_read_b128 v[16:19], v79 offset:9728
	ds_read_b128 v[12:15], v79 offset:9856
	;; [unrolled: 1-line block ×12, first 2 shown]
	s_waitcnt lgkmcnt(13)
	v_pk_add_f32 v[66:67], v[28:29], v[60:61]
	v_add_u32_e32 v76, 16, v68
	v_min3_f32 v71, v66, v67, v152
	s_waitcnt lgkmcnt(12)
	v_pk_add_f32 v[66:67], v[24:25], v[60:61]
	v_ashrrev_i32_e32 v77, 31, v76
	v_min3_f32 v74, v66, v67, v153
	v_pk_add_f32 v[66:67], v[30:31], v[62:63]
	s_mov_b64 s[2:3], -1
	v_min_f32_e32 v75, v66, v67
	v_pk_add_f32 v[66:67], v[26:27], v[62:63]
	v_min3_f32 v75, v70, v75, v71
	v_min3_f32 v74, v66, v67, v74
	v_add_u32_e32 v66, 24, v68
	v_lshl_add_u64 v[70:71], v[64:65], 2, v[88:89]
	v_ashrrev_i32_e32 v67, 31, v66
	global_store_dword v[70:71], v75, off
	v_max_f32_e32 v70, v74, v74
	s_mov_b64 vcc, s[4:5]
	s_cbranch_vccz .LBB67_16
; %bb.15:
	v_min_f32_e32 v71, 0, v70
	v_lshl_add_u64 v[74:75], v[76:77], 2, v[88:89]
	global_store_dword v[74:75], v71, off
	s_mov_b64 s[2:3], 0
.LBB67_16:
	v_mov_b32_e32 v74, 0
	s_andn2_b64 vcc, exec, s[2:3]
	v_lshlrev_b64 v[80:81], 2, v[76:77]
	s_cbranch_vccnz .LBB67_18
; %bb.17:
	v_lshl_add_u64 v[74:75], v[90:91], 0, v[80:81]
	global_load_dword v71, v[74:75], off
	v_lshl_add_u64 v[74:75], v[88:89], 0, v[80:81]
	s_waitcnt vmcnt(0)
	v_mul_f32_e32 v71, s15, v71
	v_min_f32_e32 v70, v71, v70
	global_store_dword v[74:75], v70, off
	v_lshl_add_u64 v[70:71], v[66:67], 2, v[90:91]
	global_load_dword v70, v[70:71], off
	s_waitcnt vmcnt(0)
	v_mul_f32_e32 v74, s15, v70
.LBB67_18:
	s_waitcnt lgkmcnt(1)
	v_pk_add_f32 v[70:71], v[20:21], v[60:61]
	s_mov_b64 s[2:3], -1
	v_min3_f32 v75, v70, v71, v150
	v_pk_add_f32 v[70:71], v[16:17], v[60:61]
	s_mov_b64 vcc, s[4:5]
	v_min3_f32 v78, v70, v71, v151
	v_pk_add_f32 v[70:71], v[22:23], v[62:63]
	s_nop 0
	v_min_f32_e32 v82, v70, v71
	v_pk_add_f32 v[70:71], v[18:19], v[62:63]
	v_min3_f32 v82, v74, v82, v75
	v_min3_f32 v83, v70, v71, v78
	v_add_u32_e32 v78, 32, v68
	v_add_u32_e32 v70, 40, v68
	v_lshl_add_u64 v[74:75], v[66:67], 2, v[88:89]
	v_ashrrev_i32_e32 v79, 31, v78
	v_ashrrev_i32_e32 v71, 31, v70
	global_store_dword v[74:75], v82, off
	v_max_f32_e32 v74, v83, v83
	s_cbranch_vccz .LBB67_20
; %bb.19:
	v_min_f32_e32 v75, 0, v74
	v_lshl_add_u64 v[82:83], v[78:79], 2, v[88:89]
	global_store_dword v[82:83], v75, off
	s_mov_b64 s[2:3], 0
.LBB67_20:
	v_mov_b32_e32 v86, 0
	s_andn2_b64 vcc, exec, s[2:3]
	v_lshlrev_b64 v[82:83], 2, v[78:79]
	s_cbranch_vccnz .LBB67_22
; %bb.21:
	v_lshl_add_u64 v[84:85], v[90:91], 0, v[82:83]
	global_load_dword v75, v[84:85], off
	v_lshl_add_u64 v[84:85], v[88:89], 0, v[82:83]
	s_waitcnt vmcnt(0)
	v_mul_f32_e32 v75, s15, v75
	v_min_f32_e32 v74, v75, v74
	global_store_dword v[84:85], v74, off
	v_lshl_add_u64 v[74:75], v[70:71], 2, v[90:91]
	global_load_dword v74, v[74:75], off
	s_waitcnt vmcnt(0)
	v_mul_f32_e32 v86, s15, v74
.LBB67_22:
	v_pk_add_f32 v[74:75], v[12:13], v[60:61]
	s_mov_b64 s[2:3], -1
	v_min3_f32 v149, v74, v75, v149
	v_pk_add_f32 v[74:75], v[8:9], v[60:61]
	s_mov_b64 vcc, s[4:5]
	v_min3_f32 v84, v74, v75, v87
	v_pk_add_f32 v[74:75], v[14:15], v[62:63]
	s_nop 0
	v_min_f32_e32 v87, v74, v75
	v_pk_add_f32 v[74:75], v[10:11], v[62:63]
	v_min3_f32 v149, v86, v87, v149
	v_min3_f32 v150, v74, v75, v84
	v_add_u32_e32 v84, 48, v68
	v_add_u32_e32 v74, 56, v68
	v_lshl_add_u64 v[86:87], v[70:71], 2, v[88:89]
	v_ashrrev_i32_e32 v85, 31, v84
	v_ashrrev_i32_e32 v75, 31, v74
	global_store_dword v[86:87], v149, off
	v_max_f32_e32 v149, v150, v150
	s_cbranch_vccz .LBB67_24
; %bb.23:
	v_min_f32_e32 v150, 0, v149
	v_lshl_add_u64 v[86:87], v[84:85], 2, v[88:89]
	global_store_dword v[86:87], v150, off
	s_mov_b64 s[2:3], 0
.LBB67_24:
	v_mov_b32_e32 v150, 0
	s_andn2_b64 vcc, exec, s[2:3]
	v_lshlrev_b64 v[86:87], 2, v[84:85]
	s_cbranch_vccnz .LBB67_26
; %bb.25:
	v_lshl_add_u64 v[150:151], v[90:91], 0, v[86:87]
	global_load_dword v152, v[150:151], off
	v_lshl_add_u64 v[150:151], v[88:89], 0, v[86:87]
	v_lshl_add_u64 v[90:91], v[74:75], 2, v[90:91]
	s_waitcnt vmcnt(0)
	v_mul_f32_e32 v152, s15, v152
	v_min_f32_e32 v149, v152, v149
	global_store_dword v[150:151], v149, off
	global_load_dword v90, v[90:91], off
	s_waitcnt vmcnt(0)
	v_mul_f32_e32 v150, s15, v90
.LBB67_26:
	v_pk_add_f32 v[60:61], v[0:1], v[60:61]
	s_mov_b64 vcc, s[4:5]
	v_min3_f32 v90, v60, v61, v147
	v_pk_add_f32 v[60:61], v[32:33], v[56:57]
	s_nop 0
	v_min3_f32 v91, v60, v61, v148
	v_pk_add_f32 v[60:61], v[2:3], v[62:63]
	s_nop 0
	v_min_f32_e32 v62, v60, v61
	v_pk_add_f32 v[60:61], v[34:35], v[58:59]
	v_min3_f32 v62, v150, v62, v90
	v_min3_f32 v91, v60, v61, v91
	v_lshl_add_u64 v[60:61], v[74:75], 2, v[88:89]
	global_store_dword v[60:61], v62, off
	v_add_u32_e32 v62, 32, v154
	v_mad_i64_i32 v[60:61], s[2:3], v62, s7, 0
	v_mad_i64_i32 v[62:63], s[2:3], v62, s6, 0
	v_lshl_add_u64 v[60:61], v[60:61], 2, s[0:1]
	s_mov_b64 s[2:3], -1
	v_max_f32_e32 v88, v91, v91
	s_cbranch_vccz .LBB67_28
; %bb.27:
	v_min_f32_e32 v89, 0, v88
	v_lshl_add_u64 v[90:91], v[68:69], 2, v[60:61]
	global_store_dword v[90:91], v89, off
	s_mov_b64 s[2:3], 0
.LBB67_28:
	v_lshl_add_u64 v[62:63], v[62:63], 2, s[12:13]
	s_andn2_b64 vcc, exec, s[2:3]
	v_mov_b32_e32 v89, 0
	s_cbranch_vccnz .LBB67_30
; %bb.29:
	v_lshl_add_u64 v[90:91], v[62:63], 0, v[72:73]
	global_load_dword v89, v[90:91], off
	v_lshl_add_u64 v[90:91], v[60:61], 0, v[72:73]
	s_waitcnt vmcnt(0)
	v_mul_f32_e32 v89, s15, v89
	v_min_f32_e32 v88, v89, v88
	global_store_dword v[90:91], v88, off
	v_lshl_add_u64 v[88:89], v[64:65], 2, v[62:63]
	global_load_dword v88, v[88:89], off
	s_waitcnt vmcnt(0)
	v_mul_f32_e32 v89, s15, v88
.LBB67_30:
	v_pk_add_f32 v[90:91], v[28:29], v[56:57]
	s_mov_b64 s[2:3], -1
	v_min3_f32 v88, v90, v91, v145
	v_pk_add_f32 v[90:91], v[24:25], v[56:57]
	s_mov_b64 vcc, s[4:5]
	v_min3_f32 v145, v90, v91, v146
	v_pk_add_f32 v[90:91], v[30:31], v[58:59]
	s_nop 0
	v_min_f32_e32 v146, v90, v91
	v_pk_add_f32 v[90:91], v[26:27], v[58:59]
	s_nop 0
	v_min3_f32 v90, v90, v91, v145
	v_min3_f32 v91, v89, v146, v88
	v_lshl_add_u64 v[88:89], v[64:65], 2, v[60:61]
	global_store_dword v[88:89], v91, off
	v_max_f32_e32 v88, v90, v90
	s_cbranch_vccz .LBB67_32
; %bb.31:
	v_min_f32_e32 v89, 0, v88
	v_lshl_add_u64 v[90:91], v[76:77], 2, v[60:61]
	global_store_dword v[90:91], v89, off
	s_mov_b64 s[2:3], 0
.LBB67_32:
	s_andn2_b64 vcc, exec, s[2:3]
	v_mov_b32_e32 v89, 0
	s_cbranch_vccnz .LBB67_34
; %bb.33:
	v_lshl_add_u64 v[90:91], v[62:63], 0, v[80:81]
	global_load_dword v89, v[90:91], off
	v_lshl_add_u64 v[90:91], v[60:61], 0, v[80:81]
	s_waitcnt vmcnt(0)
	v_mul_f32_e32 v89, s15, v89
	v_min_f32_e32 v88, v89, v88
	global_store_dword v[90:91], v88, off
	v_lshl_add_u64 v[88:89], v[66:67], 2, v[62:63]
	global_load_dword v88, v[88:89], off
	s_waitcnt vmcnt(0)
	v_mul_f32_e32 v89, s15, v88
.LBB67_34:
	v_pk_add_f32 v[90:91], v[20:21], v[56:57]
	s_mov_b64 s[2:3], -1
	v_min3_f32 v88, v90, v91, v143
	v_pk_add_f32 v[90:91], v[16:17], v[56:57]
	s_mov_b64 vcc, s[4:5]
	v_min3_f32 v143, v90, v91, v144
	v_pk_add_f32 v[90:91], v[22:23], v[58:59]
	s_nop 0
	v_min_f32_e32 v144, v90, v91
	v_pk_add_f32 v[90:91], v[18:19], v[58:59]
	s_nop 0
	v_min3_f32 v90, v90, v91, v143
	v_min3_f32 v91, v89, v144, v88
	v_lshl_add_u64 v[88:89], v[66:67], 2, v[60:61]
	global_store_dword v[88:89], v91, off
	v_max_f32_e32 v88, v90, v90
	s_cbranch_vccz .LBB67_36
; %bb.35:
	v_min_f32_e32 v89, 0, v88
	v_lshl_add_u64 v[90:91], v[78:79], 2, v[60:61]
	global_store_dword v[90:91], v89, off
	s_mov_b64 s[2:3], 0
.LBB67_36:
	;; [unrolled: 39-line block ×3, first 2 shown]
	s_andn2_b64 vcc, exec, s[2:3]
	v_mov_b32_e32 v89, 0
	s_cbranch_vccnz .LBB67_42
; %bb.41:
	v_lshl_add_u64 v[90:91], v[62:63], 0, v[86:87]
	global_load_dword v89, v[90:91], off
	v_lshl_add_u64 v[90:91], v[60:61], 0, v[86:87]
	v_lshl_add_u64 v[62:63], v[74:75], 2, v[62:63]
	s_waitcnt vmcnt(0)
	v_mul_f32_e32 v89, s15, v89
	v_min_f32_e32 v88, v89, v88
	global_store_dword v[90:91], v88, off
	global_load_dword v62, v[62:63], off
	s_waitcnt vmcnt(0)
	v_mul_f32_e32 v89, s15, v62
.LBB67_42:
	v_pk_add_f32 v[56:57], v[0:1], v[56:57]
	s_mov_b64 vcc, s[4:5]
	v_min3_f32 v62, v56, v57, v139
	v_pk_add_f32 v[56:57], v[32:33], v[52:53]
	s_nop 0
	v_min3_f32 v63, v56, v57, v141
	v_pk_add_f32 v[56:57], v[2:3], v[58:59]
	s_nop 0
	v_min_f32_e32 v58, v56, v57
	v_pk_add_f32 v[56:57], v[34:35], v[54:55]
	v_min3_f32 v58, v89, v58, v62
	v_min3_f32 v63, v56, v57, v63
	v_lshl_add_u64 v[56:57], v[74:75], 2, v[60:61]
	global_store_dword v[56:57], v58, off
	v_add_u32_e32 v58, 64, v154
	v_mad_i64_i32 v[56:57], s[2:3], v58, s7, 0
	v_mad_i64_i32 v[58:59], s[2:3], v58, s6, 0
	v_lshl_add_u64 v[56:57], v[56:57], 2, s[0:1]
	s_mov_b64 s[2:3], -1
	v_max_f32_e32 v60, v63, v63
	s_cbranch_vccz .LBB67_44
; %bb.43:
	v_min_f32_e32 v61, 0, v60
	v_lshl_add_u64 v[62:63], v[68:69], 2, v[56:57]
	global_store_dword v[62:63], v61, off
	s_mov_b64 s[2:3], 0
.LBB67_44:
	v_lshl_add_u64 v[58:59], v[58:59], 2, s[12:13]
	s_andn2_b64 vcc, exec, s[2:3]
	v_mov_b32_e32 v61, 0
	s_cbranch_vccnz .LBB67_46
; %bb.45:
	v_lshl_add_u64 v[62:63], v[58:59], 0, v[72:73]
	global_load_dword v61, v[62:63], off
	v_lshl_add_u64 v[62:63], v[56:57], 0, v[72:73]
	s_waitcnt vmcnt(0)
	v_mul_f32_e32 v61, s15, v61
	v_min_f32_e32 v60, v61, v60
	global_store_dword v[62:63], v60, off
	v_lshl_add_u64 v[60:61], v[64:65], 2, v[58:59]
	global_load_dword v60, v[60:61], off
	s_waitcnt vmcnt(0)
	v_mul_f32_e32 v61, s15, v60
.LBB67_46:
	v_pk_add_f32 v[62:63], v[28:29], v[52:53]
	s_mov_b64 s[2:3], -1
	v_min3_f32 v60, v62, v63, v136
	v_pk_add_f32 v[62:63], v[24:25], v[52:53]
	s_mov_b64 vcc, s[4:5]
	v_min3_f32 v88, v62, v63, v138
	v_pk_add_f32 v[62:63], v[30:31], v[54:55]
	s_nop 0
	v_min_f32_e32 v89, v62, v63
	v_pk_add_f32 v[62:63], v[26:27], v[54:55]
	s_nop 0
	v_min3_f32 v62, v62, v63, v88
	v_min3_f32 v63, v61, v89, v60
	v_lshl_add_u64 v[60:61], v[64:65], 2, v[56:57]
	global_store_dword v[60:61], v63, off
	v_max_f32_e32 v60, v62, v62
	s_cbranch_vccz .LBB67_48
; %bb.47:
	v_min_f32_e32 v61, 0, v60
	v_lshl_add_u64 v[62:63], v[76:77], 2, v[56:57]
	global_store_dword v[62:63], v61, off
	s_mov_b64 s[2:3], 0
.LBB67_48:
	s_andn2_b64 vcc, exec, s[2:3]
	v_mov_b32_e32 v61, 0
	s_cbranch_vccnz .LBB67_50
; %bb.49:
	v_lshl_add_u64 v[62:63], v[58:59], 0, v[80:81]
	global_load_dword v61, v[62:63], off
	v_lshl_add_u64 v[62:63], v[56:57], 0, v[80:81]
	s_waitcnt vmcnt(0)
	v_mul_f32_e32 v61, s15, v61
	v_min_f32_e32 v60, v61, v60
	global_store_dword v[62:63], v60, off
	v_lshl_add_u64 v[60:61], v[66:67], 2, v[58:59]
	global_load_dword v60, v[60:61], off
	s_waitcnt vmcnt(0)
	v_mul_f32_e32 v61, s15, v60
.LBB67_50:
	v_pk_add_f32 v[62:63], v[20:21], v[52:53]
	s_mov_b64 s[2:3], -1
	v_min3_f32 v60, v62, v63, v133
	v_pk_add_f32 v[62:63], v[16:17], v[52:53]
	s_mov_b64 vcc, s[4:5]
	v_min3_f32 v88, v62, v63, v134
	v_pk_add_f32 v[62:63], v[22:23], v[54:55]
	s_nop 0
	v_min_f32_e32 v89, v62, v63
	v_pk_add_f32 v[62:63], v[18:19], v[54:55]
	s_nop 0
	v_min3_f32 v62, v62, v63, v88
	v_min3_f32 v63, v61, v89, v60
	v_lshl_add_u64 v[60:61], v[66:67], 2, v[56:57]
	global_store_dword v[60:61], v63, off
	v_max_f32_e32 v60, v62, v62
	s_cbranch_vccz .LBB67_52
; %bb.51:
	v_min_f32_e32 v61, 0, v60
	v_lshl_add_u64 v[62:63], v[78:79], 2, v[56:57]
	global_store_dword v[62:63], v61, off
	s_mov_b64 s[2:3], 0
.LBB67_52:
	;; [unrolled: 39-line block ×3, first 2 shown]
	s_andn2_b64 vcc, exec, s[2:3]
	v_mov_b32_e32 v61, 0
	s_cbranch_vccnz .LBB67_58
; %bb.57:
	v_lshl_add_u64 v[62:63], v[58:59], 0, v[86:87]
	global_load_dword v61, v[62:63], off
	v_lshl_add_u64 v[62:63], v[56:57], 0, v[86:87]
	v_lshl_add_u64 v[58:59], v[74:75], 2, v[58:59]
	s_waitcnt vmcnt(0)
	v_mul_f32_e32 v61, s15, v61
	v_min_f32_e32 v60, v61, v60
	global_store_dword v[62:63], v60, off
	global_load_dword v58, v[58:59], off
	s_waitcnt vmcnt(0)
	v_mul_f32_e32 v61, s15, v58
.LBB67_58:
	v_pk_add_f32 v[52:53], v[0:1], v[52:53]
	s_mov_b64 vcc, s[4:5]
	v_min3_f32 v58, v52, v53, v135
	v_pk_add_f32 v[52:53], v[32:33], v[48:49]
	s_nop 0
	v_min3_f32 v59, v52, v53, v137
	v_pk_add_f32 v[52:53], v[2:3], v[54:55]
	s_nop 0
	v_min_f32_e32 v54, v52, v53
	v_pk_add_f32 v[52:53], v[34:35], v[50:51]
	v_min3_f32 v54, v61, v54, v58
	v_min3_f32 v59, v52, v53, v59
	v_lshl_add_u64 v[52:53], v[74:75], 2, v[56:57]
	global_store_dword v[52:53], v54, off
	v_add_u32_e32 v54, 0x60, v154
	v_mad_i64_i32 v[52:53], s[2:3], v54, s7, 0
	v_mad_i64_i32 v[54:55], s[2:3], v54, s6, 0
	v_lshl_add_u64 v[52:53], v[52:53], 2, s[0:1]
	s_mov_b64 s[2:3], -1
	v_max_f32_e32 v56, v59, v59
	s_cbranch_vccz .LBB67_60
; %bb.59:
	v_min_f32_e32 v57, 0, v56
	v_lshl_add_u64 v[58:59], v[68:69], 2, v[52:53]
	global_store_dword v[58:59], v57, off
	s_mov_b64 s[2:3], 0
.LBB67_60:
	v_lshl_add_u64 v[54:55], v[54:55], 2, s[12:13]
	s_andn2_b64 vcc, exec, s[2:3]
	v_mov_b32_e32 v57, 0
	s_cbranch_vccnz .LBB67_62
; %bb.61:
	v_lshl_add_u64 v[58:59], v[54:55], 0, v[72:73]
	global_load_dword v57, v[58:59], off
	v_lshl_add_u64 v[58:59], v[52:53], 0, v[72:73]
	s_waitcnt vmcnt(0)
	v_mul_f32_e32 v57, s15, v57
	v_min_f32_e32 v56, v57, v56
	global_store_dword v[58:59], v56, off
	v_lshl_add_u64 v[56:57], v[64:65], 2, v[54:55]
	global_load_dword v56, v[56:57], off
	s_waitcnt vmcnt(0)
	v_mul_f32_e32 v57, s15, v56
.LBB67_62:
	v_pk_add_f32 v[58:59], v[28:29], v[48:49]
	s_mov_b64 s[2:3], -1
	v_min3_f32 v56, v58, v59, v131
	v_pk_add_f32 v[58:59], v[24:25], v[48:49]
	s_mov_b64 vcc, s[4:5]
	v_min3_f32 v60, v58, v59, v132
	v_pk_add_f32 v[58:59], v[30:31], v[50:51]
	s_nop 0
	v_min_f32_e32 v61, v58, v59
	v_pk_add_f32 v[58:59], v[26:27], v[50:51]
	s_nop 0
	v_min3_f32 v58, v58, v59, v60
	v_min3_f32 v59, v57, v61, v56
	v_lshl_add_u64 v[56:57], v[64:65], 2, v[52:53]
	global_store_dword v[56:57], v59, off
	v_max_f32_e32 v56, v58, v58
	s_cbranch_vccz .LBB67_64
; %bb.63:
	v_min_f32_e32 v57, 0, v56
	v_lshl_add_u64 v[58:59], v[76:77], 2, v[52:53]
	global_store_dword v[58:59], v57, off
	s_mov_b64 s[2:3], 0
.LBB67_64:
	s_andn2_b64 vcc, exec, s[2:3]
	v_mov_b32_e32 v57, 0
	s_cbranch_vccnz .LBB67_66
; %bb.65:
	v_lshl_add_u64 v[58:59], v[54:55], 0, v[80:81]
	global_load_dword v57, v[58:59], off
	v_lshl_add_u64 v[58:59], v[52:53], 0, v[80:81]
	s_waitcnt vmcnt(0)
	v_mul_f32_e32 v57, s15, v57
	v_min_f32_e32 v56, v57, v56
	global_store_dword v[58:59], v56, off
	v_lshl_add_u64 v[56:57], v[66:67], 2, v[54:55]
	global_load_dword v56, v[56:57], off
	s_waitcnt vmcnt(0)
	v_mul_f32_e32 v57, s15, v56
.LBB67_66:
	v_pk_add_f32 v[58:59], v[20:21], v[48:49]
	s_mov_b64 s[2:3], -1
	v_min3_f32 v56, v58, v59, v127
	v_pk_add_f32 v[58:59], v[16:17], v[48:49]
	s_mov_b64 vcc, s[4:5]
	v_min3_f32 v60, v58, v59, v128
	v_pk_add_f32 v[58:59], v[22:23], v[50:51]
	s_nop 0
	v_min_f32_e32 v61, v58, v59
	v_pk_add_f32 v[58:59], v[18:19], v[50:51]
	s_nop 0
	v_min3_f32 v58, v58, v59, v60
	v_min3_f32 v59, v57, v61, v56
	v_lshl_add_u64 v[56:57], v[66:67], 2, v[52:53]
	global_store_dword v[56:57], v59, off
	v_max_f32_e32 v56, v58, v58
	s_cbranch_vccz .LBB67_68
; %bb.67:
	v_min_f32_e32 v57, 0, v56
	v_lshl_add_u64 v[58:59], v[78:79], 2, v[52:53]
	global_store_dword v[58:59], v57, off
	s_mov_b64 s[2:3], 0
.LBB67_68:
	;; [unrolled: 39-line block ×3, first 2 shown]
	s_andn2_b64 vcc, exec, s[2:3]
	v_mov_b32_e32 v57, 0
	s_cbranch_vccnz .LBB67_74
; %bb.73:
	v_lshl_add_u64 v[58:59], v[54:55], 0, v[86:87]
	global_load_dword v57, v[58:59], off
	v_lshl_add_u64 v[58:59], v[52:53], 0, v[86:87]
	v_lshl_add_u64 v[54:55], v[74:75], 2, v[54:55]
	s_waitcnt vmcnt(0)
	v_mul_f32_e32 v57, s15, v57
	v_min_f32_e32 v56, v57, v56
	global_store_dword v[58:59], v56, off
	global_load_dword v54, v[54:55], off
	s_waitcnt vmcnt(0)
	v_mul_f32_e32 v57, s15, v54
.LBB67_74:
	v_pk_add_f32 v[48:49], v[0:1], v[48:49]
	s_mov_b64 vcc, s[4:5]
	v_min3_f32 v54, v48, v49, v123
	v_pk_add_f32 v[48:49], v[32:33], v[44:45]
	s_nop 0
	v_min3_f32 v55, v48, v49, v124
	v_pk_add_f32 v[48:49], v[2:3], v[50:51]
	s_nop 0
	v_min_f32_e32 v50, v48, v49
	v_pk_add_f32 v[48:49], v[34:35], v[46:47]
	v_min3_f32 v50, v57, v50, v54
	v_min3_f32 v55, v48, v49, v55
	v_lshl_add_u64 v[48:49], v[74:75], 2, v[52:53]
	global_store_dword v[48:49], v50, off
	v_add_u32_e32 v50, 0x80, v154
	v_mad_i64_i32 v[48:49], s[2:3], v50, s7, 0
	v_mad_i64_i32 v[50:51], s[2:3], v50, s6, 0
	v_lshl_add_u64 v[48:49], v[48:49], 2, s[0:1]
	s_mov_b64 s[2:3], -1
	v_max_f32_e32 v52, v55, v55
	s_cbranch_vccz .LBB67_76
; %bb.75:
	v_min_f32_e32 v53, 0, v52
	v_lshl_add_u64 v[54:55], v[68:69], 2, v[48:49]
	global_store_dword v[54:55], v53, off
	s_mov_b64 s[2:3], 0
.LBB67_76:
	v_lshl_add_u64 v[50:51], v[50:51], 2, s[12:13]
	s_andn2_b64 vcc, exec, s[2:3]
	v_mov_b32_e32 v53, 0
	s_cbranch_vccnz .LBB67_78
; %bb.77:
	v_lshl_add_u64 v[54:55], v[50:51], 0, v[72:73]
	global_load_dword v53, v[54:55], off
	v_lshl_add_u64 v[54:55], v[48:49], 0, v[72:73]
	s_waitcnt vmcnt(0)
	v_mul_f32_e32 v53, s15, v53
	v_min_f32_e32 v52, v53, v52
	global_store_dword v[54:55], v52, off
	v_lshl_add_u64 v[52:53], v[64:65], 2, v[50:51]
	global_load_dword v52, v[52:53], off
	s_waitcnt vmcnt(0)
	v_mul_f32_e32 v53, s15, v52
.LBB67_78:
	v_pk_add_f32 v[54:55], v[28:29], v[44:45]
	s_mov_b64 s[2:3], -1
	v_min3_f32 v52, v54, v55, v121
	v_pk_add_f32 v[54:55], v[24:25], v[44:45]
	s_mov_b64 vcc, s[4:5]
	v_min3_f32 v56, v54, v55, v122
	v_pk_add_f32 v[54:55], v[30:31], v[46:47]
	s_nop 0
	v_min_f32_e32 v57, v54, v55
	v_pk_add_f32 v[54:55], v[26:27], v[46:47]
	s_nop 0
	v_min3_f32 v54, v54, v55, v56
	v_min3_f32 v55, v53, v57, v52
	v_lshl_add_u64 v[52:53], v[64:65], 2, v[48:49]
	global_store_dword v[52:53], v55, off
	v_max_f32_e32 v52, v54, v54
	s_cbranch_vccz .LBB67_80
; %bb.79:
	v_min_f32_e32 v53, 0, v52
	v_lshl_add_u64 v[54:55], v[76:77], 2, v[48:49]
	global_store_dword v[54:55], v53, off
	s_mov_b64 s[2:3], 0
.LBB67_80:
	s_andn2_b64 vcc, exec, s[2:3]
	v_mov_b32_e32 v53, 0
	s_cbranch_vccnz .LBB67_82
; %bb.81:
	v_lshl_add_u64 v[54:55], v[50:51], 0, v[80:81]
	global_load_dword v53, v[54:55], off
	v_lshl_add_u64 v[54:55], v[48:49], 0, v[80:81]
	s_waitcnt vmcnt(0)
	v_mul_f32_e32 v53, s15, v53
	v_min_f32_e32 v52, v53, v52
	global_store_dword v[54:55], v52, off
	v_lshl_add_u64 v[52:53], v[66:67], 2, v[50:51]
	global_load_dword v52, v[52:53], off
	s_waitcnt vmcnt(0)
	v_mul_f32_e32 v53, s15, v52
.LBB67_82:
	v_pk_add_f32 v[54:55], v[20:21], v[44:45]
	s_mov_b64 s[2:3], -1
	v_min3_f32 v52, v54, v55, v119
	v_pk_add_f32 v[54:55], v[16:17], v[44:45]
	s_mov_b64 vcc, s[4:5]
	v_min3_f32 v56, v54, v55, v120
	v_pk_add_f32 v[54:55], v[22:23], v[46:47]
	s_nop 0
	v_min_f32_e32 v57, v54, v55
	v_pk_add_f32 v[54:55], v[18:19], v[46:47]
	s_nop 0
	v_min3_f32 v54, v54, v55, v56
	v_min3_f32 v55, v53, v57, v52
	v_lshl_add_u64 v[52:53], v[66:67], 2, v[48:49]
	global_store_dword v[52:53], v55, off
	v_max_f32_e32 v52, v54, v54
	s_cbranch_vccz .LBB67_84
; %bb.83:
	v_min_f32_e32 v53, 0, v52
	v_lshl_add_u64 v[54:55], v[78:79], 2, v[48:49]
	global_store_dword v[54:55], v53, off
	s_mov_b64 s[2:3], 0
.LBB67_84:
	;; [unrolled: 39-line block ×3, first 2 shown]
	s_andn2_b64 vcc, exec, s[2:3]
	v_mov_b32_e32 v53, 0
	s_cbranch_vccnz .LBB67_90
; %bb.89:
	v_lshl_add_u64 v[54:55], v[50:51], 0, v[86:87]
	global_load_dword v53, v[54:55], off
	v_lshl_add_u64 v[54:55], v[48:49], 0, v[86:87]
	v_lshl_add_u64 v[50:51], v[74:75], 2, v[50:51]
	s_waitcnt vmcnt(0)
	v_mul_f32_e32 v53, s15, v53
	v_min_f32_e32 v52, v53, v52
	global_store_dword v[54:55], v52, off
	global_load_dword v50, v[50:51], off
	s_waitcnt vmcnt(0)
	v_mul_f32_e32 v53, s15, v50
.LBB67_90:
	v_pk_add_f32 v[44:45], v[0:1], v[44:45]
	s_mov_b64 vcc, s[4:5]
	v_min3_f32 v50, v44, v45, v115
	v_pk_add_f32 v[44:45], v[32:33], v[40:41]
	s_nop 0
	v_min3_f32 v51, v44, v45, v116
	v_pk_add_f32 v[44:45], v[2:3], v[46:47]
	s_nop 0
	v_min_f32_e32 v46, v44, v45
	v_pk_add_f32 v[44:45], v[34:35], v[42:43]
	v_min3_f32 v46, v53, v46, v50
	v_min3_f32 v51, v44, v45, v51
	v_lshl_add_u64 v[44:45], v[74:75], 2, v[48:49]
	global_store_dword v[44:45], v46, off
	v_add_u32_e32 v46, 0xa0, v154
	v_mad_i64_i32 v[44:45], s[2:3], v46, s7, 0
	v_mad_i64_i32 v[46:47], s[2:3], v46, s6, 0
	v_lshl_add_u64 v[44:45], v[44:45], 2, s[0:1]
	s_mov_b64 s[2:3], -1
	v_max_f32_e32 v48, v51, v51
	s_cbranch_vccz .LBB67_92
; %bb.91:
	v_min_f32_e32 v49, 0, v48
	v_lshl_add_u64 v[50:51], v[68:69], 2, v[44:45]
	global_store_dword v[50:51], v49, off
	s_mov_b64 s[2:3], 0
.LBB67_92:
	v_lshl_add_u64 v[46:47], v[46:47], 2, s[12:13]
	s_andn2_b64 vcc, exec, s[2:3]
	v_mov_b32_e32 v49, 0
	s_cbranch_vccnz .LBB67_94
; %bb.93:
	v_lshl_add_u64 v[50:51], v[46:47], 0, v[72:73]
	global_load_dword v49, v[50:51], off
	v_lshl_add_u64 v[50:51], v[44:45], 0, v[72:73]
	s_waitcnt vmcnt(0)
	v_mul_f32_e32 v49, s15, v49
	v_min_f32_e32 v48, v49, v48
	global_store_dword v[50:51], v48, off
	v_lshl_add_u64 v[48:49], v[64:65], 2, v[46:47]
	global_load_dword v48, v[48:49], off
	s_waitcnt vmcnt(0)
	v_mul_f32_e32 v49, s15, v48
.LBB67_94:
	v_pk_add_f32 v[50:51], v[28:29], v[40:41]
	s_mov_b64 s[2:3], -1
	v_min3_f32 v48, v50, v51, v113
	v_pk_add_f32 v[50:51], v[24:25], v[40:41]
	s_mov_b64 vcc, s[4:5]
	v_min3_f32 v52, v50, v51, v114
	v_pk_add_f32 v[50:51], v[30:31], v[42:43]
	s_nop 0
	v_min_f32_e32 v53, v50, v51
	v_pk_add_f32 v[50:51], v[26:27], v[42:43]
	s_nop 0
	v_min3_f32 v50, v50, v51, v52
	v_min3_f32 v51, v49, v53, v48
	v_lshl_add_u64 v[48:49], v[64:65], 2, v[44:45]
	global_store_dword v[48:49], v51, off
	v_max_f32_e32 v48, v50, v50
	s_cbranch_vccz .LBB67_96
; %bb.95:
	v_min_f32_e32 v49, 0, v48
	v_lshl_add_u64 v[50:51], v[76:77], 2, v[44:45]
	global_store_dword v[50:51], v49, off
	s_mov_b64 s[2:3], 0
.LBB67_96:
	s_andn2_b64 vcc, exec, s[2:3]
	v_mov_b32_e32 v49, 0
	s_cbranch_vccnz .LBB67_98
; %bb.97:
	v_lshl_add_u64 v[50:51], v[46:47], 0, v[80:81]
	global_load_dword v49, v[50:51], off
	v_lshl_add_u64 v[50:51], v[44:45], 0, v[80:81]
	s_waitcnt vmcnt(0)
	v_mul_f32_e32 v49, s15, v49
	v_min_f32_e32 v48, v49, v48
	global_store_dword v[50:51], v48, off
	v_lshl_add_u64 v[48:49], v[66:67], 2, v[46:47]
	global_load_dword v48, v[48:49], off
	s_waitcnt vmcnt(0)
	v_mul_f32_e32 v49, s15, v48
.LBB67_98:
	v_pk_add_f32 v[50:51], v[20:21], v[40:41]
	s_mov_b64 s[2:3], -1
	v_min3_f32 v48, v50, v51, v111
	v_pk_add_f32 v[50:51], v[16:17], v[40:41]
	s_mov_b64 vcc, s[4:5]
	v_min3_f32 v52, v50, v51, v112
	v_pk_add_f32 v[50:51], v[22:23], v[42:43]
	s_nop 0
	v_min_f32_e32 v53, v50, v51
	v_pk_add_f32 v[50:51], v[18:19], v[42:43]
	s_nop 0
	v_min3_f32 v50, v50, v51, v52
	v_min3_f32 v51, v49, v53, v48
	v_lshl_add_u64 v[48:49], v[66:67], 2, v[44:45]
	global_store_dword v[48:49], v51, off
	v_max_f32_e32 v48, v50, v50
	s_cbranch_vccz .LBB67_100
; %bb.99:
	v_min_f32_e32 v49, 0, v48
	v_lshl_add_u64 v[50:51], v[78:79], 2, v[44:45]
	global_store_dword v[50:51], v49, off
	s_mov_b64 s[2:3], 0
.LBB67_100:
	;; [unrolled: 39-line block ×3, first 2 shown]
	s_andn2_b64 vcc, exec, s[2:3]
	v_mov_b32_e32 v49, 0
	s_cbranch_vccnz .LBB67_106
; %bb.105:
	v_lshl_add_u64 v[50:51], v[46:47], 0, v[86:87]
	global_load_dword v49, v[50:51], off
	v_lshl_add_u64 v[50:51], v[44:45], 0, v[86:87]
	v_lshl_add_u64 v[46:47], v[74:75], 2, v[46:47]
	s_waitcnt vmcnt(0)
	v_mul_f32_e32 v49, s15, v49
	v_min_f32_e32 v48, v49, v48
	global_store_dword v[50:51], v48, off
	global_load_dword v46, v[46:47], off
	s_waitcnt vmcnt(0)
	v_mul_f32_e32 v49, s15, v46
.LBB67_106:
	v_pk_add_f32 v[40:41], v[0:1], v[40:41]
	s_mov_b64 vcc, s[4:5]
	v_min3_f32 v46, v40, v41, v107
	v_pk_add_f32 v[40:41], v[32:33], v[36:37]
	s_nop 0
	v_min3_f32 v47, v40, v41, v110
	v_pk_add_f32 v[40:41], v[2:3], v[42:43]
	s_nop 0
	v_min_f32_e32 v42, v40, v41
	v_pk_add_f32 v[40:41], v[34:35], v[38:39]
	v_min3_f32 v42, v49, v42, v46
	v_min3_f32 v47, v40, v41, v47
	v_lshl_add_u64 v[40:41], v[74:75], 2, v[44:45]
	global_store_dword v[40:41], v42, off
	v_add_u32_e32 v42, 0xc0, v154
	v_mad_i64_i32 v[40:41], s[2:3], v42, s7, 0
	v_mad_i64_i32 v[42:43], s[2:3], v42, s6, 0
	v_lshl_add_u64 v[40:41], v[40:41], 2, s[0:1]
	s_mov_b64 s[2:3], -1
	v_max_f32_e32 v44, v47, v47
	s_cbranch_vccz .LBB67_108
; %bb.107:
	v_min_f32_e32 v45, 0, v44
	v_lshl_add_u64 v[46:47], v[68:69], 2, v[40:41]
	global_store_dword v[46:47], v45, off
	s_mov_b64 s[2:3], 0
.LBB67_108:
	v_lshl_add_u64 v[42:43], v[42:43], 2, s[12:13]
	s_andn2_b64 vcc, exec, s[2:3]
	v_mov_b32_e32 v45, 0
	s_cbranch_vccnz .LBB67_110
; %bb.109:
	v_lshl_add_u64 v[46:47], v[42:43], 0, v[72:73]
	global_load_dword v45, v[46:47], off
	v_lshl_add_u64 v[46:47], v[40:41], 0, v[72:73]
	s_waitcnt vmcnt(0)
	v_mul_f32_e32 v45, s15, v45
	v_min_f32_e32 v44, v45, v44
	global_store_dword v[46:47], v44, off
	v_lshl_add_u64 v[44:45], v[64:65], 2, v[42:43]
	global_load_dword v44, v[44:45], off
	s_waitcnt vmcnt(0)
	v_mul_f32_e32 v45, s15, v44
.LBB67_110:
	v_pk_add_f32 v[46:47], v[28:29], v[36:37]
	s_mov_b64 s[2:3], -1
	v_min3_f32 v44, v46, v47, v105
	v_pk_add_f32 v[46:47], v[24:25], v[36:37]
	s_mov_b64 vcc, s[4:5]
	v_min3_f32 v48, v46, v47, v106
	v_pk_add_f32 v[46:47], v[30:31], v[38:39]
	s_nop 0
	v_min_f32_e32 v49, v46, v47
	v_pk_add_f32 v[46:47], v[26:27], v[38:39]
	s_nop 0
	v_min3_f32 v46, v46, v47, v48
	v_min3_f32 v47, v45, v49, v44
	v_lshl_add_u64 v[44:45], v[64:65], 2, v[40:41]
	global_store_dword v[44:45], v47, off
	v_max_f32_e32 v44, v46, v46
	s_cbranch_vccz .LBB67_112
; %bb.111:
	v_min_f32_e32 v45, 0, v44
	v_lshl_add_u64 v[46:47], v[76:77], 2, v[40:41]
	global_store_dword v[46:47], v45, off
	s_mov_b64 s[2:3], 0
.LBB67_112:
	s_andn2_b64 vcc, exec, s[2:3]
	v_mov_b32_e32 v45, 0
	s_cbranch_vccnz .LBB67_114
; %bb.113:
	v_lshl_add_u64 v[46:47], v[42:43], 0, v[80:81]
	global_load_dword v45, v[46:47], off
	v_lshl_add_u64 v[46:47], v[40:41], 0, v[80:81]
	s_waitcnt vmcnt(0)
	v_mul_f32_e32 v45, s15, v45
	v_min_f32_e32 v44, v45, v44
	global_store_dword v[46:47], v44, off
	v_lshl_add_u64 v[44:45], v[66:67], 2, v[42:43]
	global_load_dword v44, v[44:45], off
	s_waitcnt vmcnt(0)
	v_mul_f32_e32 v45, s15, v44
.LBB67_114:
	v_pk_add_f32 v[46:47], v[20:21], v[36:37]
	s_mov_b64 s[2:3], -1
	v_min3_f32 v44, v46, v47, v103
	v_pk_add_f32 v[46:47], v[16:17], v[36:37]
	s_mov_b64 vcc, s[4:5]
	v_min3_f32 v48, v46, v47, v104
	v_pk_add_f32 v[46:47], v[22:23], v[38:39]
	s_nop 0
	v_min_f32_e32 v49, v46, v47
	v_pk_add_f32 v[46:47], v[18:19], v[38:39]
	s_nop 0
	v_min3_f32 v46, v46, v47, v48
	v_min3_f32 v47, v45, v49, v44
	v_lshl_add_u64 v[44:45], v[66:67], 2, v[40:41]
	global_store_dword v[44:45], v47, off
	v_max_f32_e32 v44, v46, v46
	s_cbranch_vccz .LBB67_116
; %bb.115:
	v_min_f32_e32 v45, 0, v44
	v_lshl_add_u64 v[46:47], v[78:79], 2, v[40:41]
	global_store_dword v[46:47], v45, off
	s_mov_b64 s[2:3], 0
.LBB67_116:
	;; [unrolled: 39-line block ×3, first 2 shown]
	s_andn2_b64 vcc, exec, s[2:3]
	v_mov_b32_e32 v45, 0
	s_cbranch_vccnz .LBB67_122
; %bb.121:
	v_lshl_add_u64 v[46:47], v[42:43], 0, v[86:87]
	global_load_dword v45, v[46:47], off
	v_lshl_add_u64 v[46:47], v[40:41], 0, v[86:87]
	v_lshl_add_u64 v[42:43], v[74:75], 2, v[42:43]
	s_waitcnt vmcnt(0)
	v_mul_f32_e32 v45, s15, v45
	v_min_f32_e32 v44, v45, v44
	global_store_dword v[46:47], v44, off
	global_load_dword v42, v[42:43], off
	s_waitcnt vmcnt(0)
	v_mul_f32_e32 v45, s15, v42
.LBB67_122:
	v_pk_add_f32 v[36:37], v[0:1], v[36:37]
	s_waitcnt lgkmcnt(0)
	v_pk_add_f32 v[32:33], v[32:33], v[4:5]
	v_min3_f32 v36, v36, v37, v99
	v_min3_f32 v37, v32, v33, v100
	v_pk_add_f32 v[32:33], v[2:3], v[38:39]
	s_mov_b64 vcc, s[4:5]
	v_min_f32_e32 v38, v32, v33
	v_pk_add_f32 v[32:33], v[34:35], v[6:7]
	v_min3_f32 v34, v45, v38, v36
	v_min3_f32 v37, v32, v33, v37
	v_lshl_add_u64 v[32:33], v[74:75], 2, v[40:41]
	global_store_dword v[32:33], v34, off
	v_add_u32_e32 v34, 0xe0, v154
	v_mad_i64_i32 v[32:33], s[2:3], v34, s7, 0
	v_lshl_add_u64 v[32:33], v[32:33], 2, s[0:1]
	v_mad_i64_i32 v[34:35], s[0:1], v34, s6, 0
	s_mov_b64 s[0:1], -1
	v_max_f32_e32 v36, v37, v37
	s_cbranch_vccz .LBB67_124
; %bb.123:
	v_min_f32_e32 v37, 0, v36
	v_lshl_add_u64 v[38:39], v[68:69], 2, v[32:33]
	global_store_dword v[38:39], v37, off
	s_mov_b64 s[0:1], 0
.LBB67_124:
	v_lshl_add_u64 v[34:35], v[34:35], 2, s[12:13]
	s_andn2_b64 vcc, exec, s[0:1]
	v_mov_b32_e32 v37, 0
	s_cbranch_vccnz .LBB67_126
; %bb.125:
	v_lshl_add_u64 v[38:39], v[34:35], 0, v[72:73]
	global_load_dword v37, v[38:39], off
	v_lshl_add_u64 v[38:39], v[32:33], 0, v[72:73]
	s_waitcnt vmcnt(0)
	v_mul_f32_e32 v37, s15, v37
	v_min_f32_e32 v36, v37, v36
	global_store_dword v[38:39], v36, off
	v_lshl_add_u64 v[36:37], v[64:65], 2, v[34:35]
	global_load_dword v36, v[36:37], off
	s_waitcnt vmcnt(0)
	v_mul_f32_e32 v37, s15, v36
.LBB67_126:
	v_pk_add_f32 v[28:29], v[28:29], v[4:5]
	v_pk_add_f32 v[24:25], v[24:25], v[4:5]
	v_min3_f32 v28, v28, v29, v96
	v_min3_f32 v29, v24, v25, v97
	v_pk_add_f32 v[24:25], v[30:31], v[6:7]
	s_mov_b64 s[0:1], -1
	v_min_f32_e32 v30, v24, v25
	v_pk_add_f32 v[24:25], v[26:27], v[6:7]
	v_min3_f32 v27, v37, v30, v28
	v_min3_f32 v26, v24, v25, v29
	v_lshl_add_u64 v[24:25], v[64:65], 2, v[32:33]
	global_store_dword v[24:25], v27, off
	v_max_f32_e32 v24, v26, v26
	s_mov_b64 vcc, s[4:5]
	s_cbranch_vccz .LBB67_128
; %bb.127:
	v_min_f32_e32 v25, 0, v24
	v_lshl_add_u64 v[26:27], v[76:77], 2, v[32:33]
	global_store_dword v[26:27], v25, off
	s_mov_b64 s[0:1], 0
.LBB67_128:
	s_andn2_b64 vcc, exec, s[0:1]
	v_mov_b32_e32 v25, 0
	s_cbranch_vccnz .LBB67_130
; %bb.129:
	v_lshl_add_u64 v[26:27], v[34:35], 0, v[80:81]
	global_load_dword v25, v[26:27], off
	v_lshl_add_u64 v[26:27], v[32:33], 0, v[80:81]
	s_waitcnt vmcnt(0)
	v_mul_f32_e32 v25, s15, v25
	v_min_f32_e32 v24, v25, v24
	global_store_dword v[26:27], v24, off
	v_lshl_add_u64 v[24:25], v[66:67], 2, v[34:35]
	global_load_dword v24, v[24:25], off
	s_waitcnt vmcnt(0)
	v_mul_f32_e32 v25, s15, v24
.LBB67_130:
	v_pk_add_f32 v[20:21], v[20:21], v[4:5]
	v_pk_add_f32 v[16:17], v[16:17], v[4:5]
	v_min3_f32 v20, v20, v21, v94
	v_min3_f32 v21, v16, v17, v95
	v_pk_add_f32 v[16:17], v[22:23], v[6:7]
	s_mov_b64 s[0:1], -1
	v_min_f32_e32 v22, v16, v17
	v_pk_add_f32 v[16:17], v[18:19], v[6:7]
	v_min3_f32 v19, v25, v22, v20
	v_min3_f32 v18, v16, v17, v21
	v_lshl_add_u64 v[16:17], v[66:67], 2, v[32:33]
	global_store_dword v[16:17], v19, off
	v_max_f32_e32 v16, v18, v18
	s_mov_b64 vcc, s[4:5]
	s_cbranch_vccz .LBB67_132
; %bb.131:
	v_min_f32_e32 v17, 0, v16
	v_lshl_add_u64 v[18:19], v[78:79], 2, v[32:33]
	global_store_dword v[18:19], v17, off
	s_mov_b64 s[0:1], 0
.LBB67_132:
	;; [unrolled: 37-line block ×3, first 2 shown]
	s_andn2_b64 vcc, exec, s[0:1]
	v_mov_b32_e32 v9, 0
	s_cbranch_vccnz .LBB67_138
; %bb.137:
	v_lshl_add_u64 v[10:11], v[34:35], 0, v[86:87]
	global_load_dword v9, v[10:11], off
	v_lshl_add_u64 v[10:11], v[32:33], 0, v[86:87]
	s_waitcnt vmcnt(0)
	v_mul_f32_e32 v9, s15, v9
	v_min_f32_e32 v8, v9, v8
	global_store_dword v[10:11], v8, off
	v_lshl_add_u64 v[8:9], v[74:75], 2, v[34:35]
	global_load_dword v8, v[8:9], off
	s_waitcnt vmcnt(0)
	v_mul_f32_e32 v9, s15, v8
.LBB67_138:
	v_pk_add_f32 v[2:3], v[2:3], v[6:7]
	v_pk_add_f32 v[0:1], v[0:1], v[4:5]
	v_min_f32_e32 v2, v2, v3
	v_min3_f32 v0, v0, v1, v98
	v_min3_f32 v2, v9, v2, v0
	v_lshl_add_u64 v[0:1], v[74:75], 2, v[32:33]
	global_store_dword v[0:1], v2, off
	s_endpgm
.LBB67_139:
	s_mov_b64 s[16:17], 0
	s_andn2_b64 vcc, exec, s[8:9]
	s_mov_b64 s[4:5], -1
	s_cbranch_vccz .LBB67_2
	s_branch .LBB67_3
	.section	.rodata,"a",@progbits
	.p2align	6, 0x0
	.amdhsa_kernel _ZN12_GLOBAL__N_120geam_min_plus_kernelIf15HIP_vector_typeIfLj2EEfLi8ELi32ELi64ELi256ELi4ELi64ELi4ELi64ELi4ELc78ELc84ELb1ELb0ELb1EfKffEEviiiT16_PT17_ilS6_ilS4_S6_ilPT18_ili26rocblas_geam_ex_operation_
		.amdhsa_group_segment_fixed_size 10240
		.amdhsa_private_segment_fixed_size 0
		.amdhsa_kernarg_size 128
		.amdhsa_user_sgpr_count 2
		.amdhsa_user_sgpr_dispatch_ptr 0
		.amdhsa_user_sgpr_queue_ptr 0
		.amdhsa_user_sgpr_kernarg_segment_ptr 1
		.amdhsa_user_sgpr_dispatch_id 0
		.amdhsa_user_sgpr_kernarg_preload_length 0
		.amdhsa_user_sgpr_kernarg_preload_offset 0
		.amdhsa_user_sgpr_private_segment_size 0
		.amdhsa_uses_dynamic_stack 0
		.amdhsa_enable_private_segment 0
		.amdhsa_system_sgpr_workgroup_id_x 1
		.amdhsa_system_sgpr_workgroup_id_y 0
		.amdhsa_system_sgpr_workgroup_id_z 1
		.amdhsa_system_sgpr_workgroup_info 0
		.amdhsa_system_vgpr_workitem_id 1
		.amdhsa_next_free_vgpr 177
		.amdhsa_next_free_sgpr 25
		.amdhsa_accum_offset 180
		.amdhsa_reserve_vcc 1
		.amdhsa_float_round_mode_32 0
		.amdhsa_float_round_mode_16_64 0
		.amdhsa_float_denorm_mode_32 3
		.amdhsa_float_denorm_mode_16_64 3
		.amdhsa_dx10_clamp 1
		.amdhsa_ieee_mode 1
		.amdhsa_fp16_overflow 0
		.amdhsa_tg_split 0
		.amdhsa_exception_fp_ieee_invalid_op 0
		.amdhsa_exception_fp_denorm_src 0
		.amdhsa_exception_fp_ieee_div_zero 0
		.amdhsa_exception_fp_ieee_overflow 0
		.amdhsa_exception_fp_ieee_underflow 0
		.amdhsa_exception_fp_ieee_inexact 0
		.amdhsa_exception_int_div_zero 0
	.end_amdhsa_kernel
	.section	.text._ZN12_GLOBAL__N_120geam_min_plus_kernelIf15HIP_vector_typeIfLj2EEfLi8ELi32ELi64ELi256ELi4ELi64ELi4ELi64ELi4ELc78ELc84ELb1ELb0ELb1EfKffEEviiiT16_PT17_ilS6_ilS4_S6_ilPT18_ili26rocblas_geam_ex_operation_,"axG",@progbits,_ZN12_GLOBAL__N_120geam_min_plus_kernelIf15HIP_vector_typeIfLj2EEfLi8ELi32ELi64ELi256ELi4ELi64ELi4ELi64ELi4ELc78ELc84ELb1ELb0ELb1EfKffEEviiiT16_PT17_ilS6_ilS4_S6_ilPT18_ili26rocblas_geam_ex_operation_,comdat
.Lfunc_end67:
	.size	_ZN12_GLOBAL__N_120geam_min_plus_kernelIf15HIP_vector_typeIfLj2EEfLi8ELi32ELi64ELi256ELi4ELi64ELi4ELi64ELi4ELc78ELc84ELb1ELb0ELb1EfKffEEviiiT16_PT17_ilS6_ilS4_S6_ilPT18_ili26rocblas_geam_ex_operation_, .Lfunc_end67-_ZN12_GLOBAL__N_120geam_min_plus_kernelIf15HIP_vector_typeIfLj2EEfLi8ELi32ELi64ELi256ELi4ELi64ELi4ELi64ELi4ELc78ELc84ELb1ELb0ELb1EfKffEEviiiT16_PT17_ilS6_ilS4_S6_ilPT18_ili26rocblas_geam_ex_operation_
                                        ; -- End function
	.set _ZN12_GLOBAL__N_120geam_min_plus_kernelIf15HIP_vector_typeIfLj2EEfLi8ELi32ELi64ELi256ELi4ELi64ELi4ELi64ELi4ELc78ELc84ELb1ELb0ELb1EfKffEEviiiT16_PT17_ilS6_ilS4_S6_ilPT18_ili26rocblas_geam_ex_operation_.num_vgpr, 177
	.set _ZN12_GLOBAL__N_120geam_min_plus_kernelIf15HIP_vector_typeIfLj2EEfLi8ELi32ELi64ELi256ELi4ELi64ELi4ELi64ELi4ELc78ELc84ELb1ELb0ELb1EfKffEEviiiT16_PT17_ilS6_ilS4_S6_ilPT18_ili26rocblas_geam_ex_operation_.num_agpr, 0
	.set _ZN12_GLOBAL__N_120geam_min_plus_kernelIf15HIP_vector_typeIfLj2EEfLi8ELi32ELi64ELi256ELi4ELi64ELi4ELi64ELi4ELc78ELc84ELb1ELb0ELb1EfKffEEviiiT16_PT17_ilS6_ilS4_S6_ilPT18_ili26rocblas_geam_ex_operation_.numbered_sgpr, 25
	.set _ZN12_GLOBAL__N_120geam_min_plus_kernelIf15HIP_vector_typeIfLj2EEfLi8ELi32ELi64ELi256ELi4ELi64ELi4ELi64ELi4ELc78ELc84ELb1ELb0ELb1EfKffEEviiiT16_PT17_ilS6_ilS4_S6_ilPT18_ili26rocblas_geam_ex_operation_.num_named_barrier, 0
	.set _ZN12_GLOBAL__N_120geam_min_plus_kernelIf15HIP_vector_typeIfLj2EEfLi8ELi32ELi64ELi256ELi4ELi64ELi4ELi64ELi4ELc78ELc84ELb1ELb0ELb1EfKffEEviiiT16_PT17_ilS6_ilS4_S6_ilPT18_ili26rocblas_geam_ex_operation_.private_seg_size, 0
	.set _ZN12_GLOBAL__N_120geam_min_plus_kernelIf15HIP_vector_typeIfLj2EEfLi8ELi32ELi64ELi256ELi4ELi64ELi4ELi64ELi4ELc78ELc84ELb1ELb0ELb1EfKffEEviiiT16_PT17_ilS6_ilS4_S6_ilPT18_ili26rocblas_geam_ex_operation_.uses_vcc, 1
	.set _ZN12_GLOBAL__N_120geam_min_plus_kernelIf15HIP_vector_typeIfLj2EEfLi8ELi32ELi64ELi256ELi4ELi64ELi4ELi64ELi4ELc78ELc84ELb1ELb0ELb1EfKffEEviiiT16_PT17_ilS6_ilS4_S6_ilPT18_ili26rocblas_geam_ex_operation_.uses_flat_scratch, 0
	.set _ZN12_GLOBAL__N_120geam_min_plus_kernelIf15HIP_vector_typeIfLj2EEfLi8ELi32ELi64ELi256ELi4ELi64ELi4ELi64ELi4ELc78ELc84ELb1ELb0ELb1EfKffEEviiiT16_PT17_ilS6_ilS4_S6_ilPT18_ili26rocblas_geam_ex_operation_.has_dyn_sized_stack, 0
	.set _ZN12_GLOBAL__N_120geam_min_plus_kernelIf15HIP_vector_typeIfLj2EEfLi8ELi32ELi64ELi256ELi4ELi64ELi4ELi64ELi4ELc78ELc84ELb1ELb0ELb1EfKffEEviiiT16_PT17_ilS6_ilS4_S6_ilPT18_ili26rocblas_geam_ex_operation_.has_recursion, 0
	.set _ZN12_GLOBAL__N_120geam_min_plus_kernelIf15HIP_vector_typeIfLj2EEfLi8ELi32ELi64ELi256ELi4ELi64ELi4ELi64ELi4ELc78ELc84ELb1ELb0ELb1EfKffEEviiiT16_PT17_ilS6_ilS4_S6_ilPT18_ili26rocblas_geam_ex_operation_.has_indirect_call, 0
	.section	.AMDGPU.csdata,"",@progbits
; Kernel info:
; codeLenInByte = 15676
; TotalNumSgprs: 31
; NumVgprs: 177
; NumAgprs: 0
; TotalNumVgprs: 177
; ScratchSize: 0
; MemoryBound: 0
; FloatMode: 240
; IeeeMode: 1
; LDSByteSize: 10240 bytes/workgroup (compile time only)
; SGPRBlocks: 3
; VGPRBlocks: 22
; NumSGPRsForWavesPerEU: 31
; NumVGPRsForWavesPerEU: 177
; AccumOffset: 180
; Occupancy: 2
; WaveLimiterHint : 1
; COMPUTE_PGM_RSRC2:SCRATCH_EN: 0
; COMPUTE_PGM_RSRC2:USER_SGPR: 2
; COMPUTE_PGM_RSRC2:TRAP_HANDLER: 0
; COMPUTE_PGM_RSRC2:TGID_X_EN: 1
; COMPUTE_PGM_RSRC2:TGID_Y_EN: 0
; COMPUTE_PGM_RSRC2:TGID_Z_EN: 1
; COMPUTE_PGM_RSRC2:TIDIG_COMP_CNT: 1
; COMPUTE_PGM_RSRC3_GFX90A:ACCUM_OFFSET: 44
; COMPUTE_PGM_RSRC3_GFX90A:TG_SPLIT: 0
	.section	.text._ZN12_GLOBAL__N_120geam_min_plus_kernelIf15HIP_vector_typeIfLj2EEfLi8ELi32ELi64ELi256ELi4ELi64ELi4ELi64ELi4ELc78ELc84ELb0ELb0ELb1EfKffEEviiiT16_PT17_ilS6_ilS4_S6_ilPT18_ili26rocblas_geam_ex_operation_,"axG",@progbits,_ZN12_GLOBAL__N_120geam_min_plus_kernelIf15HIP_vector_typeIfLj2EEfLi8ELi32ELi64ELi256ELi4ELi64ELi4ELi64ELi4ELc78ELc84ELb0ELb0ELb1EfKffEEviiiT16_PT17_ilS6_ilS4_S6_ilPT18_ili26rocblas_geam_ex_operation_,comdat
	.globl	_ZN12_GLOBAL__N_120geam_min_plus_kernelIf15HIP_vector_typeIfLj2EEfLi8ELi32ELi64ELi256ELi4ELi64ELi4ELi64ELi4ELc78ELc84ELb0ELb0ELb1EfKffEEviiiT16_PT17_ilS6_ilS4_S6_ilPT18_ili26rocblas_geam_ex_operation_ ; -- Begin function _ZN12_GLOBAL__N_120geam_min_plus_kernelIf15HIP_vector_typeIfLj2EEfLi8ELi32ELi64ELi256ELi4ELi64ELi4ELi64ELi4ELc78ELc84ELb0ELb0ELb1EfKffEEviiiT16_PT17_ilS6_ilS4_S6_ilPT18_ili26rocblas_geam_ex_operation_
	.p2align	8
	.type	_ZN12_GLOBAL__N_120geam_min_plus_kernelIf15HIP_vector_typeIfLj2EEfLi8ELi32ELi64ELi256ELi4ELi64ELi4ELi64ELi4ELc78ELc84ELb0ELb0ELb1EfKffEEviiiT16_PT17_ilS6_ilS4_S6_ilPT18_ili26rocblas_geam_ex_operation_,@function
_ZN12_GLOBAL__N_120geam_min_plus_kernelIf15HIP_vector_typeIfLj2EEfLi8ELi32ELi64ELi256ELi4ELi64ELi4ELi64ELi4ELc78ELc84ELb0ELb0ELb1EfKffEEviiiT16_PT17_ilS6_ilS4_S6_ilPT18_ili26rocblas_geam_ex_operation_: ; @_ZN12_GLOBAL__N_120geam_min_plus_kernelIf15HIP_vector_typeIfLj2EEfLi8ELi32ELi64ELi256ELi4ELi64ELi4ELi64ELi4ELc78ELc84ELb0ELb0ELb1EfKffEEviiiT16_PT17_ilS6_ilS4_S6_ilPT18_ili26rocblas_geam_ex_operation_
; %bb.0:
	s_load_dwordx2 s[18:19], s[0:1], 0x8
	s_load_dwordx4 s[8:11], s[0:1], 0x20
	s_waitcnt lgkmcnt(0)
	v_cmp_eq_f32_e64 s[6:7], s19, 0
	s_and_b64 s[4:5], exec, s[6:7]
	s_mov_b64 vcc, s[4:5]
	s_cbranch_vccnz .LBB68_175
; %bb.1:
	s_load_dwordx2 s[12:13], s[0:1], 0x10
	s_mul_i32 s9, s9, s3
	s_mul_hi_u32 s14, s8, s3
	s_add_i32 s9, s14, s9
	s_mul_i32 s8, s8, s3
	s_lshl_b64 s[8:9], s[8:9], 2
	s_waitcnt lgkmcnt(0)
	s_add_u32 s20, s12, s8
	s_addc_u32 s21, s13, s9
	s_andn2_b64 vcc, exec, s[6:7]
	s_mov_b64 s[6:7], -1
	s_cbranch_vccnz .LBB68_3
.LBB68_2:
	s_mov_b64 s[6:7], 0
.LBB68_3:
	s_mov_b64 s[16:17], 0
	s_andn2_b64 vcc, exec, s[6:7]
	s_mov_b64 s[22:23], 0
	s_cbranch_vccnz .LBB68_5
; %bb.4:
	s_load_dwordx2 s[6:7], s[0:1], 0x38
	s_waitcnt lgkmcnt(0)
	s_mul_i32 s7, s7, s3
	s_mul_hi_u32 s8, s6, s3
	s_add_i32 s7, s8, s7
	s_mul_i32 s6, s6, s3
	s_lshl_b64 s[6:7], s[6:7], 2
	s_add_u32 s22, s10, s6
	s_addc_u32 s23, s11, s7
.LBB68_5:
	s_load_dword s26, s[0:1], 0x40
	s_load_dwordx4 s[12:15], s[0:1], 0x58
	v_cmp_neq_f32_e64 s[24:25], s19, 0
	s_waitcnt lgkmcnt(0)
	v_cmp_eq_f32_e64 s[6:7], s26, 0
	s_and_b64 s[8:9], exec, s[6:7]
	s_mov_b64 vcc, s[8:9]
	s_cbranch_vccnz .LBB68_7
; %bb.6:
	s_load_dwordx2 s[6:7], s[0:1], 0x48
	s_mul_i32 s10, s13, s3
	s_mul_hi_u32 s11, s12, s3
	s_add_i32 s11, s11, s10
	s_mul_i32 s10, s12, s3
	s_lshl_b64 s[10:11], s[10:11], 2
	s_waitcnt lgkmcnt(0)
	s_add_u32 s16, s6, s10
	s_addc_u32 s17, s7, s11
.LBB68_7:
	s_load_dword s6, s[0:1], 0x0
	s_load_dword s10, s[0:1], 0x18
	v_and_b32_e32 v82, 0x3ff, v0
	v_bfe_u32 v83, v0, 10, 10
	v_cndmask_b32_e64 v0, 0, 1, s[24:25]
	s_waitcnt lgkmcnt(0)
	s_add_i32 s6, s6, -1
	s_ashr_i32 s7, s6, 31
	s_lshr_b32 s7, s7, 26
	s_add_i32 s6, s6, s7
	s_ashr_i32 s12, s6, 6
	s_add_i32 s27, s12, 1
	v_cvt_f32_u32_e32 v1, s27
	v_cmp_ne_u32_e64 s[6:7], 1, v0
	s_not_b32 s12, s12
	s_ashr_i32 s11, s10, 31
	v_rcp_iflag_f32_e32 v1, v1
	v_lshl_add_u32 v2, v83, 3, v82
	v_and_b32_e32 v45, 63, v2
	v_mov_b32_e32 v3, 0
	v_mul_f32_e32 v0, 0x4f7ffffe, v1
	v_cvt_u32_f32_e32 v0, v0
	v_lshrrev_b32_e32 v44, 6, v2
	v_mov_b32_e32 v5, 0
	v_readfirstlane_b32 s13, v0
	s_mul_i32 s12, s12, s13
	s_mul_hi_u32 s12, s13, s12
	s_add_i32 s13, s13, s12
	s_mul_hi_u32 s12, s2, s13
	s_mul_i32 s13, s12, s27
	s_sub_i32 s13, s2, s13
	s_add_i32 s28, s12, 1
	s_sub_i32 s29, s13, s27
	s_cmp_ge_u32 s13, s27
	s_cselect_b32 s12, s28, s12
	s_cselect_b32 s13, s29, s13
	s_add_i32 s28, s12, 1
	s_cmp_ge_u32 s13, s27
	s_cselect_b32 s13, s28, s12
	s_mul_i32 s29, s13, s27
	s_sub_i32 s12, s2, s29
	s_lshl_b32 s27, s12, 6
	v_or_b32_e32 v10, s27, v45
	s_andn2_b64 vcc, exec, s[24:25]
	v_ashrrev_i32_e32 v11, 31, v10
	s_cbranch_vccnz .LBB68_9
; %bb.8:
	v_mad_i64_i32 v[0:1], s[24:25], s10, v44, 0
	v_lshl_add_u64 v[0:1], v[0:1], 2, s[20:21]
	v_lshl_add_u64 v[0:1], v[10:11], 2, v[0:1]
	global_load_dword v0, v[0:1], off
	s_waitcnt vmcnt(0)
	v_mul_f32_e32 v5, s19, v0
.LBB68_9:
	s_load_dword s12, s[0:1], 0x30
	s_lshl_b32 s28, s13, 8
	v_or_b32_e32 v8, s28, v45
	s_and_b64 vcc, exec, s[6:7]
	v_ashrrev_i32_e32 v9, 31, v8
	s_waitcnt lgkmcnt(0)
	v_mad_i64_i32 v[0:1], s[24:25], v44, s12, 0
	v_lshl_add_u64 v[0:1], v[0:1], 2, s[22:23]
	v_mov_b32_e32 v4, 0
	s_cbranch_vccnz .LBB68_11
; %bb.10:
	v_lshl_add_u64 v[2:3], v[8:9], 2, v[0:1]
	global_load_dword v4, v[2:3], off
	global_load_dword v6, v[2:3], off offset:256
	s_waitcnt vmcnt(1)
	v_mul_f32_e32 v4, s19, v4
	s_waitcnt vmcnt(0)
	v_mul_f32_e32 v3, s19, v6
.LBB68_11:
	s_ashr_i32 s13, s12, 31
	v_mov_b32_e32 v7, 0
	s_mov_b64 vcc, s[4:5]
	s_cbranch_vccz .LBB68_13
; %bb.12:
	s_mov_b32 s24, 0
	v_mov_b32_e32 v6, s24
	s_cbranch_execz .LBB68_14
	s_branch .LBB68_15
.LBB68_13:
                                        ; implicit-def: $vgpr6
.LBB68_14:
	v_lshl_add_u64 v[0:1], v[8:9], 2, v[0:1]
	global_load_dword v2, v[0:1], off offset:512
	global_load_dword v7, v[0:1], off offset:768
	s_waitcnt vmcnt(1)
	v_mul_f32_e32 v6, s19, v2
	s_waitcnt vmcnt(0)
	v_mul_f32_e32 v7, s19, v7
.LBB68_15:
	v_add_u32_e32 v0, 4, v44
	v_mov_b32_e32 v1, 0
	s_and_b64 vcc, exec, s[6:7]
	v_mov_b32_e32 v47, 0
	s_cbranch_vccnz .LBB68_17
; %bb.16:
	v_mad_i64_i32 v[12:13], s[24:25], s10, v0, 0
	v_lshl_add_u64 v[12:13], v[12:13], 2, s[20:21]
	v_lshl_add_u64 v[10:11], v[10:11], 2, v[12:13]
	global_load_dword v2, v[10:11], off
	s_waitcnt vmcnt(0)
	v_mul_f32_e32 v47, s19, v2
.LBB68_17:
	v_mad_i64_i32 v[10:11], s[24:25], v0, s12, 0
	v_lshl_add_u64 v[10:11], v[10:11], 2, s[22:23]
	s_and_b64 vcc, exec, s[6:7]
	v_mov_b32_e32 v0, 0
	s_cbranch_vccnz .LBB68_19
; %bb.18:
	v_lshl_add_u64 v[0:1], v[8:9], 2, v[10:11]
	global_load_dword v2, v[0:1], off
	global_load_dword v12, v[0:1], off offset:256
	s_waitcnt vmcnt(1)
	v_mul_f32_e32 v0, s19, v2
	s_waitcnt vmcnt(0)
	v_mul_f32_e32 v1, s19, v12
.LBB68_19:
	v_mov_b32_e32 v46, 0
	s_mov_b64 vcc, s[4:5]
	s_cbranch_vccz .LBB68_21
; %bb.20:
	s_mov_b32 s24, 0
	v_mov_b32_e32 v2, s24
	s_cbranch_execz .LBB68_22
	s_branch .LBB68_23
.LBB68_21:
                                        ; implicit-def: $vgpr2
.LBB68_22:
	v_lshl_add_u64 v[8:9], v[8:9], 2, v[10:11]
	global_load_dword v2, v[8:9], off offset:512
	global_load_dword v10, v[8:9], off offset:768
	s_waitcnt vmcnt(1)
	v_mul_f32_e32 v2, s19, v2
	s_waitcnt vmcnt(0)
	v_mul_f32_e32 v46, s19, v10
.LBB68_23:
	v_lshlrev_b32_e32 v8, 4, v45
	v_lshl_add_u32 v86, v44, 2, v8
	v_lshlrev_b32_e32 v85, 4, v82
	ds_write_b32 v86, v5 offset:8192
	ds_write2st64_b32 v86, v4, v3 offset1:4
	ds_write2st64_b32 v86, v6, v7 offset0:8 offset1:12
	s_waitcnt lgkmcnt(0)
	s_barrier
	v_lshlrev_b32_e32 v84, 4, v83
	ds_read_b128 v[32:35], v85 offset:8192
	ds_read_b128 v[28:31], v85 offset:8320
	;; [unrolled: 1-line block ×8, first 2 shown]
	ds_read_b128 v[48:51], v84
	ds_read_b128 v[52:55], v84 offset:512
	ds_read_b128 v[56:59], v84 offset:1024
	;; [unrolled: 1-line block ×4, first 2 shown]
	s_waitcnt lgkmcnt(4)
	v_pk_add_f32 v[60:61], v[32:33], v[48:49]
	s_mov_b32 s24, 0x7f7fffff
	v_min3_f32 v3, v60, v61, s24
	v_pk_add_f32 v[60:61], v[28:29], v[48:49]
	s_cmp_lt_i32 s18, 9
	v_min3_f32 v64, v60, v61, s24
	v_pk_add_f32 v[60:61], v[24:25], v[48:49]
	s_nop 0
	v_min3_f32 v65, v60, v61, s24
	v_pk_add_f32 v[60:61], v[20:21], v[48:49]
	s_nop 0
	v_min3_f32 v66, v60, v61, s24
	v_pk_add_f32 v[60:61], v[16:17], v[48:49]
	s_nop 0
	v_min3_f32 v67, v60, v61, s24
	v_pk_add_f32 v[60:61], v[12:13], v[48:49]
	s_nop 0
	v_min3_f32 v68, v60, v61, s24
	v_pk_add_f32 v[60:61], v[8:9], v[48:49]
	v_pk_add_f32 v[48:49], v[4:5], v[48:49]
	v_min3_f32 v69, v60, v61, s24
	v_min3_f32 v70, v48, v49, s24
	s_waitcnt lgkmcnt(3)
	v_pk_add_f32 v[48:49], v[32:33], v[52:53]
	ds_read_b128 v[60:63], v84 offset:2560
	v_min3_f32 v71, v48, v49, s24
	v_pk_add_f32 v[48:49], v[28:29], v[52:53]
	s_nop 0
	v_min3_f32 v72, v48, v49, s24
	v_pk_add_f32 v[48:49], v[24:25], v[52:53]
	s_nop 0
	;; [unrolled: 3-line block ×7, first 2 shown]
	v_min3_f32 v52, v48, v49, s24
	s_waitcnt lgkmcnt(3)
	v_pk_add_f32 v[48:49], v[32:33], v[56:57]
	s_nop 0
	v_min3_f32 v53, v48, v49, s24
	v_pk_add_f32 v[48:49], v[28:29], v[56:57]
	s_nop 0
	v_min3_f32 v78, v48, v49, s24
	;; [unrolled: 3-line block ×8, first 2 shown]
	s_waitcnt lgkmcnt(2)
	v_pk_add_f32 v[48:49], v[32:33], v[40:41]
	s_nop 0
	v_min3_f32 v57, v48, v49, s24
	v_pk_add_f32 v[48:49], v[28:29], v[40:41]
	s_nop 0
	v_min3_f32 v91, v48, v49, s24
	;; [unrolled: 3-line block ×6, first 2 shown]
	v_pk_add_f32 v[48:49], v[8:9], v[40:41]
	v_pk_add_f32 v[40:41], v[4:5], v[40:41]
	v_min3_f32 v96, v48, v49, s24
	v_min3_f32 v97, v40, v41, s24
	s_waitcnt lgkmcnt(1)
	v_pk_add_f32 v[40:41], v[32:33], v[36:37]
	s_nop 0
	v_min3_f32 v98, v40, v41, s24
	v_pk_add_f32 v[40:41], v[28:29], v[36:37]
	s_nop 0
	v_min3_f32 v99, v40, v41, s24
	;; [unrolled: 3-line block ×6, first 2 shown]
	v_pk_add_f32 v[40:41], v[8:9], v[36:37]
	v_pk_add_f32 v[36:37], v[4:5], v[36:37]
	v_min3_f32 v104, v40, v41, s24
	v_min3_f32 v105, v36, v37, s24
	v_pk_add_f32 v[36:37], v[34:35], v[50:51]
	s_nop 0
	v_min3_f32 v88, v36, v37, v3
	v_pk_add_f32 v[36:37], v[30:31], v[50:51]
	s_nop 0
	;; [unrolled: 3-line block ×7, first 2 shown]
	v_min3_f32 v87, v36, v37, v69
	v_pk_add_f32 v[36:37], v[6:7], v[50:51]
	ds_read_b128 v[48:51], v84 offset:3072
	v_min3_f32 v148, v36, v37, v70
	v_pk_add_f32 v[36:37], v[34:35], v[54:55]
	s_waitcnt lgkmcnt(1)
	v_pk_add_f32 v[40:41], v[32:33], v[60:61]
	v_min3_f32 v147, v36, v37, v71
	v_pk_add_f32 v[36:37], v[30:31], v[54:55]
	v_min3_f32 v3, v40, v41, s24
	v_min3_f32 v146, v36, v37, v72
	v_pk_add_f32 v[36:37], v[26:27], v[54:55]
	v_pk_add_f32 v[40:41], v[28:29], v[60:61]
	v_min3_f32 v145, v36, v37, v73
	v_pk_add_f32 v[36:37], v[22:23], v[54:55]
	v_min3_f32 v64, v40, v41, s24
	v_min3_f32 v144, v36, v37, v74
	v_pk_add_f32 v[36:37], v[18:19], v[54:55]
	v_pk_add_f32 v[40:41], v[16:17], v[60:61]
	v_min3_f32 v143, v36, v37, v75
	v_pk_add_f32 v[36:37], v[14:15], v[54:55]
	s_nop 0
	v_min3_f32 v142, v36, v37, v76
	v_pk_add_f32 v[36:37], v[10:11], v[54:55]
	s_nop 0
	;; [unrolled: 3-line block ×4, first 2 shown]
	v_min3_f32 v66, v36, v37, s24
	v_pk_add_f32 v[36:37], v[6:7], v[54:55]
	v_min3_f32 v54, v40, v41, s24
	v_min3_f32 v140, v36, v37, v52
	v_pk_add_f32 v[36:37], v[34:35], v[58:59]
	v_pk_add_f32 v[40:41], v[12:13], v[60:61]
	v_min3_f32 v139, v36, v37, v53
	v_pk_add_f32 v[36:37], v[30:31], v[58:59]
	s_waitcnt lgkmcnt(0)
	v_pk_add_f32 v[52:53], v[32:33], v[48:49]
	v_min3_f32 v138, v36, v37, v78
	v_pk_add_f32 v[36:37], v[26:27], v[58:59]
	v_min3_f32 v55, v40, v41, s24
	v_min3_f32 v137, v36, v37, v79
	v_pk_add_f32 v[36:37], v[22:23], v[58:59]
	s_nop 0
	v_min3_f32 v136, v36, v37, v80
	v_pk_add_f32 v[36:37], v[18:19], v[58:59]
	s_nop 0
	;; [unrolled: 3-line block ×7, first 2 shown]
	v_min3_f32 v132, v36, v37, v56
	v_pk_add_f32 v[36:37], v[34:35], v[42:43]
	v_min3_f32 v56, v52, v53, s24
	v_min3_f32 v131, v36, v37, v57
	v_pk_add_f32 v[36:37], v[30:31], v[42:43]
	v_pk_add_f32 v[52:53], v[28:29], v[48:49]
	v_min3_f32 v130, v36, v37, v91
	v_pk_add_f32 v[36:37], v[26:27], v[42:43]
	v_min3_f32 v52, v52, v53, s24
	v_min3_f32 v129, v36, v37, v92
	v_pk_add_f32 v[36:37], v[22:23], v[42:43]
	s_nop 0
	v_min3_f32 v128, v36, v37, v93
	v_pk_add_f32 v[36:37], v[18:19], v[42:43]
	s_nop 0
	;; [unrolled: 3-line block ×4, first 2 shown]
	v_min3_f32 v124, v36, v37, v96
	v_pk_add_f32 v[36:37], v[6:7], v[42:43]
	ds_read_b128 v[40:43], v84 offset:3584
	v_min3_f32 v126, v36, v37, v97
	v_pk_add_f32 v[36:37], v[34:35], v[38:39]
	ds_write_b32 v86, v47 offset:9216
	ds_write2st64_b32 v86, v0, v1 offset0:16 offset1:20
	ds_write2st64_b32 v86, v2, v46 offset0:24 offset1:28
	v_min3_f32 v125, v36, v37, v98
	v_pk_add_f32 v[36:37], v[30:31], v[38:39]
	s_waitcnt lgkmcnt(3)
	v_pk_add_f32 v[32:33], v[32:33], v[40:41]
	v_min3_f32 v122, v36, v37, v99
	v_pk_add_f32 v[36:37], v[26:27], v[38:39]
	v_pk_add_f32 v[28:29], v[28:29], v[40:41]
	v_min3_f32 v121, v36, v37, v100
	v_pk_add_f32 v[36:37], v[22:23], v[38:39]
	v_min3_f32 v28, v28, v29, s24
	v_min3_f32 v120, v36, v37, v101
	v_pk_add_f32 v[36:37], v[18:19], v[38:39]
	s_waitcnt lgkmcnt(0)
	v_min3_f32 v119, v36, v37, v102
	v_pk_add_f32 v[36:37], v[14:15], v[38:39]
	s_barrier
	v_min3_f32 v118, v36, v37, v103
	v_pk_add_f32 v[36:37], v[10:11], v[38:39]
	s_nop 0
	v_min3_f32 v117, v36, v37, v104
	v_pk_add_f32 v[36:37], v[24:25], v[48:49]
	v_pk_add_f32 v[24:25], v[24:25], v[40:41]
	v_min3_f32 v53, v36, v37, s24
	v_pk_add_f32 v[36:37], v[20:21], v[48:49]
	v_pk_add_f32 v[20:21], v[20:21], v[40:41]
	;; [unrolled: 3-line block ×3, first 2 shown]
	v_min3_f32 v116, v36, v37, v105
	v_pk_add_f32 v[36:37], v[34:35], v[62:63]
	v_min3_f32 v58, v38, v39, s24
	v_min3_f32 v115, v36, v37, v3
	v_pk_add_f32 v[36:37], v[30:31], v[62:63]
	v_pk_add_f32 v[38:39], v[12:13], v[48:49]
	v_min3_f32 v114, v36, v37, v64
	v_pk_add_f32 v[36:37], v[26:27], v[62:63]
	v_min3_f32 v38, v38, v39, s24
	v_min3_f32 v113, v36, v37, v65
	v_pk_add_f32 v[36:37], v[22:23], v[62:63]
	v_min3_f32 v24, v24, v25, s24
	;; [unrolled: 3-line block ×3, first 2 shown]
	v_min3_f32 v111, v36, v37, v54
	v_pk_add_f32 v[36:37], v[14:15], v[62:63]
	v_pk_add_f32 v[20:21], v[34:35], v[42:43]
	v_min3_f32 v110, v36, v37, v55
	v_pk_add_f32 v[36:37], v[10:11], v[62:63]
	v_pk_add_f32 v[16:17], v[16:17], v[40:41]
	;; [unrolled: 3-line block ×4, first 2 shown]
	v_min3_f32 v39, v36, v37, s24
	v_pk_add_f32 v[36:37], v[6:7], v[62:63]
	v_min3_f32 v16, v16, v17, s24
	v_min3_f32 v108, v36, v37, v60
	v_pk_add_f32 v[36:37], v[34:35], v[50:51]
	v_pk_add_f32 v[12:13], v[12:13], v[40:41]
	v_min3_f32 v107, v36, v37, v56
	v_pk_add_f32 v[36:37], v[30:31], v[50:51]
	v_min3_f32 v12, v12, v13, s24
	v_min3_f32 v106, v36, v37, v52
	v_pk_add_f32 v[36:37], v[26:27], v[50:51]
	s_nop 0
	v_min3_f32 v105, v36, v37, v53
	v_pk_add_f32 v[36:37], v[22:23], v[50:51]
	s_nop 0
	;; [unrolled: 3-line block ×5, first 2 shown]
	v_min3_f32 v101, v36, v37, v3
	v_min3_f32 v3, v32, v33, s24
	;; [unrolled: 1-line block ×5, first 2 shown]
	v_pk_add_f32 v[4:5], v[30:31], v[42:43]
	v_pk_add_f32 v[36:37], v[6:7], v[50:51]
	v_min3_f32 v98, v4, v5, v28
	v_pk_add_f32 v[4:5], v[26:27], v[42:43]
	v_min3_f32 v99, v36, v37, v39
	v_min3_f32 v97, v4, v5, v24
	v_pk_add_f32 v[4:5], v[22:23], v[42:43]
	s_nop 0
	v_min3_f32 v96, v4, v5, v25
	v_pk_add_f32 v[4:5], v[18:19], v[42:43]
	s_nop 0
	;; [unrolled: 3-line block ×5, first 2 shown]
	v_min3_f32 v92, v4, v5, v8
	s_cbranch_scc1 .LBB68_46
; %bb.24:
	v_mov_b32_e32 v0, 0x2400
	v_lshl_add_u32 v155, v82, 4, v0
	v_mov_b32_e32 v0, 0x1000
	v_add_u32_e32 v2, 12, v44
	v_lshl_add_u32 v156, v83, 4, v0
	v_mad_i64_i32 v[0:1], s[24:25], v2, s10, 0
	v_lshlrev_b64 v[68:69], 2, v[0:1]
	v_lshl_or_b32 v0, s2, 6, v45
	s_lshl_b32 s2, s29, 6
	v_subrev_u32_e32 v0, s2, v0
	v_ashrrev_i32_e32 v1, 31, v0
	v_lshl_add_u64 v[70:71], v[0:1], 2, s[20:21]
	v_add_u32_e32 v0, s28, v45
	v_ashrrev_i32_e32 v1, 31, v0
	v_lshlrev_b64 v[72:73], 2, v[0:1]
	v_mad_i64_i32 v[0:1], s[24:25], v2, s12, 0
	v_add_u32_e32 v2, 8, v44
	v_lshl_add_u64 v[74:75], v[0:1], 2, s[22:23]
	s_lshl_b64 s[24:25], s[12:13], 5
	v_mad_i64_i32 v[0:1], s[12:13], v2, s12, 0
	s_lshl_b64 s[20:21], s[10:11], 5
	v_lshl_add_u64 v[76:77], v[0:1], 2, s[22:23]
	v_mad_i64_i32 v[0:1], s[10:11], v2, s10, 0
	v_or_b32_e32 v89, 0x2000, v86
	v_add_u32_e32 v90, 0x2000, v85
	v_add_u32_e32 v91, 0x2400, v86
	v_or_b32_e32 v154, 0x1000, v86
	s_add_i32 s18, s18, -8
	v_lshlrev_b64 v[78:79], 2, v[0:1]
	s_mov_b32 s2, 0
	s_mov_b32 s12, 0
	s_branch .LBB68_26
.LBB68_25:                              ;   in Loop: Header=BB68_26 Depth=1
	v_pk_add_f32 v[80:81], v[32:33], v[64:65]
	s_add_i32 s12, s12, 8
	v_min3_f32 v88, v80, v81, v88
	v_pk_add_f32 v[80:81], v[28:29], v[64:65]
	v_lshl_add_u64 v[70:71], v[70:71], 0, s[20:21]
	v_min3_f32 v153, v80, v81, v153
	v_pk_add_f32 v[80:81], v[24:25], v[64:65]
	v_lshl_add_u64 v[74:75], v[74:75], 0, s[24:25]
	v_min3_f32 v152, v80, v81, v152
	v_pk_add_f32 v[80:81], v[20:21], v[64:65]
	s_cmp_ge_i32 s12, s18
	v_min3_f32 v151, v80, v81, v151
	v_pk_add_f32 v[80:81], v[16:17], v[64:65]
	v_lshl_add_u64 v[76:77], v[76:77], 0, s[24:25]
	v_min3_f32 v150, v80, v81, v150
	v_pk_add_f32 v[80:81], v[12:13], v[64:65]
	s_nop 0
	v_min3_f32 v149, v80, v81, v149
	v_pk_add_f32 v[80:81], v[8:9], v[64:65]
	v_pk_add_f32 v[64:65], v[4:5], v[64:65]
	v_min3_f32 v80, v80, v81, v87
	v_min3_f32 v81, v64, v65, v148
	v_pk_add_f32 v[64:65], v[32:33], v[60:61]
	s_nop 0
	v_min3_f32 v87, v64, v65, v147
	v_pk_add_f32 v[64:65], v[28:29], v[60:61]
	s_nop 0
	v_min3_f32 v146, v64, v65, v146
	v_pk_add_f32 v[64:65], v[24:25], v[60:61]
	s_nop 0
	v_min3_f32 v145, v64, v65, v145
	v_pk_add_f32 v[64:65], v[20:21], v[60:61]
	s_nop 0
	v_min3_f32 v144, v64, v65, v144
	v_pk_add_f32 v[64:65], v[16:17], v[60:61]
	s_nop 0
	v_min3_f32 v143, v64, v65, v143
	v_pk_add_f32 v[64:65], v[12:13], v[60:61]
	s_nop 0
	v_min3_f32 v142, v64, v65, v142
	v_pk_add_f32 v[64:65], v[8:9], v[60:61]
	v_pk_add_f32 v[60:61], v[4:5], v[60:61]
	v_min3_f32 v64, v64, v65, v141
	v_min3_f32 v65, v60, v61, v140
	v_pk_add_f32 v[60:61], v[32:33], v[56:57]
	s_nop 0
	v_min3_f32 v139, v60, v61, v139
	v_pk_add_f32 v[60:61], v[28:29], v[56:57]
	s_nop 0
	v_min3_f32 v138, v60, v61, v138
	v_pk_add_f32 v[60:61], v[24:25], v[56:57]
	s_nop 0
	v_min3_f32 v137, v60, v61, v137
	v_pk_add_f32 v[60:61], v[20:21], v[56:57]
	s_nop 0
	v_min3_f32 v136, v60, v61, v136
	v_pk_add_f32 v[60:61], v[16:17], v[56:57]
	s_nop 0
	;; [unrolled: 22-line block ×5, first 2 shown]
	v_min3_f32 v111, v48, v49, v111
	v_pk_add_f32 v[48:49], v[12:13], v[44:45]
	s_nop 0
	v_min3_f32 v110, v48, v49, v110
	v_pk_add_f32 v[48:49], v[8:9], v[44:45]
	v_pk_add_f32 v[44:45], v[4:5], v[44:45]
	v_min3_f32 v48, v48, v49, v109
	v_min3_f32 v49, v44, v45, v108
	v_pk_add_f32 v[44:45], v[32:33], v[40:41]
	v_pk_add_f32 v[32:33], v[32:33], v[36:37]
	v_min3_f32 v107, v44, v45, v107
	v_pk_add_f32 v[44:45], v[28:29], v[40:41]
	v_pk_add_f32 v[28:29], v[28:29], v[36:37]
	v_min3_f32 v106, v44, v45, v106
	v_pk_add_f32 v[44:45], v[24:25], v[40:41]
	v_pk_add_f32 v[24:25], v[24:25], v[36:37]
	v_min3_f32 v105, v44, v45, v105
	v_pk_add_f32 v[44:45], v[20:21], v[40:41]
	v_pk_add_f32 v[20:21], v[20:21], v[36:37]
	v_min3_f32 v104, v44, v45, v104
	v_pk_add_f32 v[44:45], v[16:17], v[40:41]
	v_pk_add_f32 v[16:17], v[16:17], v[36:37]
	v_min3_f32 v103, v44, v45, v103
	v_pk_add_f32 v[44:45], v[12:13], v[40:41]
	v_pk_add_f32 v[12:13], v[12:13], v[36:37]
	v_min3_f32 v102, v44, v45, v102
	v_pk_add_f32 v[44:45], v[8:9], v[40:41]
	v_pk_add_f32 v[40:41], v[4:5], v[40:41]
	v_pk_add_f32 v[8:9], v[8:9], v[36:37]
	v_pk_add_f32 v[4:5], v[4:5], v[36:37]
	v_min3_f32 v8, v8, v9, v93
	v_min3_f32 v9, v4, v5, v92
	v_pk_add_f32 v[4:5], v[34:35], v[66:67]
	v_min3_f32 v12, v12, v13, v94
	v_min3_f32 v88, v4, v5, v88
	;; [unrolled: 3-line block ×9, first 2 shown]
	v_pk_add_f32 v[4:5], v[34:35], v[62:63]
	s_nop 0
	v_min3_f32 v87, v4, v5, v87
	v_pk_add_f32 v[4:5], v[30:31], v[62:63]
	s_nop 0
	v_min3_f32 v99, v4, v5, v146
	;; [unrolled: 3-line block ×56, first 2 shown]
	ds_read_b128 v[4:7], v90
	ds_read_b128 v[8:11], v90 offset:128
	ds_read_b128 v[12:15], v90 offset:256
	;; [unrolled: 1-line block ×7, first 2 shown]
	ds_read_b128 v[40:43], v84
	ds_read_b128 v[44:47], v84 offset:512
	ds_read_b128 v[48:51], v84 offset:1024
	;; [unrolled: 1-line block ×7, first 2 shown]
	s_waitcnt lgkmcnt(7)
	v_pk_add_f32 v[80:81], v[4:5], v[40:41]
	ds_write_b32 v91, v157
	ds_write2st64_b32 v154, v0, v1 offset1:4
	ds_write2st64_b32 v154, v2, v3 offset0:8 offset1:12
	v_min3_f32 v88, v80, v81, v88
	v_pk_add_f32 v[80:81], v[8:9], v[40:41]
	s_waitcnt lgkmcnt(0)
	v_min3_f32 v92, v80, v81, v92
	v_pk_add_f32 v[80:81], v[12:13], v[40:41]
	s_barrier
	v_min3_f32 v93, v80, v81, v93
	v_pk_add_f32 v[80:81], v[16:17], v[40:41]
	s_nop 0
	v_min3_f32 v94, v80, v81, v94
	v_pk_add_f32 v[80:81], v[20:21], v[40:41]
	s_nop 0
	;; [unrolled: 3-line block ×3, first 2 shown]
	v_min3_f32 v96, v80, v81, v96
	v_pk_add_f32 v[80:81], v[28:29], v[40:41]
	v_pk_add_f32 v[40:41], v[32:33], v[40:41]
	v_min3_f32 v80, v80, v81, v97
	v_min3_f32 v81, v40, v41, v98
	v_pk_add_f32 v[40:41], v[4:5], v[44:45]
	s_nop 0
	v_min3_f32 v97, v40, v41, v87
	v_pk_add_f32 v[40:41], v[8:9], v[44:45]
	s_nop 0
	;; [unrolled: 3-line block ×40, first 2 shown]
	v_min3_f32 v60, v40, v41, v143
	v_pk_add_f32 v[40:41], v[4:5], v[64:65]
	v_pk_add_f32 v[4:5], v[4:5], v[36:37]
	v_min3_f32 v61, v40, v41, v107
	v_pk_add_f32 v[40:41], v[8:9], v[64:65]
	s_nop 0
	v_min3_f32 v106, v40, v41, v106
	v_pk_add_f32 v[40:41], v[12:13], v[64:65]
	s_nop 0
	v_min3_f32 v105, v40, v41, v105
	v_pk_add_f32 v[40:41], v[16:17], v[64:65]
	s_nop 0
	v_min3_f32 v104, v40, v41, v104
	v_pk_add_f32 v[40:41], v[20:21], v[64:65]
	s_nop 0
	v_min3_f32 v103, v40, v41, v103
	v_pk_add_f32 v[40:41], v[24:25], v[64:65]
	s_nop 0
	v_min3_f32 v102, v40, v41, v102
	v_pk_add_f32 v[40:41], v[28:29], v[64:65]
	s_nop 0
	v_min3_f32 v161, v40, v41, v144
	v_pk_add_f32 v[40:41], v[32:33], v[64:65]
	s_nop 0
	v_min3_f32 v40, v40, v41, v145
	v_min3_f32 v41, v4, v5, v146
	v_pk_add_f32 v[4:5], v[8:9], v[36:37]
	s_nop 0
	v_min3_f32 v8, v4, v5, v147
	v_pk_add_f32 v[4:5], v[12:13], v[36:37]
	s_nop 0
	;; [unrolled: 3-line block ×71, first 2 shown]
	v_min3_f32 v92, v4, v5, v20
	s_cbranch_scc1 .LBB68_46
.LBB68_26:                              ; =>This Inner Loop Header: Depth=1
	s_and_b64 vcc, exec, s[6:7]
	s_cbranch_vccnz .LBB68_45
; %bb.27:                               ;   in Loop: Header=BB68_26 Depth=1
	v_lshl_add_u64 v[0:1], v[70:71], 0, v[78:79]
	global_load_dword v0, v[0:1], off
	s_waitcnt vmcnt(0)
	v_mul_f32_e32 v80, s19, v0
	s_mov_b64 s[10:11], -1
	s_mov_b64 vcc, s[4:5]
                                        ; implicit-def: $vgpr0_vgpr1_vgpr2_vgpr3
	s_cbranch_vccz .LBB68_29
.LBB68_28:                              ;   in Loop: Header=BB68_26 Depth=1
	v_mov_b32_e32 v0, s2
	s_mov_b64 s[10:11], 0
.LBB68_29:                              ;   in Loop: Header=BB68_26 Depth=1
	v_mov_b32_e32 v1, 0
	s_andn2_b64 vcc, exec, s[10:11]
	v_lshl_add_u64 v[4:5], v[76:77], 0, v[72:73]
	s_cbranch_vccz .LBB68_39
; %bb.30:                               ;   in Loop: Header=BB68_26 Depth=1
	s_mov_b64 s[10:11], -1
	s_mov_b64 vcc, s[4:5]
                                        ; implicit-def: $vgpr2
	s_cbranch_vccnz .LBB68_40
.LBB68_31:                              ;   in Loop: Header=BB68_26 Depth=1
	v_mov_b32_e32 v157, 0
	s_andn2_b64 vcc, exec, s[10:11]
	v_mov_b32_e32 v3, 0
	s_cbranch_vccnz .LBB68_33
.LBB68_32:                              ;   in Loop: Header=BB68_26 Depth=1
	global_load_dword v2, v[4:5], off offset:512
	global_load_dword v3, v[4:5], off offset:768
	s_waitcnt vmcnt(1)
	v_mul_f32_e32 v2, s19, v2
	s_waitcnt vmcnt(0)
	v_mul_f32_e32 v3, s19, v3
.LBB68_33:                              ;   in Loop: Header=BB68_26 Depth=1
	ds_read_b128 v[32:35], v155
	ds_read_b128 v[28:31], v155 offset:128
	ds_read_b128 v[24:27], v155 offset:256
	;; [unrolled: 1-line block ×7, first 2 shown]
	ds_read_b128 v[64:67], v156
	ds_read_b128 v[60:63], v156 offset:512
	ds_read_b128 v[56:59], v156 offset:1024
	;; [unrolled: 1-line block ×7, first 2 shown]
	s_and_b64 vcc, exec, s[6:7]
	ds_write_b32 v89, v80
	ds_write2st64_b32 v86, v0, v1 offset1:4
	ds_write2st64_b32 v86, v2, v3 offset0:8 offset1:12
	s_waitcnt lgkmcnt(0)
	s_barrier
	s_cbranch_vccnz .LBB68_35
; %bb.34:                               ;   in Loop: Header=BB68_26 Depth=1
	v_lshl_add_u64 v[0:1], v[70:71], 0, v[68:69]
	global_load_dword v0, v[0:1], off
	s_waitcnt vmcnt(0)
	v_mul_f32_e32 v157, s19, v0
.LBB68_35:                              ;   in Loop: Header=BB68_26 Depth=1
	s_mov_b64 s[10:11], -1
	s_mov_b64 vcc, s[4:5]
                                        ; implicit-def: $vgpr0_vgpr1_vgpr2_vgpr3
	s_cbranch_vccnz .LBB68_41
; %bb.36:                               ;   in Loop: Header=BB68_26 Depth=1
	v_mov_b32_e32 v1, 0
	s_andn2_b64 vcc, exec, s[10:11]
	v_lshl_add_u64 v[80:81], v[74:75], 0, v[72:73]
	s_cbranch_vccz .LBB68_42
.LBB68_37:                              ;   in Loop: Header=BB68_26 Depth=1
	s_mov_b64 s[10:11], -1
	s_mov_b64 vcc, s[4:5]
                                        ; implicit-def: $vgpr2
	s_cbranch_vccnz .LBB68_43
.LBB68_38:                              ;   in Loop: Header=BB68_26 Depth=1
	s_andn2_b64 vcc, exec, s[10:11]
	v_mov_b32_e32 v3, 0
	s_cbranch_vccnz .LBB68_25
	s_branch .LBB68_44
.LBB68_39:                              ;   in Loop: Header=BB68_26 Depth=1
	global_load_dword v0, v[4:5], off
	global_load_dword v1, v[4:5], off offset:256
	s_waitcnt vmcnt(1)
	v_mul_f32_e32 v0, s19, v0
	s_waitcnt vmcnt(0)
	v_mul_f32_e32 v1, s19, v1
	s_mov_b64 s[10:11], -1
	s_mov_b64 vcc, s[4:5]
                                        ; implicit-def: $vgpr2
	s_cbranch_vccz .LBB68_31
.LBB68_40:                              ;   in Loop: Header=BB68_26 Depth=1
	v_mov_b32_e32 v2, s2
	v_mov_b32_e32 v157, 0
	;; [unrolled: 1-line block ×3, first 2 shown]
	s_cbranch_execz .LBB68_32
	s_branch .LBB68_33
.LBB68_41:                              ;   in Loop: Header=BB68_26 Depth=1
	v_mov_b32_e32 v0, s2
	v_mov_b32_e32 v1, 0
	v_lshl_add_u64 v[80:81], v[74:75], 0, v[72:73]
	s_cbranch_execnz .LBB68_37
.LBB68_42:                              ;   in Loop: Header=BB68_26 Depth=1
	global_load_dword v0, v[80:81], off
	global_load_dword v1, v[80:81], off offset:256
	s_waitcnt vmcnt(1)
	v_mul_f32_e32 v0, s19, v0
	s_waitcnt vmcnt(0)
	v_mul_f32_e32 v1, s19, v1
	s_mov_b64 s[10:11], -1
	s_mov_b64 vcc, s[4:5]
                                        ; implicit-def: $vgpr2
	s_cbranch_vccz .LBB68_38
.LBB68_43:                              ;   in Loop: Header=BB68_26 Depth=1
	v_mov_b32_e32 v2, s2
	v_mov_b32_e32 v3, 0
	s_cbranch_execnz .LBB68_25
.LBB68_44:                              ;   in Loop: Header=BB68_26 Depth=1
	global_load_dword v2, v[80:81], off offset:512
	global_load_dword v3, v[80:81], off offset:768
	s_waitcnt vmcnt(1)
	v_mul_f32_e32 v2, s19, v2
	s_waitcnt vmcnt(0)
	v_mul_f32_e32 v3, s19, v3
	s_branch .LBB68_25
.LBB68_45:                              ;   in Loop: Header=BB68_26 Depth=1
	v_mov_b32_e32 v80, 0
	s_mov_b64 s[10:11], -1
	s_mov_b64 vcc, s[4:5]
                                        ; implicit-def: $vgpr0_vgpr1_vgpr2_vgpr3
	s_cbranch_vccnz .LBB68_28
	s_branch .LBB68_29
.LBB68_46:
	s_load_dwordx2 s[6:7], s[0:1], 0x70
	s_load_dword s4, s[0:1], 0x50
	s_load_dword s5, s[0:1], 0x68
	ds_read_b128 v[32:35], v85 offset:9216
	ds_read_b128 v[60:63], v84 offset:4096
	s_waitcnt lgkmcnt(0)
	s_mul_i32 s0, s7, s3
	s_mul_hi_u32 s1, s6, s3
	s_add_i32 s1, s1, s0
	s_mul_i32 s0, s6, s3
	s_lshl_b64 s[0:1], s[0:1], 2
	v_pk_add_f32 v[0:1], v[32:33], v[60:61]
	s_add_u32 s0, s14, s0
	v_min3_f32 v2, v0, v1, v88
	v_pk_add_f32 v[0:1], v[34:35], v[62:63]
	v_add_u32_e32 v154, s28, v83
	s_addc_u32 s1, s15, s1
	v_min3_f32 v2, v0, v1, v2
	v_add_u32_e32 v68, s27, v82
	v_mad_i64_i32 v[0:1], s[2:3], v154, s5, 0
	v_add_u32_e32 v64, 8, v68
	v_lshl_add_u64 v[88:89], v[0:1], 2, s[0:1]
	v_mad_i64_i32 v[0:1], s[2:3], v154, s4, 0
	v_ashrrev_i32_e32 v69, 31, v68
	v_ashrrev_i32_e32 v65, 31, v64
	s_mov_b64 s[2:3], -1
	v_max_f32_e32 v2, v2, v2
	s_mov_b64 vcc, s[8:9]
	s_cbranch_vccz .LBB68_48
; %bb.47:
	v_min_f32_e32 v3, 0, v2
	v_lshl_add_u64 v[4:5], v[68:69], 2, v[88:89]
	global_store_dword v[4:5], v3, off
	s_mov_b64 s[2:3], 0
.LBB68_48:
	ds_read_b128 v[28:31], v85 offset:9344
	ds_read_b128 v[24:27], v85 offset:9472
	v_lshl_add_u64 v[90:91], v[0:1], 2, s[16:17]
	v_mov_b32_e32 v70, 0
	s_andn2_b64 vcc, exec, s[2:3]
	v_lshlrev_b64 v[72:73], 2, v[68:69]
	s_cbranch_vccnz .LBB68_50
; %bb.49:
	v_lshl_add_u64 v[0:1], v[90:91], 0, v[72:73]
	global_load_dword v3, v[0:1], off
	v_lshl_add_u64 v[0:1], v[88:89], 0, v[72:73]
	s_waitcnt vmcnt(0)
	v_mul_f32_e32 v3, s26, v3
	v_min_f32_e32 v2, v3, v2
	global_store_dword v[0:1], v2, off
	v_lshl_add_u64 v[0:1], v[64:65], 2, v[90:91]
	global_load_dword v0, v[0:1], off
	s_waitcnt vmcnt(0)
	v_mul_f32_e32 v70, s26, v0
.LBB68_50:
	ds_read_b128 v[16:19], v85 offset:9728
	ds_read_b128 v[12:15], v85 offset:9856
	;; [unrolled: 1-line block ×12, first 2 shown]
	s_waitcnt lgkmcnt(13)
	v_pk_add_f32 v[66:67], v[28:29], v[60:61]
	v_add_u32_e32 v76, 16, v68
	v_min3_f32 v71, v66, v67, v153
	s_waitcnt lgkmcnt(12)
	v_pk_add_f32 v[66:67], v[24:25], v[60:61]
	v_ashrrev_i32_e32 v77, 31, v76
	v_min3_f32 v74, v66, v67, v152
	v_pk_add_f32 v[66:67], v[30:31], v[62:63]
	s_mov_b64 s[2:3], -1
	v_min_f32_e32 v75, v66, v67
	v_pk_add_f32 v[66:67], v[26:27], v[62:63]
	v_min3_f32 v75, v70, v75, v71
	v_min3_f32 v74, v66, v67, v74
	v_add_u32_e32 v66, 24, v68
	v_lshl_add_u64 v[70:71], v[64:65], 2, v[88:89]
	v_ashrrev_i32_e32 v67, 31, v66
	global_store_dword v[70:71], v75, off
	v_max_f32_e32 v70, v74, v74
	s_mov_b64 vcc, s[8:9]
	s_cbranch_vccz .LBB68_52
; %bb.51:
	v_min_f32_e32 v71, 0, v70
	v_lshl_add_u64 v[74:75], v[76:77], 2, v[88:89]
	global_store_dword v[74:75], v71, off
	s_mov_b64 s[2:3], 0
.LBB68_52:
	v_mov_b32_e32 v74, 0
	s_andn2_b64 vcc, exec, s[2:3]
	v_lshlrev_b64 v[80:81], 2, v[76:77]
	s_cbranch_vccnz .LBB68_54
; %bb.53:
	v_lshl_add_u64 v[74:75], v[90:91], 0, v[80:81]
	global_load_dword v71, v[74:75], off
	v_lshl_add_u64 v[74:75], v[88:89], 0, v[80:81]
	s_waitcnt vmcnt(0)
	v_mul_f32_e32 v71, s26, v71
	v_min_f32_e32 v70, v71, v70
	global_store_dword v[74:75], v70, off
	v_lshl_add_u64 v[70:71], v[66:67], 2, v[90:91]
	global_load_dword v70, v[70:71], off
	s_waitcnt vmcnt(0)
	v_mul_f32_e32 v74, s26, v70
.LBB68_54:
	s_waitcnt lgkmcnt(1)
	v_pk_add_f32 v[70:71], v[20:21], v[60:61]
	s_mov_b64 s[2:3], -1
	v_min3_f32 v75, v70, v71, v151
	v_pk_add_f32 v[70:71], v[16:17], v[60:61]
	s_mov_b64 vcc, s[8:9]
	v_min3_f32 v78, v70, v71, v150
	v_pk_add_f32 v[70:71], v[22:23], v[62:63]
	s_nop 0
	v_min_f32_e32 v82, v70, v71
	v_pk_add_f32 v[70:71], v[18:19], v[62:63]
	v_min3_f32 v82, v74, v82, v75
	v_min3_f32 v83, v70, v71, v78
	v_add_u32_e32 v78, 32, v68
	v_add_u32_e32 v70, 40, v68
	v_lshl_add_u64 v[74:75], v[66:67], 2, v[88:89]
	v_ashrrev_i32_e32 v79, 31, v78
	v_ashrrev_i32_e32 v71, 31, v70
	global_store_dword v[74:75], v82, off
	v_max_f32_e32 v74, v83, v83
	s_cbranch_vccz .LBB68_56
; %bb.55:
	v_min_f32_e32 v75, 0, v74
	v_lshl_add_u64 v[82:83], v[78:79], 2, v[88:89]
	global_store_dword v[82:83], v75, off
	s_mov_b64 s[2:3], 0
.LBB68_56:
	v_mov_b32_e32 v86, 0
	s_andn2_b64 vcc, exec, s[2:3]
	v_lshlrev_b64 v[82:83], 2, v[78:79]
	s_cbranch_vccnz .LBB68_58
; %bb.57:
	v_lshl_add_u64 v[84:85], v[90:91], 0, v[82:83]
	global_load_dword v75, v[84:85], off
	v_lshl_add_u64 v[84:85], v[88:89], 0, v[82:83]
	s_waitcnt vmcnt(0)
	v_mul_f32_e32 v75, s26, v75
	v_min_f32_e32 v74, v75, v74
	global_store_dword v[84:85], v74, off
	v_lshl_add_u64 v[74:75], v[70:71], 2, v[90:91]
	global_load_dword v74, v[74:75], off
	s_waitcnt vmcnt(0)
	v_mul_f32_e32 v86, s26, v74
.LBB68_58:
	v_pk_add_f32 v[74:75], v[12:13], v[60:61]
	s_mov_b64 s[2:3], -1
	v_min3_f32 v149, v74, v75, v149
	v_pk_add_f32 v[74:75], v[8:9], v[60:61]
	s_mov_b64 vcc, s[8:9]
	v_min3_f32 v84, v74, v75, v87
	v_pk_add_f32 v[74:75], v[14:15], v[62:63]
	s_nop 0
	v_min_f32_e32 v87, v74, v75
	v_pk_add_f32 v[74:75], v[10:11], v[62:63]
	v_min3_f32 v149, v86, v87, v149
	v_min3_f32 v150, v74, v75, v84
	v_add_u32_e32 v84, 48, v68
	v_add_u32_e32 v74, 56, v68
	v_lshl_add_u64 v[86:87], v[70:71], 2, v[88:89]
	v_ashrrev_i32_e32 v85, 31, v84
	v_ashrrev_i32_e32 v75, 31, v74
	global_store_dword v[86:87], v149, off
	v_max_f32_e32 v149, v150, v150
	s_cbranch_vccz .LBB68_60
; %bb.59:
	v_min_f32_e32 v150, 0, v149
	v_lshl_add_u64 v[86:87], v[84:85], 2, v[88:89]
	global_store_dword v[86:87], v150, off
	s_mov_b64 s[2:3], 0
.LBB68_60:
	v_mov_b32_e32 v150, 0
	s_andn2_b64 vcc, exec, s[2:3]
	v_lshlrev_b64 v[86:87], 2, v[84:85]
	s_cbranch_vccnz .LBB68_62
; %bb.61:
	v_lshl_add_u64 v[150:151], v[90:91], 0, v[86:87]
	global_load_dword v152, v[150:151], off
	v_lshl_add_u64 v[150:151], v[88:89], 0, v[86:87]
	v_lshl_add_u64 v[90:91], v[74:75], 2, v[90:91]
	s_waitcnt vmcnt(0)
	v_mul_f32_e32 v152, s26, v152
	v_min_f32_e32 v149, v152, v149
	global_store_dword v[150:151], v149, off
	global_load_dword v90, v[90:91], off
	s_waitcnt vmcnt(0)
	v_mul_f32_e32 v150, s26, v90
.LBB68_62:
	v_pk_add_f32 v[60:61], v[0:1], v[60:61]
	s_mov_b64 vcc, s[8:9]
	v_min3_f32 v90, v60, v61, v148
	v_pk_add_f32 v[60:61], v[32:33], v[56:57]
	s_nop 0
	v_min3_f32 v91, v60, v61, v147
	v_pk_add_f32 v[60:61], v[2:3], v[62:63]
	s_nop 0
	v_min_f32_e32 v62, v60, v61
	v_pk_add_f32 v[60:61], v[34:35], v[58:59]
	v_min3_f32 v62, v150, v62, v90
	v_min3_f32 v91, v60, v61, v91
	v_lshl_add_u64 v[60:61], v[74:75], 2, v[88:89]
	global_store_dword v[60:61], v62, off
	v_add_u32_e32 v62, 32, v154
	v_mad_i64_i32 v[60:61], s[2:3], v62, s5, 0
	v_mad_i64_i32 v[62:63], s[2:3], v62, s4, 0
	v_lshl_add_u64 v[60:61], v[60:61], 2, s[0:1]
	s_mov_b64 s[2:3], -1
	v_max_f32_e32 v88, v91, v91
	s_cbranch_vccz .LBB68_64
; %bb.63:
	v_min_f32_e32 v89, 0, v88
	v_lshl_add_u64 v[90:91], v[68:69], 2, v[60:61]
	global_store_dword v[90:91], v89, off
	s_mov_b64 s[2:3], 0
.LBB68_64:
	v_lshl_add_u64 v[62:63], v[62:63], 2, s[16:17]
	s_andn2_b64 vcc, exec, s[2:3]
	v_mov_b32_e32 v89, 0
	s_cbranch_vccnz .LBB68_66
; %bb.65:
	v_lshl_add_u64 v[90:91], v[62:63], 0, v[72:73]
	global_load_dword v89, v[90:91], off
	v_lshl_add_u64 v[90:91], v[60:61], 0, v[72:73]
	s_waitcnt vmcnt(0)
	v_mul_f32_e32 v89, s26, v89
	v_min_f32_e32 v88, v89, v88
	global_store_dword v[90:91], v88, off
	v_lshl_add_u64 v[88:89], v[64:65], 2, v[62:63]
	global_load_dword v88, v[88:89], off
	s_waitcnt vmcnt(0)
	v_mul_f32_e32 v89, s26, v88
.LBB68_66:
	v_pk_add_f32 v[90:91], v[28:29], v[56:57]
	s_mov_b64 s[2:3], -1
	v_min3_f32 v88, v90, v91, v146
	v_pk_add_f32 v[90:91], v[24:25], v[56:57]
	s_mov_b64 vcc, s[8:9]
	v_min3_f32 v145, v90, v91, v145
	v_pk_add_f32 v[90:91], v[30:31], v[58:59]
	s_nop 0
	v_min_f32_e32 v146, v90, v91
	v_pk_add_f32 v[90:91], v[26:27], v[58:59]
	s_nop 0
	v_min3_f32 v90, v90, v91, v145
	v_min3_f32 v91, v89, v146, v88
	v_lshl_add_u64 v[88:89], v[64:65], 2, v[60:61]
	global_store_dword v[88:89], v91, off
	v_max_f32_e32 v88, v90, v90
	s_cbranch_vccz .LBB68_68
; %bb.67:
	v_min_f32_e32 v89, 0, v88
	v_lshl_add_u64 v[90:91], v[76:77], 2, v[60:61]
	global_store_dword v[90:91], v89, off
	s_mov_b64 s[2:3], 0
.LBB68_68:
	s_andn2_b64 vcc, exec, s[2:3]
	v_mov_b32_e32 v89, 0
	s_cbranch_vccnz .LBB68_70
; %bb.69:
	v_lshl_add_u64 v[90:91], v[62:63], 0, v[80:81]
	global_load_dword v89, v[90:91], off
	v_lshl_add_u64 v[90:91], v[60:61], 0, v[80:81]
	s_waitcnt vmcnt(0)
	v_mul_f32_e32 v89, s26, v89
	v_min_f32_e32 v88, v89, v88
	global_store_dword v[90:91], v88, off
	v_lshl_add_u64 v[88:89], v[66:67], 2, v[62:63]
	global_load_dword v88, v[88:89], off
	s_waitcnt vmcnt(0)
	v_mul_f32_e32 v89, s26, v88
.LBB68_70:
	v_pk_add_f32 v[90:91], v[20:21], v[56:57]
	s_mov_b64 s[2:3], -1
	v_min3_f32 v88, v90, v91, v144
	v_pk_add_f32 v[90:91], v[16:17], v[56:57]
	s_mov_b64 vcc, s[8:9]
	v_min3_f32 v143, v90, v91, v143
	v_pk_add_f32 v[90:91], v[22:23], v[58:59]
	s_nop 0
	v_min_f32_e32 v144, v90, v91
	v_pk_add_f32 v[90:91], v[18:19], v[58:59]
	s_nop 0
	v_min3_f32 v90, v90, v91, v143
	v_min3_f32 v91, v89, v144, v88
	v_lshl_add_u64 v[88:89], v[66:67], 2, v[60:61]
	global_store_dword v[88:89], v91, off
	v_max_f32_e32 v88, v90, v90
	s_cbranch_vccz .LBB68_72
; %bb.71:
	v_min_f32_e32 v89, 0, v88
	v_lshl_add_u64 v[90:91], v[78:79], 2, v[60:61]
	global_store_dword v[90:91], v89, off
	s_mov_b64 s[2:3], 0
.LBB68_72:
	;; [unrolled: 39-line block ×3, first 2 shown]
	s_andn2_b64 vcc, exec, s[2:3]
	v_mov_b32_e32 v89, 0
	s_cbranch_vccnz .LBB68_78
; %bb.77:
	v_lshl_add_u64 v[90:91], v[62:63], 0, v[86:87]
	global_load_dword v89, v[90:91], off
	v_lshl_add_u64 v[90:91], v[60:61], 0, v[86:87]
	v_lshl_add_u64 v[62:63], v[74:75], 2, v[62:63]
	s_waitcnt vmcnt(0)
	v_mul_f32_e32 v89, s26, v89
	v_min_f32_e32 v88, v89, v88
	global_store_dword v[90:91], v88, off
	global_load_dword v62, v[62:63], off
	s_waitcnt vmcnt(0)
	v_mul_f32_e32 v89, s26, v62
.LBB68_78:
	v_pk_add_f32 v[56:57], v[0:1], v[56:57]
	s_mov_b64 vcc, s[8:9]
	v_min3_f32 v62, v56, v57, v140
	v_pk_add_f32 v[56:57], v[32:33], v[52:53]
	s_nop 0
	v_min3_f32 v63, v56, v57, v139
	v_pk_add_f32 v[56:57], v[2:3], v[58:59]
	s_nop 0
	v_min_f32_e32 v58, v56, v57
	v_pk_add_f32 v[56:57], v[34:35], v[54:55]
	v_min3_f32 v58, v89, v58, v62
	v_min3_f32 v63, v56, v57, v63
	v_lshl_add_u64 v[56:57], v[74:75], 2, v[60:61]
	global_store_dword v[56:57], v58, off
	v_add_u32_e32 v58, 64, v154
	v_mad_i64_i32 v[56:57], s[2:3], v58, s5, 0
	v_mad_i64_i32 v[58:59], s[2:3], v58, s4, 0
	v_lshl_add_u64 v[56:57], v[56:57], 2, s[0:1]
	s_mov_b64 s[2:3], -1
	v_max_f32_e32 v60, v63, v63
	s_cbranch_vccz .LBB68_80
; %bb.79:
	v_min_f32_e32 v61, 0, v60
	v_lshl_add_u64 v[62:63], v[68:69], 2, v[56:57]
	global_store_dword v[62:63], v61, off
	s_mov_b64 s[2:3], 0
.LBB68_80:
	v_lshl_add_u64 v[58:59], v[58:59], 2, s[16:17]
	s_andn2_b64 vcc, exec, s[2:3]
	v_mov_b32_e32 v61, 0
	s_cbranch_vccnz .LBB68_82
; %bb.81:
	v_lshl_add_u64 v[62:63], v[58:59], 0, v[72:73]
	global_load_dword v61, v[62:63], off
	v_lshl_add_u64 v[62:63], v[56:57], 0, v[72:73]
	s_waitcnt vmcnt(0)
	v_mul_f32_e32 v61, s26, v61
	v_min_f32_e32 v60, v61, v60
	global_store_dword v[62:63], v60, off
	v_lshl_add_u64 v[60:61], v[64:65], 2, v[58:59]
	global_load_dword v60, v[60:61], off
	s_waitcnt vmcnt(0)
	v_mul_f32_e32 v61, s26, v60
.LBB68_82:
	v_pk_add_f32 v[62:63], v[28:29], v[52:53]
	s_mov_b64 s[2:3], -1
	v_min3_f32 v60, v62, v63, v138
	v_pk_add_f32 v[62:63], v[24:25], v[52:53]
	s_mov_b64 vcc, s[8:9]
	v_min3_f32 v88, v62, v63, v137
	v_pk_add_f32 v[62:63], v[30:31], v[54:55]
	s_nop 0
	v_min_f32_e32 v89, v62, v63
	v_pk_add_f32 v[62:63], v[26:27], v[54:55]
	s_nop 0
	v_min3_f32 v62, v62, v63, v88
	v_min3_f32 v63, v61, v89, v60
	v_lshl_add_u64 v[60:61], v[64:65], 2, v[56:57]
	global_store_dword v[60:61], v63, off
	v_max_f32_e32 v60, v62, v62
	s_cbranch_vccz .LBB68_84
; %bb.83:
	v_min_f32_e32 v61, 0, v60
	v_lshl_add_u64 v[62:63], v[76:77], 2, v[56:57]
	global_store_dword v[62:63], v61, off
	s_mov_b64 s[2:3], 0
.LBB68_84:
	s_andn2_b64 vcc, exec, s[2:3]
	v_mov_b32_e32 v61, 0
	s_cbranch_vccnz .LBB68_86
; %bb.85:
	v_lshl_add_u64 v[62:63], v[58:59], 0, v[80:81]
	global_load_dword v61, v[62:63], off
	v_lshl_add_u64 v[62:63], v[56:57], 0, v[80:81]
	s_waitcnt vmcnt(0)
	v_mul_f32_e32 v61, s26, v61
	v_min_f32_e32 v60, v61, v60
	global_store_dword v[62:63], v60, off
	v_lshl_add_u64 v[60:61], v[66:67], 2, v[58:59]
	global_load_dword v60, v[60:61], off
	s_waitcnt vmcnt(0)
	v_mul_f32_e32 v61, s26, v60
.LBB68_86:
	v_pk_add_f32 v[62:63], v[20:21], v[52:53]
	s_mov_b64 s[2:3], -1
	v_min3_f32 v60, v62, v63, v136
	v_pk_add_f32 v[62:63], v[16:17], v[52:53]
	s_mov_b64 vcc, s[8:9]
	v_min3_f32 v88, v62, v63, v135
	v_pk_add_f32 v[62:63], v[22:23], v[54:55]
	s_nop 0
	v_min_f32_e32 v89, v62, v63
	v_pk_add_f32 v[62:63], v[18:19], v[54:55]
	s_nop 0
	v_min3_f32 v62, v62, v63, v88
	v_min3_f32 v63, v61, v89, v60
	v_lshl_add_u64 v[60:61], v[66:67], 2, v[56:57]
	global_store_dword v[60:61], v63, off
	v_max_f32_e32 v60, v62, v62
	s_cbranch_vccz .LBB68_88
; %bb.87:
	v_min_f32_e32 v61, 0, v60
	v_lshl_add_u64 v[62:63], v[78:79], 2, v[56:57]
	global_store_dword v[62:63], v61, off
	s_mov_b64 s[2:3], 0
.LBB68_88:
	;; [unrolled: 39-line block ×3, first 2 shown]
	s_andn2_b64 vcc, exec, s[2:3]
	v_mov_b32_e32 v61, 0
	s_cbranch_vccnz .LBB68_94
; %bb.93:
	v_lshl_add_u64 v[62:63], v[58:59], 0, v[86:87]
	global_load_dword v61, v[62:63], off
	v_lshl_add_u64 v[62:63], v[56:57], 0, v[86:87]
	v_lshl_add_u64 v[58:59], v[74:75], 2, v[58:59]
	s_waitcnt vmcnt(0)
	v_mul_f32_e32 v61, s26, v61
	v_min_f32_e32 v60, v61, v60
	global_store_dword v[62:63], v60, off
	global_load_dword v58, v[58:59], off
	s_waitcnt vmcnt(0)
	v_mul_f32_e32 v61, s26, v58
.LBB68_94:
	v_pk_add_f32 v[52:53], v[0:1], v[52:53]
	s_mov_b64 vcc, s[8:9]
	v_min3_f32 v58, v52, v53, v132
	v_pk_add_f32 v[52:53], v[32:33], v[48:49]
	s_nop 0
	v_min3_f32 v59, v52, v53, v131
	v_pk_add_f32 v[52:53], v[2:3], v[54:55]
	s_nop 0
	v_min_f32_e32 v54, v52, v53
	v_pk_add_f32 v[52:53], v[34:35], v[50:51]
	v_min3_f32 v54, v61, v54, v58
	v_min3_f32 v59, v52, v53, v59
	v_lshl_add_u64 v[52:53], v[74:75], 2, v[56:57]
	global_store_dword v[52:53], v54, off
	v_add_u32_e32 v54, 0x60, v154
	v_mad_i64_i32 v[52:53], s[2:3], v54, s5, 0
	v_mad_i64_i32 v[54:55], s[2:3], v54, s4, 0
	v_lshl_add_u64 v[52:53], v[52:53], 2, s[0:1]
	s_mov_b64 s[2:3], -1
	v_max_f32_e32 v56, v59, v59
	s_cbranch_vccz .LBB68_96
; %bb.95:
	v_min_f32_e32 v57, 0, v56
	v_lshl_add_u64 v[58:59], v[68:69], 2, v[52:53]
	global_store_dword v[58:59], v57, off
	s_mov_b64 s[2:3], 0
.LBB68_96:
	v_lshl_add_u64 v[54:55], v[54:55], 2, s[16:17]
	s_andn2_b64 vcc, exec, s[2:3]
	v_mov_b32_e32 v57, 0
	s_cbranch_vccnz .LBB68_98
; %bb.97:
	v_lshl_add_u64 v[58:59], v[54:55], 0, v[72:73]
	global_load_dword v57, v[58:59], off
	v_lshl_add_u64 v[58:59], v[52:53], 0, v[72:73]
	s_waitcnt vmcnt(0)
	v_mul_f32_e32 v57, s26, v57
	v_min_f32_e32 v56, v57, v56
	global_store_dword v[58:59], v56, off
	v_lshl_add_u64 v[56:57], v[64:65], 2, v[54:55]
	global_load_dword v56, v[56:57], off
	s_waitcnt vmcnt(0)
	v_mul_f32_e32 v57, s26, v56
.LBB68_98:
	v_pk_add_f32 v[58:59], v[28:29], v[48:49]
	s_mov_b64 s[2:3], -1
	v_min3_f32 v56, v58, v59, v130
	v_pk_add_f32 v[58:59], v[24:25], v[48:49]
	s_mov_b64 vcc, s[8:9]
	v_min3_f32 v60, v58, v59, v129
	v_pk_add_f32 v[58:59], v[30:31], v[50:51]
	s_nop 0
	v_min_f32_e32 v61, v58, v59
	v_pk_add_f32 v[58:59], v[26:27], v[50:51]
	s_nop 0
	v_min3_f32 v58, v58, v59, v60
	v_min3_f32 v59, v57, v61, v56
	v_lshl_add_u64 v[56:57], v[64:65], 2, v[52:53]
	global_store_dword v[56:57], v59, off
	v_max_f32_e32 v56, v58, v58
	s_cbranch_vccz .LBB68_100
; %bb.99:
	v_min_f32_e32 v57, 0, v56
	v_lshl_add_u64 v[58:59], v[76:77], 2, v[52:53]
	global_store_dword v[58:59], v57, off
	s_mov_b64 s[2:3], 0
.LBB68_100:
	s_andn2_b64 vcc, exec, s[2:3]
	v_mov_b32_e32 v57, 0
	s_cbranch_vccnz .LBB68_102
; %bb.101:
	v_lshl_add_u64 v[58:59], v[54:55], 0, v[80:81]
	global_load_dword v57, v[58:59], off
	v_lshl_add_u64 v[58:59], v[52:53], 0, v[80:81]
	s_waitcnt vmcnt(0)
	v_mul_f32_e32 v57, s26, v57
	v_min_f32_e32 v56, v57, v56
	global_store_dword v[58:59], v56, off
	v_lshl_add_u64 v[56:57], v[66:67], 2, v[54:55]
	global_load_dword v56, v[56:57], off
	s_waitcnt vmcnt(0)
	v_mul_f32_e32 v57, s26, v56
.LBB68_102:
	v_pk_add_f32 v[58:59], v[20:21], v[48:49]
	s_mov_b64 s[2:3], -1
	v_min3_f32 v56, v58, v59, v128
	v_pk_add_f32 v[58:59], v[16:17], v[48:49]
	s_mov_b64 vcc, s[8:9]
	v_min3_f32 v60, v58, v59, v127
	v_pk_add_f32 v[58:59], v[22:23], v[50:51]
	s_nop 0
	v_min_f32_e32 v61, v58, v59
	v_pk_add_f32 v[58:59], v[18:19], v[50:51]
	s_nop 0
	v_min3_f32 v58, v58, v59, v60
	v_min3_f32 v59, v57, v61, v56
	v_lshl_add_u64 v[56:57], v[66:67], 2, v[52:53]
	global_store_dword v[56:57], v59, off
	v_max_f32_e32 v56, v58, v58
	s_cbranch_vccz .LBB68_104
; %bb.103:
	v_min_f32_e32 v57, 0, v56
	v_lshl_add_u64 v[58:59], v[78:79], 2, v[52:53]
	global_store_dword v[58:59], v57, off
	s_mov_b64 s[2:3], 0
.LBB68_104:
	;; [unrolled: 39-line block ×3, first 2 shown]
	s_andn2_b64 vcc, exec, s[2:3]
	v_mov_b32_e32 v57, 0
	s_cbranch_vccnz .LBB68_110
; %bb.109:
	v_lshl_add_u64 v[58:59], v[54:55], 0, v[86:87]
	global_load_dword v57, v[58:59], off
	v_lshl_add_u64 v[58:59], v[52:53], 0, v[86:87]
	v_lshl_add_u64 v[54:55], v[74:75], 2, v[54:55]
	s_waitcnt vmcnt(0)
	v_mul_f32_e32 v57, s26, v57
	v_min_f32_e32 v56, v57, v56
	global_store_dword v[58:59], v56, off
	global_load_dword v54, v[54:55], off
	s_waitcnt vmcnt(0)
	v_mul_f32_e32 v57, s26, v54
.LBB68_110:
	v_pk_add_f32 v[48:49], v[0:1], v[48:49]
	s_mov_b64 vcc, s[8:9]
	v_min3_f32 v54, v48, v49, v126
	v_pk_add_f32 v[48:49], v[32:33], v[44:45]
	s_nop 0
	v_min3_f32 v55, v48, v49, v125
	v_pk_add_f32 v[48:49], v[2:3], v[50:51]
	s_nop 0
	v_min_f32_e32 v50, v48, v49
	v_pk_add_f32 v[48:49], v[34:35], v[46:47]
	v_min3_f32 v50, v57, v50, v54
	v_min3_f32 v55, v48, v49, v55
	v_lshl_add_u64 v[48:49], v[74:75], 2, v[52:53]
	global_store_dword v[48:49], v50, off
	v_add_u32_e32 v50, 0x80, v154
	v_mad_i64_i32 v[48:49], s[2:3], v50, s5, 0
	v_mad_i64_i32 v[50:51], s[2:3], v50, s4, 0
	v_lshl_add_u64 v[48:49], v[48:49], 2, s[0:1]
	s_mov_b64 s[2:3], -1
	v_max_f32_e32 v52, v55, v55
	s_cbranch_vccz .LBB68_112
; %bb.111:
	v_min_f32_e32 v53, 0, v52
	v_lshl_add_u64 v[54:55], v[68:69], 2, v[48:49]
	global_store_dword v[54:55], v53, off
	s_mov_b64 s[2:3], 0
.LBB68_112:
	v_lshl_add_u64 v[50:51], v[50:51], 2, s[16:17]
	s_andn2_b64 vcc, exec, s[2:3]
	v_mov_b32_e32 v53, 0
	s_cbranch_vccnz .LBB68_114
; %bb.113:
	v_lshl_add_u64 v[54:55], v[50:51], 0, v[72:73]
	global_load_dword v53, v[54:55], off
	v_lshl_add_u64 v[54:55], v[48:49], 0, v[72:73]
	s_waitcnt vmcnt(0)
	v_mul_f32_e32 v53, s26, v53
	v_min_f32_e32 v52, v53, v52
	global_store_dword v[54:55], v52, off
	v_lshl_add_u64 v[52:53], v[64:65], 2, v[50:51]
	global_load_dword v52, v[52:53], off
	s_waitcnt vmcnt(0)
	v_mul_f32_e32 v53, s26, v52
.LBB68_114:
	v_pk_add_f32 v[54:55], v[28:29], v[44:45]
	s_mov_b64 s[2:3], -1
	v_min3_f32 v52, v54, v55, v122
	v_pk_add_f32 v[54:55], v[24:25], v[44:45]
	s_mov_b64 vcc, s[8:9]
	v_min3_f32 v56, v54, v55, v121
	v_pk_add_f32 v[54:55], v[30:31], v[46:47]
	s_nop 0
	v_min_f32_e32 v57, v54, v55
	v_pk_add_f32 v[54:55], v[26:27], v[46:47]
	s_nop 0
	v_min3_f32 v54, v54, v55, v56
	v_min3_f32 v55, v53, v57, v52
	v_lshl_add_u64 v[52:53], v[64:65], 2, v[48:49]
	global_store_dword v[52:53], v55, off
	v_max_f32_e32 v52, v54, v54
	s_cbranch_vccz .LBB68_116
; %bb.115:
	v_min_f32_e32 v53, 0, v52
	v_lshl_add_u64 v[54:55], v[76:77], 2, v[48:49]
	global_store_dword v[54:55], v53, off
	s_mov_b64 s[2:3], 0
.LBB68_116:
	s_andn2_b64 vcc, exec, s[2:3]
	v_mov_b32_e32 v53, 0
	s_cbranch_vccnz .LBB68_118
; %bb.117:
	v_lshl_add_u64 v[54:55], v[50:51], 0, v[80:81]
	global_load_dword v53, v[54:55], off
	v_lshl_add_u64 v[54:55], v[48:49], 0, v[80:81]
	s_waitcnt vmcnt(0)
	v_mul_f32_e32 v53, s26, v53
	v_min_f32_e32 v52, v53, v52
	global_store_dword v[54:55], v52, off
	v_lshl_add_u64 v[52:53], v[66:67], 2, v[50:51]
	global_load_dword v52, v[52:53], off
	s_waitcnt vmcnt(0)
	v_mul_f32_e32 v53, s26, v52
.LBB68_118:
	v_pk_add_f32 v[54:55], v[20:21], v[44:45]
	s_mov_b64 s[2:3], -1
	v_min3_f32 v52, v54, v55, v120
	v_pk_add_f32 v[54:55], v[16:17], v[44:45]
	s_mov_b64 vcc, s[8:9]
	v_min3_f32 v56, v54, v55, v119
	v_pk_add_f32 v[54:55], v[22:23], v[46:47]
	s_nop 0
	v_min_f32_e32 v57, v54, v55
	v_pk_add_f32 v[54:55], v[18:19], v[46:47]
	s_nop 0
	v_min3_f32 v54, v54, v55, v56
	v_min3_f32 v55, v53, v57, v52
	v_lshl_add_u64 v[52:53], v[66:67], 2, v[48:49]
	global_store_dword v[52:53], v55, off
	v_max_f32_e32 v52, v54, v54
	s_cbranch_vccz .LBB68_120
; %bb.119:
	v_min_f32_e32 v53, 0, v52
	v_lshl_add_u64 v[54:55], v[78:79], 2, v[48:49]
	global_store_dword v[54:55], v53, off
	s_mov_b64 s[2:3], 0
.LBB68_120:
	;; [unrolled: 39-line block ×3, first 2 shown]
	s_andn2_b64 vcc, exec, s[2:3]
	v_mov_b32_e32 v53, 0
	s_cbranch_vccnz .LBB68_126
; %bb.125:
	v_lshl_add_u64 v[54:55], v[50:51], 0, v[86:87]
	global_load_dword v53, v[54:55], off
	v_lshl_add_u64 v[54:55], v[48:49], 0, v[86:87]
	v_lshl_add_u64 v[50:51], v[74:75], 2, v[50:51]
	s_waitcnt vmcnt(0)
	v_mul_f32_e32 v53, s26, v53
	v_min_f32_e32 v52, v53, v52
	global_store_dword v[54:55], v52, off
	global_load_dword v50, v[50:51], off
	s_waitcnt vmcnt(0)
	v_mul_f32_e32 v53, s26, v50
.LBB68_126:
	v_pk_add_f32 v[44:45], v[0:1], v[44:45]
	s_mov_b64 vcc, s[8:9]
	v_min3_f32 v50, v44, v45, v116
	v_pk_add_f32 v[44:45], v[32:33], v[40:41]
	s_nop 0
	v_min3_f32 v51, v44, v45, v115
	v_pk_add_f32 v[44:45], v[2:3], v[46:47]
	s_nop 0
	v_min_f32_e32 v46, v44, v45
	v_pk_add_f32 v[44:45], v[34:35], v[42:43]
	v_min3_f32 v46, v53, v46, v50
	v_min3_f32 v51, v44, v45, v51
	v_lshl_add_u64 v[44:45], v[74:75], 2, v[48:49]
	global_store_dword v[44:45], v46, off
	v_add_u32_e32 v46, 0xa0, v154
	v_mad_i64_i32 v[44:45], s[2:3], v46, s5, 0
	v_mad_i64_i32 v[46:47], s[2:3], v46, s4, 0
	v_lshl_add_u64 v[44:45], v[44:45], 2, s[0:1]
	s_mov_b64 s[2:3], -1
	v_max_f32_e32 v48, v51, v51
	s_cbranch_vccz .LBB68_128
; %bb.127:
	v_min_f32_e32 v49, 0, v48
	v_lshl_add_u64 v[50:51], v[68:69], 2, v[44:45]
	global_store_dword v[50:51], v49, off
	s_mov_b64 s[2:3], 0
.LBB68_128:
	v_lshl_add_u64 v[46:47], v[46:47], 2, s[16:17]
	s_andn2_b64 vcc, exec, s[2:3]
	v_mov_b32_e32 v49, 0
	s_cbranch_vccnz .LBB68_130
; %bb.129:
	v_lshl_add_u64 v[50:51], v[46:47], 0, v[72:73]
	global_load_dword v49, v[50:51], off
	v_lshl_add_u64 v[50:51], v[44:45], 0, v[72:73]
	s_waitcnt vmcnt(0)
	v_mul_f32_e32 v49, s26, v49
	v_min_f32_e32 v48, v49, v48
	global_store_dword v[50:51], v48, off
	v_lshl_add_u64 v[48:49], v[64:65], 2, v[46:47]
	global_load_dword v48, v[48:49], off
	s_waitcnt vmcnt(0)
	v_mul_f32_e32 v49, s26, v48
.LBB68_130:
	v_pk_add_f32 v[50:51], v[28:29], v[40:41]
	s_mov_b64 s[2:3], -1
	v_min3_f32 v48, v50, v51, v114
	v_pk_add_f32 v[50:51], v[24:25], v[40:41]
	s_mov_b64 vcc, s[8:9]
	v_min3_f32 v52, v50, v51, v113
	v_pk_add_f32 v[50:51], v[30:31], v[42:43]
	s_nop 0
	v_min_f32_e32 v53, v50, v51
	v_pk_add_f32 v[50:51], v[26:27], v[42:43]
	s_nop 0
	v_min3_f32 v50, v50, v51, v52
	v_min3_f32 v51, v49, v53, v48
	v_lshl_add_u64 v[48:49], v[64:65], 2, v[44:45]
	global_store_dword v[48:49], v51, off
	v_max_f32_e32 v48, v50, v50
	s_cbranch_vccz .LBB68_132
; %bb.131:
	v_min_f32_e32 v49, 0, v48
	v_lshl_add_u64 v[50:51], v[76:77], 2, v[44:45]
	global_store_dword v[50:51], v49, off
	s_mov_b64 s[2:3], 0
.LBB68_132:
	s_andn2_b64 vcc, exec, s[2:3]
	v_mov_b32_e32 v49, 0
	s_cbranch_vccnz .LBB68_134
; %bb.133:
	v_lshl_add_u64 v[50:51], v[46:47], 0, v[80:81]
	global_load_dword v49, v[50:51], off
	v_lshl_add_u64 v[50:51], v[44:45], 0, v[80:81]
	s_waitcnt vmcnt(0)
	v_mul_f32_e32 v49, s26, v49
	v_min_f32_e32 v48, v49, v48
	global_store_dword v[50:51], v48, off
	v_lshl_add_u64 v[48:49], v[66:67], 2, v[46:47]
	global_load_dword v48, v[48:49], off
	s_waitcnt vmcnt(0)
	v_mul_f32_e32 v49, s26, v48
.LBB68_134:
	v_pk_add_f32 v[50:51], v[20:21], v[40:41]
	s_mov_b64 s[2:3], -1
	v_min3_f32 v48, v50, v51, v112
	v_pk_add_f32 v[50:51], v[16:17], v[40:41]
	s_mov_b64 vcc, s[8:9]
	v_min3_f32 v52, v50, v51, v111
	v_pk_add_f32 v[50:51], v[22:23], v[42:43]
	s_nop 0
	v_min_f32_e32 v53, v50, v51
	v_pk_add_f32 v[50:51], v[18:19], v[42:43]
	s_nop 0
	v_min3_f32 v50, v50, v51, v52
	v_min3_f32 v51, v49, v53, v48
	v_lshl_add_u64 v[48:49], v[66:67], 2, v[44:45]
	global_store_dword v[48:49], v51, off
	v_max_f32_e32 v48, v50, v50
	s_cbranch_vccz .LBB68_136
; %bb.135:
	v_min_f32_e32 v49, 0, v48
	v_lshl_add_u64 v[50:51], v[78:79], 2, v[44:45]
	global_store_dword v[50:51], v49, off
	s_mov_b64 s[2:3], 0
.LBB68_136:
	;; [unrolled: 39-line block ×3, first 2 shown]
	s_andn2_b64 vcc, exec, s[2:3]
	v_mov_b32_e32 v49, 0
	s_cbranch_vccnz .LBB68_142
; %bb.141:
	v_lshl_add_u64 v[50:51], v[46:47], 0, v[86:87]
	global_load_dword v49, v[50:51], off
	v_lshl_add_u64 v[50:51], v[44:45], 0, v[86:87]
	v_lshl_add_u64 v[46:47], v[74:75], 2, v[46:47]
	s_waitcnt vmcnt(0)
	v_mul_f32_e32 v49, s26, v49
	v_min_f32_e32 v48, v49, v48
	global_store_dword v[50:51], v48, off
	global_load_dword v46, v[46:47], off
	s_waitcnt vmcnt(0)
	v_mul_f32_e32 v49, s26, v46
.LBB68_142:
	v_pk_add_f32 v[40:41], v[0:1], v[40:41]
	s_mov_b64 vcc, s[8:9]
	v_min3_f32 v46, v40, v41, v108
	v_pk_add_f32 v[40:41], v[32:33], v[36:37]
	s_nop 0
	v_min3_f32 v47, v40, v41, v107
	v_pk_add_f32 v[40:41], v[2:3], v[42:43]
	s_nop 0
	v_min_f32_e32 v42, v40, v41
	v_pk_add_f32 v[40:41], v[34:35], v[38:39]
	v_min3_f32 v42, v49, v42, v46
	v_min3_f32 v47, v40, v41, v47
	v_lshl_add_u64 v[40:41], v[74:75], 2, v[44:45]
	global_store_dword v[40:41], v42, off
	v_add_u32_e32 v42, 0xc0, v154
	v_mad_i64_i32 v[40:41], s[2:3], v42, s5, 0
	v_mad_i64_i32 v[42:43], s[2:3], v42, s4, 0
	v_lshl_add_u64 v[40:41], v[40:41], 2, s[0:1]
	s_mov_b64 s[2:3], -1
	v_max_f32_e32 v44, v47, v47
	s_cbranch_vccz .LBB68_144
; %bb.143:
	v_min_f32_e32 v45, 0, v44
	v_lshl_add_u64 v[46:47], v[68:69], 2, v[40:41]
	global_store_dword v[46:47], v45, off
	s_mov_b64 s[2:3], 0
.LBB68_144:
	v_lshl_add_u64 v[42:43], v[42:43], 2, s[16:17]
	s_andn2_b64 vcc, exec, s[2:3]
	v_mov_b32_e32 v45, 0
	s_cbranch_vccnz .LBB68_146
; %bb.145:
	v_lshl_add_u64 v[46:47], v[42:43], 0, v[72:73]
	global_load_dword v45, v[46:47], off
	v_lshl_add_u64 v[46:47], v[40:41], 0, v[72:73]
	s_waitcnt vmcnt(0)
	v_mul_f32_e32 v45, s26, v45
	v_min_f32_e32 v44, v45, v44
	global_store_dword v[46:47], v44, off
	v_lshl_add_u64 v[44:45], v[64:65], 2, v[42:43]
	global_load_dword v44, v[44:45], off
	s_waitcnt vmcnt(0)
	v_mul_f32_e32 v45, s26, v44
.LBB68_146:
	v_pk_add_f32 v[46:47], v[28:29], v[36:37]
	s_mov_b64 s[2:3], -1
	v_min3_f32 v44, v46, v47, v106
	v_pk_add_f32 v[46:47], v[24:25], v[36:37]
	s_mov_b64 vcc, s[8:9]
	v_min3_f32 v48, v46, v47, v105
	v_pk_add_f32 v[46:47], v[30:31], v[38:39]
	s_nop 0
	v_min_f32_e32 v49, v46, v47
	v_pk_add_f32 v[46:47], v[26:27], v[38:39]
	s_nop 0
	v_min3_f32 v46, v46, v47, v48
	v_min3_f32 v47, v45, v49, v44
	v_lshl_add_u64 v[44:45], v[64:65], 2, v[40:41]
	global_store_dword v[44:45], v47, off
	v_max_f32_e32 v44, v46, v46
	s_cbranch_vccz .LBB68_148
; %bb.147:
	v_min_f32_e32 v45, 0, v44
	v_lshl_add_u64 v[46:47], v[76:77], 2, v[40:41]
	global_store_dword v[46:47], v45, off
	s_mov_b64 s[2:3], 0
.LBB68_148:
	s_andn2_b64 vcc, exec, s[2:3]
	v_mov_b32_e32 v45, 0
	s_cbranch_vccnz .LBB68_150
; %bb.149:
	v_lshl_add_u64 v[46:47], v[42:43], 0, v[80:81]
	global_load_dword v45, v[46:47], off
	v_lshl_add_u64 v[46:47], v[40:41], 0, v[80:81]
	s_waitcnt vmcnt(0)
	v_mul_f32_e32 v45, s26, v45
	v_min_f32_e32 v44, v45, v44
	global_store_dword v[46:47], v44, off
	v_lshl_add_u64 v[44:45], v[66:67], 2, v[42:43]
	global_load_dword v44, v[44:45], off
	s_waitcnt vmcnt(0)
	v_mul_f32_e32 v45, s26, v44
.LBB68_150:
	v_pk_add_f32 v[46:47], v[20:21], v[36:37]
	s_mov_b64 s[2:3], -1
	v_min3_f32 v44, v46, v47, v104
	v_pk_add_f32 v[46:47], v[16:17], v[36:37]
	s_mov_b64 vcc, s[8:9]
	v_min3_f32 v48, v46, v47, v103
	v_pk_add_f32 v[46:47], v[22:23], v[38:39]
	s_nop 0
	v_min_f32_e32 v49, v46, v47
	v_pk_add_f32 v[46:47], v[18:19], v[38:39]
	s_nop 0
	v_min3_f32 v46, v46, v47, v48
	v_min3_f32 v47, v45, v49, v44
	v_lshl_add_u64 v[44:45], v[66:67], 2, v[40:41]
	global_store_dword v[44:45], v47, off
	v_max_f32_e32 v44, v46, v46
	s_cbranch_vccz .LBB68_152
; %bb.151:
	v_min_f32_e32 v45, 0, v44
	v_lshl_add_u64 v[46:47], v[78:79], 2, v[40:41]
	global_store_dword v[46:47], v45, off
	s_mov_b64 s[2:3], 0
.LBB68_152:
	;; [unrolled: 39-line block ×3, first 2 shown]
	s_andn2_b64 vcc, exec, s[2:3]
	v_mov_b32_e32 v45, 0
	s_cbranch_vccnz .LBB68_158
; %bb.157:
	v_lshl_add_u64 v[46:47], v[42:43], 0, v[86:87]
	global_load_dword v45, v[46:47], off
	v_lshl_add_u64 v[46:47], v[40:41], 0, v[86:87]
	v_lshl_add_u64 v[42:43], v[74:75], 2, v[42:43]
	s_waitcnt vmcnt(0)
	v_mul_f32_e32 v45, s26, v45
	v_min_f32_e32 v44, v45, v44
	global_store_dword v[46:47], v44, off
	global_load_dword v42, v[42:43], off
	s_waitcnt vmcnt(0)
	v_mul_f32_e32 v45, s26, v42
.LBB68_158:
	v_pk_add_f32 v[36:37], v[0:1], v[36:37]
	s_waitcnt lgkmcnt(0)
	v_pk_add_f32 v[32:33], v[32:33], v[4:5]
	v_min3_f32 v36, v36, v37, v99
	v_min3_f32 v37, v32, v33, v100
	v_pk_add_f32 v[32:33], v[2:3], v[38:39]
	s_mov_b64 vcc, s[8:9]
	v_min_f32_e32 v38, v32, v33
	v_pk_add_f32 v[32:33], v[34:35], v[6:7]
	v_min3_f32 v34, v45, v38, v36
	v_min3_f32 v37, v32, v33, v37
	v_lshl_add_u64 v[32:33], v[74:75], 2, v[40:41]
	global_store_dword v[32:33], v34, off
	v_add_u32_e32 v34, 0xe0, v154
	v_mad_i64_i32 v[32:33], s[2:3], v34, s5, 0
	v_lshl_add_u64 v[32:33], v[32:33], 2, s[0:1]
	v_mad_i64_i32 v[34:35], s[0:1], v34, s4, 0
	s_mov_b64 s[0:1], -1
	v_max_f32_e32 v36, v37, v37
	s_cbranch_vccz .LBB68_160
; %bb.159:
	v_min_f32_e32 v37, 0, v36
	v_lshl_add_u64 v[38:39], v[68:69], 2, v[32:33]
	global_store_dword v[38:39], v37, off
	s_mov_b64 s[0:1], 0
.LBB68_160:
	v_lshl_add_u64 v[34:35], v[34:35], 2, s[16:17]
	s_andn2_b64 vcc, exec, s[0:1]
	v_mov_b32_e32 v37, 0
	s_cbranch_vccnz .LBB68_162
; %bb.161:
	v_lshl_add_u64 v[38:39], v[34:35], 0, v[72:73]
	global_load_dword v37, v[38:39], off
	v_lshl_add_u64 v[38:39], v[32:33], 0, v[72:73]
	s_waitcnt vmcnt(0)
	v_mul_f32_e32 v37, s26, v37
	v_min_f32_e32 v36, v37, v36
	global_store_dword v[38:39], v36, off
	v_lshl_add_u64 v[36:37], v[64:65], 2, v[34:35]
	global_load_dword v36, v[36:37], off
	s_waitcnt vmcnt(0)
	v_mul_f32_e32 v37, s26, v36
.LBB68_162:
	v_pk_add_f32 v[28:29], v[28:29], v[4:5]
	v_pk_add_f32 v[24:25], v[24:25], v[4:5]
	v_min3_f32 v28, v28, v29, v98
	v_min3_f32 v29, v24, v25, v97
	v_pk_add_f32 v[24:25], v[30:31], v[6:7]
	s_mov_b64 s[0:1], -1
	v_min_f32_e32 v30, v24, v25
	v_pk_add_f32 v[24:25], v[26:27], v[6:7]
	v_min3_f32 v27, v37, v30, v28
	v_min3_f32 v26, v24, v25, v29
	v_lshl_add_u64 v[24:25], v[64:65], 2, v[32:33]
	global_store_dword v[24:25], v27, off
	v_max_f32_e32 v24, v26, v26
	s_mov_b64 vcc, s[8:9]
	s_cbranch_vccz .LBB68_164
; %bb.163:
	v_min_f32_e32 v25, 0, v24
	v_lshl_add_u64 v[26:27], v[76:77], 2, v[32:33]
	global_store_dword v[26:27], v25, off
	s_mov_b64 s[0:1], 0
.LBB68_164:
	s_andn2_b64 vcc, exec, s[0:1]
	v_mov_b32_e32 v25, 0
	s_cbranch_vccnz .LBB68_166
; %bb.165:
	v_lshl_add_u64 v[26:27], v[34:35], 0, v[80:81]
	global_load_dword v25, v[26:27], off
	v_lshl_add_u64 v[26:27], v[32:33], 0, v[80:81]
	s_waitcnt vmcnt(0)
	v_mul_f32_e32 v25, s26, v25
	v_min_f32_e32 v24, v25, v24
	global_store_dword v[26:27], v24, off
	v_lshl_add_u64 v[24:25], v[66:67], 2, v[34:35]
	global_load_dword v24, v[24:25], off
	s_waitcnt vmcnt(0)
	v_mul_f32_e32 v25, s26, v24
.LBB68_166:
	v_pk_add_f32 v[20:21], v[20:21], v[4:5]
	v_pk_add_f32 v[16:17], v[16:17], v[4:5]
	v_min3_f32 v20, v20, v21, v96
	v_min3_f32 v21, v16, v17, v95
	v_pk_add_f32 v[16:17], v[22:23], v[6:7]
	s_mov_b64 s[0:1], -1
	v_min_f32_e32 v22, v16, v17
	v_pk_add_f32 v[16:17], v[18:19], v[6:7]
	v_min3_f32 v19, v25, v22, v20
	v_min3_f32 v18, v16, v17, v21
	v_lshl_add_u64 v[16:17], v[66:67], 2, v[32:33]
	global_store_dword v[16:17], v19, off
	v_max_f32_e32 v16, v18, v18
	s_mov_b64 vcc, s[8:9]
	s_cbranch_vccz .LBB68_168
; %bb.167:
	v_min_f32_e32 v17, 0, v16
	v_lshl_add_u64 v[18:19], v[78:79], 2, v[32:33]
	global_store_dword v[18:19], v17, off
	s_mov_b64 s[0:1], 0
.LBB68_168:
	s_andn2_b64 vcc, exec, s[0:1]
	v_mov_b32_e32 v17, 0
	s_cbranch_vccnz .LBB68_170
; %bb.169:
	v_lshl_add_u64 v[18:19], v[34:35], 0, v[82:83]
	global_load_dword v17, v[18:19], off
	v_lshl_add_u64 v[18:19], v[32:33], 0, v[82:83]
	s_waitcnt vmcnt(0)
	v_mul_f32_e32 v17, s26, v17
	v_min_f32_e32 v16, v17, v16
	global_store_dword v[18:19], v16, off
	v_lshl_add_u64 v[16:17], v[70:71], 2, v[34:35]
	global_load_dword v16, v[16:17], off
	s_waitcnt vmcnt(0)
	v_mul_f32_e32 v17, s26, v16
.LBB68_170:
	v_pk_add_f32 v[12:13], v[12:13], v[4:5]
	v_pk_add_f32 v[8:9], v[8:9], v[4:5]
	v_min3_f32 v12, v12, v13, v94
	v_min3_f32 v13, v8, v9, v93
	v_pk_add_f32 v[8:9], v[14:15], v[6:7]
	s_mov_b64 s[0:1], -1
	v_min_f32_e32 v14, v8, v9
	v_pk_add_f32 v[8:9], v[10:11], v[6:7]
	v_min3_f32 v11, v17, v14, v12
	v_min3_f32 v10, v8, v9, v13
	v_lshl_add_u64 v[8:9], v[70:71], 2, v[32:33]
	global_store_dword v[8:9], v11, off
	v_max_f32_e32 v8, v10, v10
	s_mov_b64 vcc, s[8:9]
	s_cbranch_vccz .LBB68_172
; %bb.171:
	v_min_f32_e32 v9, 0, v8
	v_lshl_add_u64 v[10:11], v[84:85], 2, v[32:33]
	global_store_dword v[10:11], v9, off
	s_mov_b64 s[0:1], 0
.LBB68_172:
	s_andn2_b64 vcc, exec, s[0:1]
	v_mov_b32_e32 v9, 0
	s_cbranch_vccnz .LBB68_174
; %bb.173:
	v_lshl_add_u64 v[10:11], v[34:35], 0, v[86:87]
	global_load_dword v9, v[10:11], off
	v_lshl_add_u64 v[10:11], v[32:33], 0, v[86:87]
	s_waitcnt vmcnt(0)
	v_mul_f32_e32 v9, s26, v9
	v_min_f32_e32 v8, v9, v8
	global_store_dword v[10:11], v8, off
	v_lshl_add_u64 v[8:9], v[74:75], 2, v[34:35]
	global_load_dword v8, v[8:9], off
	s_waitcnt vmcnt(0)
	v_mul_f32_e32 v9, s26, v8
.LBB68_174:
	v_pk_add_f32 v[2:3], v[2:3], v[6:7]
	v_pk_add_f32 v[0:1], v[0:1], v[4:5]
	v_min_f32_e32 v2, v2, v3
	v_min3_f32 v0, v0, v1, v92
	v_min3_f32 v2, v9, v2, v0
	v_lshl_add_u64 v[0:1], v[74:75], 2, v[32:33]
	global_store_dword v[0:1], v2, off
	s_endpgm
.LBB68_175:
	s_mov_b64 s[20:21], 0
	s_andn2_b64 vcc, exec, s[6:7]
	s_mov_b64 s[6:7], -1
	s_cbranch_vccz .LBB68_2
	s_branch .LBB68_3
	.section	.rodata,"a",@progbits
	.p2align	6, 0x0
	.amdhsa_kernel _ZN12_GLOBAL__N_120geam_min_plus_kernelIf15HIP_vector_typeIfLj2EEfLi8ELi32ELi64ELi256ELi4ELi64ELi4ELi64ELi4ELc78ELc84ELb0ELb0ELb1EfKffEEviiiT16_PT17_ilS6_ilS4_S6_ilPT18_ili26rocblas_geam_ex_operation_
		.amdhsa_group_segment_fixed_size 10240
		.amdhsa_private_segment_fixed_size 0
		.amdhsa_kernarg_size 128
		.amdhsa_user_sgpr_count 2
		.amdhsa_user_sgpr_dispatch_ptr 0
		.amdhsa_user_sgpr_queue_ptr 0
		.amdhsa_user_sgpr_kernarg_segment_ptr 1
		.amdhsa_user_sgpr_dispatch_id 0
		.amdhsa_user_sgpr_kernarg_preload_length 0
		.amdhsa_user_sgpr_kernarg_preload_offset 0
		.amdhsa_user_sgpr_private_segment_size 0
		.amdhsa_uses_dynamic_stack 0
		.amdhsa_enable_private_segment 0
		.amdhsa_system_sgpr_workgroup_id_x 1
		.amdhsa_system_sgpr_workgroup_id_y 0
		.amdhsa_system_sgpr_workgroup_id_z 1
		.amdhsa_system_sgpr_workgroup_info 0
		.amdhsa_system_vgpr_workitem_id 1
		.amdhsa_next_free_vgpr 162
		.amdhsa_next_free_sgpr 30
		.amdhsa_accum_offset 164
		.amdhsa_reserve_vcc 1
		.amdhsa_float_round_mode_32 0
		.amdhsa_float_round_mode_16_64 0
		.amdhsa_float_denorm_mode_32 3
		.amdhsa_float_denorm_mode_16_64 3
		.amdhsa_dx10_clamp 1
		.amdhsa_ieee_mode 1
		.amdhsa_fp16_overflow 0
		.amdhsa_tg_split 0
		.amdhsa_exception_fp_ieee_invalid_op 0
		.amdhsa_exception_fp_denorm_src 0
		.amdhsa_exception_fp_ieee_div_zero 0
		.amdhsa_exception_fp_ieee_overflow 0
		.amdhsa_exception_fp_ieee_underflow 0
		.amdhsa_exception_fp_ieee_inexact 0
		.amdhsa_exception_int_div_zero 0
	.end_amdhsa_kernel
	.section	.text._ZN12_GLOBAL__N_120geam_min_plus_kernelIf15HIP_vector_typeIfLj2EEfLi8ELi32ELi64ELi256ELi4ELi64ELi4ELi64ELi4ELc78ELc84ELb0ELb0ELb1EfKffEEviiiT16_PT17_ilS6_ilS4_S6_ilPT18_ili26rocblas_geam_ex_operation_,"axG",@progbits,_ZN12_GLOBAL__N_120geam_min_plus_kernelIf15HIP_vector_typeIfLj2EEfLi8ELi32ELi64ELi256ELi4ELi64ELi4ELi64ELi4ELc78ELc84ELb0ELb0ELb1EfKffEEviiiT16_PT17_ilS6_ilS4_S6_ilPT18_ili26rocblas_geam_ex_operation_,comdat
.Lfunc_end68:
	.size	_ZN12_GLOBAL__N_120geam_min_plus_kernelIf15HIP_vector_typeIfLj2EEfLi8ELi32ELi64ELi256ELi4ELi64ELi4ELi64ELi4ELc78ELc84ELb0ELb0ELb1EfKffEEviiiT16_PT17_ilS6_ilS4_S6_ilPT18_ili26rocblas_geam_ex_operation_, .Lfunc_end68-_ZN12_GLOBAL__N_120geam_min_plus_kernelIf15HIP_vector_typeIfLj2EEfLi8ELi32ELi64ELi256ELi4ELi64ELi4ELi64ELi4ELc78ELc84ELb0ELb0ELb1EfKffEEviiiT16_PT17_ilS6_ilS4_S6_ilPT18_ili26rocblas_geam_ex_operation_
                                        ; -- End function
	.set _ZN12_GLOBAL__N_120geam_min_plus_kernelIf15HIP_vector_typeIfLj2EEfLi8ELi32ELi64ELi256ELi4ELi64ELi4ELi64ELi4ELc78ELc84ELb0ELb0ELb1EfKffEEviiiT16_PT17_ilS6_ilS4_S6_ilPT18_ili26rocblas_geam_ex_operation_.num_vgpr, 162
	.set _ZN12_GLOBAL__N_120geam_min_plus_kernelIf15HIP_vector_typeIfLj2EEfLi8ELi32ELi64ELi256ELi4ELi64ELi4ELi64ELi4ELc78ELc84ELb0ELb0ELb1EfKffEEviiiT16_PT17_ilS6_ilS4_S6_ilPT18_ili26rocblas_geam_ex_operation_.num_agpr, 0
	.set _ZN12_GLOBAL__N_120geam_min_plus_kernelIf15HIP_vector_typeIfLj2EEfLi8ELi32ELi64ELi256ELi4ELi64ELi4ELi64ELi4ELc78ELc84ELb0ELb0ELb1EfKffEEviiiT16_PT17_ilS6_ilS4_S6_ilPT18_ili26rocblas_geam_ex_operation_.numbered_sgpr, 30
	.set _ZN12_GLOBAL__N_120geam_min_plus_kernelIf15HIP_vector_typeIfLj2EEfLi8ELi32ELi64ELi256ELi4ELi64ELi4ELi64ELi4ELc78ELc84ELb0ELb0ELb1EfKffEEviiiT16_PT17_ilS6_ilS4_S6_ilPT18_ili26rocblas_geam_ex_operation_.num_named_barrier, 0
	.set _ZN12_GLOBAL__N_120geam_min_plus_kernelIf15HIP_vector_typeIfLj2EEfLi8ELi32ELi64ELi256ELi4ELi64ELi4ELi64ELi4ELc78ELc84ELb0ELb0ELb1EfKffEEviiiT16_PT17_ilS6_ilS4_S6_ilPT18_ili26rocblas_geam_ex_operation_.private_seg_size, 0
	.set _ZN12_GLOBAL__N_120geam_min_plus_kernelIf15HIP_vector_typeIfLj2EEfLi8ELi32ELi64ELi256ELi4ELi64ELi4ELi64ELi4ELc78ELc84ELb0ELb0ELb1EfKffEEviiiT16_PT17_ilS6_ilS4_S6_ilPT18_ili26rocblas_geam_ex_operation_.uses_vcc, 1
	.set _ZN12_GLOBAL__N_120geam_min_plus_kernelIf15HIP_vector_typeIfLj2EEfLi8ELi32ELi64ELi256ELi4ELi64ELi4ELi64ELi4ELc78ELc84ELb0ELb0ELb1EfKffEEviiiT16_PT17_ilS6_ilS4_S6_ilPT18_ili26rocblas_geam_ex_operation_.uses_flat_scratch, 0
	.set _ZN12_GLOBAL__N_120geam_min_plus_kernelIf15HIP_vector_typeIfLj2EEfLi8ELi32ELi64ELi256ELi4ELi64ELi4ELi64ELi4ELc78ELc84ELb0ELb0ELb1EfKffEEviiiT16_PT17_ilS6_ilS4_S6_ilPT18_ili26rocblas_geam_ex_operation_.has_dyn_sized_stack, 0
	.set _ZN12_GLOBAL__N_120geam_min_plus_kernelIf15HIP_vector_typeIfLj2EEfLi8ELi32ELi64ELi256ELi4ELi64ELi4ELi64ELi4ELc78ELc84ELb0ELb0ELb1EfKffEEviiiT16_PT17_ilS6_ilS4_S6_ilPT18_ili26rocblas_geam_ex_operation_.has_recursion, 0
	.set _ZN12_GLOBAL__N_120geam_min_plus_kernelIf15HIP_vector_typeIfLj2EEfLi8ELi32ELi64ELi256ELi4ELi64ELi4ELi64ELi4ELc78ELc84ELb0ELb0ELb1EfKffEEviiiT16_PT17_ilS6_ilS4_S6_ilPT18_ili26rocblas_geam_ex_operation_.has_indirect_call, 0
	.section	.AMDGPU.csdata,"",@progbits
; Kernel info:
; codeLenInByte = 16688
; TotalNumSgprs: 36
; NumVgprs: 162
; NumAgprs: 0
; TotalNumVgprs: 162
; ScratchSize: 0
; MemoryBound: 0
; FloatMode: 240
; IeeeMode: 1
; LDSByteSize: 10240 bytes/workgroup (compile time only)
; SGPRBlocks: 4
; VGPRBlocks: 20
; NumSGPRsForWavesPerEU: 36
; NumVGPRsForWavesPerEU: 162
; AccumOffset: 164
; Occupancy: 3
; WaveLimiterHint : 1
; COMPUTE_PGM_RSRC2:SCRATCH_EN: 0
; COMPUTE_PGM_RSRC2:USER_SGPR: 2
; COMPUTE_PGM_RSRC2:TRAP_HANDLER: 0
; COMPUTE_PGM_RSRC2:TGID_X_EN: 1
; COMPUTE_PGM_RSRC2:TGID_Y_EN: 0
; COMPUTE_PGM_RSRC2:TGID_Z_EN: 1
; COMPUTE_PGM_RSRC2:TIDIG_COMP_CNT: 1
; COMPUTE_PGM_RSRC3_GFX90A:ACCUM_OFFSET: 40
; COMPUTE_PGM_RSRC3_GFX90A:TG_SPLIT: 0
	.section	.text._ZN12_GLOBAL__N_120geam_min_plus_kernelIf15HIP_vector_typeIfLj2EEfLi8ELi32ELi64ELi256ELi4ELi64ELi4ELi64ELi4ELc78ELc84ELb0ELb1ELb1EPKfS3_fEEviiiT16_PT17_ilS7_ilS5_S7_ilPT18_ili26rocblas_geam_ex_operation_,"axG",@progbits,_ZN12_GLOBAL__N_120geam_min_plus_kernelIf15HIP_vector_typeIfLj2EEfLi8ELi32ELi64ELi256ELi4ELi64ELi4ELi64ELi4ELc78ELc84ELb0ELb1ELb1EPKfS3_fEEviiiT16_PT17_ilS7_ilS5_S7_ilPT18_ili26rocblas_geam_ex_operation_,comdat
	.globl	_ZN12_GLOBAL__N_120geam_min_plus_kernelIf15HIP_vector_typeIfLj2EEfLi8ELi32ELi64ELi256ELi4ELi64ELi4ELi64ELi4ELc78ELc84ELb0ELb1ELb1EPKfS3_fEEviiiT16_PT17_ilS7_ilS5_S7_ilPT18_ili26rocblas_geam_ex_operation_ ; -- Begin function _ZN12_GLOBAL__N_120geam_min_plus_kernelIf15HIP_vector_typeIfLj2EEfLi8ELi32ELi64ELi256ELi4ELi64ELi4ELi64ELi4ELc78ELc84ELb0ELb1ELb1EPKfS3_fEEviiiT16_PT17_ilS7_ilS5_S7_ilPT18_ili26rocblas_geam_ex_operation_
	.p2align	8
	.type	_ZN12_GLOBAL__N_120geam_min_plus_kernelIf15HIP_vector_typeIfLj2EEfLi8ELi32ELi64ELi256ELi4ELi64ELi4ELi64ELi4ELc78ELc84ELb0ELb1ELb1EPKfS3_fEEviiiT16_PT17_ilS7_ilS5_S7_ilPT18_ili26rocblas_geam_ex_operation_,@function
_ZN12_GLOBAL__N_120geam_min_plus_kernelIf15HIP_vector_typeIfLj2EEfLi8ELi32ELi64ELi256ELi4ELi64ELi4ELi64ELi4ELc78ELc84ELb0ELb1ELb1EPKfS3_fEEviiiT16_PT17_ilS7_ilS5_S7_ilPT18_ili26rocblas_geam_ex_operation_: ; @_ZN12_GLOBAL__N_120geam_min_plus_kernelIf15HIP_vector_typeIfLj2EEfLi8ELi32ELi64ELi256ELi4ELi64ELi4ELi64ELi4ELc78ELc84ELb0ELb1ELb1EPKfS3_fEEviiiT16_PT17_ilS7_ilS5_S7_ilPT18_ili26rocblas_geam_ex_operation_
; %bb.0:
	s_load_dwordx4 s[12:15], s[0:1], 0x10
	s_load_dwordx4 s[4:7], s[0:1], 0x28
	;; [unrolled: 1-line block ×3, first 2 shown]
	s_mov_b32 s16, s3
	s_mov_b32 s17, 0
	s_lshl_b64 s[18:19], s[16:17], 2
	s_waitcnt lgkmcnt(0)
	s_add_u32 s12, s12, s18
	s_addc_u32 s13, s13, s19
	s_load_dword s39, s[12:13], 0x0
	s_load_dwordx2 s[20:21], s[0:1], 0x50
	s_add_u32 s10, s10, s18
	s_addc_u32 s11, s11, s19
	s_mov_b64 s[18:19], 0
	s_waitcnt lgkmcnt(0)
	v_cmp_eq_f32_e64 s[22:23], s39, 0
	v_cmp_neq_f32_e64 s[12:13], s39, 0
	s_and_b64 vcc, exec, s[22:23]
	s_mov_b64 s[30:31], 0
	s_cbranch_vccnz .LBB69_2
; %bb.1:
	s_mul_i32 s3, s5, s16
	s_mul_hi_u32 s5, s4, s16
	s_add_i32 s5, s5, s3
	s_mul_i32 s4, s4, s16
	s_lshl_b64 s[4:5], s[4:5], 2
	s_add_u32 s30, s14, s4
	s_addc_u32 s31, s15, s5
.LBB69_2:
	s_load_dword s33, s[10:11], 0x0
	s_andn2_b64 vcc, exec, s[12:13]
	s_cbranch_vccnz .LBB69_4
; %bb.3:
	s_mul_i32 s3, s9, s16
	s_mul_hi_u32 s4, s8, s16
	s_add_i32 s5, s4, s3
	s_mul_i32 s4, s8, s16
	s_lshl_b64 s[4:5], s[4:5], 2
	s_add_u32 s18, s6, s4
	s_addc_u32 s19, s7, s5
.LBB69_4:
	s_load_dwordx4 s[12:15], s[0:1], 0x60
	s_waitcnt lgkmcnt(0)
	v_cmp_eq_f32_e64 s[4:5], s33, 0
	v_cmp_neq_f32_e64 s[26:27], s33, 0
	s_and_b64 vcc, exec, s[4:5]
	s_cbranch_vccnz .LBB69_6
; %bb.5:
	s_mul_i32 s3, s13, s16
	s_mul_hi_u32 s4, s12, s16
	s_add_i32 s5, s4, s3
	s_mul_i32 s4, s12, s16
	s_lshl_b64 s[4:5], s[4:5], 2
	s_add_u32 s24, s20, s4
	s_addc_u32 s25, s21, s5
	s_branch .LBB69_7
.LBB69_6:
	s_mov_b64 s[24:25], 0
.LBB69_7:
	s_load_dwordx4 s[20:23], s[0:1], 0x0
	s_load_dword s34, s[0:1], 0x20
	v_and_b32_e32 v74, 0x3ff, v0
	v_bfe_u32 v75, v0, 10, 10
	v_cmp_eq_f32_e64 s[28:29], s39, 0
	s_waitcnt lgkmcnt(0)
	s_add_i32 s3, s20, -1
	s_ashr_i32 s4, s3, 31
	s_lshr_b32 s4, s4, 26
	s_add_i32 s3, s3, s4
	s_ashr_i32 s3, s3, 6
	s_add_i32 s4, s3, 1
	v_cvt_f32_u32_e32 v1, s4
	s_not_b32 s3, s3
	s_ashr_i32 s35, s34, 31
                                        ; implicit-def: $vgpr3
	v_rcp_iflag_f32_e32 v0, v1
	v_lshl_add_u32 v1, v75, 3, v74
	v_and_b32_e32 v2, 63, v1
	v_lshrrev_b32_e32 v76, 6, v1
	v_mul_f32_e32 v0, 0x4f7ffffe, v0
	v_cvt_u32_f32_e32 v0, v0
	v_cmp_le_i32_e64 s[10:11], s22, v76
	v_readfirstlane_b32 s5, v0
	s_mul_i32 s3, s3, s5
	s_mul_hi_u32 s3, s5, s3
	s_add_i32 s5, s5, s3
	s_mul_hi_u32 s3, s2, s5
	s_mul_i32 s5, s3, s4
	s_sub_i32 s5, s2, s5
	s_add_i32 s6, s3, 1
	s_sub_i32 s7, s5, s4
	s_cmp_ge_u32 s5, s4
	s_cselect_b32 s3, s6, s3
	s_cselect_b32 s5, s7, s5
	s_add_i32 s6, s3, 1
	s_cmp_ge_u32 s5, s4
	s_cselect_b32 s6, s6, s3
	s_mul_i32 s3, s6, s4
	s_sub_i32 s2, s2, s3
	s_lshl_b32 s17, s2, 6
	v_or_b32_e32 v56, s17, v2
	v_cmp_le_i32_e32 vcc, s20, v56
	s_or_b64 s[2:3], vcc, s[10:11]
	s_nor_b64 s[4:5], s[28:29], s[2:3]
	v_ashrrev_i32_e32 v57, 31, v56
                                        ; implicit-def: $sgpr7
	s_and_saveexec_b64 s[8:9], s[4:5]
	s_xor_b64 s[4:5], exec, s[8:9]
	s_cbranch_execz .LBB69_9
; %bb.8:
	s_add_i32 s7, s22, -1
	v_min_u32_e32 v0, s7, v76
	v_mad_i64_i32 v[0:1], s[8:9], s34, v0, 0
	v_lshl_add_u64 v[0:1], v[0:1], 2, s[30:31]
	v_lshl_add_u64 v[0:1], v[56:57], 2, v[0:1]
	global_load_dword v0, v[0:1], off
	s_waitcnt vmcnt(0)
	v_mul_f32_e32 v3, s39, v0
.LBB69_9:
	s_or_saveexec_b64 s[4:5], s[4:5]
	v_mov_b32_e32 v0, s7
	s_xor_b64 exec, exec, s[4:5]
; %bb.10:
	v_mov_b32_e32 v0, 0x7f7fffff
	v_cndmask_b32_e64 v3, 0, v0, s[2:3]
	s_add_i32 s2, s22, -1
	v_mov_b32_e32 v0, s2
; %bb.11:
	s_or_b64 exec, exec, s[4:5]
	s_load_dword s23, s[0:1], 0x38
	s_lshl_b32 s38, s6, 8
	v_min_i32_e32 v0, v76, v0
	v_or_b32_e32 v64, s38, v2
	v_mov_b32_e32 v5, 0x7f7fffff
	s_waitcnt lgkmcnt(0)
	v_mad_i64_i32 v[0:1], s[2:3], v0, s23, 0
	v_cmp_le_i32_e64 s[2:3], s21, v64
	s_or_b64 s[4:5], s[2:3], s[10:11]
	v_lshl_add_u64 v[0:1], v[0:1], 2, s[18:19]
	v_cndmask_b32_e64 v4, 0, v5, s[4:5]
	s_nor_b64 s[6:7], s[28:29], s[4:5]
	v_ashrrev_i32_e32 v65, 31, v64
	s_and_saveexec_b64 s[4:5], s[6:7]
	s_cbranch_execz .LBB69_13
; %bb.12:
	v_lshl_add_u64 v[6:7], v[64:65], 2, v[0:1]
	global_load_dword v4, v[6:7], off
	s_waitcnt vmcnt(0)
	v_mul_f32_e32 v4, s39, v4
.LBB69_13:
	s_or_b64 exec, exec, s[4:5]
	v_or_b32_e32 v6, 64, v64
	v_cmp_le_i32_e64 s[4:5], s21, v6
	s_or_b64 s[6:7], s[4:5], s[10:11]
	v_cndmask_b32_e64 v5, 0, v5, s[6:7]
	s_nor_b64 s[8:9], s[28:29], s[6:7]
	s_and_saveexec_b64 s[6:7], s[8:9]
	s_cbranch_execz .LBB69_15
; %bb.14:
	v_lshl_add_u64 v[6:7], v[64:65], 2, v[0:1]
	global_load_dword v5, v[6:7], off offset:256
	s_waitcnt vmcnt(0)
	v_mul_f32_e32 v5, s39, v5
.LBB69_15:
	s_or_b64 exec, exec, s[6:7]
	v_or_b32_e32 v6, 0x80, v64
	v_cmp_le_i32_e64 s[6:7], s21, v6
	v_mov_b32_e32 v7, 0x7f7fffff
	s_or_b64 s[8:9], s[6:7], s[10:11]
	v_cndmask_b32_e64 v6, 0, v7, s[8:9]
	s_nor_b64 s[12:13], s[28:29], s[8:9]
	s_and_saveexec_b64 s[8:9], s[12:13]
	s_cbranch_execz .LBB69_17
; %bb.16:
	v_lshl_add_u64 v[8:9], v[64:65], 2, v[0:1]
	global_load_dword v6, v[8:9], off offset:512
	s_waitcnt vmcnt(0)
	v_mul_f32_e32 v6, s39, v6
.LBB69_17:
	s_or_b64 exec, exec, s[8:9]
	v_or_b32_e32 v8, 0xc0, v64
	v_cmp_le_i32_e64 s[8:9], s21, v8
	s_or_b64 s[10:11], s[8:9], s[10:11]
	v_cndmask_b32_e64 v7, 0, v7, s[10:11]
	s_nor_b64 s[12:13], s[28:29], s[10:11]
	s_and_saveexec_b64 s[10:11], s[12:13]
	s_cbranch_execz .LBB69_19
; %bb.18:
	v_lshl_add_u64 v[0:1], v[64:65], 2, v[0:1]
	global_load_dword v0, v[0:1], off offset:768
	s_waitcnt vmcnt(0)
	v_mul_f32_e32 v7, s39, v0
.LBB69_19:
	s_or_b64 exec, exec, s[10:11]
	v_add_u32_e32 v0, 4, v76
	v_cmp_le_i32_e64 s[10:11], s22, v0
	s_or_b64 s[12:13], vcc, s[10:11]
	s_nor_b64 s[36:37], s[28:29], s[12:13]
                                        ; implicit-def: $vgpr58
                                        ; implicit-def: $sgpr40
	s_and_saveexec_b64 s[42:43], s[36:37]
	s_xor_b64 s[36:37], exec, s[42:43]
	s_cbranch_execz .LBB69_21
; %bb.20:
	s_add_i32 s40, s22, -1
	v_min_u32_e32 v1, s40, v0
	v_mad_u64_u32 v[8:9], s[42:43], s34, v1, 0
	v_mov_b32_e32 v10, v9
	v_mad_u64_u32 v[10:11], s[42:43], s35, v1, v[10:11]
	v_mov_b32_e32 v9, v10
	v_lshl_add_u64 v[8:9], v[8:9], 2, s[30:31]
	v_lshl_add_u64 v[8:9], v[56:57], 2, v[8:9]
	global_load_dword v1, v[8:9], off
	s_waitcnt vmcnt(0)
	v_mul_f32_e32 v58, s39, v1
.LBB69_21:
	s_or_saveexec_b64 s[36:37], s[36:37]
	v_mov_b32_e32 v1, s40
	s_xor_b64 exec, exec, s[36:37]
; %bb.22:
	v_mov_b32_e32 v1, 0x7f7fffff
	v_cndmask_b32_e64 v58, 0, v1, s[12:13]
	s_add_i32 s12, s22, -1
	v_mov_b32_e32 v1, s12
; %bb.23:
	s_or_b64 exec, exec, s[36:37]
	v_min_i32_e32 v0, v0, v1
	v_mad_i64_i32 v[0:1], s[12:13], v0, s23, 0
	v_mov_b32_e32 v8, 0x7f7fffff
	s_or_b64 s[12:13], s[2:3], s[10:11]
	v_lshl_add_u64 v[0:1], v[0:1], 2, s[18:19]
	v_cndmask_b32_e64 v59, 0, v8, s[12:13]
	s_nor_b64 s[36:37], s[28:29], s[12:13]
	s_and_saveexec_b64 s[12:13], s[36:37]
	s_cbranch_execz .LBB69_25
; %bb.24:
	v_lshl_add_u64 v[10:11], v[64:65], 2, v[0:1]
	global_load_dword v9, v[10:11], off
	s_waitcnt vmcnt(0)
	v_mul_f32_e32 v59, s39, v9
.LBB69_25:
	s_or_b64 exec, exec, s[12:13]
	s_or_b64 s[12:13], s[4:5], s[10:11]
	v_cndmask_b32_e64 v60, 0, v8, s[12:13]
	s_nor_b64 s[36:37], s[28:29], s[12:13]
	s_and_saveexec_b64 s[12:13], s[36:37]
	s_cbranch_execz .LBB69_27
; %bb.26:
	v_lshl_add_u64 v[8:9], v[64:65], 2, v[0:1]
	global_load_dword v8, v[8:9], off offset:256
	s_waitcnt vmcnt(0)
	v_mul_f32_e32 v60, s39, v8
.LBB69_27:
	s_or_b64 exec, exec, s[12:13]
	v_mov_b32_e32 v8, 0x7f7fffff
	s_or_b64 s[12:13], s[6:7], s[10:11]
	v_cndmask_b32_e64 v61, 0, v8, s[12:13]
	s_nor_b64 s[36:37], s[28:29], s[12:13]
	s_and_saveexec_b64 s[12:13], s[36:37]
	s_cbranch_execz .LBB69_29
; %bb.28:
	v_lshl_add_u64 v[10:11], v[64:65], 2, v[0:1]
	global_load_dword v9, v[10:11], off offset:512
	s_waitcnt vmcnt(0)
	v_mul_f32_e32 v61, s39, v9
.LBB69_29:
	s_or_b64 exec, exec, s[12:13]
	s_or_b64 s[10:11], s[8:9], s[10:11]
	v_cndmask_b32_e64 v62, 0, v8, s[10:11]
	s_nor_b64 s[36:37], s[28:29], s[10:11]
	s_mov_b32 s12, 0x7f7fffff
	s_and_saveexec_b64 s[10:11], s[36:37]
	s_cbranch_execz .LBB69_31
; %bb.30:
	v_lshl_add_u64 v[0:1], v[64:65], 2, v[0:1]
	global_load_dword v0, v[0:1], off offset:768
	s_waitcnt vmcnt(0)
	v_mul_f32_e32 v62, s39, v0
.LBB69_31:
	s_or_b64 exec, exec, s[10:11]
	v_lshlrev_b32_e32 v0, 4, v2
	v_lshl_add_u32 v79, v76, 2, v0
	v_lshlrev_b32_e32 v78, 4, v74
	ds_write_b32 v79, v3 offset:8192
	ds_write2st64_b32 v79, v4, v5 offset1:4
	ds_write2st64_b32 v79, v6, v7 offset0:8 offset1:12
	s_waitcnt lgkmcnt(0)
	s_barrier
	v_lshlrev_b32_e32 v77, 4, v75
	ds_read_b128 v[28:31], v78 offset:8192
	ds_read_b128 v[24:27], v78 offset:8320
	;; [unrolled: 1-line block ×8, first 2 shown]
	ds_read_b128 v[52:55], v77
	ds_read_b128 v[48:51], v77 offset:512
	ds_read_b128 v[44:47], v77 offset:1024
	;; [unrolled: 1-line block ×5, first 2 shown]
	s_waitcnt lgkmcnt(5)
	v_pk_add_f32 v[66:67], v[28:29], v[52:53]
	s_cmp_lt_i32 s22, 9
	v_min3_f32 v63, v66, v67, s12
	v_pk_add_f32 v[66:67], v[24:25], v[52:53]
	s_nop 0
	v_min3_f32 v68, v66, v67, s12
	v_pk_add_f32 v[66:67], v[20:21], v[52:53]
	s_nop 0
	v_min3_f32 v69, v66, v67, s12
	v_pk_add_f32 v[66:67], v[16:17], v[52:53]
	s_nop 0
	v_min3_f32 v70, v66, v67, s12
	v_pk_add_f32 v[66:67], v[12:13], v[52:53]
	s_nop 0
	v_min3_f32 v71, v66, v67, s12
	v_pk_add_f32 v[66:67], v[8:9], v[52:53]
	s_nop 0
	v_min3_f32 v72, v66, v67, s12
	v_pk_add_f32 v[66:67], v[4:5], v[52:53]
	v_pk_add_f32 v[52:53], v[0:1], v[52:53]
	v_min3_f32 v66, v66, v67, s12
	v_min3_f32 v67, v52, v53, s12
	s_waitcnt lgkmcnt(4)
	v_pk_add_f32 v[52:53], v[28:29], v[48:49]
	s_nop 0
	v_min3_f32 v73, v52, v53, s12
	v_pk_add_f32 v[52:53], v[24:25], v[48:49]
	s_nop 0
	v_min3_f32 v80, v52, v53, s12
	v_pk_add_f32 v[52:53], v[20:21], v[48:49]
	s_nop 0
	v_min3_f32 v81, v52, v53, s12
	v_pk_add_f32 v[52:53], v[16:17], v[48:49]
	s_nop 0
	v_min3_f32 v82, v52, v53, s12
	v_pk_add_f32 v[52:53], v[12:13], v[48:49]
	s_nop 0
	v_min3_f32 v83, v52, v53, s12
	v_pk_add_f32 v[52:53], v[8:9], v[48:49]
	s_nop 0
	v_min3_f32 v84, v52, v53, s12
	v_pk_add_f32 v[52:53], v[4:5], v[48:49]
	v_pk_add_f32 v[48:49], v[0:1], v[48:49]
	v_min3_f32 v85, v52, v53, s12
	v_min3_f32 v86, v48, v49, s12
	s_waitcnt lgkmcnt(3)
	v_pk_add_f32 v[48:49], v[28:29], v[44:45]
	s_nop 0
	;; [unrolled: 23-line block ×5, first 2 shown]
	v_min3_f32 v105, v36, v37, s12
	v_pk_add_f32 v[36:37], v[24:25], v[32:33]
	s_nop 0
	v_min3_f32 v106, v36, v37, s12
	v_pk_add_f32 v[36:37], v[20:21], v[32:33]
	s_nop 0
	v_min3_f32 v124, v36, v37, s12
	v_pk_add_f32 v[36:37], v[16:17], v[32:33]
	s_nop 0
	v_min3_f32 v149, v36, v37, s12
	v_pk_add_f32 v[36:37], v[12:13], v[32:33]
	s_nop 0
	v_min3_f32 v150, v36, v37, s12
	v_pk_add_f32 v[36:37], v[8:9], v[32:33]
	s_nop 0
	v_min3_f32 v151, v36, v37, s12
	v_pk_add_f32 v[36:37], v[4:5], v[32:33]
	v_pk_add_f32 v[32:33], v[0:1], v[32:33]
	v_min3_f32 v152, v36, v37, s12
	v_min3_f32 v153, v32, v33, s12
	v_pk_add_f32 v[32:33], v[30:31], v[54:55]
	s_nop 0
	v_min3_f32 v148, v32, v33, v63
	v_pk_add_f32 v[32:33], v[26:27], v[54:55]
	s_nop 0
	;; [unrolled: 3-line block ×7, first 2 shown]
	v_min3_f32 v142, v32, v33, v66
	v_pk_add_f32 v[32:33], v[2:3], v[54:55]
	ds_read_b128 v[52:55], v77 offset:3072
	v_min3_f32 v141, v32, v33, v67
	v_pk_add_f32 v[32:33], v[30:31], v[50:51]
	ds_read_b128 v[66:69], v77 offset:3584
	v_min3_f32 v140, v32, v33, v73
	v_pk_add_f32 v[32:33], v[26:27], v[50:51]
	s_waitcnt lgkmcnt(1)
	v_pk_add_f32 v[36:37], v[20:21], v[52:53]
	v_min3_f32 v139, v32, v33, v80
	v_pk_add_f32 v[32:33], v[22:23], v[50:51]
	s_waitcnt lgkmcnt(0)
	v_pk_add_f32 v[20:21], v[20:21], v[66:67]
	v_min3_f32 v138, v32, v33, v81
	v_pk_add_f32 v[32:33], v[18:19], v[50:51]
	v_min3_f32 v20, v20, v21, s12
	v_min3_f32 v137, v32, v33, v82
	v_pk_add_f32 v[32:33], v[14:15], v[50:51]
	ds_write_b32 v79, v58 offset:9216
	ds_write2st64_b32 v79, v59, v60 offset0:16 offset1:20
	ds_write2st64_b32 v79, v61, v62 offset0:24 offset1:28
	v_min3_f32 v136, v32, v33, v83
	v_pk_add_f32 v[32:33], v[10:11], v[50:51]
	s_waitcnt lgkmcnt(0)
	v_min3_f32 v134, v32, v33, v84
	v_pk_add_f32 v[32:33], v[6:7], v[50:51]
	s_barrier
	v_min3_f32 v132, v32, v33, v85
	v_pk_add_f32 v[32:33], v[28:29], v[52:53]
	v_pk_add_f32 v[28:29], v[28:29], v[66:67]
	v_min3_f32 v63, v32, v33, s12
	v_pk_add_f32 v[32:33], v[24:25], v[52:53]
	v_min3_f32 v28, v28, v29, s12
	v_min3_f32 v70, v32, v33, s12
	v_pk_add_f32 v[32:33], v[2:3], v[50:51]
	v_min3_f32 v50, v36, v37, s12
	v_min3_f32 v135, v32, v33, v86
	v_pk_add_f32 v[32:33], v[30:31], v[46:47]
	v_pk_add_f32 v[36:37], v[16:17], v[52:53]
	v_min3_f32 v133, v32, v33, v87
	v_pk_add_f32 v[32:33], v[26:27], v[46:47]
	v_min3_f32 v51, v36, v37, s12
	v_min3_f32 v131, v32, v33, v88
	v_pk_add_f32 v[32:33], v[22:23], v[46:47]
	v_pk_add_f32 v[36:37], v[4:5], v[52:53]
	v_min3_f32 v130, v32, v33, v89
	v_pk_add_f32 v[32:33], v[18:19], v[46:47]
	v_pk_add_f32 v[4:5], v[4:5], v[66:67]
	v_min3_f32 v129, v32, v33, v90
	v_pk_add_f32 v[32:33], v[14:15], v[46:47]
	v_min3_f32 v4, v4, v5, s12
	v_min3_f32 v128, v32, v33, v91
	v_pk_add_f32 v[32:33], v[10:11], v[46:47]
	v_pk_add_f32 v[24:25], v[24:25], v[66:67]
	v_min3_f32 v127, v32, v33, v92
	v_pk_add_f32 v[32:33], v[6:7], v[46:47]
	v_pk_add_f32 v[16:17], v[16:17], v[66:67]
	v_min3_f32 v126, v32, v33, v48
	v_pk_add_f32 v[32:33], v[12:13], v[52:53]
	v_min3_f32 v29, v24, v25, s12
	v_min3_f32 v48, v32, v33, s12
	v_pk_add_f32 v[32:33], v[8:9], v[52:53]
	v_min3_f32 v21, v16, v17, s12
	;; [unrolled: 3-line block ×3, first 2 shown]
	v_min3_f32 v125, v32, v33, v49
	v_pk_add_f32 v[32:33], v[30:31], v[42:43]
	v_pk_add_f32 v[36:37], v[0:1], v[52:53]
	v_min3_f32 v123, v32, v33, v93
	v_pk_add_f32 v[32:33], v[26:27], v[42:43]
	v_pk_add_f32 v[0:1], v[0:1], v[66:67]
	v_min3_f32 v122, v32, v33, v94
	v_pk_add_f32 v[32:33], v[22:23], v[42:43]
	v_min3_f32 v5, v0, v1, s12
	v_min3_f32 v121, v32, v33, v95
	v_pk_add_f32 v[32:33], v[18:19], v[42:43]
	v_pk_add_f32 v[0:1], v[30:31], v[54:55]
	v_min3_f32 v120, v32, v33, v96
	v_pk_add_f32 v[32:33], v[14:15], v[42:43]
	v_min3_f32 v36, v36, v37, s12
	;; [unrolled: 6-line block ×4, first 2 shown]
	v_min3_f32 v115, v32, v33, v99
	v_min3_f32 v99, v0, v1, v63
	v_pk_add_f32 v[0:1], v[26:27], v[54:55]
	v_pk_add_f32 v[32:33], v[26:27], v[38:39]
	v_min3_f32 v98, v0, v1, v70
	v_pk_add_f32 v[0:1], v[22:23], v[54:55]
	v_min3_f32 v114, v32, v33, v100
	v_min3_f32 v97, v0, v1, v50
	v_pk_add_f32 v[0:1], v[18:19], v[54:55]
	v_pk_add_f32 v[32:33], v[22:23], v[38:39]
	v_min3_f32 v96, v0, v1, v51
	v_pk_add_f32 v[0:1], v[14:15], v[54:55]
	;; [unrolled: 6-line block ×4, first 2 shown]
	v_pk_add_f32 v[16:17], v[22:23], v[34:35]
	v_min3_f32 v91, v0, v1, v28
	v_pk_add_f32 v[0:1], v[26:27], v[68:69]
	v_pk_add_f32 v[12:13], v[12:13], v[66:67]
	v_min3_f32 v90, v0, v1, v29
	v_pk_add_f32 v[0:1], v[22:23], v[68:69]
	v_min3_f32 v111, v32, v33, v103
	v_min3_f32 v89, v0, v1, v20
	v_pk_add_f32 v[0:1], v[18:19], v[68:69]
	v_pk_add_f32 v[32:33], v[10:11], v[38:39]
	v_min3_f32 v105, v16, v17, v124
	v_pk_add_f32 v[16:17], v[18:19], v[34:35]
	v_min3_f32 v12, v12, v13, s12
	;; [unrolled: 2-line block ×4, first 2 shown]
	v_min3_f32 v104, v16, v17, v149
	v_pk_add_f32 v[16:17], v[14:15], v[34:35]
	v_min3_f32 v13, v8, v9, s12
	v_min3_f32 v86, v0, v1, v12
	v_pk_add_f32 v[0:1], v[10:11], v[68:69]
	v_min3_f32 v103, v16, v17, v150
	v_pk_add_f32 v[16:17], v[10:11], v[34:35]
	;; [unrolled: 2-line block ×3, first 2 shown]
	v_pk_add_f32 v[32:33], v[6:7], v[38:39]
	v_pk_add_f32 v[24:25], v[2:3], v[38:39]
	v_min3_f32 v102, v16, v17, v151
	v_pk_add_f32 v[16:17], v[6:7], v[34:35]
	v_pk_add_f32 v[8:9], v[2:3], v[34:35]
	v_min3_f32 v84, v0, v1, v4
	v_pk_add_f32 v[0:1], v[2:3], v[68:69]
	v_min3_f32 v109, v32, v33, v40
	v_min3_f32 v108, v24, v25, v41
	;; [unrolled: 1-line block ×5, first 2 shown]
	s_cbranch_scc1 .LBB69_58
; %bb.32:
	v_mov_b32_e32 v0, 0x2400
	v_lshl_add_u32 v124, v74, 4, v0
	v_mov_b32_e32 v0, 0x1000
	v_lshl_add_u32 v149, v75, 4, v0
	v_add_u32_e32 v0, 12, v76
	v_mad_i64_i32 v[0:1], s[10:11], v0, s34, 0
	v_lshlrev_b64 v[68:69], 2, v[0:1]
	v_add_u32_e32 v0, 8, v76
	v_mad_i64_i32 v[0:1], s[10:11], v0, s34, 0
	v_or_b32_e32 v80, 0x2000, v79
	v_add_u32_e32 v81, 0x2000, v78
	v_add_u32_e32 v82, 0x2400, v79
	v_or_b32_e32 v83, 0x1000, v79
	s_add_i32 s36, s22, -8
	v_lshl_add_u64 v[66:67], v[56:57], 2, s[30:31]
	s_add_i32 s37, s22, -1
	s_lshl_b64 s[30:31], s[34:35], 5
	v_lshlrev_b64 v[70:71], 2, v[0:1]
	s_mov_b32 s40, 0
	v_mov_b32_e32 v150, 0x7f7fffff
	s_branch .LBB69_34
.LBB69_33:                              ;   in Loop: Header=BB69_34 Depth=1
	s_or_b64 exec, exec, s[10:11]
	v_pk_add_f32 v[72:73], v[28:29], v[60:61]
	s_add_i32 s40, s40, 8
	v_min3_f32 v148, v72, v73, v148
	v_pk_add_f32 v[72:73], v[24:25], v[60:61]
	s_cmp_ge_i32 s40, s36
	v_min3_f32 v147, v72, v73, v147
	v_pk_add_f32 v[72:73], v[20:21], v[60:61]
	v_lshl_add_u64 v[66:67], v[66:67], 0, s[30:31]
	v_min3_f32 v146, v72, v73, v146
	v_pk_add_f32 v[72:73], v[16:17], v[60:61]
	s_nop 0
	v_min3_f32 v145, v72, v73, v145
	v_pk_add_f32 v[72:73], v[12:13], v[60:61]
	s_nop 0
	v_min3_f32 v144, v72, v73, v144
	v_pk_add_f32 v[72:73], v[8:9], v[60:61]
	s_nop 0
	v_min3_f32 v143, v72, v73, v143
	v_pk_add_f32 v[72:73], v[4:5], v[60:61]
	v_pk_add_f32 v[60:61], v[0:1], v[60:61]
	v_min3_f32 v72, v72, v73, v142
	v_min3_f32 v73, v60, v61, v141
	v_pk_add_f32 v[60:61], v[28:29], v[56:57]
	s_nop 0
	v_min3_f32 v140, v60, v61, v140
	v_pk_add_f32 v[60:61], v[24:25], v[56:57]
	s_nop 0
	v_min3_f32 v139, v60, v61, v139
	v_pk_add_f32 v[60:61], v[20:21], v[56:57]
	s_nop 0
	v_min3_f32 v138, v60, v61, v138
	v_pk_add_f32 v[60:61], v[16:17], v[56:57]
	s_nop 0
	v_min3_f32 v137, v60, v61, v137
	v_pk_add_f32 v[60:61], v[12:13], v[56:57]
	s_nop 0
	v_min3_f32 v136, v60, v61, v136
	v_pk_add_f32 v[60:61], v[8:9], v[56:57]
	s_nop 0
	v_min3_f32 v134, v60, v61, v134
	v_pk_add_f32 v[60:61], v[4:5], v[56:57]
	v_pk_add_f32 v[56:57], v[0:1], v[56:57]
	v_min3_f32 v60, v60, v61, v132
	v_min3_f32 v61, v56, v57, v135
	v_pk_add_f32 v[56:57], v[28:29], v[52:53]
	s_nop 0
	v_min3_f32 v132, v56, v57, v133
	v_pk_add_f32 v[56:57], v[24:25], v[52:53]
	s_nop 0
	v_min3_f32 v131, v56, v57, v131
	v_pk_add_f32 v[56:57], v[20:21], v[52:53]
	s_nop 0
	;; [unrolled: 22-line block ×5, first 2 shown]
	v_min3_f32 v105, v44, v45, v105
	v_pk_add_f32 v[44:45], v[16:17], v[40:41]
	s_nop 0
	v_min3_f32 v104, v44, v45, v104
	v_pk_add_f32 v[44:45], v[12:13], v[40:41]
	s_nop 0
	;; [unrolled: 3-line block ×3, first 2 shown]
	v_min3_f32 v102, v44, v45, v102
	v_pk_add_f32 v[44:45], v[4:5], v[40:41]
	v_pk_add_f32 v[40:41], v[0:1], v[40:41]
	v_min3_f32 v44, v44, v45, v101
	v_min3_f32 v45, v40, v41, v100
	v_pk_add_f32 v[40:41], v[28:29], v[36:37]
	v_pk_add_f32 v[28:29], v[28:29], v[32:33]
	v_min3_f32 v99, v40, v41, v99
	v_pk_add_f32 v[40:41], v[24:25], v[36:37]
	v_pk_add_f32 v[24:25], v[24:25], v[32:33]
	;; [unrolled: 3-line block ×7, first 2 shown]
	v_pk_add_f32 v[4:5], v[4:5], v[32:33]
	v_pk_add_f32 v[0:1], v[0:1], v[32:33]
	v_min3_f32 v4, v4, v5, v84
	v_min3_f32 v5, v0, v1, v88
	v_pk_add_f32 v[0:1], v[30:31], v[62:63]
	v_min3_f32 v8, v8, v9, v85
	v_min3_f32 v84, v0, v1, v148
	v_pk_add_f32 v[0:1], v[26:27], v[62:63]
	v_min3_f32 v12, v12, v13, v86
	v_min3_f32 v85, v0, v1, v147
	v_pk_add_f32 v[0:1], v[22:23], v[62:63]
	v_min3_f32 v16, v16, v17, v87
	v_min3_f32 v86, v0, v1, v146
	v_pk_add_f32 v[0:1], v[18:19], v[62:63]
	v_min3_f32 v20, v20, v21, v89
	v_min3_f32 v87, v0, v1, v145
	v_pk_add_f32 v[0:1], v[14:15], v[62:63]
	v_min3_f32 v24, v24, v25, v90
	v_min3_f32 v88, v0, v1, v144
	v_pk_add_f32 v[0:1], v[10:11], v[62:63]
	v_min3_f32 v28, v28, v29, v91
	v_min3_f32 v89, v0, v1, v143
	v_pk_add_f32 v[0:1], v[6:7], v[62:63]
	v_min3_f32 v36, v36, v37, v92
	v_min3_f32 v90, v0, v1, v72
	v_pk_add_f32 v[0:1], v[2:3], v[62:63]
	v_min3_f32 v40, v40, v41, v93
	v_min3_f32 v91, v0, v1, v73
	v_pk_add_f32 v[0:1], v[30:31], v[58:59]
	s_nop 0
	v_min3_f32 v92, v0, v1, v140
	v_pk_add_f32 v[0:1], v[26:27], v[58:59]
	s_nop 0
	v_min3_f32 v93, v0, v1, v139
	;; [unrolled: 3-line block ×56, first 2 shown]
	ds_read_b128 v[0:3], v81
	ds_read_b128 v[4:7], v81 offset:128
	ds_read_b128 v[8:11], v81 offset:256
	;; [unrolled: 1-line block ×7, first 2 shown]
	ds_read_b128 v[36:39], v77
	ds_read_b128 v[40:43], v77 offset:512
	ds_read_b128 v[44:47], v77 offset:1024
	;; [unrolled: 1-line block ×7, first 2 shown]
	s_waitcnt lgkmcnt(7)
	v_pk_add_f32 v[72:73], v[0:1], v[36:37]
	ds_write_b32 v82, v151
	ds_write2st64_b32 v83, v152, v153 offset1:4
	ds_write2st64_b32 v83, v154, v155 offset0:8 offset1:12
	v_min3_f32 v84, v72, v73, v84
	v_pk_add_f32 v[72:73], v[4:5], v[36:37]
	s_waitcnt lgkmcnt(0)
	v_min3_f32 v85, v72, v73, v85
	v_pk_add_f32 v[72:73], v[8:9], v[36:37]
	s_barrier
	v_min3_f32 v86, v72, v73, v86
	v_pk_add_f32 v[72:73], v[12:13], v[36:37]
	s_nop 0
	v_min3_f32 v87, v72, v73, v87
	v_pk_add_f32 v[72:73], v[16:17], v[36:37]
	s_nop 0
	;; [unrolled: 3-line block ×3, first 2 shown]
	v_min3_f32 v89, v72, v73, v89
	v_pk_add_f32 v[72:73], v[24:25], v[36:37]
	v_pk_add_f32 v[36:37], v[28:29], v[36:37]
	v_min3_f32 v72, v72, v73, v90
	v_min3_f32 v73, v36, v37, v91
	v_pk_add_f32 v[36:37], v[0:1], v[40:41]
	s_nop 0
	v_min3_f32 v90, v36, v37, v92
	v_pk_add_f32 v[36:37], v[4:5], v[40:41]
	s_nop 0
	;; [unrolled: 3-line block ×40, first 2 shown]
	v_min3_f32 v56, v36, v37, v138
	v_pk_add_f32 v[36:37], v[0:1], v[60:61]
	v_pk_add_f32 v[0:1], v[0:1], v[32:33]
	v_min3_f32 v57, v36, v37, v99
	v_pk_add_f32 v[36:37], v[4:5], v[60:61]
	s_nop 0
	v_min3_f32 v98, v36, v37, v98
	v_pk_add_f32 v[36:37], v[8:9], v[60:61]
	s_nop 0
	;; [unrolled: 3-line block ×7, first 2 shown]
	v_min3_f32 v36, v36, v37, v140
	v_min3_f32 v37, v0, v1, v141
	v_pk_add_f32 v[0:1], v[4:5], v[32:33]
	s_nop 0
	v_min3_f32 v4, v0, v1, v142
	v_pk_add_f32 v[0:1], v[8:9], v[32:33]
	s_nop 0
	;; [unrolled: 3-line block ×71, first 2 shown]
	v_min3_f32 v88, v0, v1, v16
	s_cbranch_scc1 .LBB69_58
.LBB69_34:                              ; =>This Inner Loop Header: Depth=1
	v_add_u32_e32 v72, s40, v76
	v_add_u32_e32 v0, 8, v72
	v_cmp_le_i32_e64 s[10:11], s22, v0
	s_or_b64 s[12:13], vcc, s[10:11]
	s_nor_b64 s[34:35], s[28:29], s[12:13]
                                        ; implicit-def: $vgpr73
	s_and_saveexec_b64 s[42:43], s[34:35]
	s_xor_b64 s[34:35], exec, s[42:43]
	s_cbranch_execz .LBB69_36
; %bb.35:                               ;   in Loop: Header=BB69_34 Depth=1
	v_lshl_add_u64 v[2:3], v[66:67], 0, v[70:71]
	global_load_dword v1, v[2:3], off
	s_waitcnt vmcnt(0)
	v_mul_f32_e32 v73, s39, v1
.LBB69_36:                              ;   in Loop: Header=BB69_34 Depth=1
	s_andn2_saveexec_b64 s[34:35], s[34:35]
; %bb.37:                               ;   in Loop: Header=BB69_34 Depth=1
	v_cndmask_b32_e64 v73, 0, v150, s[12:13]
; %bb.38:                               ;   in Loop: Header=BB69_34 Depth=1
	s_or_b64 exec, exec, s[34:35]
	v_min_i32_e32 v0, s37, v0
	v_mad_i64_i32 v[0:1], s[12:13], v0, s23, 0
	v_lshl_add_u64 v[0:1], v[0:1], 2, s[18:19]
	s_or_b64 s[12:13], s[2:3], s[10:11]
	v_cndmask_b32_e64 v151, 0, v150, s[12:13]
	s_nor_b64 s[34:35], s[28:29], s[12:13]
	v_lshl_add_u64 v[0:1], v[64:65], 2, v[0:1]
	s_and_saveexec_b64 s[12:13], s[34:35]
	s_cbranch_execz .LBB69_40
; %bb.39:                               ;   in Loop: Header=BB69_34 Depth=1
	global_load_dword v2, v[0:1], off
	s_waitcnt vmcnt(0)
	v_mul_f32_e32 v151, s39, v2
.LBB69_40:                              ;   in Loop: Header=BB69_34 Depth=1
	s_or_b64 exec, exec, s[12:13]
	s_or_b64 s[12:13], s[4:5], s[10:11]
	v_cndmask_b32_e64 v152, 0, v150, s[12:13]
	s_nor_b64 s[34:35], s[28:29], s[12:13]
	s_and_saveexec_b64 s[12:13], s[34:35]
	s_cbranch_execz .LBB69_42
; %bb.41:                               ;   in Loop: Header=BB69_34 Depth=1
	global_load_dword v2, v[0:1], off offset:256
	s_waitcnt vmcnt(0)
	v_mul_f32_e32 v152, s39, v2
.LBB69_42:                              ;   in Loop: Header=BB69_34 Depth=1
	s_or_b64 exec, exec, s[12:13]
	s_or_b64 s[12:13], s[6:7], s[10:11]
	v_cndmask_b32_e64 v153, 0, v150, s[12:13]
	s_nor_b64 s[34:35], s[28:29], s[12:13]
	s_and_saveexec_b64 s[12:13], s[34:35]
	s_cbranch_execz .LBB69_44
; %bb.43:                               ;   in Loop: Header=BB69_34 Depth=1
	global_load_dword v2, v[0:1], off offset:512
	s_waitcnt vmcnt(0)
	v_mul_f32_e32 v153, s39, v2
.LBB69_44:                              ;   in Loop: Header=BB69_34 Depth=1
	;; [unrolled: 11-line block ×3, first 2 shown]
	s_or_b64 exec, exec, s[10:11]
	ds_read_b128 v[28:31], v124
	ds_read_b128 v[24:27], v124 offset:128
	ds_read_b128 v[20:23], v124 offset:256
	;; [unrolled: 1-line block ×7, first 2 shown]
	ds_read_b128 v[60:63], v149
	ds_read_b128 v[56:59], v149 offset:512
	ds_read_b128 v[52:55], v149 offset:1024
	;; [unrolled: 1-line block ×7, first 2 shown]
	v_add_u32_e32 v72, 12, v72
	v_cmp_le_i32_e64 s[10:11], s22, v72
	s_or_b64 s[12:13], vcc, s[10:11]
	s_nor_b64 s[34:35], s[28:29], s[12:13]
	ds_write_b32 v80, v73
	ds_write2st64_b32 v79, v151, v152 offset1:4
	ds_write2st64_b32 v79, v153, v154 offset0:8 offset1:12
	s_waitcnt lgkmcnt(0)
	s_barrier
                                        ; implicit-def: $vgpr151
	s_and_saveexec_b64 s[42:43], s[34:35]
	s_xor_b64 s[34:35], exec, s[42:43]
	s_cbranch_execz .LBB69_48
; %bb.47:                               ;   in Loop: Header=BB69_34 Depth=1
	v_lshl_add_u64 v[152:153], v[66:67], 0, v[68:69]
	global_load_dword v73, v[152:153], off
	s_waitcnt vmcnt(0)
	v_mul_f32_e32 v151, s39, v73
.LBB69_48:                              ;   in Loop: Header=BB69_34 Depth=1
	s_andn2_saveexec_b64 s[34:35], s[34:35]
; %bb.49:                               ;   in Loop: Header=BB69_34 Depth=1
	v_cndmask_b32_e64 v151, 0, v150, s[12:13]
; %bb.50:                               ;   in Loop: Header=BB69_34 Depth=1
	s_or_b64 exec, exec, s[34:35]
	v_min_i32_e32 v72, s37, v72
	v_mad_i64_i32 v[72:73], s[12:13], v72, s23, 0
	v_lshl_add_u64 v[72:73], v[72:73], 2, s[18:19]
	s_or_b64 s[12:13], s[2:3], s[10:11]
	v_cndmask_b32_e64 v152, 0, v150, s[12:13]
	s_nor_b64 s[34:35], s[28:29], s[12:13]
	v_lshl_add_u64 v[72:73], v[64:65], 2, v[72:73]
	s_and_saveexec_b64 s[12:13], s[34:35]
	s_cbranch_execz .LBB69_52
; %bb.51:                               ;   in Loop: Header=BB69_34 Depth=1
	global_load_dword v152, v[72:73], off
	s_waitcnt vmcnt(0)
	v_mul_f32_e32 v152, s39, v152
.LBB69_52:                              ;   in Loop: Header=BB69_34 Depth=1
	s_or_b64 exec, exec, s[12:13]
	s_or_b64 s[12:13], s[4:5], s[10:11]
	v_cndmask_b32_e64 v153, 0, v150, s[12:13]
	s_nor_b64 s[34:35], s[28:29], s[12:13]
	s_and_saveexec_b64 s[12:13], s[34:35]
	s_cbranch_execz .LBB69_54
; %bb.53:                               ;   in Loop: Header=BB69_34 Depth=1
	global_load_dword v153, v[72:73], off offset:256
	s_waitcnt vmcnt(0)
	v_mul_f32_e32 v153, s39, v153
.LBB69_54:                              ;   in Loop: Header=BB69_34 Depth=1
	s_or_b64 exec, exec, s[12:13]
	s_or_b64 s[12:13], s[6:7], s[10:11]
	v_cndmask_b32_e64 v154, 0, v150, s[12:13]
	s_nor_b64 s[34:35], s[28:29], s[12:13]
	s_and_saveexec_b64 s[12:13], s[34:35]
	s_cbranch_execz .LBB69_56
; %bb.55:                               ;   in Loop: Header=BB69_34 Depth=1
	global_load_dword v154, v[72:73], off offset:512
	s_waitcnt vmcnt(0)
	v_mul_f32_e32 v154, s39, v154
.LBB69_56:                              ;   in Loop: Header=BB69_34 Depth=1
	s_or_b64 exec, exec, s[12:13]
	s_or_b64 s[10:11], s[8:9], s[10:11]
	v_cndmask_b32_e64 v155, 0, v150, s[10:11]
	s_nor_b64 s[12:13], s[28:29], s[10:11]
	s_and_saveexec_b64 s[10:11], s[12:13]
	s_cbranch_execz .LBB69_33
; %bb.57:                               ;   in Loop: Header=BB69_34 Depth=1
	global_load_dword v72, v[72:73], off offset:768
	s_waitcnt vmcnt(0)
	v_mul_f32_e32 v155, s39, v72
	s_branch .LBB69_33
.LBB69_58:
	s_load_dwordx2 s[2:3], s[0:1], 0x78
	s_load_dword s29, s[0:1], 0x58
	s_load_dword s28, s[0:1], 0x70
	ds_read_b128 v[32:35], v78 offset:9216
	ds_read_b128 v[28:31], v78 offset:9344
	;; [unrolled: 1-line block ×16, first 2 shown]
	v_add_u32_e32 v124, s38, v75
	s_waitcnt lgkmcnt(0)
	s_mul_i32 s1, s3, s16
	s_mul_hi_u32 s3, s2, s16
	s_mul_i32 s0, s2, s16
	s_add_i32 s1, s3, s1
	s_lshl_b64 s[0:1], s[0:1], 2
	s_add_u32 s22, s14, s0
	s_addc_u32 s23, s15, s1
	v_mad_i64_i32 v[66:67], s[0:1], v124, s29, 0
	v_add_u32_e32 v64, s17, v74
	v_lshl_add_u64 v[82:83], v[66:67], 2, s[24:25]
	v_mad_i64_i32 v[66:67], s[0:1], v124, s28, 0
	v_cmp_gt_i32_e64 s[18:19], s21, v124
	v_lshl_add_u64 v[80:81], v[66:67], 2, s[22:23]
	v_cmp_gt_i32_e64 s[2:3], s20, v64
	v_cndmask_b32_e64 v66, 0, 1, s[26:27]
	s_and_b64 s[6:7], s[2:3], s[18:19]
	v_ashrrev_i32_e32 v65, 31, v64
	v_cmp_ne_u32_e64 s[0:1], 1, v66
	s_and_saveexec_b64 s[4:5], s[6:7]
	s_cbranch_execz .LBB69_63
; %bb.59:
	s_and_b64 vcc, exec, s[0:1]
	s_cbranch_vccnz .LBB69_61
; %bb.60:
	v_lshl_add_u64 v[66:67], v[64:65], 2, v[82:83]
	global_load_dword v66, v[66:67], off
	s_waitcnt vmcnt(0)
	v_mul_f32_e32 v66, s33, v66
	s_branch .LBB69_62
.LBB69_61:
	v_mov_b32_e32 v66, 0
.LBB69_62:
	v_pk_add_f32 v[68:69], v[32:33], v[60:61]
	s_nop 0
	v_min3_f32 v67, v68, v69, v148
	v_pk_add_f32 v[68:69], v[34:35], v[62:63]
	s_nop 0
	v_min_f32_e32 v68, v68, v69
	v_min3_f32 v68, v66, v68, v67
	v_lshl_add_u64 v[66:67], v[64:65], 2, v[80:81]
	global_store_dword v[66:67], v68, off
.LBB69_63:
	s_or_b64 exec, exec, s[4:5]
	v_add_u32_e32 v66, 8, v64
	v_cmp_gt_i32_e64 s[4:5], s20, v66
	s_and_b64 s[8:9], s[4:5], s[18:19]
	v_ashrrev_i32_e32 v67, 31, v66
	s_and_saveexec_b64 s[6:7], s[8:9]
	s_cbranch_execz .LBB69_68
; %bb.64:
	s_and_b64 vcc, exec, s[0:1]
	s_cbranch_vccnz .LBB69_66
; %bb.65:
	v_lshl_add_u64 v[68:69], v[66:67], 2, v[82:83]
	global_load_dword v68, v[68:69], off
	s_waitcnt vmcnt(0)
	v_mul_f32_e32 v68, s33, v68
	s_branch .LBB69_67
.LBB69_66:
	v_mov_b32_e32 v68, 0
.LBB69_67:
	v_pk_add_f32 v[70:71], v[28:29], v[60:61]
	s_nop 0
	v_min3_f32 v69, v70, v71, v147
	v_pk_add_f32 v[70:71], v[30:31], v[62:63]
	s_nop 0
	v_min_f32_e32 v70, v70, v71
	v_min3_f32 v70, v68, v70, v69
	v_lshl_add_u64 v[68:69], v[66:67], 2, v[80:81]
	global_store_dword v[68:69], v70, off
.LBB69_68:
	s_or_b64 exec, exec, s[6:7]
	v_add_u32_e32 v68, 16, v64
	v_cmp_gt_i32_e64 s[6:7], s20, v68
	s_and_b64 s[10:11], s[6:7], s[18:19]
	v_ashrrev_i32_e32 v69, 31, v68
	;; [unrolled: 29-line block ×7, first 2 shown]
	s_and_saveexec_b64 s[18:19], s[26:27]
	s_cbranch_execz .LBB69_98
; %bb.94:
	s_and_b64 vcc, exec, s[0:1]
	s_cbranch_vccnz .LBB69_96
; %bb.95:
	v_lshl_add_u64 v[82:83], v[78:79], 2, v[82:83]
	global_load_dword v82, v[82:83], off
	s_waitcnt vmcnt(0)
	v_mul_f32_e32 v82, s33, v82
	s_branch .LBB69_97
.LBB69_96:
	v_mov_b32_e32 v82, 0
.LBB69_97:
	v_pk_add_f32 v[60:61], v[0:1], v[60:61]
	s_nop 0
	v_min3_f32 v83, v60, v61, v141
	v_pk_add_f32 v[60:61], v[2:3], v[62:63]
	s_nop 0
	v_min_f32_e32 v60, v60, v61
	v_min3_f32 v62, v82, v60, v83
	v_lshl_add_u64 v[60:61], v[78:79], 2, v[80:81]
	global_store_dword v[60:61], v62, off
.LBB69_98:
	s_or_b64 exec, exec, s[18:19]
	v_add_u32_e32 v80, 32, v124
	v_mad_i64_i32 v[60:61], s[26:27], v80, s29, 0
	v_cmp_gt_i32_e64 s[18:19], s21, v80
	v_lshl_add_u64 v[62:63], v[60:61], 2, s[24:25]
	v_mad_i64_i32 v[60:61], s[26:27], v80, s28, 0
	v_lshl_add_u64 v[60:61], v[60:61], 2, s[22:23]
	s_and_b64 s[30:31], s[2:3], s[18:19]
	s_and_saveexec_b64 s[26:27], s[30:31]
	s_cbranch_execnz .LBB69_106
; %bb.99:
	s_or_b64 exec, exec, s[26:27]
	s_and_b64 s[30:31], s[4:5], s[18:19]
	s_and_saveexec_b64 s[26:27], s[30:31]
	s_cbranch_execnz .LBB69_110
.LBB69_100:
	s_or_b64 exec, exec, s[26:27]
	s_and_b64 s[30:31], s[6:7], s[18:19]
	s_and_saveexec_b64 s[26:27], s[30:31]
	s_cbranch_execnz .LBB69_114
.LBB69_101:
	s_or_b64 exec, exec, s[26:27]
	s_and_b64 s[30:31], s[8:9], s[18:19]
	s_and_saveexec_b64 s[26:27], s[30:31]
	s_cbranch_execnz .LBB69_118
.LBB69_102:
	s_or_b64 exec, exec, s[26:27]
	s_and_b64 s[30:31], s[10:11], s[18:19]
	s_and_saveexec_b64 s[26:27], s[30:31]
	s_cbranch_execnz .LBB69_122
.LBB69_103:
	s_or_b64 exec, exec, s[26:27]
	s_and_b64 s[30:31], s[12:13], s[18:19]
	s_and_saveexec_b64 s[26:27], s[30:31]
	s_cbranch_execnz .LBB69_126
.LBB69_104:
	s_or_b64 exec, exec, s[26:27]
	s_and_b64 s[30:31], s[14:15], s[18:19]
	s_and_saveexec_b64 s[26:27], s[30:31]
	s_cbranch_execnz .LBB69_130
.LBB69_105:
	s_or_b64 exec, exec, s[26:27]
	s_and_b64 s[26:27], s[16:17], s[18:19]
	s_and_saveexec_b64 s[18:19], s[26:27]
	s_cbranch_execnz .LBB69_134
	s_branch .LBB69_138
.LBB69_106:
	s_and_b64 vcc, exec, s[0:1]
	s_cbranch_vccnz .LBB69_108
; %bb.107:
	v_lshl_add_u64 v[80:81], v[64:65], 2, v[62:63]
	global_load_dword v80, v[80:81], off
	s_waitcnt vmcnt(0)
	v_mul_f32_e32 v80, s33, v80
	s_branch .LBB69_109
.LBB69_108:
	v_mov_b32_e32 v80, 0
.LBB69_109:
	v_pk_add_f32 v[82:83], v[32:33], v[56:57]
	s_nop 0
	v_min3_f32 v81, v82, v83, v140
	v_pk_add_f32 v[82:83], v[34:35], v[58:59]
	s_nop 0
	v_min_f32_e32 v82, v82, v83
	v_min3_f32 v82, v80, v82, v81
	v_lshl_add_u64 v[80:81], v[64:65], 2, v[60:61]
	global_store_dword v[80:81], v82, off
	s_or_b64 exec, exec, s[26:27]
	s_and_b64 s[30:31], s[4:5], s[18:19]
	s_and_saveexec_b64 s[26:27], s[30:31]
	s_cbranch_execz .LBB69_100
.LBB69_110:
	s_and_b64 vcc, exec, s[0:1]
	s_cbranch_vccnz .LBB69_112
; %bb.111:
	v_lshl_add_u64 v[80:81], v[66:67], 2, v[62:63]
	global_load_dword v80, v[80:81], off
	s_waitcnt vmcnt(0)
	v_mul_f32_e32 v80, s33, v80
	s_branch .LBB69_113
.LBB69_112:
	v_mov_b32_e32 v80, 0
.LBB69_113:
	v_pk_add_f32 v[82:83], v[28:29], v[56:57]
	s_nop 0
	v_min3_f32 v81, v82, v83, v139
	v_pk_add_f32 v[82:83], v[30:31], v[58:59]
	s_nop 0
	v_min_f32_e32 v82, v82, v83
	v_min3_f32 v82, v80, v82, v81
	v_lshl_add_u64 v[80:81], v[66:67], 2, v[60:61]
	global_store_dword v[80:81], v82, off
	s_or_b64 exec, exec, s[26:27]
	s_and_b64 s[30:31], s[6:7], s[18:19]
	s_and_saveexec_b64 s[26:27], s[30:31]
	s_cbranch_execz .LBB69_101
.LBB69_114:
	s_and_b64 vcc, exec, s[0:1]
	s_cbranch_vccnz .LBB69_116
; %bb.115:
	v_lshl_add_u64 v[80:81], v[68:69], 2, v[62:63]
	global_load_dword v80, v[80:81], off
	s_waitcnt vmcnt(0)
	v_mul_f32_e32 v80, s33, v80
	s_branch .LBB69_117
.LBB69_116:
	v_mov_b32_e32 v80, 0
.LBB69_117:
	v_pk_add_f32 v[82:83], v[24:25], v[56:57]
	s_nop 0
	v_min3_f32 v81, v82, v83, v138
	v_pk_add_f32 v[82:83], v[26:27], v[58:59]
	s_nop 0
	v_min_f32_e32 v82, v82, v83
	v_min3_f32 v82, v80, v82, v81
	v_lshl_add_u64 v[80:81], v[68:69], 2, v[60:61]
	global_store_dword v[80:81], v82, off
	s_or_b64 exec, exec, s[26:27]
	s_and_b64 s[30:31], s[8:9], s[18:19]
	s_and_saveexec_b64 s[26:27], s[30:31]
	s_cbranch_execz .LBB69_102
.LBB69_118:
	s_and_b64 vcc, exec, s[0:1]
	s_cbranch_vccnz .LBB69_120
; %bb.119:
	v_lshl_add_u64 v[80:81], v[70:71], 2, v[62:63]
	global_load_dword v80, v[80:81], off
	s_waitcnt vmcnt(0)
	v_mul_f32_e32 v80, s33, v80
	s_branch .LBB69_121
.LBB69_120:
	v_mov_b32_e32 v80, 0
.LBB69_121:
	v_pk_add_f32 v[82:83], v[20:21], v[56:57]
	s_nop 0
	v_min3_f32 v81, v82, v83, v137
	v_pk_add_f32 v[82:83], v[22:23], v[58:59]
	s_nop 0
	v_min_f32_e32 v82, v82, v83
	v_min3_f32 v82, v80, v82, v81
	v_lshl_add_u64 v[80:81], v[70:71], 2, v[60:61]
	global_store_dword v[80:81], v82, off
	s_or_b64 exec, exec, s[26:27]
	s_and_b64 s[30:31], s[10:11], s[18:19]
	s_and_saveexec_b64 s[26:27], s[30:31]
	s_cbranch_execz .LBB69_103
.LBB69_122:
	s_and_b64 vcc, exec, s[0:1]
	s_cbranch_vccnz .LBB69_124
; %bb.123:
	v_lshl_add_u64 v[80:81], v[72:73], 2, v[62:63]
	global_load_dword v80, v[80:81], off
	s_waitcnt vmcnt(0)
	v_mul_f32_e32 v80, s33, v80
	s_branch .LBB69_125
.LBB69_124:
	v_mov_b32_e32 v80, 0
.LBB69_125:
	v_pk_add_f32 v[82:83], v[16:17], v[56:57]
	s_nop 0
	v_min3_f32 v81, v82, v83, v136
	v_pk_add_f32 v[82:83], v[18:19], v[58:59]
	s_nop 0
	v_min_f32_e32 v82, v82, v83
	v_min3_f32 v82, v80, v82, v81
	v_lshl_add_u64 v[80:81], v[72:73], 2, v[60:61]
	global_store_dword v[80:81], v82, off
	s_or_b64 exec, exec, s[26:27]
	s_and_b64 s[30:31], s[12:13], s[18:19]
	s_and_saveexec_b64 s[26:27], s[30:31]
	s_cbranch_execz .LBB69_104
.LBB69_126:
	s_and_b64 vcc, exec, s[0:1]
	s_cbranch_vccnz .LBB69_128
; %bb.127:
	v_lshl_add_u64 v[80:81], v[74:75], 2, v[62:63]
	global_load_dword v80, v[80:81], off
	s_waitcnt vmcnt(0)
	v_mul_f32_e32 v80, s33, v80
	s_branch .LBB69_129
.LBB69_128:
	v_mov_b32_e32 v80, 0
.LBB69_129:
	v_pk_add_f32 v[82:83], v[12:13], v[56:57]
	s_nop 0
	v_min3_f32 v81, v82, v83, v134
	v_pk_add_f32 v[82:83], v[14:15], v[58:59]
	s_nop 0
	v_min_f32_e32 v82, v82, v83
	v_min3_f32 v82, v80, v82, v81
	v_lshl_add_u64 v[80:81], v[74:75], 2, v[60:61]
	global_store_dword v[80:81], v82, off
	s_or_b64 exec, exec, s[26:27]
	s_and_b64 s[30:31], s[14:15], s[18:19]
	s_and_saveexec_b64 s[26:27], s[30:31]
	s_cbranch_execz .LBB69_105
.LBB69_130:
	s_and_b64 vcc, exec, s[0:1]
	s_cbranch_vccnz .LBB69_132
; %bb.131:
	v_lshl_add_u64 v[80:81], v[76:77], 2, v[62:63]
	global_load_dword v80, v[80:81], off
	s_waitcnt vmcnt(0)
	v_mul_f32_e32 v80, s33, v80
	s_branch .LBB69_133
.LBB69_132:
	v_mov_b32_e32 v80, 0
.LBB69_133:
	v_pk_add_f32 v[82:83], v[8:9], v[56:57]
	s_nop 0
	v_min3_f32 v81, v82, v83, v132
	v_pk_add_f32 v[82:83], v[10:11], v[58:59]
	s_nop 0
	v_min_f32_e32 v82, v82, v83
	v_min3_f32 v82, v80, v82, v81
	v_lshl_add_u64 v[80:81], v[76:77], 2, v[60:61]
	global_store_dword v[80:81], v82, off
	s_or_b64 exec, exec, s[26:27]
	s_and_b64 s[26:27], s[16:17], s[18:19]
	s_and_saveexec_b64 s[18:19], s[26:27]
	s_cbranch_execz .LBB69_138
.LBB69_134:
	s_and_b64 vcc, exec, s[0:1]
	s_cbranch_vccnz .LBB69_136
; %bb.135:
	v_lshl_add_u64 v[62:63], v[78:79], 2, v[62:63]
	global_load_dword v62, v[62:63], off
	s_waitcnt vmcnt(0)
	v_mul_f32_e32 v62, s33, v62
	s_branch .LBB69_137
.LBB69_136:
	v_mov_b32_e32 v62, 0
.LBB69_137:
	v_pk_add_f32 v[56:57], v[0:1], v[56:57]
	s_nop 0
	v_min3_f32 v63, v56, v57, v135
	v_pk_add_f32 v[56:57], v[2:3], v[58:59]
	s_nop 0
	v_min_f32_e32 v56, v56, v57
	v_min3_f32 v58, v62, v56, v63
	v_lshl_add_u64 v[56:57], v[78:79], 2, v[60:61]
	global_store_dword v[56:57], v58, off
.LBB69_138:
	s_or_b64 exec, exec, s[18:19]
	v_add_u32_e32 v60, 64, v124
	v_mad_i64_i32 v[56:57], s[26:27], v60, s29, 0
	v_cmp_gt_i32_e64 s[18:19], s21, v60
	v_lshl_add_u64 v[58:59], v[56:57], 2, s[24:25]
	v_mad_i64_i32 v[56:57], s[26:27], v60, s28, 0
	v_lshl_add_u64 v[56:57], v[56:57], 2, s[22:23]
	s_and_b64 s[30:31], s[2:3], s[18:19]
	s_and_saveexec_b64 s[26:27], s[30:31]
	s_cbranch_execnz .LBB69_146
; %bb.139:
	s_or_b64 exec, exec, s[26:27]
	s_and_b64 s[30:31], s[4:5], s[18:19]
	s_and_saveexec_b64 s[26:27], s[30:31]
	s_cbranch_execnz .LBB69_150
.LBB69_140:
	s_or_b64 exec, exec, s[26:27]
	s_and_b64 s[30:31], s[6:7], s[18:19]
	s_and_saveexec_b64 s[26:27], s[30:31]
	s_cbranch_execnz .LBB69_154
.LBB69_141:
	s_or_b64 exec, exec, s[26:27]
	s_and_b64 s[30:31], s[8:9], s[18:19]
	s_and_saveexec_b64 s[26:27], s[30:31]
	s_cbranch_execnz .LBB69_158
.LBB69_142:
	s_or_b64 exec, exec, s[26:27]
	s_and_b64 s[30:31], s[10:11], s[18:19]
	s_and_saveexec_b64 s[26:27], s[30:31]
	s_cbranch_execnz .LBB69_162
.LBB69_143:
	s_or_b64 exec, exec, s[26:27]
	s_and_b64 s[30:31], s[12:13], s[18:19]
	s_and_saveexec_b64 s[26:27], s[30:31]
	s_cbranch_execnz .LBB69_166
.LBB69_144:
	s_or_b64 exec, exec, s[26:27]
	s_and_b64 s[30:31], s[14:15], s[18:19]
	s_and_saveexec_b64 s[26:27], s[30:31]
	s_cbranch_execnz .LBB69_170
.LBB69_145:
	s_or_b64 exec, exec, s[26:27]
	s_and_b64 s[26:27], s[16:17], s[18:19]
	s_and_saveexec_b64 s[18:19], s[26:27]
	s_cbranch_execnz .LBB69_174
	s_branch .LBB69_178
.LBB69_146:
	s_and_b64 vcc, exec, s[0:1]
	s_cbranch_vccnz .LBB69_148
; %bb.147:
	v_lshl_add_u64 v[60:61], v[64:65], 2, v[58:59]
	global_load_dword v60, v[60:61], off
	s_waitcnt vmcnt(0)
	v_mul_f32_e32 v60, s33, v60
	s_branch .LBB69_149
.LBB69_148:
	v_mov_b32_e32 v60, 0
.LBB69_149:
	v_pk_add_f32 v[62:63], v[32:33], v[52:53]
	s_nop 0
	v_min3_f32 v61, v62, v63, v133
	v_pk_add_f32 v[62:63], v[34:35], v[54:55]
	s_nop 0
	v_min_f32_e32 v62, v62, v63
	v_min3_f32 v62, v60, v62, v61
	v_lshl_add_u64 v[60:61], v[64:65], 2, v[56:57]
	global_store_dword v[60:61], v62, off
	s_or_b64 exec, exec, s[26:27]
	s_and_b64 s[30:31], s[4:5], s[18:19]
	s_and_saveexec_b64 s[26:27], s[30:31]
	s_cbranch_execz .LBB69_140
.LBB69_150:
	s_and_b64 vcc, exec, s[0:1]
	s_cbranch_vccnz .LBB69_152
; %bb.151:
	v_lshl_add_u64 v[60:61], v[66:67], 2, v[58:59]
	global_load_dword v60, v[60:61], off
	s_waitcnt vmcnt(0)
	v_mul_f32_e32 v60, s33, v60
	s_branch .LBB69_153
.LBB69_152:
	v_mov_b32_e32 v60, 0
.LBB69_153:
	v_pk_add_f32 v[62:63], v[28:29], v[52:53]
	s_nop 0
	v_min3_f32 v61, v62, v63, v131
	v_pk_add_f32 v[62:63], v[30:31], v[54:55]
	s_nop 0
	v_min_f32_e32 v62, v62, v63
	v_min3_f32 v62, v60, v62, v61
	v_lshl_add_u64 v[60:61], v[66:67], 2, v[56:57]
	global_store_dword v[60:61], v62, off
	s_or_b64 exec, exec, s[26:27]
	s_and_b64 s[30:31], s[6:7], s[18:19]
	s_and_saveexec_b64 s[26:27], s[30:31]
	s_cbranch_execz .LBB69_141
.LBB69_154:
	s_and_b64 vcc, exec, s[0:1]
	s_cbranch_vccnz .LBB69_156
; %bb.155:
	v_lshl_add_u64 v[60:61], v[68:69], 2, v[58:59]
	global_load_dword v60, v[60:61], off
	s_waitcnt vmcnt(0)
	v_mul_f32_e32 v60, s33, v60
	s_branch .LBB69_157
.LBB69_156:
	v_mov_b32_e32 v60, 0
.LBB69_157:
	v_pk_add_f32 v[62:63], v[24:25], v[52:53]
	s_nop 0
	v_min3_f32 v61, v62, v63, v130
	v_pk_add_f32 v[62:63], v[26:27], v[54:55]
	s_nop 0
	v_min_f32_e32 v62, v62, v63
	v_min3_f32 v62, v60, v62, v61
	v_lshl_add_u64 v[60:61], v[68:69], 2, v[56:57]
	global_store_dword v[60:61], v62, off
	s_or_b64 exec, exec, s[26:27]
	s_and_b64 s[30:31], s[8:9], s[18:19]
	s_and_saveexec_b64 s[26:27], s[30:31]
	s_cbranch_execz .LBB69_142
.LBB69_158:
	s_and_b64 vcc, exec, s[0:1]
	s_cbranch_vccnz .LBB69_160
; %bb.159:
	v_lshl_add_u64 v[60:61], v[70:71], 2, v[58:59]
	global_load_dword v60, v[60:61], off
	s_waitcnt vmcnt(0)
	v_mul_f32_e32 v60, s33, v60
	s_branch .LBB69_161
.LBB69_160:
	v_mov_b32_e32 v60, 0
.LBB69_161:
	v_pk_add_f32 v[62:63], v[20:21], v[52:53]
	s_nop 0
	v_min3_f32 v61, v62, v63, v129
	v_pk_add_f32 v[62:63], v[22:23], v[54:55]
	s_nop 0
	v_min_f32_e32 v62, v62, v63
	v_min3_f32 v62, v60, v62, v61
	v_lshl_add_u64 v[60:61], v[70:71], 2, v[56:57]
	global_store_dword v[60:61], v62, off
	s_or_b64 exec, exec, s[26:27]
	s_and_b64 s[30:31], s[10:11], s[18:19]
	s_and_saveexec_b64 s[26:27], s[30:31]
	s_cbranch_execz .LBB69_143
.LBB69_162:
	s_and_b64 vcc, exec, s[0:1]
	s_cbranch_vccnz .LBB69_164
; %bb.163:
	v_lshl_add_u64 v[60:61], v[72:73], 2, v[58:59]
	global_load_dword v60, v[60:61], off
	s_waitcnt vmcnt(0)
	v_mul_f32_e32 v60, s33, v60
	s_branch .LBB69_165
.LBB69_164:
	v_mov_b32_e32 v60, 0
.LBB69_165:
	v_pk_add_f32 v[62:63], v[16:17], v[52:53]
	s_nop 0
	v_min3_f32 v61, v62, v63, v128
	v_pk_add_f32 v[62:63], v[18:19], v[54:55]
	s_nop 0
	v_min_f32_e32 v62, v62, v63
	v_min3_f32 v62, v60, v62, v61
	v_lshl_add_u64 v[60:61], v[72:73], 2, v[56:57]
	global_store_dword v[60:61], v62, off
	s_or_b64 exec, exec, s[26:27]
	s_and_b64 s[30:31], s[12:13], s[18:19]
	s_and_saveexec_b64 s[26:27], s[30:31]
	s_cbranch_execz .LBB69_144
.LBB69_166:
	s_and_b64 vcc, exec, s[0:1]
	s_cbranch_vccnz .LBB69_168
; %bb.167:
	v_lshl_add_u64 v[60:61], v[74:75], 2, v[58:59]
	global_load_dword v60, v[60:61], off
	s_waitcnt vmcnt(0)
	v_mul_f32_e32 v60, s33, v60
	s_branch .LBB69_169
.LBB69_168:
	v_mov_b32_e32 v60, 0
.LBB69_169:
	v_pk_add_f32 v[62:63], v[12:13], v[52:53]
	s_nop 0
	v_min3_f32 v61, v62, v63, v127
	v_pk_add_f32 v[62:63], v[14:15], v[54:55]
	s_nop 0
	v_min_f32_e32 v62, v62, v63
	v_min3_f32 v62, v60, v62, v61
	v_lshl_add_u64 v[60:61], v[74:75], 2, v[56:57]
	global_store_dword v[60:61], v62, off
	s_or_b64 exec, exec, s[26:27]
	s_and_b64 s[30:31], s[14:15], s[18:19]
	s_and_saveexec_b64 s[26:27], s[30:31]
	s_cbranch_execz .LBB69_145
.LBB69_170:
	s_and_b64 vcc, exec, s[0:1]
	s_cbranch_vccnz .LBB69_172
; %bb.171:
	v_lshl_add_u64 v[60:61], v[76:77], 2, v[58:59]
	global_load_dword v60, v[60:61], off
	s_waitcnt vmcnt(0)
	v_mul_f32_e32 v60, s33, v60
	s_branch .LBB69_173
.LBB69_172:
	v_mov_b32_e32 v60, 0
.LBB69_173:
	v_pk_add_f32 v[62:63], v[8:9], v[52:53]
	s_nop 0
	v_min3_f32 v61, v62, v63, v126
	v_pk_add_f32 v[62:63], v[10:11], v[54:55]
	s_nop 0
	v_min_f32_e32 v62, v62, v63
	v_min3_f32 v62, v60, v62, v61
	v_lshl_add_u64 v[60:61], v[76:77], 2, v[56:57]
	global_store_dword v[60:61], v62, off
	s_or_b64 exec, exec, s[26:27]
	s_and_b64 s[26:27], s[16:17], s[18:19]
	s_and_saveexec_b64 s[18:19], s[26:27]
	s_cbranch_execz .LBB69_178
.LBB69_174:
	s_and_b64 vcc, exec, s[0:1]
	s_cbranch_vccnz .LBB69_176
; %bb.175:
	v_lshl_add_u64 v[58:59], v[78:79], 2, v[58:59]
	global_load_dword v58, v[58:59], off
	s_waitcnt vmcnt(0)
	v_mul_f32_e32 v58, s33, v58
	s_branch .LBB69_177
.LBB69_176:
	v_mov_b32_e32 v58, 0
.LBB69_177:
	v_pk_add_f32 v[52:53], v[0:1], v[52:53]
	s_nop 0
	v_min3_f32 v59, v52, v53, v125
	v_pk_add_f32 v[52:53], v[2:3], v[54:55]
	s_nop 0
	v_min_f32_e32 v52, v52, v53
	v_min3_f32 v54, v58, v52, v59
	v_lshl_add_u64 v[52:53], v[78:79], 2, v[56:57]
	global_store_dword v[52:53], v54, off
.LBB69_178:
	s_or_b64 exec, exec, s[18:19]
	v_add_u32_e32 v56, 0x60, v124
	v_mad_i64_i32 v[52:53], s[26:27], v56, s29, 0
	v_cmp_gt_i32_e64 s[18:19], s21, v56
	v_lshl_add_u64 v[54:55], v[52:53], 2, s[24:25]
	v_mad_i64_i32 v[52:53], s[26:27], v56, s28, 0
	v_lshl_add_u64 v[52:53], v[52:53], 2, s[22:23]
	s_and_b64 s[30:31], s[2:3], s[18:19]
	s_and_saveexec_b64 s[26:27], s[30:31]
	s_cbranch_execnz .LBB69_186
; %bb.179:
	s_or_b64 exec, exec, s[26:27]
	s_and_b64 s[30:31], s[4:5], s[18:19]
	s_and_saveexec_b64 s[26:27], s[30:31]
	s_cbranch_execnz .LBB69_190
.LBB69_180:
	s_or_b64 exec, exec, s[26:27]
	s_and_b64 s[30:31], s[6:7], s[18:19]
	s_and_saveexec_b64 s[26:27], s[30:31]
	s_cbranch_execnz .LBB69_194
.LBB69_181:
	s_or_b64 exec, exec, s[26:27]
	s_and_b64 s[30:31], s[8:9], s[18:19]
	s_and_saveexec_b64 s[26:27], s[30:31]
	s_cbranch_execnz .LBB69_198
.LBB69_182:
	s_or_b64 exec, exec, s[26:27]
	s_and_b64 s[30:31], s[10:11], s[18:19]
	s_and_saveexec_b64 s[26:27], s[30:31]
	s_cbranch_execnz .LBB69_202
.LBB69_183:
	s_or_b64 exec, exec, s[26:27]
	s_and_b64 s[30:31], s[12:13], s[18:19]
	s_and_saveexec_b64 s[26:27], s[30:31]
	s_cbranch_execnz .LBB69_206
.LBB69_184:
	s_or_b64 exec, exec, s[26:27]
	s_and_b64 s[30:31], s[14:15], s[18:19]
	s_and_saveexec_b64 s[26:27], s[30:31]
	s_cbranch_execnz .LBB69_210
.LBB69_185:
	s_or_b64 exec, exec, s[26:27]
	s_and_b64 s[26:27], s[16:17], s[18:19]
	s_and_saveexec_b64 s[18:19], s[26:27]
	s_cbranch_execnz .LBB69_214
	s_branch .LBB69_218
.LBB69_186:
	s_and_b64 vcc, exec, s[0:1]
	s_cbranch_vccnz .LBB69_188
; %bb.187:
	v_lshl_add_u64 v[56:57], v[64:65], 2, v[54:55]
	global_load_dword v56, v[56:57], off
	s_waitcnt vmcnt(0)
	v_mul_f32_e32 v56, s33, v56
	s_branch .LBB69_189
.LBB69_188:
	v_mov_b32_e32 v56, 0
.LBB69_189:
	v_pk_add_f32 v[58:59], v[32:33], v[48:49]
	s_nop 0
	v_min3_f32 v57, v58, v59, v123
	v_pk_add_f32 v[58:59], v[34:35], v[50:51]
	s_nop 0
	v_min_f32_e32 v58, v58, v59
	v_min3_f32 v58, v56, v58, v57
	v_lshl_add_u64 v[56:57], v[64:65], 2, v[52:53]
	global_store_dword v[56:57], v58, off
	s_or_b64 exec, exec, s[26:27]
	s_and_b64 s[30:31], s[4:5], s[18:19]
	s_and_saveexec_b64 s[26:27], s[30:31]
	s_cbranch_execz .LBB69_180
.LBB69_190:
	s_and_b64 vcc, exec, s[0:1]
	s_cbranch_vccnz .LBB69_192
; %bb.191:
	v_lshl_add_u64 v[56:57], v[66:67], 2, v[54:55]
	global_load_dword v56, v[56:57], off
	s_waitcnt vmcnt(0)
	v_mul_f32_e32 v56, s33, v56
	s_branch .LBB69_193
.LBB69_192:
	v_mov_b32_e32 v56, 0
.LBB69_193:
	v_pk_add_f32 v[58:59], v[28:29], v[48:49]
	s_nop 0
	v_min3_f32 v57, v58, v59, v122
	v_pk_add_f32 v[58:59], v[30:31], v[50:51]
	s_nop 0
	v_min_f32_e32 v58, v58, v59
	v_min3_f32 v58, v56, v58, v57
	v_lshl_add_u64 v[56:57], v[66:67], 2, v[52:53]
	global_store_dword v[56:57], v58, off
	s_or_b64 exec, exec, s[26:27]
	s_and_b64 s[30:31], s[6:7], s[18:19]
	s_and_saveexec_b64 s[26:27], s[30:31]
	s_cbranch_execz .LBB69_181
.LBB69_194:
	s_and_b64 vcc, exec, s[0:1]
	s_cbranch_vccnz .LBB69_196
; %bb.195:
	v_lshl_add_u64 v[56:57], v[68:69], 2, v[54:55]
	global_load_dword v56, v[56:57], off
	s_waitcnt vmcnt(0)
	v_mul_f32_e32 v56, s33, v56
	s_branch .LBB69_197
.LBB69_196:
	v_mov_b32_e32 v56, 0
.LBB69_197:
	v_pk_add_f32 v[58:59], v[24:25], v[48:49]
	s_nop 0
	v_min3_f32 v57, v58, v59, v121
	v_pk_add_f32 v[58:59], v[26:27], v[50:51]
	s_nop 0
	v_min_f32_e32 v58, v58, v59
	v_min3_f32 v58, v56, v58, v57
	v_lshl_add_u64 v[56:57], v[68:69], 2, v[52:53]
	global_store_dword v[56:57], v58, off
	s_or_b64 exec, exec, s[26:27]
	s_and_b64 s[30:31], s[8:9], s[18:19]
	s_and_saveexec_b64 s[26:27], s[30:31]
	s_cbranch_execz .LBB69_182
.LBB69_198:
	s_and_b64 vcc, exec, s[0:1]
	s_cbranch_vccnz .LBB69_200
; %bb.199:
	v_lshl_add_u64 v[56:57], v[70:71], 2, v[54:55]
	global_load_dword v56, v[56:57], off
	s_waitcnt vmcnt(0)
	v_mul_f32_e32 v56, s33, v56
	s_branch .LBB69_201
.LBB69_200:
	v_mov_b32_e32 v56, 0
.LBB69_201:
	v_pk_add_f32 v[58:59], v[20:21], v[48:49]
	s_nop 0
	v_min3_f32 v57, v58, v59, v120
	v_pk_add_f32 v[58:59], v[22:23], v[50:51]
	s_nop 0
	v_min_f32_e32 v58, v58, v59
	v_min3_f32 v58, v56, v58, v57
	v_lshl_add_u64 v[56:57], v[70:71], 2, v[52:53]
	global_store_dword v[56:57], v58, off
	s_or_b64 exec, exec, s[26:27]
	s_and_b64 s[30:31], s[10:11], s[18:19]
	s_and_saveexec_b64 s[26:27], s[30:31]
	s_cbranch_execz .LBB69_183
.LBB69_202:
	s_and_b64 vcc, exec, s[0:1]
	s_cbranch_vccnz .LBB69_204
; %bb.203:
	v_lshl_add_u64 v[56:57], v[72:73], 2, v[54:55]
	global_load_dword v56, v[56:57], off
	s_waitcnt vmcnt(0)
	v_mul_f32_e32 v56, s33, v56
	s_branch .LBB69_205
.LBB69_204:
	v_mov_b32_e32 v56, 0
.LBB69_205:
	v_pk_add_f32 v[58:59], v[16:17], v[48:49]
	s_nop 0
	v_min3_f32 v57, v58, v59, v119
	v_pk_add_f32 v[58:59], v[18:19], v[50:51]
	s_nop 0
	v_min_f32_e32 v58, v58, v59
	v_min3_f32 v58, v56, v58, v57
	v_lshl_add_u64 v[56:57], v[72:73], 2, v[52:53]
	global_store_dword v[56:57], v58, off
	s_or_b64 exec, exec, s[26:27]
	s_and_b64 s[30:31], s[12:13], s[18:19]
	s_and_saveexec_b64 s[26:27], s[30:31]
	s_cbranch_execz .LBB69_184
.LBB69_206:
	s_and_b64 vcc, exec, s[0:1]
	s_cbranch_vccnz .LBB69_208
; %bb.207:
	v_lshl_add_u64 v[56:57], v[74:75], 2, v[54:55]
	global_load_dword v56, v[56:57], off
	s_waitcnt vmcnt(0)
	v_mul_f32_e32 v56, s33, v56
	s_branch .LBB69_209
.LBB69_208:
	v_mov_b32_e32 v56, 0
.LBB69_209:
	v_pk_add_f32 v[58:59], v[12:13], v[48:49]
	s_nop 0
	v_min3_f32 v57, v58, v59, v118
	v_pk_add_f32 v[58:59], v[14:15], v[50:51]
	s_nop 0
	v_min_f32_e32 v58, v58, v59
	v_min3_f32 v58, v56, v58, v57
	v_lshl_add_u64 v[56:57], v[74:75], 2, v[52:53]
	global_store_dword v[56:57], v58, off
	s_or_b64 exec, exec, s[26:27]
	s_and_b64 s[30:31], s[14:15], s[18:19]
	s_and_saveexec_b64 s[26:27], s[30:31]
	s_cbranch_execz .LBB69_185
.LBB69_210:
	s_and_b64 vcc, exec, s[0:1]
	s_cbranch_vccnz .LBB69_212
; %bb.211:
	v_lshl_add_u64 v[56:57], v[76:77], 2, v[54:55]
	global_load_dword v56, v[56:57], off
	s_waitcnt vmcnt(0)
	v_mul_f32_e32 v56, s33, v56
	s_branch .LBB69_213
.LBB69_212:
	v_mov_b32_e32 v56, 0
.LBB69_213:
	v_pk_add_f32 v[58:59], v[8:9], v[48:49]
	s_nop 0
	v_min3_f32 v57, v58, v59, v117
	v_pk_add_f32 v[58:59], v[10:11], v[50:51]
	s_nop 0
	v_min_f32_e32 v58, v58, v59
	v_min3_f32 v58, v56, v58, v57
	v_lshl_add_u64 v[56:57], v[76:77], 2, v[52:53]
	global_store_dword v[56:57], v58, off
	s_or_b64 exec, exec, s[26:27]
	s_and_b64 s[26:27], s[16:17], s[18:19]
	s_and_saveexec_b64 s[18:19], s[26:27]
	s_cbranch_execz .LBB69_218
.LBB69_214:
	s_and_b64 vcc, exec, s[0:1]
	s_cbranch_vccnz .LBB69_216
; %bb.215:
	v_lshl_add_u64 v[54:55], v[78:79], 2, v[54:55]
	global_load_dword v54, v[54:55], off
	s_waitcnt vmcnt(0)
	v_mul_f32_e32 v54, s33, v54
	s_branch .LBB69_217
.LBB69_216:
	v_mov_b32_e32 v54, 0
.LBB69_217:
	v_pk_add_f32 v[48:49], v[0:1], v[48:49]
	s_nop 0
	v_min3_f32 v55, v48, v49, v116
	v_pk_add_f32 v[48:49], v[2:3], v[50:51]
	s_nop 0
	v_min_f32_e32 v48, v48, v49
	v_min3_f32 v50, v54, v48, v55
	v_lshl_add_u64 v[48:49], v[78:79], 2, v[52:53]
	global_store_dword v[48:49], v50, off
.LBB69_218:
	s_or_b64 exec, exec, s[18:19]
	v_add_u32_e32 v52, 0x80, v124
	v_mad_i64_i32 v[48:49], s[26:27], v52, s29, 0
	v_cmp_gt_i32_e64 s[18:19], s21, v52
	v_lshl_add_u64 v[50:51], v[48:49], 2, s[24:25]
	v_mad_i64_i32 v[48:49], s[26:27], v52, s28, 0
	v_lshl_add_u64 v[48:49], v[48:49], 2, s[22:23]
	s_and_b64 s[30:31], s[2:3], s[18:19]
	s_and_saveexec_b64 s[26:27], s[30:31]
	s_cbranch_execnz .LBB69_226
; %bb.219:
	s_or_b64 exec, exec, s[26:27]
	s_and_b64 s[30:31], s[4:5], s[18:19]
	s_and_saveexec_b64 s[26:27], s[30:31]
	s_cbranch_execnz .LBB69_230
.LBB69_220:
	s_or_b64 exec, exec, s[26:27]
	s_and_b64 s[30:31], s[6:7], s[18:19]
	s_and_saveexec_b64 s[26:27], s[30:31]
	s_cbranch_execnz .LBB69_234
.LBB69_221:
	s_or_b64 exec, exec, s[26:27]
	s_and_b64 s[30:31], s[8:9], s[18:19]
	s_and_saveexec_b64 s[26:27], s[30:31]
	s_cbranch_execnz .LBB69_238
.LBB69_222:
	s_or_b64 exec, exec, s[26:27]
	s_and_b64 s[30:31], s[10:11], s[18:19]
	s_and_saveexec_b64 s[26:27], s[30:31]
	s_cbranch_execnz .LBB69_242
.LBB69_223:
	s_or_b64 exec, exec, s[26:27]
	s_and_b64 s[30:31], s[12:13], s[18:19]
	s_and_saveexec_b64 s[26:27], s[30:31]
	s_cbranch_execnz .LBB69_246
.LBB69_224:
	s_or_b64 exec, exec, s[26:27]
	s_and_b64 s[30:31], s[14:15], s[18:19]
	s_and_saveexec_b64 s[26:27], s[30:31]
	s_cbranch_execnz .LBB69_250
.LBB69_225:
	s_or_b64 exec, exec, s[26:27]
	s_and_b64 s[26:27], s[16:17], s[18:19]
	s_and_saveexec_b64 s[18:19], s[26:27]
	s_cbranch_execnz .LBB69_254
	s_branch .LBB69_258
.LBB69_226:
	s_and_b64 vcc, exec, s[0:1]
	s_cbranch_vccnz .LBB69_228
; %bb.227:
	v_lshl_add_u64 v[52:53], v[64:65], 2, v[50:51]
	global_load_dword v52, v[52:53], off
	s_waitcnt vmcnt(0)
	v_mul_f32_e32 v52, s33, v52
	s_branch .LBB69_229
.LBB69_228:
	v_mov_b32_e32 v52, 0
.LBB69_229:
	v_pk_add_f32 v[54:55], v[32:33], v[44:45]
	s_nop 0
	v_min3_f32 v53, v54, v55, v115
	v_pk_add_f32 v[54:55], v[34:35], v[46:47]
	s_nop 0
	v_min_f32_e32 v54, v54, v55
	v_min3_f32 v54, v52, v54, v53
	v_lshl_add_u64 v[52:53], v[64:65], 2, v[48:49]
	global_store_dword v[52:53], v54, off
	s_or_b64 exec, exec, s[26:27]
	s_and_b64 s[30:31], s[4:5], s[18:19]
	s_and_saveexec_b64 s[26:27], s[30:31]
	s_cbranch_execz .LBB69_220
.LBB69_230:
	s_and_b64 vcc, exec, s[0:1]
	s_cbranch_vccnz .LBB69_232
; %bb.231:
	v_lshl_add_u64 v[52:53], v[66:67], 2, v[50:51]
	global_load_dword v52, v[52:53], off
	s_waitcnt vmcnt(0)
	v_mul_f32_e32 v52, s33, v52
	s_branch .LBB69_233
.LBB69_232:
	v_mov_b32_e32 v52, 0
.LBB69_233:
	v_pk_add_f32 v[54:55], v[28:29], v[44:45]
	s_nop 0
	v_min3_f32 v53, v54, v55, v114
	v_pk_add_f32 v[54:55], v[30:31], v[46:47]
	s_nop 0
	v_min_f32_e32 v54, v54, v55
	v_min3_f32 v54, v52, v54, v53
	v_lshl_add_u64 v[52:53], v[66:67], 2, v[48:49]
	global_store_dword v[52:53], v54, off
	s_or_b64 exec, exec, s[26:27]
	s_and_b64 s[30:31], s[6:7], s[18:19]
	s_and_saveexec_b64 s[26:27], s[30:31]
	s_cbranch_execz .LBB69_221
.LBB69_234:
	s_and_b64 vcc, exec, s[0:1]
	s_cbranch_vccnz .LBB69_236
; %bb.235:
	v_lshl_add_u64 v[52:53], v[68:69], 2, v[50:51]
	global_load_dword v52, v[52:53], off
	s_waitcnt vmcnt(0)
	v_mul_f32_e32 v52, s33, v52
	s_branch .LBB69_237
.LBB69_236:
	v_mov_b32_e32 v52, 0
.LBB69_237:
	v_pk_add_f32 v[54:55], v[24:25], v[44:45]
	s_nop 0
	v_min3_f32 v53, v54, v55, v113
	v_pk_add_f32 v[54:55], v[26:27], v[46:47]
	s_nop 0
	v_min_f32_e32 v54, v54, v55
	v_min3_f32 v54, v52, v54, v53
	v_lshl_add_u64 v[52:53], v[68:69], 2, v[48:49]
	global_store_dword v[52:53], v54, off
	s_or_b64 exec, exec, s[26:27]
	s_and_b64 s[30:31], s[8:9], s[18:19]
	s_and_saveexec_b64 s[26:27], s[30:31]
	s_cbranch_execz .LBB69_222
.LBB69_238:
	s_and_b64 vcc, exec, s[0:1]
	s_cbranch_vccnz .LBB69_240
; %bb.239:
	v_lshl_add_u64 v[52:53], v[70:71], 2, v[50:51]
	global_load_dword v52, v[52:53], off
	s_waitcnt vmcnt(0)
	v_mul_f32_e32 v52, s33, v52
	s_branch .LBB69_241
.LBB69_240:
	v_mov_b32_e32 v52, 0
.LBB69_241:
	v_pk_add_f32 v[54:55], v[20:21], v[44:45]
	s_nop 0
	v_min3_f32 v53, v54, v55, v112
	v_pk_add_f32 v[54:55], v[22:23], v[46:47]
	s_nop 0
	v_min_f32_e32 v54, v54, v55
	v_min3_f32 v54, v52, v54, v53
	v_lshl_add_u64 v[52:53], v[70:71], 2, v[48:49]
	global_store_dword v[52:53], v54, off
	s_or_b64 exec, exec, s[26:27]
	s_and_b64 s[30:31], s[10:11], s[18:19]
	s_and_saveexec_b64 s[26:27], s[30:31]
	s_cbranch_execz .LBB69_223
.LBB69_242:
	s_and_b64 vcc, exec, s[0:1]
	s_cbranch_vccnz .LBB69_244
; %bb.243:
	v_lshl_add_u64 v[52:53], v[72:73], 2, v[50:51]
	global_load_dword v52, v[52:53], off
	s_waitcnt vmcnt(0)
	v_mul_f32_e32 v52, s33, v52
	s_branch .LBB69_245
.LBB69_244:
	v_mov_b32_e32 v52, 0
.LBB69_245:
	v_pk_add_f32 v[54:55], v[16:17], v[44:45]
	s_nop 0
	v_min3_f32 v53, v54, v55, v111
	v_pk_add_f32 v[54:55], v[18:19], v[46:47]
	s_nop 0
	v_min_f32_e32 v54, v54, v55
	v_min3_f32 v54, v52, v54, v53
	v_lshl_add_u64 v[52:53], v[72:73], 2, v[48:49]
	global_store_dword v[52:53], v54, off
	s_or_b64 exec, exec, s[26:27]
	s_and_b64 s[30:31], s[12:13], s[18:19]
	s_and_saveexec_b64 s[26:27], s[30:31]
	s_cbranch_execz .LBB69_224
.LBB69_246:
	s_and_b64 vcc, exec, s[0:1]
	s_cbranch_vccnz .LBB69_248
; %bb.247:
	v_lshl_add_u64 v[52:53], v[74:75], 2, v[50:51]
	global_load_dword v52, v[52:53], off
	s_waitcnt vmcnt(0)
	v_mul_f32_e32 v52, s33, v52
	s_branch .LBB69_249
.LBB69_248:
	v_mov_b32_e32 v52, 0
.LBB69_249:
	v_pk_add_f32 v[54:55], v[12:13], v[44:45]
	s_nop 0
	v_min3_f32 v53, v54, v55, v110
	v_pk_add_f32 v[54:55], v[14:15], v[46:47]
	s_nop 0
	v_min_f32_e32 v54, v54, v55
	v_min3_f32 v54, v52, v54, v53
	v_lshl_add_u64 v[52:53], v[74:75], 2, v[48:49]
	global_store_dword v[52:53], v54, off
	s_or_b64 exec, exec, s[26:27]
	s_and_b64 s[30:31], s[14:15], s[18:19]
	s_and_saveexec_b64 s[26:27], s[30:31]
	s_cbranch_execz .LBB69_225
.LBB69_250:
	s_and_b64 vcc, exec, s[0:1]
	s_cbranch_vccnz .LBB69_252
; %bb.251:
	v_lshl_add_u64 v[52:53], v[76:77], 2, v[50:51]
	global_load_dword v52, v[52:53], off
	s_waitcnt vmcnt(0)
	v_mul_f32_e32 v52, s33, v52
	s_branch .LBB69_253
.LBB69_252:
	v_mov_b32_e32 v52, 0
.LBB69_253:
	v_pk_add_f32 v[54:55], v[8:9], v[44:45]
	s_nop 0
	v_min3_f32 v53, v54, v55, v109
	v_pk_add_f32 v[54:55], v[10:11], v[46:47]
	s_nop 0
	v_min_f32_e32 v54, v54, v55
	v_min3_f32 v54, v52, v54, v53
	v_lshl_add_u64 v[52:53], v[76:77], 2, v[48:49]
	global_store_dword v[52:53], v54, off
	s_or_b64 exec, exec, s[26:27]
	s_and_b64 s[26:27], s[16:17], s[18:19]
	s_and_saveexec_b64 s[18:19], s[26:27]
	s_cbranch_execz .LBB69_258
.LBB69_254:
	s_and_b64 vcc, exec, s[0:1]
	s_cbranch_vccnz .LBB69_256
; %bb.255:
	v_lshl_add_u64 v[50:51], v[78:79], 2, v[50:51]
	global_load_dword v50, v[50:51], off
	s_waitcnt vmcnt(0)
	v_mul_f32_e32 v50, s33, v50
	s_branch .LBB69_257
.LBB69_256:
	v_mov_b32_e32 v50, 0
.LBB69_257:
	v_pk_add_f32 v[44:45], v[0:1], v[44:45]
	s_nop 0
	v_min3_f32 v51, v44, v45, v108
	v_pk_add_f32 v[44:45], v[2:3], v[46:47]
	s_nop 0
	v_min_f32_e32 v44, v44, v45
	v_min3_f32 v46, v50, v44, v51
	v_lshl_add_u64 v[44:45], v[78:79], 2, v[48:49]
	global_store_dword v[44:45], v46, off
.LBB69_258:
	s_or_b64 exec, exec, s[18:19]
	v_add_u32_e32 v48, 0xa0, v124
	v_mad_i64_i32 v[44:45], s[26:27], v48, s29, 0
	v_cmp_gt_i32_e64 s[18:19], s21, v48
	v_lshl_add_u64 v[46:47], v[44:45], 2, s[24:25]
	v_mad_i64_i32 v[44:45], s[26:27], v48, s28, 0
	v_lshl_add_u64 v[44:45], v[44:45], 2, s[22:23]
	s_and_b64 s[30:31], s[2:3], s[18:19]
	s_and_saveexec_b64 s[26:27], s[30:31]
	s_cbranch_execnz .LBB69_266
; %bb.259:
	s_or_b64 exec, exec, s[26:27]
	s_and_b64 s[30:31], s[4:5], s[18:19]
	s_and_saveexec_b64 s[26:27], s[30:31]
	s_cbranch_execnz .LBB69_270
.LBB69_260:
	s_or_b64 exec, exec, s[26:27]
	s_and_b64 s[30:31], s[6:7], s[18:19]
	s_and_saveexec_b64 s[26:27], s[30:31]
	s_cbranch_execnz .LBB69_274
.LBB69_261:
	s_or_b64 exec, exec, s[26:27]
	s_and_b64 s[30:31], s[8:9], s[18:19]
	s_and_saveexec_b64 s[26:27], s[30:31]
	s_cbranch_execnz .LBB69_278
.LBB69_262:
	s_or_b64 exec, exec, s[26:27]
	s_and_b64 s[30:31], s[10:11], s[18:19]
	s_and_saveexec_b64 s[26:27], s[30:31]
	s_cbranch_execnz .LBB69_282
.LBB69_263:
	s_or_b64 exec, exec, s[26:27]
	s_and_b64 s[30:31], s[12:13], s[18:19]
	s_and_saveexec_b64 s[26:27], s[30:31]
	s_cbranch_execnz .LBB69_286
.LBB69_264:
	s_or_b64 exec, exec, s[26:27]
	s_and_b64 s[30:31], s[14:15], s[18:19]
	s_and_saveexec_b64 s[26:27], s[30:31]
	s_cbranch_execnz .LBB69_290
.LBB69_265:
	s_or_b64 exec, exec, s[26:27]
	s_and_b64 s[26:27], s[16:17], s[18:19]
	s_and_saveexec_b64 s[18:19], s[26:27]
	s_cbranch_execnz .LBB69_294
	s_branch .LBB69_298
.LBB69_266:
	s_and_b64 vcc, exec, s[0:1]
	s_cbranch_vccnz .LBB69_268
; %bb.267:
	v_lshl_add_u64 v[48:49], v[64:65], 2, v[46:47]
	global_load_dword v48, v[48:49], off
	s_waitcnt vmcnt(0)
	v_mul_f32_e32 v48, s33, v48
	s_branch .LBB69_269
.LBB69_268:
	v_mov_b32_e32 v48, 0
.LBB69_269:
	v_pk_add_f32 v[50:51], v[32:33], v[40:41]
	s_nop 0
	v_min3_f32 v49, v50, v51, v107
	v_pk_add_f32 v[50:51], v[34:35], v[42:43]
	s_nop 0
	v_min_f32_e32 v50, v50, v51
	v_min3_f32 v50, v48, v50, v49
	v_lshl_add_u64 v[48:49], v[64:65], 2, v[44:45]
	global_store_dword v[48:49], v50, off
	s_or_b64 exec, exec, s[26:27]
	s_and_b64 s[30:31], s[4:5], s[18:19]
	s_and_saveexec_b64 s[26:27], s[30:31]
	s_cbranch_execz .LBB69_260
.LBB69_270:
	s_and_b64 vcc, exec, s[0:1]
	s_cbranch_vccnz .LBB69_272
; %bb.271:
	v_lshl_add_u64 v[48:49], v[66:67], 2, v[46:47]
	global_load_dword v48, v[48:49], off
	s_waitcnt vmcnt(0)
	v_mul_f32_e32 v48, s33, v48
	s_branch .LBB69_273
.LBB69_272:
	v_mov_b32_e32 v48, 0
.LBB69_273:
	v_pk_add_f32 v[50:51], v[28:29], v[40:41]
	s_nop 0
	v_min3_f32 v49, v50, v51, v106
	v_pk_add_f32 v[50:51], v[30:31], v[42:43]
	s_nop 0
	v_min_f32_e32 v50, v50, v51
	v_min3_f32 v50, v48, v50, v49
	v_lshl_add_u64 v[48:49], v[66:67], 2, v[44:45]
	global_store_dword v[48:49], v50, off
	s_or_b64 exec, exec, s[26:27]
	s_and_b64 s[30:31], s[6:7], s[18:19]
	s_and_saveexec_b64 s[26:27], s[30:31]
	s_cbranch_execz .LBB69_261
.LBB69_274:
	s_and_b64 vcc, exec, s[0:1]
	s_cbranch_vccnz .LBB69_276
; %bb.275:
	v_lshl_add_u64 v[48:49], v[68:69], 2, v[46:47]
	global_load_dword v48, v[48:49], off
	s_waitcnt vmcnt(0)
	v_mul_f32_e32 v48, s33, v48
	s_branch .LBB69_277
.LBB69_276:
	v_mov_b32_e32 v48, 0
.LBB69_277:
	v_pk_add_f32 v[50:51], v[24:25], v[40:41]
	s_nop 0
	v_min3_f32 v49, v50, v51, v105
	v_pk_add_f32 v[50:51], v[26:27], v[42:43]
	s_nop 0
	v_min_f32_e32 v50, v50, v51
	v_min3_f32 v50, v48, v50, v49
	v_lshl_add_u64 v[48:49], v[68:69], 2, v[44:45]
	global_store_dword v[48:49], v50, off
	s_or_b64 exec, exec, s[26:27]
	s_and_b64 s[30:31], s[8:9], s[18:19]
	s_and_saveexec_b64 s[26:27], s[30:31]
	s_cbranch_execz .LBB69_262
.LBB69_278:
	s_and_b64 vcc, exec, s[0:1]
	s_cbranch_vccnz .LBB69_280
; %bb.279:
	v_lshl_add_u64 v[48:49], v[70:71], 2, v[46:47]
	global_load_dword v48, v[48:49], off
	s_waitcnt vmcnt(0)
	v_mul_f32_e32 v48, s33, v48
	s_branch .LBB69_281
.LBB69_280:
	v_mov_b32_e32 v48, 0
.LBB69_281:
	v_pk_add_f32 v[50:51], v[20:21], v[40:41]
	s_nop 0
	v_min3_f32 v49, v50, v51, v104
	v_pk_add_f32 v[50:51], v[22:23], v[42:43]
	s_nop 0
	v_min_f32_e32 v50, v50, v51
	v_min3_f32 v50, v48, v50, v49
	v_lshl_add_u64 v[48:49], v[70:71], 2, v[44:45]
	global_store_dword v[48:49], v50, off
	s_or_b64 exec, exec, s[26:27]
	s_and_b64 s[30:31], s[10:11], s[18:19]
	s_and_saveexec_b64 s[26:27], s[30:31]
	s_cbranch_execz .LBB69_263
.LBB69_282:
	s_and_b64 vcc, exec, s[0:1]
	s_cbranch_vccnz .LBB69_284
; %bb.283:
	v_lshl_add_u64 v[48:49], v[72:73], 2, v[46:47]
	global_load_dword v48, v[48:49], off
	s_waitcnt vmcnt(0)
	v_mul_f32_e32 v48, s33, v48
	s_branch .LBB69_285
.LBB69_284:
	v_mov_b32_e32 v48, 0
.LBB69_285:
	v_pk_add_f32 v[50:51], v[16:17], v[40:41]
	s_nop 0
	v_min3_f32 v49, v50, v51, v103
	v_pk_add_f32 v[50:51], v[18:19], v[42:43]
	s_nop 0
	v_min_f32_e32 v50, v50, v51
	v_min3_f32 v50, v48, v50, v49
	v_lshl_add_u64 v[48:49], v[72:73], 2, v[44:45]
	global_store_dword v[48:49], v50, off
	s_or_b64 exec, exec, s[26:27]
	s_and_b64 s[30:31], s[12:13], s[18:19]
	s_and_saveexec_b64 s[26:27], s[30:31]
	s_cbranch_execz .LBB69_264
.LBB69_286:
	s_and_b64 vcc, exec, s[0:1]
	s_cbranch_vccnz .LBB69_288
; %bb.287:
	v_lshl_add_u64 v[48:49], v[74:75], 2, v[46:47]
	global_load_dword v48, v[48:49], off
	s_waitcnt vmcnt(0)
	v_mul_f32_e32 v48, s33, v48
	s_branch .LBB69_289
.LBB69_288:
	v_mov_b32_e32 v48, 0
.LBB69_289:
	v_pk_add_f32 v[50:51], v[12:13], v[40:41]
	s_nop 0
	v_min3_f32 v49, v50, v51, v102
	v_pk_add_f32 v[50:51], v[14:15], v[42:43]
	s_nop 0
	v_min_f32_e32 v50, v50, v51
	v_min3_f32 v50, v48, v50, v49
	v_lshl_add_u64 v[48:49], v[74:75], 2, v[44:45]
	global_store_dword v[48:49], v50, off
	s_or_b64 exec, exec, s[26:27]
	s_and_b64 s[30:31], s[14:15], s[18:19]
	s_and_saveexec_b64 s[26:27], s[30:31]
	s_cbranch_execz .LBB69_265
.LBB69_290:
	s_and_b64 vcc, exec, s[0:1]
	s_cbranch_vccnz .LBB69_292
; %bb.291:
	v_lshl_add_u64 v[48:49], v[76:77], 2, v[46:47]
	global_load_dword v48, v[48:49], off
	s_waitcnt vmcnt(0)
	v_mul_f32_e32 v48, s33, v48
	s_branch .LBB69_293
.LBB69_292:
	v_mov_b32_e32 v48, 0
.LBB69_293:
	v_pk_add_f32 v[50:51], v[8:9], v[40:41]
	s_nop 0
	v_min3_f32 v49, v50, v51, v101
	v_pk_add_f32 v[50:51], v[10:11], v[42:43]
	s_nop 0
	v_min_f32_e32 v50, v50, v51
	v_min3_f32 v50, v48, v50, v49
	v_lshl_add_u64 v[48:49], v[76:77], 2, v[44:45]
	global_store_dword v[48:49], v50, off
	s_or_b64 exec, exec, s[26:27]
	s_and_b64 s[26:27], s[16:17], s[18:19]
	s_and_saveexec_b64 s[18:19], s[26:27]
	s_cbranch_execz .LBB69_298
.LBB69_294:
	s_and_b64 vcc, exec, s[0:1]
	s_cbranch_vccnz .LBB69_296
; %bb.295:
	v_lshl_add_u64 v[46:47], v[78:79], 2, v[46:47]
	global_load_dword v46, v[46:47], off
	s_waitcnt vmcnt(0)
	v_mul_f32_e32 v46, s33, v46
	s_branch .LBB69_297
.LBB69_296:
	v_mov_b32_e32 v46, 0
.LBB69_297:
	v_pk_add_f32 v[40:41], v[0:1], v[40:41]
	s_nop 0
	v_min3_f32 v47, v40, v41, v100
	v_pk_add_f32 v[40:41], v[2:3], v[42:43]
	s_nop 0
	v_min_f32_e32 v40, v40, v41
	v_min3_f32 v42, v46, v40, v47
	v_lshl_add_u64 v[40:41], v[78:79], 2, v[44:45]
	global_store_dword v[40:41], v42, off
.LBB69_298:
	s_or_b64 exec, exec, s[18:19]
	v_add_u32_e32 v44, 0xc0, v124
	v_mad_i64_i32 v[40:41], s[26:27], v44, s29, 0
	v_cmp_gt_i32_e64 s[18:19], s21, v44
	v_lshl_add_u64 v[42:43], v[40:41], 2, s[24:25]
	v_mad_i64_i32 v[40:41], s[26:27], v44, s28, 0
	v_lshl_add_u64 v[40:41], v[40:41], 2, s[22:23]
	s_and_b64 s[30:31], s[2:3], s[18:19]
	s_and_saveexec_b64 s[26:27], s[30:31]
	s_cbranch_execnz .LBB69_306
; %bb.299:
	s_or_b64 exec, exec, s[26:27]
	s_and_b64 s[30:31], s[4:5], s[18:19]
	s_and_saveexec_b64 s[26:27], s[30:31]
	s_cbranch_execnz .LBB69_310
.LBB69_300:
	s_or_b64 exec, exec, s[26:27]
	s_and_b64 s[30:31], s[6:7], s[18:19]
	s_and_saveexec_b64 s[26:27], s[30:31]
	s_cbranch_execnz .LBB69_314
.LBB69_301:
	s_or_b64 exec, exec, s[26:27]
	s_and_b64 s[30:31], s[8:9], s[18:19]
	s_and_saveexec_b64 s[26:27], s[30:31]
	s_cbranch_execnz .LBB69_318
.LBB69_302:
	s_or_b64 exec, exec, s[26:27]
	s_and_b64 s[30:31], s[10:11], s[18:19]
	s_and_saveexec_b64 s[26:27], s[30:31]
	s_cbranch_execnz .LBB69_322
.LBB69_303:
	s_or_b64 exec, exec, s[26:27]
	s_and_b64 s[30:31], s[12:13], s[18:19]
	s_and_saveexec_b64 s[26:27], s[30:31]
	s_cbranch_execnz .LBB69_326
.LBB69_304:
	s_or_b64 exec, exec, s[26:27]
	s_and_b64 s[30:31], s[14:15], s[18:19]
	s_and_saveexec_b64 s[26:27], s[30:31]
	s_cbranch_execnz .LBB69_330
.LBB69_305:
	s_or_b64 exec, exec, s[26:27]
	s_and_b64 s[26:27], s[16:17], s[18:19]
	s_and_saveexec_b64 s[18:19], s[26:27]
	s_cbranch_execnz .LBB69_334
	s_branch .LBB69_338
.LBB69_306:
	s_and_b64 vcc, exec, s[0:1]
	s_cbranch_vccnz .LBB69_308
; %bb.307:
	v_lshl_add_u64 v[44:45], v[64:65], 2, v[42:43]
	global_load_dword v44, v[44:45], off
	s_waitcnt vmcnt(0)
	v_mul_f32_e32 v44, s33, v44
	s_branch .LBB69_309
.LBB69_308:
	v_mov_b32_e32 v44, 0
.LBB69_309:
	v_pk_add_f32 v[46:47], v[32:33], v[36:37]
	s_nop 0
	v_min3_f32 v45, v46, v47, v99
	v_pk_add_f32 v[46:47], v[34:35], v[38:39]
	s_nop 0
	v_min_f32_e32 v46, v46, v47
	v_min3_f32 v46, v44, v46, v45
	v_lshl_add_u64 v[44:45], v[64:65], 2, v[40:41]
	global_store_dword v[44:45], v46, off
	s_or_b64 exec, exec, s[26:27]
	s_and_b64 s[30:31], s[4:5], s[18:19]
	s_and_saveexec_b64 s[26:27], s[30:31]
	s_cbranch_execz .LBB69_300
.LBB69_310:
	s_and_b64 vcc, exec, s[0:1]
	s_cbranch_vccnz .LBB69_312
; %bb.311:
	v_lshl_add_u64 v[44:45], v[66:67], 2, v[42:43]
	global_load_dword v44, v[44:45], off
	s_waitcnt vmcnt(0)
	v_mul_f32_e32 v44, s33, v44
	s_branch .LBB69_313
.LBB69_312:
	v_mov_b32_e32 v44, 0
.LBB69_313:
	v_pk_add_f32 v[46:47], v[28:29], v[36:37]
	s_nop 0
	v_min3_f32 v45, v46, v47, v98
	v_pk_add_f32 v[46:47], v[30:31], v[38:39]
	s_nop 0
	v_min_f32_e32 v46, v46, v47
	v_min3_f32 v46, v44, v46, v45
	v_lshl_add_u64 v[44:45], v[66:67], 2, v[40:41]
	global_store_dword v[44:45], v46, off
	s_or_b64 exec, exec, s[26:27]
	s_and_b64 s[30:31], s[6:7], s[18:19]
	s_and_saveexec_b64 s[26:27], s[30:31]
	s_cbranch_execz .LBB69_301
.LBB69_314:
	s_and_b64 vcc, exec, s[0:1]
	s_cbranch_vccnz .LBB69_316
; %bb.315:
	v_lshl_add_u64 v[44:45], v[68:69], 2, v[42:43]
	global_load_dword v44, v[44:45], off
	s_waitcnt vmcnt(0)
	v_mul_f32_e32 v44, s33, v44
	s_branch .LBB69_317
.LBB69_316:
	v_mov_b32_e32 v44, 0
.LBB69_317:
	v_pk_add_f32 v[46:47], v[24:25], v[36:37]
	s_nop 0
	v_min3_f32 v45, v46, v47, v97
	v_pk_add_f32 v[46:47], v[26:27], v[38:39]
	s_nop 0
	v_min_f32_e32 v46, v46, v47
	v_min3_f32 v46, v44, v46, v45
	v_lshl_add_u64 v[44:45], v[68:69], 2, v[40:41]
	global_store_dword v[44:45], v46, off
	s_or_b64 exec, exec, s[26:27]
	s_and_b64 s[30:31], s[8:9], s[18:19]
	s_and_saveexec_b64 s[26:27], s[30:31]
	s_cbranch_execz .LBB69_302
.LBB69_318:
	s_and_b64 vcc, exec, s[0:1]
	s_cbranch_vccnz .LBB69_320
; %bb.319:
	v_lshl_add_u64 v[44:45], v[70:71], 2, v[42:43]
	global_load_dword v44, v[44:45], off
	s_waitcnt vmcnt(0)
	v_mul_f32_e32 v44, s33, v44
	s_branch .LBB69_321
.LBB69_320:
	v_mov_b32_e32 v44, 0
.LBB69_321:
	v_pk_add_f32 v[46:47], v[20:21], v[36:37]
	s_nop 0
	v_min3_f32 v45, v46, v47, v96
	v_pk_add_f32 v[46:47], v[22:23], v[38:39]
	s_nop 0
	v_min_f32_e32 v46, v46, v47
	v_min3_f32 v46, v44, v46, v45
	v_lshl_add_u64 v[44:45], v[70:71], 2, v[40:41]
	global_store_dword v[44:45], v46, off
	s_or_b64 exec, exec, s[26:27]
	s_and_b64 s[30:31], s[10:11], s[18:19]
	s_and_saveexec_b64 s[26:27], s[30:31]
	s_cbranch_execz .LBB69_303
.LBB69_322:
	s_and_b64 vcc, exec, s[0:1]
	s_cbranch_vccnz .LBB69_324
; %bb.323:
	v_lshl_add_u64 v[44:45], v[72:73], 2, v[42:43]
	global_load_dword v44, v[44:45], off
	s_waitcnt vmcnt(0)
	v_mul_f32_e32 v44, s33, v44
	s_branch .LBB69_325
.LBB69_324:
	v_mov_b32_e32 v44, 0
.LBB69_325:
	v_pk_add_f32 v[46:47], v[16:17], v[36:37]
	s_nop 0
	v_min3_f32 v45, v46, v47, v95
	v_pk_add_f32 v[46:47], v[18:19], v[38:39]
	s_nop 0
	v_min_f32_e32 v46, v46, v47
	v_min3_f32 v46, v44, v46, v45
	v_lshl_add_u64 v[44:45], v[72:73], 2, v[40:41]
	global_store_dword v[44:45], v46, off
	s_or_b64 exec, exec, s[26:27]
	s_and_b64 s[30:31], s[12:13], s[18:19]
	s_and_saveexec_b64 s[26:27], s[30:31]
	s_cbranch_execz .LBB69_304
.LBB69_326:
	s_and_b64 vcc, exec, s[0:1]
	s_cbranch_vccnz .LBB69_328
; %bb.327:
	v_lshl_add_u64 v[44:45], v[74:75], 2, v[42:43]
	global_load_dword v44, v[44:45], off
	s_waitcnt vmcnt(0)
	v_mul_f32_e32 v44, s33, v44
	s_branch .LBB69_329
.LBB69_328:
	v_mov_b32_e32 v44, 0
.LBB69_329:
	v_pk_add_f32 v[46:47], v[12:13], v[36:37]
	s_nop 0
	v_min3_f32 v45, v46, v47, v94
	v_pk_add_f32 v[46:47], v[14:15], v[38:39]
	s_nop 0
	v_min_f32_e32 v46, v46, v47
	v_min3_f32 v46, v44, v46, v45
	v_lshl_add_u64 v[44:45], v[74:75], 2, v[40:41]
	global_store_dword v[44:45], v46, off
	s_or_b64 exec, exec, s[26:27]
	s_and_b64 s[30:31], s[14:15], s[18:19]
	s_and_saveexec_b64 s[26:27], s[30:31]
	s_cbranch_execz .LBB69_305
.LBB69_330:
	s_and_b64 vcc, exec, s[0:1]
	s_cbranch_vccnz .LBB69_332
; %bb.331:
	v_lshl_add_u64 v[44:45], v[76:77], 2, v[42:43]
	global_load_dword v44, v[44:45], off
	s_waitcnt vmcnt(0)
	v_mul_f32_e32 v44, s33, v44
	s_branch .LBB69_333
.LBB69_332:
	v_mov_b32_e32 v44, 0
.LBB69_333:
	v_pk_add_f32 v[46:47], v[8:9], v[36:37]
	s_nop 0
	v_min3_f32 v45, v46, v47, v93
	v_pk_add_f32 v[46:47], v[10:11], v[38:39]
	s_nop 0
	v_min_f32_e32 v46, v46, v47
	v_min3_f32 v46, v44, v46, v45
	v_lshl_add_u64 v[44:45], v[76:77], 2, v[40:41]
	global_store_dword v[44:45], v46, off
	s_or_b64 exec, exec, s[26:27]
	s_and_b64 s[26:27], s[16:17], s[18:19]
	s_and_saveexec_b64 s[18:19], s[26:27]
	s_cbranch_execz .LBB69_338
.LBB69_334:
	s_and_b64 vcc, exec, s[0:1]
	s_cbranch_vccnz .LBB69_336
; %bb.335:
	v_lshl_add_u64 v[42:43], v[78:79], 2, v[42:43]
	global_load_dword v42, v[42:43], off
	s_waitcnt vmcnt(0)
	v_mul_f32_e32 v42, s33, v42
	s_branch .LBB69_337
.LBB69_336:
	v_mov_b32_e32 v42, 0
.LBB69_337:
	v_pk_add_f32 v[36:37], v[0:1], v[36:37]
	s_nop 0
	v_min3_f32 v43, v36, v37, v92
	v_pk_add_f32 v[36:37], v[2:3], v[38:39]
	s_nop 0
	v_min_f32_e32 v36, v36, v37
	v_min3_f32 v38, v42, v36, v43
	v_lshl_add_u64 v[36:37], v[78:79], 2, v[40:41]
	global_store_dword v[36:37], v38, off
.LBB69_338:
	s_or_b64 exec, exec, s[18:19]
	v_add_u32_e32 v40, 0xe0, v124
	v_cmp_gt_i32_e64 s[18:19], s21, v40
	v_mad_i64_i32 v[36:37], s[20:21], v40, s29, 0
	v_lshl_add_u64 v[38:39], v[36:37], 2, s[24:25]
	v_mad_i64_i32 v[36:37], s[20:21], v40, s28, 0
	v_lshl_add_u64 v[36:37], v[36:37], 2, s[22:23]
	s_and_b64 s[20:21], s[2:3], s[18:19]
	s_and_saveexec_b64 s[2:3], s[20:21]
	s_cbranch_execnz .LBB69_347
; %bb.339:
	s_or_b64 exec, exec, s[2:3]
	s_and_b64 s[4:5], s[4:5], s[18:19]
	s_and_saveexec_b64 s[2:3], s[4:5]
	s_cbranch_execnz .LBB69_351
.LBB69_340:
	s_or_b64 exec, exec, s[2:3]
	s_and_b64 s[4:5], s[6:7], s[18:19]
	s_and_saveexec_b64 s[2:3], s[4:5]
	s_cbranch_execnz .LBB69_355
.LBB69_341:
	s_or_b64 exec, exec, s[2:3]
	s_and_b64 s[4:5], s[8:9], s[18:19]
	s_and_saveexec_b64 s[2:3], s[4:5]
	s_cbranch_execnz .LBB69_359
.LBB69_342:
	s_or_b64 exec, exec, s[2:3]
	s_and_b64 s[4:5], s[10:11], s[18:19]
	s_and_saveexec_b64 s[2:3], s[4:5]
	s_cbranch_execnz .LBB69_363
.LBB69_343:
	s_or_b64 exec, exec, s[2:3]
	s_and_b64 s[4:5], s[12:13], s[18:19]
	s_and_saveexec_b64 s[2:3], s[4:5]
	s_cbranch_execnz .LBB69_367
.LBB69_344:
	s_or_b64 exec, exec, s[2:3]
	s_and_b64 s[4:5], s[14:15], s[18:19]
	s_and_saveexec_b64 s[2:3], s[4:5]
	s_cbranch_execnz .LBB69_371
.LBB69_345:
	s_or_b64 exec, exec, s[2:3]
	s_and_b64 s[2:3], s[16:17], s[18:19]
	s_and_saveexec_b64 s[4:5], s[2:3]
	s_cbranch_execnz .LBB69_375
.LBB69_346:
	s_endpgm
.LBB69_347:
	s_and_b64 vcc, exec, s[0:1]
	s_cbranch_vccnz .LBB69_349
; %bb.348:
	v_lshl_add_u64 v[40:41], v[64:65], 2, v[38:39]
	global_load_dword v40, v[40:41], off
	s_waitcnt vmcnt(0)
	v_mul_f32_e32 v40, s33, v40
	s_branch .LBB69_350
.LBB69_349:
	v_mov_b32_e32 v40, 0
.LBB69_350:
	v_pk_add_f32 v[32:33], v[32:33], v[4:5]
	s_nop 0
	v_min3_f32 v41, v32, v33, v91
	v_pk_add_f32 v[32:33], v[34:35], v[6:7]
	s_nop 0
	v_min_f32_e32 v32, v32, v33
	v_min3_f32 v34, v40, v32, v41
	v_lshl_add_u64 v[32:33], v[64:65], 2, v[36:37]
	global_store_dword v[32:33], v34, off
	s_or_b64 exec, exec, s[2:3]
	s_and_b64 s[4:5], s[4:5], s[18:19]
	s_and_saveexec_b64 s[2:3], s[4:5]
	s_cbranch_execz .LBB69_340
.LBB69_351:
	s_and_b64 vcc, exec, s[0:1]
	s_cbranch_vccnz .LBB69_353
; %bb.352:
	v_lshl_add_u64 v[32:33], v[66:67], 2, v[38:39]
	global_load_dword v32, v[32:33], off
	s_waitcnt vmcnt(0)
	v_mul_f32_e32 v32, s33, v32
	s_branch .LBB69_354
.LBB69_353:
	v_mov_b32_e32 v32, 0
.LBB69_354:
	v_pk_add_f32 v[28:29], v[28:29], v[4:5]
	s_nop 0
	v_min3_f32 v33, v28, v29, v90
	v_pk_add_f32 v[28:29], v[30:31], v[6:7]
	s_nop 0
	v_min_f32_e32 v28, v28, v29
	v_min3_f32 v30, v32, v28, v33
	v_lshl_add_u64 v[28:29], v[66:67], 2, v[36:37]
	global_store_dword v[28:29], v30, off
	s_or_b64 exec, exec, s[2:3]
	s_and_b64 s[4:5], s[6:7], s[18:19]
	s_and_saveexec_b64 s[2:3], s[4:5]
	s_cbranch_execz .LBB69_341
.LBB69_355:
	s_and_b64 vcc, exec, s[0:1]
	s_cbranch_vccnz .LBB69_357
; %bb.356:
	v_lshl_add_u64 v[28:29], v[68:69], 2, v[38:39]
	global_load_dword v28, v[28:29], off
	s_waitcnt vmcnt(0)
	v_mul_f32_e32 v28, s33, v28
	s_branch .LBB69_358
.LBB69_357:
	v_mov_b32_e32 v28, 0
.LBB69_358:
	v_pk_add_f32 v[24:25], v[24:25], v[4:5]
	s_nop 0
	v_min3_f32 v29, v24, v25, v89
	v_pk_add_f32 v[24:25], v[26:27], v[6:7]
	s_nop 0
	v_min_f32_e32 v24, v24, v25
	v_min3_f32 v26, v28, v24, v29
	v_lshl_add_u64 v[24:25], v[68:69], 2, v[36:37]
	global_store_dword v[24:25], v26, off
	s_or_b64 exec, exec, s[2:3]
	s_and_b64 s[4:5], s[8:9], s[18:19]
	s_and_saveexec_b64 s[2:3], s[4:5]
	s_cbranch_execz .LBB69_342
.LBB69_359:
	s_and_b64 vcc, exec, s[0:1]
	s_cbranch_vccnz .LBB69_361
; %bb.360:
	v_lshl_add_u64 v[24:25], v[70:71], 2, v[38:39]
	global_load_dword v24, v[24:25], off
	s_waitcnt vmcnt(0)
	v_mul_f32_e32 v24, s33, v24
	s_branch .LBB69_362
.LBB69_361:
	v_mov_b32_e32 v24, 0
.LBB69_362:
	v_pk_add_f32 v[20:21], v[20:21], v[4:5]
	s_nop 0
	v_min3_f32 v25, v20, v21, v87
	v_pk_add_f32 v[20:21], v[22:23], v[6:7]
	s_nop 0
	v_min_f32_e32 v20, v20, v21
	v_min3_f32 v22, v24, v20, v25
	v_lshl_add_u64 v[20:21], v[70:71], 2, v[36:37]
	global_store_dword v[20:21], v22, off
	s_or_b64 exec, exec, s[2:3]
	s_and_b64 s[4:5], s[10:11], s[18:19]
	s_and_saveexec_b64 s[2:3], s[4:5]
	s_cbranch_execz .LBB69_343
.LBB69_363:
	s_and_b64 vcc, exec, s[0:1]
	s_cbranch_vccnz .LBB69_365
; %bb.364:
	v_lshl_add_u64 v[20:21], v[72:73], 2, v[38:39]
	global_load_dword v20, v[20:21], off
	s_waitcnt vmcnt(0)
	v_mul_f32_e32 v20, s33, v20
	s_branch .LBB69_366
.LBB69_365:
	v_mov_b32_e32 v20, 0
.LBB69_366:
	v_pk_add_f32 v[16:17], v[16:17], v[4:5]
	s_nop 0
	v_min3_f32 v21, v16, v17, v86
	v_pk_add_f32 v[16:17], v[18:19], v[6:7]
	s_nop 0
	v_min_f32_e32 v16, v16, v17
	v_min3_f32 v18, v20, v16, v21
	v_lshl_add_u64 v[16:17], v[72:73], 2, v[36:37]
	global_store_dword v[16:17], v18, off
	s_or_b64 exec, exec, s[2:3]
	s_and_b64 s[4:5], s[12:13], s[18:19]
	s_and_saveexec_b64 s[2:3], s[4:5]
	s_cbranch_execz .LBB69_344
.LBB69_367:
	s_and_b64 vcc, exec, s[0:1]
	s_cbranch_vccnz .LBB69_369
; %bb.368:
	v_lshl_add_u64 v[16:17], v[74:75], 2, v[38:39]
	global_load_dword v16, v[16:17], off
	s_waitcnt vmcnt(0)
	v_mul_f32_e32 v16, s33, v16
	s_branch .LBB69_370
.LBB69_369:
	v_mov_b32_e32 v16, 0
.LBB69_370:
	v_pk_add_f32 v[12:13], v[12:13], v[4:5]
	s_nop 0
	v_min3_f32 v17, v12, v13, v85
	v_pk_add_f32 v[12:13], v[14:15], v[6:7]
	s_nop 0
	v_min_f32_e32 v12, v12, v13
	v_min3_f32 v14, v16, v12, v17
	v_lshl_add_u64 v[12:13], v[74:75], 2, v[36:37]
	global_store_dword v[12:13], v14, off
	s_or_b64 exec, exec, s[2:3]
	s_and_b64 s[4:5], s[14:15], s[18:19]
	s_and_saveexec_b64 s[2:3], s[4:5]
	s_cbranch_execz .LBB69_345
.LBB69_371:
	s_and_b64 vcc, exec, s[0:1]
	s_cbranch_vccnz .LBB69_373
; %bb.372:
	v_lshl_add_u64 v[12:13], v[76:77], 2, v[38:39]
	global_load_dword v12, v[12:13], off
	s_waitcnt vmcnt(0)
	v_mul_f32_e32 v12, s33, v12
	s_branch .LBB69_374
.LBB69_373:
	v_mov_b32_e32 v12, 0
.LBB69_374:
	v_pk_add_f32 v[8:9], v[8:9], v[4:5]
	s_nop 0
	v_min3_f32 v13, v8, v9, v84
	v_pk_add_f32 v[8:9], v[10:11], v[6:7]
	s_nop 0
	v_min_f32_e32 v8, v8, v9
	v_min3_f32 v10, v12, v8, v13
	v_lshl_add_u64 v[8:9], v[76:77], 2, v[36:37]
	global_store_dword v[8:9], v10, off
	s_or_b64 exec, exec, s[2:3]
	s_and_b64 s[2:3], s[16:17], s[18:19]
	s_and_saveexec_b64 s[4:5], s[2:3]
	s_cbranch_execz .LBB69_346
.LBB69_375:
	s_and_b64 vcc, exec, s[0:1]
	s_cbranch_vccnz .LBB69_377
; %bb.376:
	v_lshl_add_u64 v[8:9], v[78:79], 2, v[38:39]
	global_load_dword v8, v[8:9], off
	s_waitcnt vmcnt(0)
	v_mul_f32_e32 v8, s33, v8
	s_branch .LBB69_378
.LBB69_377:
	v_mov_b32_e32 v8, 0
.LBB69_378:
	v_pk_add_f32 v[0:1], v[0:1], v[4:5]
	s_nop 0
	v_min3_f32 v4, v0, v1, v88
	v_pk_add_f32 v[0:1], v[2:3], v[6:7]
	s_nop 0
	v_min_f32_e32 v0, v0, v1
	v_min3_f32 v2, v8, v0, v4
	v_lshl_add_u64 v[0:1], v[78:79], 2, v[36:37]
	global_store_dword v[0:1], v2, off
	s_endpgm
	.section	.rodata,"a",@progbits
	.p2align	6, 0x0
	.amdhsa_kernel _ZN12_GLOBAL__N_120geam_min_plus_kernelIf15HIP_vector_typeIfLj2EEfLi8ELi32ELi64ELi256ELi4ELi64ELi4ELi64ELi4ELc78ELc84ELb0ELb1ELb1EPKfS3_fEEviiiT16_PT17_ilS7_ilS5_S7_ilPT18_ili26rocblas_geam_ex_operation_
		.amdhsa_group_segment_fixed_size 10240
		.amdhsa_private_segment_fixed_size 0
		.amdhsa_kernarg_size 136
		.amdhsa_user_sgpr_count 2
		.amdhsa_user_sgpr_dispatch_ptr 0
		.amdhsa_user_sgpr_queue_ptr 0
		.amdhsa_user_sgpr_kernarg_segment_ptr 1
		.amdhsa_user_sgpr_dispatch_id 0
		.amdhsa_user_sgpr_kernarg_preload_length 0
		.amdhsa_user_sgpr_kernarg_preload_offset 0
		.amdhsa_user_sgpr_private_segment_size 0
		.amdhsa_uses_dynamic_stack 0
		.amdhsa_enable_private_segment 0
		.amdhsa_system_sgpr_workgroup_id_x 1
		.amdhsa_system_sgpr_workgroup_id_y 0
		.amdhsa_system_sgpr_workgroup_id_z 1
		.amdhsa_system_sgpr_workgroup_info 0
		.amdhsa_system_vgpr_workitem_id 1
		.amdhsa_next_free_vgpr 161
		.amdhsa_next_free_sgpr 44
		.amdhsa_accum_offset 164
		.amdhsa_reserve_vcc 1
		.amdhsa_float_round_mode_32 0
		.amdhsa_float_round_mode_16_64 0
		.amdhsa_float_denorm_mode_32 3
		.amdhsa_float_denorm_mode_16_64 3
		.amdhsa_dx10_clamp 1
		.amdhsa_ieee_mode 1
		.amdhsa_fp16_overflow 0
		.amdhsa_tg_split 0
		.amdhsa_exception_fp_ieee_invalid_op 0
		.amdhsa_exception_fp_denorm_src 0
		.amdhsa_exception_fp_ieee_div_zero 0
		.amdhsa_exception_fp_ieee_overflow 0
		.amdhsa_exception_fp_ieee_underflow 0
		.amdhsa_exception_fp_ieee_inexact 0
		.amdhsa_exception_int_div_zero 0
	.end_amdhsa_kernel
	.section	.text._ZN12_GLOBAL__N_120geam_min_plus_kernelIf15HIP_vector_typeIfLj2EEfLi8ELi32ELi64ELi256ELi4ELi64ELi4ELi64ELi4ELc78ELc84ELb0ELb1ELb1EPKfS3_fEEviiiT16_PT17_ilS7_ilS5_S7_ilPT18_ili26rocblas_geam_ex_operation_,"axG",@progbits,_ZN12_GLOBAL__N_120geam_min_plus_kernelIf15HIP_vector_typeIfLj2EEfLi8ELi32ELi64ELi256ELi4ELi64ELi4ELi64ELi4ELc78ELc84ELb0ELb1ELb1EPKfS3_fEEviiiT16_PT17_ilS7_ilS5_S7_ilPT18_ili26rocblas_geam_ex_operation_,comdat
.Lfunc_end69:
	.size	_ZN12_GLOBAL__N_120geam_min_plus_kernelIf15HIP_vector_typeIfLj2EEfLi8ELi32ELi64ELi256ELi4ELi64ELi4ELi64ELi4ELc78ELc84ELb0ELb1ELb1EPKfS3_fEEviiiT16_PT17_ilS7_ilS5_S7_ilPT18_ili26rocblas_geam_ex_operation_, .Lfunc_end69-_ZN12_GLOBAL__N_120geam_min_plus_kernelIf15HIP_vector_typeIfLj2EEfLi8ELi32ELi64ELi256ELi4ELi64ELi4ELi64ELi4ELc78ELc84ELb0ELb1ELb1EPKfS3_fEEviiiT16_PT17_ilS7_ilS5_S7_ilPT18_ili26rocblas_geam_ex_operation_
                                        ; -- End function
	.set _ZN12_GLOBAL__N_120geam_min_plus_kernelIf15HIP_vector_typeIfLj2EEfLi8ELi32ELi64ELi256ELi4ELi64ELi4ELi64ELi4ELc78ELc84ELb0ELb1ELb1EPKfS3_fEEviiiT16_PT17_ilS7_ilS5_S7_ilPT18_ili26rocblas_geam_ex_operation_.num_vgpr, 161
	.set _ZN12_GLOBAL__N_120geam_min_plus_kernelIf15HIP_vector_typeIfLj2EEfLi8ELi32ELi64ELi256ELi4ELi64ELi4ELi64ELi4ELc78ELc84ELb0ELb1ELb1EPKfS3_fEEviiiT16_PT17_ilS7_ilS5_S7_ilPT18_ili26rocblas_geam_ex_operation_.num_agpr, 0
	.set _ZN12_GLOBAL__N_120geam_min_plus_kernelIf15HIP_vector_typeIfLj2EEfLi8ELi32ELi64ELi256ELi4ELi64ELi4ELi64ELi4ELc78ELc84ELb0ELb1ELb1EPKfS3_fEEviiiT16_PT17_ilS7_ilS5_S7_ilPT18_ili26rocblas_geam_ex_operation_.numbered_sgpr, 44
	.set _ZN12_GLOBAL__N_120geam_min_plus_kernelIf15HIP_vector_typeIfLj2EEfLi8ELi32ELi64ELi256ELi4ELi64ELi4ELi64ELi4ELc78ELc84ELb0ELb1ELb1EPKfS3_fEEviiiT16_PT17_ilS7_ilS5_S7_ilPT18_ili26rocblas_geam_ex_operation_.num_named_barrier, 0
	.set _ZN12_GLOBAL__N_120geam_min_plus_kernelIf15HIP_vector_typeIfLj2EEfLi8ELi32ELi64ELi256ELi4ELi64ELi4ELi64ELi4ELc78ELc84ELb0ELb1ELb1EPKfS3_fEEviiiT16_PT17_ilS7_ilS5_S7_ilPT18_ili26rocblas_geam_ex_operation_.private_seg_size, 0
	.set _ZN12_GLOBAL__N_120geam_min_plus_kernelIf15HIP_vector_typeIfLj2EEfLi8ELi32ELi64ELi256ELi4ELi64ELi4ELi64ELi4ELc78ELc84ELb0ELb1ELb1EPKfS3_fEEviiiT16_PT17_ilS7_ilS5_S7_ilPT18_ili26rocblas_geam_ex_operation_.uses_vcc, 1
	.set _ZN12_GLOBAL__N_120geam_min_plus_kernelIf15HIP_vector_typeIfLj2EEfLi8ELi32ELi64ELi256ELi4ELi64ELi4ELi64ELi4ELc78ELc84ELb0ELb1ELb1EPKfS3_fEEviiiT16_PT17_ilS7_ilS5_S7_ilPT18_ili26rocblas_geam_ex_operation_.uses_flat_scratch, 0
	.set _ZN12_GLOBAL__N_120geam_min_plus_kernelIf15HIP_vector_typeIfLj2EEfLi8ELi32ELi64ELi256ELi4ELi64ELi4ELi64ELi4ELc78ELc84ELb0ELb1ELb1EPKfS3_fEEviiiT16_PT17_ilS7_ilS5_S7_ilPT18_ili26rocblas_geam_ex_operation_.has_dyn_sized_stack, 0
	.set _ZN12_GLOBAL__N_120geam_min_plus_kernelIf15HIP_vector_typeIfLj2EEfLi8ELi32ELi64ELi256ELi4ELi64ELi4ELi64ELi4ELc78ELc84ELb0ELb1ELb1EPKfS3_fEEviiiT16_PT17_ilS7_ilS5_S7_ilPT18_ili26rocblas_geam_ex_operation_.has_recursion, 0
	.set _ZN12_GLOBAL__N_120geam_min_plus_kernelIf15HIP_vector_typeIfLj2EEfLi8ELi32ELi64ELi256ELi4ELi64ELi4ELi64ELi4ELc78ELc84ELb0ELb1ELb1EPKfS3_fEEviiiT16_PT17_ilS7_ilS5_S7_ilPT18_ili26rocblas_geam_ex_operation_.has_indirect_call, 0
	.section	.AMDGPU.csdata,"",@progbits
; Kernel info:
; codeLenInByte = 18656
; TotalNumSgprs: 50
; NumVgprs: 161
; NumAgprs: 0
; TotalNumVgprs: 161
; ScratchSize: 0
; MemoryBound: 0
; FloatMode: 240
; IeeeMode: 1
; LDSByteSize: 10240 bytes/workgroup (compile time only)
; SGPRBlocks: 6
; VGPRBlocks: 20
; NumSGPRsForWavesPerEU: 50
; NumVGPRsForWavesPerEU: 161
; AccumOffset: 164
; Occupancy: 3
; WaveLimiterHint : 0
; COMPUTE_PGM_RSRC2:SCRATCH_EN: 0
; COMPUTE_PGM_RSRC2:USER_SGPR: 2
; COMPUTE_PGM_RSRC2:TRAP_HANDLER: 0
; COMPUTE_PGM_RSRC2:TGID_X_EN: 1
; COMPUTE_PGM_RSRC2:TGID_Y_EN: 0
; COMPUTE_PGM_RSRC2:TGID_Z_EN: 1
; COMPUTE_PGM_RSRC2:TIDIG_COMP_CNT: 1
; COMPUTE_PGM_RSRC3_GFX90A:ACCUM_OFFSET: 40
; COMPUTE_PGM_RSRC3_GFX90A:TG_SPLIT: 0
	.section	.text._ZN12_GLOBAL__N_120geam_min_plus_kernelIf15HIP_vector_typeIfLj2EEfLi8ELi32ELi64ELi256ELi4ELi64ELi4ELi64ELi4ELc78ELc84ELb1ELb1ELb1EfKffEEviiiT16_PT17_ilS6_ilS4_S6_ilPT18_ili26rocblas_geam_ex_operation_,"axG",@progbits,_ZN12_GLOBAL__N_120geam_min_plus_kernelIf15HIP_vector_typeIfLj2EEfLi8ELi32ELi64ELi256ELi4ELi64ELi4ELi64ELi4ELc78ELc84ELb1ELb1ELb1EfKffEEviiiT16_PT17_ilS6_ilS4_S6_ilPT18_ili26rocblas_geam_ex_operation_,comdat
	.globl	_ZN12_GLOBAL__N_120geam_min_plus_kernelIf15HIP_vector_typeIfLj2EEfLi8ELi32ELi64ELi256ELi4ELi64ELi4ELi64ELi4ELc78ELc84ELb1ELb1ELb1EfKffEEviiiT16_PT17_ilS6_ilS4_S6_ilPT18_ili26rocblas_geam_ex_operation_ ; -- Begin function _ZN12_GLOBAL__N_120geam_min_plus_kernelIf15HIP_vector_typeIfLj2EEfLi8ELi32ELi64ELi256ELi4ELi64ELi4ELi64ELi4ELc78ELc84ELb1ELb1ELb1EfKffEEviiiT16_PT17_ilS6_ilS4_S6_ilPT18_ili26rocblas_geam_ex_operation_
	.p2align	8
	.type	_ZN12_GLOBAL__N_120geam_min_plus_kernelIf15HIP_vector_typeIfLj2EEfLi8ELi32ELi64ELi256ELi4ELi64ELi4ELi64ELi4ELc78ELc84ELb1ELb1ELb1EfKffEEviiiT16_PT17_ilS6_ilS4_S6_ilPT18_ili26rocblas_geam_ex_operation_,@function
_ZN12_GLOBAL__N_120geam_min_plus_kernelIf15HIP_vector_typeIfLj2EEfLi8ELi32ELi64ELi256ELi4ELi64ELi4ELi64ELi4ELc78ELc84ELb1ELb1ELb1EfKffEEviiiT16_PT17_ilS6_ilS4_S6_ilPT18_ili26rocblas_geam_ex_operation_: ; @_ZN12_GLOBAL__N_120geam_min_plus_kernelIf15HIP_vector_typeIfLj2EEfLi8ELi32ELi64ELi256ELi4ELi64ELi4ELi64ELi4ELc78ELc84ELb1ELb1ELb1EfKffEEviiiT16_PT17_ilS6_ilS4_S6_ilPT18_ili26rocblas_geam_ex_operation_
; %bb.0:
	s_load_dwordx4 s[20:23], s[0:1], 0x0
	s_load_dwordx4 s[4:7], s[0:1], 0x20
	s_waitcnt lgkmcnt(0)
	v_cmp_eq_f32_e64 s[8:9], s23, 0
	s_and_b64 vcc, exec, s[8:9]
	s_cbranch_vccnz .LBB70_53
; %bb.1:
	s_load_dwordx2 s[10:11], s[0:1], 0x10
	s_mul_i32 s5, s5, s3
	s_mul_hi_u32 s12, s4, s3
	s_add_i32 s5, s12, s5
	s_mul_i32 s4, s4, s3
	s_lshl_b64 s[4:5], s[4:5], 2
	s_waitcnt lgkmcnt(0)
	s_add_u32 s18, s10, s4
	s_addc_u32 s19, s11, s5
	s_andn2_b64 vcc, exec, s[8:9]
	s_mov_b64 s[4:5], -1
	s_cbranch_vccnz .LBB70_3
.LBB70_2:
	s_mov_b64 s[4:5], 0
.LBB70_3:
	s_mov_b64 s[24:25], 0
	s_andn2_b64 vcc, exec, s[4:5]
	s_mov_b64 s[26:27], 0
	s_cbranch_vccnz .LBB70_5
; %bb.4:
	s_load_dwordx2 s[4:5], s[0:1], 0x38
	s_waitcnt lgkmcnt(0)
	s_mul_i32 s5, s5, s3
	s_mul_hi_u32 s8, s4, s3
	s_add_i32 s5, s8, s5
	s_mul_i32 s4, s4, s3
	s_lshl_b64 s[4:5], s[4:5], 2
	s_add_u32 s26, s6, s4
	s_addc_u32 s27, s7, s5
.LBB70_5:
	s_load_dword s33, s[0:1], 0x40
	s_load_dwordx4 s[12:15], s[0:1], 0x58
	s_waitcnt lgkmcnt(0)
	v_cmp_eq_f32_e64 s[4:5], s33, 0
	v_cmp_neq_f32_e64 s[16:17], s33, 0
	s_and_b64 vcc, exec, s[4:5]
	s_cbranch_vccnz .LBB70_7
; %bb.6:
	s_load_dwordx2 s[4:5], s[0:1], 0x48
	s_mul_i32 s6, s13, s3
	s_mul_hi_u32 s7, s12, s3
	s_add_i32 s7, s7, s6
	s_mul_i32 s6, s12, s3
	s_lshl_b64 s[6:7], s[6:7], 2
	s_waitcnt lgkmcnt(0)
	s_add_u32 s24, s4, s6
	s_addc_u32 s25, s5, s7
.LBB70_7:
	s_add_i32 s4, s20, -1
	s_ashr_i32 s5, s4, 31
	s_lshr_b32 s5, s5, 26
	s_add_i32 s4, s4, s5
	s_ashr_i32 s4, s4, 6
	s_add_i32 s5, s4, 1
	v_cvt_f32_u32_e32 v1, s5
	s_not_b32 s4, s4
	s_load_dword s28, s[0:1], 0x18
	v_and_b32_e32 v65, 0x3ff, v0
	v_rcp_iflag_f32_e32 v1, v1
	v_bfe_u32 v80, v0, 10, 10
	v_lshl_add_u32 v0, v80, 3, v65
	s_waitcnt lgkmcnt(0)
	s_ashr_i32 s29, s28, 31
	v_mul_f32_e32 v1, 0x4f7ffffe, v1
	v_cvt_u32_f32_e32 v1, v1
	v_and_b32_e32 v2, 63, v0
	v_lshrrev_b32_e32 v64, 6, v0
	v_cmp_le_i32_e64 s[10:11], s22, v64
	v_readfirstlane_b32 s6, v1
	s_mul_i32 s4, s4, s6
	s_mul_hi_u32 s4, s6, s4
	s_add_i32 s6, s6, s4
	s_mul_hi_u32 s4, s2, s6
	s_mul_i32 s6, s4, s5
	s_sub_i32 s6, s2, s6
	s_add_i32 s7, s4, 1
	s_sub_i32 s8, s6, s5
	s_cmp_ge_u32 s6, s5
	s_cselect_b32 s4, s7, s4
	s_cselect_b32 s6, s8, s6
	s_add_i32 s7, s4, 1
	s_cmp_ge_u32 s6, s5
	s_cselect_b32 s6, s7, s4
	s_mul_i32 s4, s6, s5
	s_sub_i32 s2, s2, s4
	s_lshl_b32 s2, s2, 6
	v_or_b32_e32 v56, s2, v2
	v_cmp_le_i32_e32 vcc, s20, v56
	s_nor_b64 s[8:9], vcc, s[10:11]
	v_mov_b32_e32 v3, 0x7f7fffff
	v_ashrrev_i32_e32 v57, 31, v56
	v_mov_b32_e32 v4, 0x7f7fffff
	s_and_saveexec_b64 s[4:5], s[8:9]
	s_cbranch_execz .LBB70_9
; %bb.8:
	v_mad_i64_i32 v[0:1], s[8:9], s28, v64, 0
	v_lshl_add_u64 v[0:1], v[0:1], 2, s[18:19]
	v_lshl_add_u64 v[0:1], v[56:57], 2, v[0:1]
	global_load_dword v4, v[0:1], off
.LBB70_9:
	s_or_b64 exec, exec, s[4:5]
	s_load_dword s30, s[0:1], 0x30
	s_lshl_b32 s36, s6, 8
	v_or_b32_e32 v58, s36, v2
	v_cmp_le_i32_e64 s[12:13], s21, v58
	s_nor_b64 s[6:7], s[12:13], s[10:11]
	s_waitcnt lgkmcnt(0)
	v_mad_i64_i32 v[0:1], s[4:5], v64, s30, 0
	v_lshl_add_u64 v[0:1], v[0:1], 2, s[26:27]
	v_ashrrev_i32_e32 v59, 31, v58
	s_and_saveexec_b64 s[4:5], s[6:7]
	s_cbranch_execz .LBB70_11
; %bb.10:
	v_lshl_add_u64 v[6:7], v[58:59], 2, v[0:1]
	global_load_dword v3, v[6:7], off
.LBB70_11:
	s_or_b64 exec, exec, s[4:5]
	v_or_b32_e32 v5, 64, v58
	v_cmp_le_i32_e64 s[4:5], s21, v5
	s_nor_b64 s[8:9], s[4:5], s[10:11]
	v_mov_b32_e32 v5, 0x7f7fffff
	v_mov_b32_e32 v6, 0x7f7fffff
	s_and_saveexec_b64 s[6:7], s[8:9]
	s_cbranch_execz .LBB70_13
; %bb.12:
	v_lshl_add_u64 v[6:7], v[58:59], 2, v[0:1]
	global_load_dword v6, v[6:7], off offset:256
.LBB70_13:
	s_or_b64 exec, exec, s[6:7]
	v_or_b32_e32 v7, 0x80, v58
	v_cmp_le_i32_e64 s[6:7], s21, v7
	s_ashr_i32 s31, s30, 31
	s_nor_b64 s[34:35], s[6:7], s[10:11]
	s_and_saveexec_b64 s[8:9], s[34:35]
	s_cbranch_execz .LBB70_15
; %bb.14:
	v_lshl_add_u64 v[8:9], v[58:59], 2, v[0:1]
	global_load_dword v5, v[8:9], off offset:512
.LBB70_15:
	s_or_b64 exec, exec, s[8:9]
	v_or_b32_e32 v7, 0xc0, v58
	v_cmp_le_i32_e64 s[8:9], s21, v7
	s_nor_b64 s[34:35], s[8:9], s[10:11]
	v_mov_b32_e32 v60, 0x7f7fffff
	v_mov_b32_e32 v7, 0x7f7fffff
	s_and_saveexec_b64 s[10:11], s[34:35]
	s_cbranch_execz .LBB70_17
; %bb.16:
	v_lshl_add_u64 v[0:1], v[58:59], 2, v[0:1]
	global_load_dword v7, v[0:1], off offset:768
.LBB70_17:
	s_or_b64 exec, exec, s[10:11]
	v_add_u32_e32 v0, 4, v64
	v_cmp_le_i32_e64 s[10:11], s22, v0
	s_nor_b64 s[38:39], vcc, s[10:11]
	s_and_saveexec_b64 s[34:35], s[38:39]
	s_cbranch_execz .LBB70_19
; %bb.18:
	v_mad_u64_u32 v[8:9], s[38:39], s28, v0, 0
	v_mov_b32_e32 v10, v9
	v_mad_u64_u32 v[10:11], s[38:39], s29, v0, v[10:11]
	v_mov_b32_e32 v9, v10
	v_lshl_add_u64 v[8:9], v[8:9], 2, s[18:19]
	v_lshl_add_u64 v[8:9], v[56:57], 2, v[8:9]
	global_load_dword v60, v[8:9], off
.LBB70_19:
	s_or_b64 exec, exec, s[34:35]
	v_mad_u64_u32 v[8:9], s[34:35], v0, s30, 0
	v_mov_b32_e32 v10, v9
	v_mad_u64_u32 v[0:1], s[34:35], v0, s31, v[10:11]
	v_mov_b32_e32 v9, v0
	v_lshl_add_u64 v[0:1], v[8:9], 2, s[26:27]
	s_nor_b64 s[38:39], s[12:13], s[10:11]
	v_mov_b32_e32 v61, 0x7f7fffff
	v_mov_b32_e32 v62, 0x7f7fffff
	s_and_saveexec_b64 s[34:35], s[38:39]
	s_cbranch_execz .LBB70_21
; %bb.20:
	v_lshl_add_u64 v[8:9], v[58:59], 2, v[0:1]
	global_load_dword v62, v[8:9], off
.LBB70_21:
	s_or_b64 exec, exec, s[34:35]
	s_nor_b64 s[38:39], s[4:5], s[10:11]
	s_and_saveexec_b64 s[34:35], s[38:39]
	s_cbranch_execz .LBB70_23
; %bb.22:
	v_lshl_add_u64 v[8:9], v[58:59], 2, v[0:1]
	global_load_dword v61, v[8:9], off offset:256
.LBB70_23:
	s_or_b64 exec, exec, s[34:35]
	s_nor_b64 s[38:39], s[6:7], s[10:11]
	v_mov_b32_e32 v63, 0x7f7fffff
	v_mov_b32_e32 v66, 0x7f7fffff
	s_and_saveexec_b64 s[34:35], s[38:39]
	s_cbranch_execz .LBB70_25
; %bb.24:
	v_lshl_add_u64 v[8:9], v[58:59], 2, v[0:1]
	global_load_dword v66, v[8:9], off offset:512
.LBB70_25:
	s_or_b64 exec, exec, s[34:35]
	s_nor_b64 s[34:35], s[8:9], s[10:11]
	s_and_saveexec_b64 s[10:11], s[34:35]
	s_cbranch_execz .LBB70_27
; %bb.26:
	v_lshl_add_u64 v[0:1], v[58:59], 2, v[0:1]
	global_load_dword v63, v[0:1], off offset:768
.LBB70_27:
	s_or_b64 exec, exec, s[10:11]
	v_lshlrev_b32_e32 v0, 4, v2
	v_lshl_add_u32 v83, v64, 2, v0
	v_lshlrev_b32_e32 v82, 4, v65
	s_waitcnt vmcnt(0)
	ds_write_b32 v83, v4 offset:8192
	ds_write2st64_b32 v83, v3, v6 offset1:4
	ds_write2st64_b32 v83, v5, v7 offset0:8 offset1:12
	s_waitcnt lgkmcnt(0)
	s_barrier
	v_lshlrev_b32_e32 v81, 4, v80
	ds_read_b128 v[28:31], v82 offset:8192
	ds_read_b128 v[24:27], v82 offset:8320
	;; [unrolled: 1-line block ×8, first 2 shown]
	ds_read_b128 v[52:55], v81
	ds_read_b128 v[48:51], v81 offset:512
	ds_read_b128 v[44:47], v81 offset:1024
	;; [unrolled: 1-line block ×5, first 2 shown]
	s_waitcnt lgkmcnt(5)
	v_pk_add_f32 v[68:69], v[28:29], v[52:53]
	s_mov_b32 s10, 0x7f7fffff
	v_min3_f32 v67, v68, v69, s10
	v_pk_add_f32 v[68:69], v[24:25], v[52:53]
	s_cmp_lt_i32 s22, 9
	v_min3_f32 v70, v68, v69, s10
	v_pk_add_f32 v[68:69], v[20:21], v[52:53]
	s_nop 0
	v_min3_f32 v71, v68, v69, s10
	v_pk_add_f32 v[68:69], v[16:17], v[52:53]
	s_nop 0
	v_min3_f32 v72, v68, v69, s10
	v_pk_add_f32 v[68:69], v[12:13], v[52:53]
	s_nop 0
	v_min3_f32 v73, v68, v69, s10
	v_pk_add_f32 v[68:69], v[8:9], v[52:53]
	s_nop 0
	v_min3_f32 v74, v68, v69, s10
	v_pk_add_f32 v[68:69], v[4:5], v[52:53]
	v_pk_add_f32 v[52:53], v[0:1], v[52:53]
	v_min3_f32 v68, v68, v69, s10
	v_min3_f32 v69, v52, v53, s10
	s_waitcnt lgkmcnt(4)
	v_pk_add_f32 v[52:53], v[28:29], v[48:49]
	s_nop 0
	v_min3_f32 v75, v52, v53, s10
	v_pk_add_f32 v[52:53], v[24:25], v[48:49]
	s_nop 0
	v_min3_f32 v76, v52, v53, s10
	v_pk_add_f32 v[52:53], v[20:21], v[48:49]
	s_nop 0
	v_min3_f32 v77, v52, v53, s10
	v_pk_add_f32 v[52:53], v[16:17], v[48:49]
	s_nop 0
	v_min3_f32 v78, v52, v53, s10
	v_pk_add_f32 v[52:53], v[12:13], v[48:49]
	s_nop 0
	v_min3_f32 v79, v52, v53, s10
	v_pk_add_f32 v[52:53], v[8:9], v[48:49]
	s_nop 0
	v_min3_f32 v84, v52, v53, s10
	v_pk_add_f32 v[52:53], v[4:5], v[48:49]
	v_pk_add_f32 v[48:49], v[0:1], v[48:49]
	v_min3_f32 v85, v52, v53, s10
	v_min3_f32 v86, v48, v49, s10
	s_waitcnt lgkmcnt(3)
	v_pk_add_f32 v[48:49], v[28:29], v[44:45]
	s_nop 0
	v_min3_f32 v87, v48, v49, s10
	v_pk_add_f32 v[48:49], v[24:25], v[44:45]
	s_nop 0
	;; [unrolled: 23-line block ×5, first 2 shown]
	v_min3_f32 v106, v36, v37, s10
	v_pk_add_f32 v[36:37], v[20:21], v[32:33]
	s_nop 0
	v_min3_f32 v123, v36, v37, s10
	v_pk_add_f32 v[36:37], v[16:17], v[32:33]
	s_nop 0
	;; [unrolled: 3-line block ×4, first 2 shown]
	v_min3_f32 v151, v36, v37, s10
	v_pk_add_f32 v[36:37], v[4:5], v[32:33]
	v_pk_add_f32 v[32:33], v[0:1], v[32:33]
	v_min3_f32 v152, v36, v37, s10
	v_pk_add_f32 v[36:37], v[30:31], v[54:55]
	s_nop 0
	v_min3_f32 v148, v36, v37, v67
	v_pk_add_f32 v[36:37], v[26:27], v[54:55]
	v_min3_f32 v67, v32, v33, s10
	v_min3_f32 v147, v36, v37, v70
	v_pk_add_f32 v[36:37], v[22:23], v[54:55]
	s_nop 0
	v_min3_f32 v146, v36, v37, v71
	v_pk_add_f32 v[36:37], v[18:19], v[54:55]
	s_nop 0
	;; [unrolled: 3-line block ×5, first 2 shown]
	v_min3_f32 v142, v36, v37, v68
	v_pk_add_f32 v[36:37], v[2:3], v[54:55]
	ds_read_b128 v[52:55], v81 offset:3072
	v_min3_f32 v141, v36, v37, v69
	ds_read_b128 v[68:71], v81 offset:3584
	v_pk_add_f32 v[36:37], v[30:31], v[50:51]
	ds_write_b32 v83, v60 offset:9216
	ds_write2st64_b32 v83, v62, v61 offset0:16 offset1:20
	ds_write2st64_b32 v83, v66, v63 offset0:24 offset1:28
	s_waitcnt lgkmcnt(4)
	v_pk_add_f32 v[32:33], v[28:29], v[52:53]
	v_min3_f32 v140, v36, v37, v75
	v_min3_f32 v72, v32, v33, s10
	v_pk_add_f32 v[32:33], v[2:3], v[50:51]
	v_pk_add_f32 v[36:37], v[26:27], v[50:51]
	v_min3_f32 v135, v32, v33, v86
	v_pk_add_f32 v[32:33], v[30:31], v[46:47]
	v_min3_f32 v139, v36, v37, v76
	v_min3_f32 v133, v32, v33, v87
	v_pk_add_f32 v[32:33], v[26:27], v[46:47]
	v_pk_add_f32 v[36:37], v[22:23], v[50:51]
	v_min3_f32 v131, v32, v33, v88
	;; [unrolled: 6-line block ×10, first 2 shown]
	v_pk_add_f32 v[32:33], v[30:31], v[38:39]
	s_waitcnt lgkmcnt(3)
	v_pk_add_f32 v[8:9], v[8:9], v[68:69]
	v_pk_add_f32 v[4:5], v[4:5], v[68:69]
	v_min3_f32 v115, v32, v33, v99
	v_pk_add_f32 v[32:33], v[26:27], v[38:39]
	v_min3_f32 v8, v8, v9, s10
	v_min3_f32 v9, v4, v5, s10
	v_pk_add_f32 v[4:5], v[30:31], v[54:55]
	v_min3_f32 v114, v32, v33, v100
	v_pk_add_f32 v[32:33], v[22:23], v[38:39]
	;; [unrolled: 2-line block ×11, first 2 shown]
	v_min3_f32 v36, v36, v37, s10
	v_min3_f32 v109, v32, v33, v40
	v_pk_add_f32 v[32:33], v[0:1], v[52:53]
	v_min3_f32 v94, v4, v5, v46
	v_pk_add_f32 v[4:5], v[6:7], v[54:55]
	v_pk_add_f32 v[0:1], v[0:1], v[68:69]
	v_min3_f32 v32, v32, v33, s10
	v_pk_add_f32 v[28:29], v[28:29], v[68:69]
	v_min3_f32 v93, v4, v5, v36
	v_min3_f32 v4, v0, v1, s10
	v_pk_add_f32 v[0:1], v[2:3], v[54:55]
	v_min3_f32 v33, v28, v29, s10
	v_pk_add_f32 v[24:25], v[24:25], v[68:69]
	v_pk_add_f32 v[20:21], v[20:21], v[68:69]
	v_min3_f32 v92, v0, v1, v32
	v_pk_add_f32 v[0:1], v[30:31], v[70:71]
	v_min3_f32 v24, v24, v25, s10
	v_min3_f32 v25, v20, v21, s10
	v_pk_add_f32 v[20:21], v[30:31], v[34:35]
	v_min3_f32 v91, v0, v1, v33
	v_pk_add_f32 v[0:1], v[26:27], v[70:71]
	;; [unrolled: 2-line block ×3, first 2 shown]
	v_pk_add_f32 v[16:17], v[16:17], v[68:69]
	v_min3_f32 v90, v0, v1, v24
	v_pk_add_f32 v[0:1], v[22:23], v[70:71]
	v_min3_f32 v106, v20, v21, v106
	;; [unrolled: 2-line block ×6, first 2 shown]
	v_min3_f32 v87, v0, v1, v16
	v_pk_add_f32 v[0:1], v[14:15], v[70:71]
	v_min3_f32 v104, v20, v21, v149
	v_pk_add_f32 v[20:21], v[14:15], v[34:35]
	;; [unrolled: 2-line block ×5, first 2 shown]
	v_pk_add_f32 v[28:29], v[2:3], v[38:39]
	v_min3_f32 v102, v20, v21, v151
	v_pk_add_f32 v[20:21], v[6:7], v[34:35]
	v_pk_add_f32 v[12:13], v[2:3], v[34:35]
	v_min3_f32 v84, v0, v1, v9
	v_pk_add_f32 v[0:1], v[2:3], v[70:71]
	v_min3_f32 v108, v28, v29, v41
	v_min3_f32 v101, v20, v21, v152
	;; [unrolled: 1-line block ×4, first 2 shown]
	s_waitcnt lgkmcnt(0)
	s_barrier
	s_cbranch_scc1 .LBB70_50
; %bb.28:
	v_mov_b32_e32 v0, 0x2400
	v_lshl_add_u32 v152, v65, 4, v0
	v_mov_b32_e32 v0, 0x1000
	v_add_u32_e32 v2, 8, v64
	v_lshl_add_u32 v153, v80, 4, v0
	v_mad_i64_i32 v[0:1], s[10:11], v2, s28, 0
	v_lshlrev_b64 v[68:69], 2, v[0:1]
	v_mad_i64_i32 v[0:1], s[10:11], v2, s30, 0
	v_add_u32_e32 v2, 12, v64
	v_lshl_add_u64 v[72:73], v[0:1], 2, s[26:27]
	v_mad_i64_i32 v[0:1], s[10:11], v2, s30, 0
	v_lshl_add_u64 v[74:75], v[0:1], 2, s[26:27]
	v_mad_i64_i32 v[0:1], s[10:11], v2, s28, 0
	v_or_b32_e32 v123, 0x2000, v83
	v_add_u32_e32 v149, 0x2000, v82
	v_add_u32_e32 v150, 0x2400, v83
	v_or_b32_e32 v151, 0x1000, v83
	s_add_i32 s23, s22, -8
	v_lshl_add_u64 v[66:67], v[56:57], 2, s[18:19]
	s_lshl_b64 s[18:19], s[28:29], 5
	v_lshlrev_b64 v[70:71], 2, v[58:59]
	s_lshl_b64 s[34:35], s[30:31], 5
	v_lshlrev_b64 v[76:77], 2, v[0:1]
	s_mov_b32 s28, 0
	s_branch .LBB70_30
.LBB70_29:                              ;   in Loop: Header=BB70_30 Depth=1
	s_or_b64 exec, exec, s[10:11]
	v_pk_add_f32 v[78:79], v[28:29], v[60:61]
	s_add_i32 s28, s28, 8
	v_min3_f32 v148, v78, v79, v148
	v_pk_add_f32 v[78:79], v[24:25], v[60:61]
	v_lshl_add_u64 v[66:67], v[66:67], 0, s[18:19]
	v_min3_f32 v147, v78, v79, v147
	v_pk_add_f32 v[78:79], v[20:21], v[60:61]
	v_lshl_add_u64 v[72:73], v[72:73], 0, s[34:35]
	v_min3_f32 v146, v78, v79, v146
	v_pk_add_f32 v[78:79], v[16:17], v[60:61]
	s_cmp_ge_i32 s28, s23
	v_min3_f32 v145, v78, v79, v145
	v_pk_add_f32 v[78:79], v[12:13], v[60:61]
	v_lshl_add_u64 v[74:75], v[74:75], 0, s[34:35]
	v_min3_f32 v144, v78, v79, v144
	v_pk_add_f32 v[78:79], v[8:9], v[60:61]
	s_nop 0
	v_min3_f32 v143, v78, v79, v143
	v_pk_add_f32 v[78:79], v[4:5], v[60:61]
	v_pk_add_f32 v[60:61], v[0:1], v[60:61]
	v_min3_f32 v78, v78, v79, v142
	v_min3_f32 v79, v60, v61, v141
	v_pk_add_f32 v[60:61], v[28:29], v[56:57]
	s_nop 0
	v_min3_f32 v140, v60, v61, v140
	v_pk_add_f32 v[60:61], v[24:25], v[56:57]
	s_nop 0
	v_min3_f32 v139, v60, v61, v139
	v_pk_add_f32 v[60:61], v[20:21], v[56:57]
	s_nop 0
	v_min3_f32 v138, v60, v61, v138
	v_pk_add_f32 v[60:61], v[16:17], v[56:57]
	s_nop 0
	v_min3_f32 v137, v60, v61, v137
	v_pk_add_f32 v[60:61], v[12:13], v[56:57]
	s_nop 0
	v_min3_f32 v136, v60, v61, v136
	v_pk_add_f32 v[60:61], v[8:9], v[56:57]
	s_nop 0
	v_min3_f32 v134, v60, v61, v134
	v_pk_add_f32 v[60:61], v[4:5], v[56:57]
	v_pk_add_f32 v[56:57], v[0:1], v[56:57]
	v_min3_f32 v60, v60, v61, v132
	v_min3_f32 v61, v56, v57, v135
	v_pk_add_f32 v[56:57], v[28:29], v[52:53]
	s_nop 0
	v_min3_f32 v132, v56, v57, v133
	v_pk_add_f32 v[56:57], v[24:25], v[52:53]
	s_nop 0
	v_min3_f32 v131, v56, v57, v131
	v_pk_add_f32 v[56:57], v[20:21], v[52:53]
	s_nop 0
	v_min3_f32 v130, v56, v57, v130
	v_pk_add_f32 v[56:57], v[16:17], v[52:53]
	s_nop 0
	v_min3_f32 v129, v56, v57, v129
	v_pk_add_f32 v[56:57], v[12:13], v[52:53]
	s_nop 0
	;; [unrolled: 22-line block ×5, first 2 shown]
	v_min3_f32 v103, v44, v45, v103
	v_pk_add_f32 v[44:45], v[8:9], v[40:41]
	s_nop 0
	v_min3_f32 v102, v44, v45, v102
	v_pk_add_f32 v[44:45], v[4:5], v[40:41]
	v_pk_add_f32 v[40:41], v[0:1], v[40:41]
	v_min3_f32 v44, v44, v45, v101
	v_min3_f32 v45, v40, v41, v100
	v_pk_add_f32 v[40:41], v[28:29], v[36:37]
	v_pk_add_f32 v[28:29], v[28:29], v[32:33]
	v_min3_f32 v99, v40, v41, v99
	v_pk_add_f32 v[40:41], v[24:25], v[36:37]
	v_pk_add_f32 v[24:25], v[24:25], v[32:33]
	;; [unrolled: 3-line block ×7, first 2 shown]
	v_pk_add_f32 v[4:5], v[4:5], v[32:33]
	v_pk_add_f32 v[0:1], v[0:1], v[32:33]
	v_min3_f32 v4, v4, v5, v84
	v_min3_f32 v5, v0, v1, v88
	v_pk_add_f32 v[0:1], v[30:31], v[62:63]
	v_min3_f32 v8, v8, v9, v85
	v_min3_f32 v84, v0, v1, v148
	;; [unrolled: 3-line block ×9, first 2 shown]
	v_pk_add_f32 v[0:1], v[30:31], v[58:59]
	s_nop 0
	v_min3_f32 v92, v0, v1, v140
	v_pk_add_f32 v[0:1], v[26:27], v[58:59]
	s_nop 0
	v_min3_f32 v93, v0, v1, v139
	;; [unrolled: 3-line block ×56, first 2 shown]
	ds_read_b128 v[0:3], v149
	ds_read_b128 v[4:7], v149 offset:128
	ds_read_b128 v[8:11], v149 offset:256
	;; [unrolled: 1-line block ×7, first 2 shown]
	ds_read_b128 v[36:39], v81
	ds_read_b128 v[40:43], v81 offset:512
	ds_read_b128 v[44:47], v81 offset:1024
	;; [unrolled: 1-line block ×7, first 2 shown]
	s_waitcnt lgkmcnt(7)
	v_pk_add_f32 v[78:79], v[0:1], v[36:37]
	s_waitcnt vmcnt(0)
	ds_write_b32 v150, v154
	ds_write2st64_b32 v151, v156, v155 offset1:4
	ds_write2st64_b32 v151, v158, v157 offset0:8 offset1:12
	v_min3_f32 v84, v78, v79, v84
	v_pk_add_f32 v[78:79], v[4:5], v[36:37]
	s_waitcnt lgkmcnt(0)
	v_min3_f32 v85, v78, v79, v85
	v_pk_add_f32 v[78:79], v[8:9], v[36:37]
	s_barrier
	v_min3_f32 v86, v78, v79, v86
	v_pk_add_f32 v[78:79], v[12:13], v[36:37]
	s_nop 0
	v_min3_f32 v87, v78, v79, v87
	v_pk_add_f32 v[78:79], v[16:17], v[36:37]
	s_nop 0
	;; [unrolled: 3-line block ×3, first 2 shown]
	v_min3_f32 v89, v78, v79, v89
	v_pk_add_f32 v[78:79], v[24:25], v[36:37]
	v_pk_add_f32 v[36:37], v[28:29], v[36:37]
	v_min3_f32 v78, v78, v79, v90
	v_min3_f32 v79, v36, v37, v91
	v_pk_add_f32 v[36:37], v[0:1], v[40:41]
	s_nop 0
	v_min3_f32 v90, v36, v37, v92
	v_pk_add_f32 v[36:37], v[4:5], v[40:41]
	s_nop 0
	;; [unrolled: 3-line block ×40, first 2 shown]
	v_min3_f32 v56, v36, v37, v138
	v_pk_add_f32 v[36:37], v[0:1], v[60:61]
	v_pk_add_f32 v[0:1], v[0:1], v[32:33]
	v_min3_f32 v57, v36, v37, v99
	v_pk_add_f32 v[36:37], v[4:5], v[60:61]
	s_nop 0
	v_min3_f32 v98, v36, v37, v98
	v_pk_add_f32 v[36:37], v[8:9], v[60:61]
	s_nop 0
	;; [unrolled: 3-line block ×7, first 2 shown]
	v_min3_f32 v36, v36, v37, v140
	v_min3_f32 v37, v0, v1, v141
	v_pk_add_f32 v[0:1], v[4:5], v[32:33]
	s_nop 0
	v_min3_f32 v4, v0, v1, v142
	v_pk_add_f32 v[0:1], v[8:9], v[32:33]
	s_nop 0
	;; [unrolled: 3-line block ×71, first 2 shown]
	v_min3_f32 v88, v0, v1, v16
	s_cbranch_scc1 .LBB70_50
.LBB70_30:                              ; =>This Inner Loop Header: Depth=1
	v_add_u32_e32 v78, s28, v64
	v_add_u32_e32 v0, 8, v78
	v_cmp_le_i32_e64 s[10:11], s22, v0
	s_nor_b64 s[30:31], vcc, s[10:11]
	v_mov_b32_e32 v79, 0x7f7fffff
	v_mov_b32_e32 v155, 0x7f7fffff
	s_and_saveexec_b64 s[26:27], s[30:31]
	s_cbranch_execz .LBB70_32
; %bb.31:                               ;   in Loop: Header=BB70_30 Depth=1
	v_lshl_add_u64 v[0:1], v[66:67], 0, v[68:69]
	global_load_dword v155, v[0:1], off
.LBB70_32:                              ;   in Loop: Header=BB70_30 Depth=1
	s_or_b64 exec, exec, s[26:27]
	s_nor_b64 s[30:31], s[12:13], s[10:11]
	v_lshl_add_u64 v[0:1], v[72:73], 0, v[70:71]
	s_and_saveexec_b64 s[26:27], s[30:31]
	s_cbranch_execz .LBB70_34
; %bb.33:                               ;   in Loop: Header=BB70_30 Depth=1
	global_load_dword v79, v[0:1], off
.LBB70_34:                              ;   in Loop: Header=BB70_30 Depth=1
	s_or_b64 exec, exec, s[26:27]
	s_nor_b64 s[30:31], s[4:5], s[10:11]
	v_mov_b32_e32 v156, 0x7f7fffff
	v_mov_b32_e32 v157, 0x7f7fffff
	s_and_saveexec_b64 s[26:27], s[30:31]
	s_cbranch_execz .LBB70_36
; %bb.35:                               ;   in Loop: Header=BB70_30 Depth=1
	global_load_dword v157, v[0:1], off offset:256
.LBB70_36:                              ;   in Loop: Header=BB70_30 Depth=1
	s_or_b64 exec, exec, s[26:27]
	s_nor_b64 s[30:31], s[6:7], s[10:11]
	s_and_saveexec_b64 s[26:27], s[30:31]
	s_cbranch_execz .LBB70_38
; %bb.37:                               ;   in Loop: Header=BB70_30 Depth=1
	global_load_dword v156, v[0:1], off offset:512
.LBB70_38:                              ;   in Loop: Header=BB70_30 Depth=1
	s_or_b64 exec, exec, s[26:27]
	s_nor_b64 s[26:27], s[8:9], s[10:11]
	v_mov_b32_e32 v154, 0x7f7fffff
	v_mov_b32_e32 v158, 0x7f7fffff
	s_and_saveexec_b64 s[10:11], s[26:27]
	s_cbranch_execz .LBB70_40
; %bb.39:                               ;   in Loop: Header=BB70_30 Depth=1
	global_load_dword v158, v[0:1], off offset:768
.LBB70_40:                              ;   in Loop: Header=BB70_30 Depth=1
	s_or_b64 exec, exec, s[10:11]
	ds_read_b128 v[28:31], v152
	ds_read_b128 v[24:27], v152 offset:128
	ds_read_b128 v[20:23], v152 offset:256
	;; [unrolled: 1-line block ×7, first 2 shown]
	ds_read_b128 v[60:63], v153
	ds_read_b128 v[56:59], v153 offset:512
	ds_read_b128 v[52:55], v153 offset:1024
	;; [unrolled: 1-line block ×7, first 2 shown]
	v_add_u32_e32 v78, 12, v78
	v_cmp_le_i32_e64 s[10:11], s22, v78
	s_nor_b64 s[30:31], vcc, s[10:11]
	s_waitcnt vmcnt(0)
	ds_write_b32 v123, v155
	ds_write2st64_b32 v83, v79, v157 offset1:4
	ds_write2st64_b32 v83, v156, v158 offset0:8 offset1:12
	s_waitcnt lgkmcnt(0)
	s_barrier
	s_and_saveexec_b64 s[26:27], s[30:31]
	s_cbranch_execz .LBB70_42
; %bb.41:                               ;   in Loop: Header=BB70_30 Depth=1
	v_lshl_add_u64 v[78:79], v[66:67], 0, v[76:77]
	global_load_dword v154, v[78:79], off
.LBB70_42:                              ;   in Loop: Header=BB70_30 Depth=1
	s_or_b64 exec, exec, s[26:27]
	s_nor_b64 s[30:31], s[12:13], s[10:11]
	v_mov_b32_e32 v155, 0x7f7fffff
	v_lshl_add_u64 v[78:79], v[74:75], 0, v[70:71]
	v_mov_b32_e32 v156, 0x7f7fffff
	s_and_saveexec_b64 s[26:27], s[30:31]
	s_cbranch_execz .LBB70_44
; %bb.43:                               ;   in Loop: Header=BB70_30 Depth=1
	global_load_dword v156, v[78:79], off
.LBB70_44:                              ;   in Loop: Header=BB70_30 Depth=1
	s_or_b64 exec, exec, s[26:27]
	s_nor_b64 s[30:31], s[4:5], s[10:11]
	s_and_saveexec_b64 s[26:27], s[30:31]
	s_cbranch_execz .LBB70_46
; %bb.45:                               ;   in Loop: Header=BB70_30 Depth=1
	global_load_dword v155, v[78:79], off offset:256
.LBB70_46:                              ;   in Loop: Header=BB70_30 Depth=1
	s_or_b64 exec, exec, s[26:27]
	s_nor_b64 s[30:31], s[6:7], s[10:11]
	v_mov_b32_e32 v157, 0x7f7fffff
	v_mov_b32_e32 v158, 0x7f7fffff
	s_and_saveexec_b64 s[26:27], s[30:31]
	s_cbranch_execz .LBB70_48
; %bb.47:                               ;   in Loop: Header=BB70_30 Depth=1
	global_load_dword v158, v[78:79], off offset:512
.LBB70_48:                              ;   in Loop: Header=BB70_30 Depth=1
	s_or_b64 exec, exec, s[26:27]
	s_nor_b64 s[26:27], s[8:9], s[10:11]
	s_and_saveexec_b64 s[10:11], s[26:27]
	s_cbranch_execz .LBB70_29
; %bb.49:                               ;   in Loop: Header=BB70_30 Depth=1
	global_load_dword v157, v[78:79], off offset:768
	s_branch .LBB70_29
.LBB70_50:
	s_load_dwordx2 s[4:5], s[0:1], 0x70
	s_load_dword s29, s[0:1], 0x50
	s_load_dword s28, s[0:1], 0x68
	ds_read_b128 v[32:35], v82 offset:9216
	ds_read_b128 v[28:31], v82 offset:9344
	;; [unrolled: 1-line block ×16, first 2 shown]
	v_add_u32_e32 v123, s36, v80
	s_waitcnt lgkmcnt(0)
	s_mul_i32 s1, s5, s3
	s_mul_hi_u32 s5, s4, s3
	s_mul_i32 s0, s4, s3
	s_add_i32 s1, s5, s1
	s_lshl_b64 s[0:1], s[0:1], 2
	s_add_u32 s22, s14, s0
	s_addc_u32 s23, s15, s1
	v_mad_i64_i32 v[66:67], s[0:1], v123, s29, 0
	v_add_u32_e32 v64, s2, v65
	v_lshl_add_u64 v[82:83], v[66:67], 2, s[24:25]
	v_mad_i64_i32 v[66:67], s[0:1], v123, s28, 0
	v_cmp_gt_i32_e64 s[18:19], s21, v123
	v_lshl_add_u64 v[80:81], v[66:67], 2, s[22:23]
	v_cmp_gt_i32_e64 s[2:3], s20, v64
	v_cndmask_b32_e64 v66, 0, 1, s[16:17]
	s_and_b64 s[6:7], s[2:3], s[18:19]
	v_ashrrev_i32_e32 v65, 31, v64
	v_cmp_ne_u32_e64 s[0:1], 1, v66
	s_and_saveexec_b64 s[4:5], s[6:7]
	s_cbranch_execz .LBB70_56
; %bb.51:
	s_and_b64 vcc, exec, s[0:1]
	s_cbranch_vccnz .LBB70_54
; %bb.52:
	v_lshl_add_u64 v[66:67], v[64:65], 2, v[82:83]
	global_load_dword v66, v[66:67], off
	s_waitcnt vmcnt(0)
	v_mul_f32_e32 v66, s33, v66
	s_branch .LBB70_55
.LBB70_53:
	s_mov_b64 s[18:19], 0
	s_andn2_b64 vcc, exec, s[8:9]
	s_mov_b64 s[4:5], -1
	s_cbranch_vccz .LBB70_2
	s_branch .LBB70_3
.LBB70_54:
	v_mov_b32_e32 v66, 0
.LBB70_55:
	v_pk_add_f32 v[68:69], v[32:33], v[60:61]
	s_nop 0
	v_min3_f32 v67, v68, v69, v148
	v_pk_add_f32 v[68:69], v[34:35], v[62:63]
	s_nop 0
	v_min_f32_e32 v68, v68, v69
	v_min3_f32 v68, v66, v68, v67
	v_lshl_add_u64 v[66:67], v[64:65], 2, v[80:81]
	global_store_dword v[66:67], v68, off
.LBB70_56:
	s_or_b64 exec, exec, s[4:5]
	v_add_u32_e32 v66, 8, v64
	v_cmp_gt_i32_e64 s[4:5], s20, v66
	s_and_b64 s[8:9], s[4:5], s[18:19]
	v_ashrrev_i32_e32 v67, 31, v66
	s_and_saveexec_b64 s[6:7], s[8:9]
	s_cbranch_execz .LBB70_61
; %bb.57:
	s_and_b64 vcc, exec, s[0:1]
	s_cbranch_vccnz .LBB70_59
; %bb.58:
	v_lshl_add_u64 v[68:69], v[66:67], 2, v[82:83]
	global_load_dword v68, v[68:69], off
	s_waitcnt vmcnt(0)
	v_mul_f32_e32 v68, s33, v68
	s_branch .LBB70_60
.LBB70_59:
	v_mov_b32_e32 v68, 0
.LBB70_60:
	v_pk_add_f32 v[70:71], v[28:29], v[60:61]
	s_nop 0
	v_min3_f32 v69, v70, v71, v147
	v_pk_add_f32 v[70:71], v[30:31], v[62:63]
	s_nop 0
	v_min_f32_e32 v70, v70, v71
	v_min3_f32 v70, v68, v70, v69
	v_lshl_add_u64 v[68:69], v[66:67], 2, v[80:81]
	global_store_dword v[68:69], v70, off
.LBB70_61:
	s_or_b64 exec, exec, s[6:7]
	v_add_u32_e32 v68, 16, v64
	v_cmp_gt_i32_e64 s[6:7], s20, v68
	s_and_b64 s[10:11], s[6:7], s[18:19]
	v_ashrrev_i32_e32 v69, 31, v68
	s_and_saveexec_b64 s[8:9], s[10:11]
	s_cbranch_execz .LBB70_66
; %bb.62:
	s_and_b64 vcc, exec, s[0:1]
	s_cbranch_vccnz .LBB70_64
; %bb.63:
	v_lshl_add_u64 v[70:71], v[68:69], 2, v[82:83]
	global_load_dword v70, v[70:71], off
	s_waitcnt vmcnt(0)
	v_mul_f32_e32 v70, s33, v70
	s_branch .LBB70_65
.LBB70_64:
	v_mov_b32_e32 v70, 0
.LBB70_65:
	v_pk_add_f32 v[72:73], v[24:25], v[60:61]
	s_nop 0
	v_min3_f32 v71, v72, v73, v146
	v_pk_add_f32 v[72:73], v[26:27], v[62:63]
	s_nop 0
	v_min_f32_e32 v72, v72, v73
	v_min3_f32 v72, v70, v72, v71
	v_lshl_add_u64 v[70:71], v[68:69], 2, v[80:81]
	global_store_dword v[70:71], v72, off
.LBB70_66:
	;; [unrolled: 29-line block ×7, first 2 shown]
	s_or_b64 exec, exec, s[18:19]
	v_add_u32_e32 v80, 32, v123
	v_mad_i64_i32 v[60:61], s[26:27], v80, s29, 0
	v_cmp_gt_i32_e64 s[18:19], s21, v80
	v_lshl_add_u64 v[62:63], v[60:61], 2, s[24:25]
	v_mad_i64_i32 v[60:61], s[26:27], v80, s28, 0
	v_lshl_add_u64 v[60:61], v[60:61], 2, s[22:23]
	s_and_b64 s[30:31], s[2:3], s[18:19]
	s_and_saveexec_b64 s[26:27], s[30:31]
	s_cbranch_execnz .LBB70_99
; %bb.92:
	s_or_b64 exec, exec, s[26:27]
	s_and_b64 s[30:31], s[4:5], s[18:19]
	s_and_saveexec_b64 s[26:27], s[30:31]
	s_cbranch_execnz .LBB70_103
.LBB70_93:
	s_or_b64 exec, exec, s[26:27]
	s_and_b64 s[30:31], s[6:7], s[18:19]
	s_and_saveexec_b64 s[26:27], s[30:31]
	s_cbranch_execnz .LBB70_107
.LBB70_94:
	s_or_b64 exec, exec, s[26:27]
	s_and_b64 s[30:31], s[8:9], s[18:19]
	s_and_saveexec_b64 s[26:27], s[30:31]
	s_cbranch_execnz .LBB70_111
.LBB70_95:
	s_or_b64 exec, exec, s[26:27]
	s_and_b64 s[30:31], s[10:11], s[18:19]
	s_and_saveexec_b64 s[26:27], s[30:31]
	s_cbranch_execnz .LBB70_115
.LBB70_96:
	s_or_b64 exec, exec, s[26:27]
	s_and_b64 s[30:31], s[12:13], s[18:19]
	s_and_saveexec_b64 s[26:27], s[30:31]
	s_cbranch_execnz .LBB70_119
.LBB70_97:
	s_or_b64 exec, exec, s[26:27]
	s_and_b64 s[30:31], s[14:15], s[18:19]
	s_and_saveexec_b64 s[26:27], s[30:31]
	s_cbranch_execnz .LBB70_123
.LBB70_98:
	s_or_b64 exec, exec, s[26:27]
	s_and_b64 s[26:27], s[16:17], s[18:19]
	s_and_saveexec_b64 s[18:19], s[26:27]
	s_cbranch_execnz .LBB70_127
	s_branch .LBB70_131
.LBB70_99:
	s_and_b64 vcc, exec, s[0:1]
	s_cbranch_vccnz .LBB70_101
; %bb.100:
	v_lshl_add_u64 v[80:81], v[64:65], 2, v[62:63]
	global_load_dword v80, v[80:81], off
	s_waitcnt vmcnt(0)
	v_mul_f32_e32 v80, s33, v80
	s_branch .LBB70_102
.LBB70_101:
	v_mov_b32_e32 v80, 0
.LBB70_102:
	v_pk_add_f32 v[82:83], v[32:33], v[56:57]
	s_nop 0
	v_min3_f32 v81, v82, v83, v140
	v_pk_add_f32 v[82:83], v[34:35], v[58:59]
	s_nop 0
	v_min_f32_e32 v82, v82, v83
	v_min3_f32 v82, v80, v82, v81
	v_lshl_add_u64 v[80:81], v[64:65], 2, v[60:61]
	global_store_dword v[80:81], v82, off
	s_or_b64 exec, exec, s[26:27]
	s_and_b64 s[30:31], s[4:5], s[18:19]
	s_and_saveexec_b64 s[26:27], s[30:31]
	s_cbranch_execz .LBB70_93
.LBB70_103:
	s_and_b64 vcc, exec, s[0:1]
	s_cbranch_vccnz .LBB70_105
; %bb.104:
	v_lshl_add_u64 v[80:81], v[66:67], 2, v[62:63]
	global_load_dword v80, v[80:81], off
	s_waitcnt vmcnt(0)
	v_mul_f32_e32 v80, s33, v80
	s_branch .LBB70_106
.LBB70_105:
	v_mov_b32_e32 v80, 0
.LBB70_106:
	v_pk_add_f32 v[82:83], v[28:29], v[56:57]
	s_nop 0
	v_min3_f32 v81, v82, v83, v139
	v_pk_add_f32 v[82:83], v[30:31], v[58:59]
	s_nop 0
	v_min_f32_e32 v82, v82, v83
	v_min3_f32 v82, v80, v82, v81
	v_lshl_add_u64 v[80:81], v[66:67], 2, v[60:61]
	global_store_dword v[80:81], v82, off
	s_or_b64 exec, exec, s[26:27]
	s_and_b64 s[30:31], s[6:7], s[18:19]
	s_and_saveexec_b64 s[26:27], s[30:31]
	s_cbranch_execz .LBB70_94
.LBB70_107:
	s_and_b64 vcc, exec, s[0:1]
	s_cbranch_vccnz .LBB70_109
; %bb.108:
	v_lshl_add_u64 v[80:81], v[68:69], 2, v[62:63]
	global_load_dword v80, v[80:81], off
	s_waitcnt vmcnt(0)
	v_mul_f32_e32 v80, s33, v80
	s_branch .LBB70_110
.LBB70_109:
	v_mov_b32_e32 v80, 0
.LBB70_110:
	v_pk_add_f32 v[82:83], v[24:25], v[56:57]
	s_nop 0
	v_min3_f32 v81, v82, v83, v138
	v_pk_add_f32 v[82:83], v[26:27], v[58:59]
	s_nop 0
	v_min_f32_e32 v82, v82, v83
	v_min3_f32 v82, v80, v82, v81
	v_lshl_add_u64 v[80:81], v[68:69], 2, v[60:61]
	global_store_dword v[80:81], v82, off
	s_or_b64 exec, exec, s[26:27]
	s_and_b64 s[30:31], s[8:9], s[18:19]
	s_and_saveexec_b64 s[26:27], s[30:31]
	s_cbranch_execz .LBB70_95
.LBB70_111:
	s_and_b64 vcc, exec, s[0:1]
	s_cbranch_vccnz .LBB70_113
; %bb.112:
	v_lshl_add_u64 v[80:81], v[70:71], 2, v[62:63]
	global_load_dword v80, v[80:81], off
	s_waitcnt vmcnt(0)
	v_mul_f32_e32 v80, s33, v80
	s_branch .LBB70_114
.LBB70_113:
	v_mov_b32_e32 v80, 0
.LBB70_114:
	v_pk_add_f32 v[82:83], v[20:21], v[56:57]
	s_nop 0
	v_min3_f32 v81, v82, v83, v137
	v_pk_add_f32 v[82:83], v[22:23], v[58:59]
	s_nop 0
	v_min_f32_e32 v82, v82, v83
	v_min3_f32 v82, v80, v82, v81
	v_lshl_add_u64 v[80:81], v[70:71], 2, v[60:61]
	global_store_dword v[80:81], v82, off
	s_or_b64 exec, exec, s[26:27]
	s_and_b64 s[30:31], s[10:11], s[18:19]
	s_and_saveexec_b64 s[26:27], s[30:31]
	s_cbranch_execz .LBB70_96
.LBB70_115:
	s_and_b64 vcc, exec, s[0:1]
	s_cbranch_vccnz .LBB70_117
; %bb.116:
	v_lshl_add_u64 v[80:81], v[72:73], 2, v[62:63]
	global_load_dword v80, v[80:81], off
	s_waitcnt vmcnt(0)
	v_mul_f32_e32 v80, s33, v80
	s_branch .LBB70_118
.LBB70_117:
	v_mov_b32_e32 v80, 0
.LBB70_118:
	v_pk_add_f32 v[82:83], v[16:17], v[56:57]
	s_nop 0
	v_min3_f32 v81, v82, v83, v136
	v_pk_add_f32 v[82:83], v[18:19], v[58:59]
	s_nop 0
	v_min_f32_e32 v82, v82, v83
	v_min3_f32 v82, v80, v82, v81
	v_lshl_add_u64 v[80:81], v[72:73], 2, v[60:61]
	global_store_dword v[80:81], v82, off
	s_or_b64 exec, exec, s[26:27]
	s_and_b64 s[30:31], s[12:13], s[18:19]
	s_and_saveexec_b64 s[26:27], s[30:31]
	s_cbranch_execz .LBB70_97
.LBB70_119:
	s_and_b64 vcc, exec, s[0:1]
	s_cbranch_vccnz .LBB70_121
; %bb.120:
	v_lshl_add_u64 v[80:81], v[74:75], 2, v[62:63]
	global_load_dword v80, v[80:81], off
	s_waitcnt vmcnt(0)
	v_mul_f32_e32 v80, s33, v80
	s_branch .LBB70_122
.LBB70_121:
	v_mov_b32_e32 v80, 0
.LBB70_122:
	v_pk_add_f32 v[82:83], v[12:13], v[56:57]
	s_nop 0
	v_min3_f32 v81, v82, v83, v134
	v_pk_add_f32 v[82:83], v[14:15], v[58:59]
	s_nop 0
	v_min_f32_e32 v82, v82, v83
	v_min3_f32 v82, v80, v82, v81
	v_lshl_add_u64 v[80:81], v[74:75], 2, v[60:61]
	global_store_dword v[80:81], v82, off
	s_or_b64 exec, exec, s[26:27]
	s_and_b64 s[30:31], s[14:15], s[18:19]
	s_and_saveexec_b64 s[26:27], s[30:31]
	s_cbranch_execz .LBB70_98
.LBB70_123:
	s_and_b64 vcc, exec, s[0:1]
	s_cbranch_vccnz .LBB70_125
; %bb.124:
	v_lshl_add_u64 v[80:81], v[76:77], 2, v[62:63]
	global_load_dword v80, v[80:81], off
	s_waitcnt vmcnt(0)
	v_mul_f32_e32 v80, s33, v80
	s_branch .LBB70_126
.LBB70_125:
	v_mov_b32_e32 v80, 0
.LBB70_126:
	v_pk_add_f32 v[82:83], v[8:9], v[56:57]
	s_nop 0
	v_min3_f32 v81, v82, v83, v132
	v_pk_add_f32 v[82:83], v[10:11], v[58:59]
	s_nop 0
	v_min_f32_e32 v82, v82, v83
	v_min3_f32 v82, v80, v82, v81
	v_lshl_add_u64 v[80:81], v[76:77], 2, v[60:61]
	global_store_dword v[80:81], v82, off
	s_or_b64 exec, exec, s[26:27]
	s_and_b64 s[26:27], s[16:17], s[18:19]
	s_and_saveexec_b64 s[18:19], s[26:27]
	s_cbranch_execz .LBB70_131
.LBB70_127:
	s_and_b64 vcc, exec, s[0:1]
	s_cbranch_vccnz .LBB70_129
; %bb.128:
	v_lshl_add_u64 v[62:63], v[78:79], 2, v[62:63]
	global_load_dword v62, v[62:63], off
	s_waitcnt vmcnt(0)
	v_mul_f32_e32 v62, s33, v62
	s_branch .LBB70_130
.LBB70_129:
	v_mov_b32_e32 v62, 0
.LBB70_130:
	v_pk_add_f32 v[56:57], v[0:1], v[56:57]
	s_nop 0
	v_min3_f32 v63, v56, v57, v135
	v_pk_add_f32 v[56:57], v[2:3], v[58:59]
	s_nop 0
	v_min_f32_e32 v56, v56, v57
	v_min3_f32 v58, v62, v56, v63
	v_lshl_add_u64 v[56:57], v[78:79], 2, v[60:61]
	global_store_dword v[56:57], v58, off
.LBB70_131:
	s_or_b64 exec, exec, s[18:19]
	v_add_u32_e32 v60, 64, v123
	v_mad_i64_i32 v[56:57], s[26:27], v60, s29, 0
	v_cmp_gt_i32_e64 s[18:19], s21, v60
	v_lshl_add_u64 v[58:59], v[56:57], 2, s[24:25]
	v_mad_i64_i32 v[56:57], s[26:27], v60, s28, 0
	v_lshl_add_u64 v[56:57], v[56:57], 2, s[22:23]
	s_and_b64 s[30:31], s[2:3], s[18:19]
	s_and_saveexec_b64 s[26:27], s[30:31]
	s_cbranch_execnz .LBB70_139
; %bb.132:
	s_or_b64 exec, exec, s[26:27]
	s_and_b64 s[30:31], s[4:5], s[18:19]
	s_and_saveexec_b64 s[26:27], s[30:31]
	s_cbranch_execnz .LBB70_143
.LBB70_133:
	s_or_b64 exec, exec, s[26:27]
	s_and_b64 s[30:31], s[6:7], s[18:19]
	s_and_saveexec_b64 s[26:27], s[30:31]
	s_cbranch_execnz .LBB70_147
.LBB70_134:
	s_or_b64 exec, exec, s[26:27]
	s_and_b64 s[30:31], s[8:9], s[18:19]
	s_and_saveexec_b64 s[26:27], s[30:31]
	s_cbranch_execnz .LBB70_151
.LBB70_135:
	s_or_b64 exec, exec, s[26:27]
	s_and_b64 s[30:31], s[10:11], s[18:19]
	s_and_saveexec_b64 s[26:27], s[30:31]
	s_cbranch_execnz .LBB70_155
.LBB70_136:
	s_or_b64 exec, exec, s[26:27]
	s_and_b64 s[30:31], s[12:13], s[18:19]
	s_and_saveexec_b64 s[26:27], s[30:31]
	s_cbranch_execnz .LBB70_159
.LBB70_137:
	s_or_b64 exec, exec, s[26:27]
	s_and_b64 s[30:31], s[14:15], s[18:19]
	s_and_saveexec_b64 s[26:27], s[30:31]
	s_cbranch_execnz .LBB70_163
.LBB70_138:
	s_or_b64 exec, exec, s[26:27]
	s_and_b64 s[26:27], s[16:17], s[18:19]
	s_and_saveexec_b64 s[18:19], s[26:27]
	s_cbranch_execnz .LBB70_167
	s_branch .LBB70_171
.LBB70_139:
	s_and_b64 vcc, exec, s[0:1]
	s_cbranch_vccnz .LBB70_141
; %bb.140:
	v_lshl_add_u64 v[60:61], v[64:65], 2, v[58:59]
	global_load_dword v60, v[60:61], off
	s_waitcnt vmcnt(0)
	v_mul_f32_e32 v60, s33, v60
	s_branch .LBB70_142
.LBB70_141:
	v_mov_b32_e32 v60, 0
.LBB70_142:
	v_pk_add_f32 v[62:63], v[32:33], v[52:53]
	s_nop 0
	v_min3_f32 v61, v62, v63, v133
	v_pk_add_f32 v[62:63], v[34:35], v[54:55]
	s_nop 0
	v_min_f32_e32 v62, v62, v63
	v_min3_f32 v62, v60, v62, v61
	v_lshl_add_u64 v[60:61], v[64:65], 2, v[56:57]
	global_store_dword v[60:61], v62, off
	s_or_b64 exec, exec, s[26:27]
	s_and_b64 s[30:31], s[4:5], s[18:19]
	s_and_saveexec_b64 s[26:27], s[30:31]
	s_cbranch_execz .LBB70_133
.LBB70_143:
	s_and_b64 vcc, exec, s[0:1]
	s_cbranch_vccnz .LBB70_145
; %bb.144:
	v_lshl_add_u64 v[60:61], v[66:67], 2, v[58:59]
	global_load_dword v60, v[60:61], off
	s_waitcnt vmcnt(0)
	v_mul_f32_e32 v60, s33, v60
	s_branch .LBB70_146
.LBB70_145:
	v_mov_b32_e32 v60, 0
.LBB70_146:
	v_pk_add_f32 v[62:63], v[28:29], v[52:53]
	s_nop 0
	v_min3_f32 v61, v62, v63, v131
	v_pk_add_f32 v[62:63], v[30:31], v[54:55]
	s_nop 0
	v_min_f32_e32 v62, v62, v63
	v_min3_f32 v62, v60, v62, v61
	v_lshl_add_u64 v[60:61], v[66:67], 2, v[56:57]
	global_store_dword v[60:61], v62, off
	s_or_b64 exec, exec, s[26:27]
	s_and_b64 s[30:31], s[6:7], s[18:19]
	s_and_saveexec_b64 s[26:27], s[30:31]
	s_cbranch_execz .LBB70_134
.LBB70_147:
	s_and_b64 vcc, exec, s[0:1]
	s_cbranch_vccnz .LBB70_149
; %bb.148:
	v_lshl_add_u64 v[60:61], v[68:69], 2, v[58:59]
	global_load_dword v60, v[60:61], off
	s_waitcnt vmcnt(0)
	v_mul_f32_e32 v60, s33, v60
	s_branch .LBB70_150
.LBB70_149:
	v_mov_b32_e32 v60, 0
.LBB70_150:
	v_pk_add_f32 v[62:63], v[24:25], v[52:53]
	s_nop 0
	v_min3_f32 v61, v62, v63, v130
	v_pk_add_f32 v[62:63], v[26:27], v[54:55]
	s_nop 0
	v_min_f32_e32 v62, v62, v63
	v_min3_f32 v62, v60, v62, v61
	v_lshl_add_u64 v[60:61], v[68:69], 2, v[56:57]
	global_store_dword v[60:61], v62, off
	s_or_b64 exec, exec, s[26:27]
	s_and_b64 s[30:31], s[8:9], s[18:19]
	s_and_saveexec_b64 s[26:27], s[30:31]
	s_cbranch_execz .LBB70_135
.LBB70_151:
	s_and_b64 vcc, exec, s[0:1]
	s_cbranch_vccnz .LBB70_153
; %bb.152:
	v_lshl_add_u64 v[60:61], v[70:71], 2, v[58:59]
	global_load_dword v60, v[60:61], off
	s_waitcnt vmcnt(0)
	v_mul_f32_e32 v60, s33, v60
	s_branch .LBB70_154
.LBB70_153:
	v_mov_b32_e32 v60, 0
.LBB70_154:
	v_pk_add_f32 v[62:63], v[20:21], v[52:53]
	s_nop 0
	v_min3_f32 v61, v62, v63, v129
	v_pk_add_f32 v[62:63], v[22:23], v[54:55]
	s_nop 0
	v_min_f32_e32 v62, v62, v63
	v_min3_f32 v62, v60, v62, v61
	v_lshl_add_u64 v[60:61], v[70:71], 2, v[56:57]
	global_store_dword v[60:61], v62, off
	s_or_b64 exec, exec, s[26:27]
	s_and_b64 s[30:31], s[10:11], s[18:19]
	s_and_saveexec_b64 s[26:27], s[30:31]
	s_cbranch_execz .LBB70_136
.LBB70_155:
	s_and_b64 vcc, exec, s[0:1]
	s_cbranch_vccnz .LBB70_157
; %bb.156:
	v_lshl_add_u64 v[60:61], v[72:73], 2, v[58:59]
	global_load_dword v60, v[60:61], off
	s_waitcnt vmcnt(0)
	v_mul_f32_e32 v60, s33, v60
	s_branch .LBB70_158
.LBB70_157:
	v_mov_b32_e32 v60, 0
.LBB70_158:
	v_pk_add_f32 v[62:63], v[16:17], v[52:53]
	s_nop 0
	v_min3_f32 v61, v62, v63, v128
	v_pk_add_f32 v[62:63], v[18:19], v[54:55]
	s_nop 0
	v_min_f32_e32 v62, v62, v63
	v_min3_f32 v62, v60, v62, v61
	v_lshl_add_u64 v[60:61], v[72:73], 2, v[56:57]
	global_store_dword v[60:61], v62, off
	s_or_b64 exec, exec, s[26:27]
	s_and_b64 s[30:31], s[12:13], s[18:19]
	s_and_saveexec_b64 s[26:27], s[30:31]
	s_cbranch_execz .LBB70_137
.LBB70_159:
	s_and_b64 vcc, exec, s[0:1]
	s_cbranch_vccnz .LBB70_161
; %bb.160:
	v_lshl_add_u64 v[60:61], v[74:75], 2, v[58:59]
	global_load_dword v60, v[60:61], off
	s_waitcnt vmcnt(0)
	v_mul_f32_e32 v60, s33, v60
	s_branch .LBB70_162
.LBB70_161:
	v_mov_b32_e32 v60, 0
.LBB70_162:
	v_pk_add_f32 v[62:63], v[12:13], v[52:53]
	s_nop 0
	v_min3_f32 v61, v62, v63, v127
	v_pk_add_f32 v[62:63], v[14:15], v[54:55]
	s_nop 0
	v_min_f32_e32 v62, v62, v63
	v_min3_f32 v62, v60, v62, v61
	v_lshl_add_u64 v[60:61], v[74:75], 2, v[56:57]
	global_store_dword v[60:61], v62, off
	s_or_b64 exec, exec, s[26:27]
	s_and_b64 s[30:31], s[14:15], s[18:19]
	s_and_saveexec_b64 s[26:27], s[30:31]
	s_cbranch_execz .LBB70_138
.LBB70_163:
	s_and_b64 vcc, exec, s[0:1]
	s_cbranch_vccnz .LBB70_165
; %bb.164:
	v_lshl_add_u64 v[60:61], v[76:77], 2, v[58:59]
	global_load_dword v60, v[60:61], off
	s_waitcnt vmcnt(0)
	v_mul_f32_e32 v60, s33, v60
	s_branch .LBB70_166
.LBB70_165:
	v_mov_b32_e32 v60, 0
.LBB70_166:
	v_pk_add_f32 v[62:63], v[8:9], v[52:53]
	s_nop 0
	v_min3_f32 v61, v62, v63, v126
	v_pk_add_f32 v[62:63], v[10:11], v[54:55]
	s_nop 0
	v_min_f32_e32 v62, v62, v63
	v_min3_f32 v62, v60, v62, v61
	v_lshl_add_u64 v[60:61], v[76:77], 2, v[56:57]
	global_store_dword v[60:61], v62, off
	s_or_b64 exec, exec, s[26:27]
	s_and_b64 s[26:27], s[16:17], s[18:19]
	s_and_saveexec_b64 s[18:19], s[26:27]
	s_cbranch_execz .LBB70_171
.LBB70_167:
	s_and_b64 vcc, exec, s[0:1]
	s_cbranch_vccnz .LBB70_169
; %bb.168:
	v_lshl_add_u64 v[58:59], v[78:79], 2, v[58:59]
	global_load_dword v58, v[58:59], off
	s_waitcnt vmcnt(0)
	v_mul_f32_e32 v58, s33, v58
	s_branch .LBB70_170
.LBB70_169:
	v_mov_b32_e32 v58, 0
.LBB70_170:
	v_pk_add_f32 v[52:53], v[0:1], v[52:53]
	s_nop 0
	v_min3_f32 v59, v52, v53, v125
	v_pk_add_f32 v[52:53], v[2:3], v[54:55]
	s_nop 0
	v_min_f32_e32 v52, v52, v53
	v_min3_f32 v54, v58, v52, v59
	v_lshl_add_u64 v[52:53], v[78:79], 2, v[56:57]
	global_store_dword v[52:53], v54, off
.LBB70_171:
	s_or_b64 exec, exec, s[18:19]
	v_add_u32_e32 v56, 0x60, v123
	v_mad_i64_i32 v[52:53], s[26:27], v56, s29, 0
	v_cmp_gt_i32_e64 s[18:19], s21, v56
	v_lshl_add_u64 v[54:55], v[52:53], 2, s[24:25]
	v_mad_i64_i32 v[52:53], s[26:27], v56, s28, 0
	v_lshl_add_u64 v[52:53], v[52:53], 2, s[22:23]
	s_and_b64 s[30:31], s[2:3], s[18:19]
	s_and_saveexec_b64 s[26:27], s[30:31]
	s_cbranch_execnz .LBB70_179
; %bb.172:
	s_or_b64 exec, exec, s[26:27]
	s_and_b64 s[30:31], s[4:5], s[18:19]
	s_and_saveexec_b64 s[26:27], s[30:31]
	s_cbranch_execnz .LBB70_183
.LBB70_173:
	s_or_b64 exec, exec, s[26:27]
	s_and_b64 s[30:31], s[6:7], s[18:19]
	s_and_saveexec_b64 s[26:27], s[30:31]
	s_cbranch_execnz .LBB70_187
.LBB70_174:
	s_or_b64 exec, exec, s[26:27]
	s_and_b64 s[30:31], s[8:9], s[18:19]
	s_and_saveexec_b64 s[26:27], s[30:31]
	s_cbranch_execnz .LBB70_191
.LBB70_175:
	s_or_b64 exec, exec, s[26:27]
	s_and_b64 s[30:31], s[10:11], s[18:19]
	s_and_saveexec_b64 s[26:27], s[30:31]
	s_cbranch_execnz .LBB70_195
.LBB70_176:
	s_or_b64 exec, exec, s[26:27]
	s_and_b64 s[30:31], s[12:13], s[18:19]
	s_and_saveexec_b64 s[26:27], s[30:31]
	s_cbranch_execnz .LBB70_199
.LBB70_177:
	s_or_b64 exec, exec, s[26:27]
	s_and_b64 s[30:31], s[14:15], s[18:19]
	s_and_saveexec_b64 s[26:27], s[30:31]
	s_cbranch_execnz .LBB70_203
.LBB70_178:
	s_or_b64 exec, exec, s[26:27]
	s_and_b64 s[26:27], s[16:17], s[18:19]
	s_and_saveexec_b64 s[18:19], s[26:27]
	s_cbranch_execnz .LBB70_207
	s_branch .LBB70_211
.LBB70_179:
	s_and_b64 vcc, exec, s[0:1]
	s_cbranch_vccnz .LBB70_181
; %bb.180:
	v_lshl_add_u64 v[56:57], v[64:65], 2, v[54:55]
	global_load_dword v56, v[56:57], off
	s_waitcnt vmcnt(0)
	v_mul_f32_e32 v56, s33, v56
	s_branch .LBB70_182
.LBB70_181:
	v_mov_b32_e32 v56, 0
.LBB70_182:
	v_pk_add_f32 v[58:59], v[32:33], v[48:49]
	s_nop 0
	v_min3_f32 v57, v58, v59, v124
	v_pk_add_f32 v[58:59], v[34:35], v[50:51]
	s_nop 0
	v_min_f32_e32 v58, v58, v59
	v_min3_f32 v58, v56, v58, v57
	v_lshl_add_u64 v[56:57], v[64:65], 2, v[52:53]
	global_store_dword v[56:57], v58, off
	s_or_b64 exec, exec, s[26:27]
	s_and_b64 s[30:31], s[4:5], s[18:19]
	s_and_saveexec_b64 s[26:27], s[30:31]
	s_cbranch_execz .LBB70_173
.LBB70_183:
	s_and_b64 vcc, exec, s[0:1]
	s_cbranch_vccnz .LBB70_185
; %bb.184:
	v_lshl_add_u64 v[56:57], v[66:67], 2, v[54:55]
	global_load_dword v56, v[56:57], off
	s_waitcnt vmcnt(0)
	v_mul_f32_e32 v56, s33, v56
	s_branch .LBB70_186
.LBB70_185:
	v_mov_b32_e32 v56, 0
.LBB70_186:
	v_pk_add_f32 v[58:59], v[28:29], v[48:49]
	s_nop 0
	v_min3_f32 v57, v58, v59, v122
	v_pk_add_f32 v[58:59], v[30:31], v[50:51]
	s_nop 0
	v_min_f32_e32 v58, v58, v59
	v_min3_f32 v58, v56, v58, v57
	v_lshl_add_u64 v[56:57], v[66:67], 2, v[52:53]
	global_store_dword v[56:57], v58, off
	s_or_b64 exec, exec, s[26:27]
	s_and_b64 s[30:31], s[6:7], s[18:19]
	s_and_saveexec_b64 s[26:27], s[30:31]
	s_cbranch_execz .LBB70_174
.LBB70_187:
	s_and_b64 vcc, exec, s[0:1]
	s_cbranch_vccnz .LBB70_189
; %bb.188:
	v_lshl_add_u64 v[56:57], v[68:69], 2, v[54:55]
	global_load_dword v56, v[56:57], off
	s_waitcnt vmcnt(0)
	v_mul_f32_e32 v56, s33, v56
	s_branch .LBB70_190
.LBB70_189:
	v_mov_b32_e32 v56, 0
.LBB70_190:
	v_pk_add_f32 v[58:59], v[24:25], v[48:49]
	s_nop 0
	v_min3_f32 v57, v58, v59, v121
	v_pk_add_f32 v[58:59], v[26:27], v[50:51]
	s_nop 0
	v_min_f32_e32 v58, v58, v59
	v_min3_f32 v58, v56, v58, v57
	v_lshl_add_u64 v[56:57], v[68:69], 2, v[52:53]
	global_store_dword v[56:57], v58, off
	s_or_b64 exec, exec, s[26:27]
	s_and_b64 s[30:31], s[8:9], s[18:19]
	s_and_saveexec_b64 s[26:27], s[30:31]
	s_cbranch_execz .LBB70_175
.LBB70_191:
	s_and_b64 vcc, exec, s[0:1]
	s_cbranch_vccnz .LBB70_193
; %bb.192:
	v_lshl_add_u64 v[56:57], v[70:71], 2, v[54:55]
	global_load_dword v56, v[56:57], off
	s_waitcnt vmcnt(0)
	v_mul_f32_e32 v56, s33, v56
	s_branch .LBB70_194
.LBB70_193:
	v_mov_b32_e32 v56, 0
.LBB70_194:
	v_pk_add_f32 v[58:59], v[20:21], v[48:49]
	s_nop 0
	v_min3_f32 v57, v58, v59, v120
	v_pk_add_f32 v[58:59], v[22:23], v[50:51]
	s_nop 0
	v_min_f32_e32 v58, v58, v59
	v_min3_f32 v58, v56, v58, v57
	v_lshl_add_u64 v[56:57], v[70:71], 2, v[52:53]
	global_store_dword v[56:57], v58, off
	s_or_b64 exec, exec, s[26:27]
	s_and_b64 s[30:31], s[10:11], s[18:19]
	s_and_saveexec_b64 s[26:27], s[30:31]
	s_cbranch_execz .LBB70_176
.LBB70_195:
	s_and_b64 vcc, exec, s[0:1]
	s_cbranch_vccnz .LBB70_197
; %bb.196:
	v_lshl_add_u64 v[56:57], v[72:73], 2, v[54:55]
	global_load_dword v56, v[56:57], off
	s_waitcnt vmcnt(0)
	v_mul_f32_e32 v56, s33, v56
	s_branch .LBB70_198
.LBB70_197:
	v_mov_b32_e32 v56, 0
.LBB70_198:
	v_pk_add_f32 v[58:59], v[16:17], v[48:49]
	s_nop 0
	v_min3_f32 v57, v58, v59, v119
	v_pk_add_f32 v[58:59], v[18:19], v[50:51]
	s_nop 0
	v_min_f32_e32 v58, v58, v59
	v_min3_f32 v58, v56, v58, v57
	v_lshl_add_u64 v[56:57], v[72:73], 2, v[52:53]
	global_store_dword v[56:57], v58, off
	s_or_b64 exec, exec, s[26:27]
	s_and_b64 s[30:31], s[12:13], s[18:19]
	s_and_saveexec_b64 s[26:27], s[30:31]
	s_cbranch_execz .LBB70_177
.LBB70_199:
	s_and_b64 vcc, exec, s[0:1]
	s_cbranch_vccnz .LBB70_201
; %bb.200:
	v_lshl_add_u64 v[56:57], v[74:75], 2, v[54:55]
	global_load_dword v56, v[56:57], off
	s_waitcnt vmcnt(0)
	v_mul_f32_e32 v56, s33, v56
	s_branch .LBB70_202
.LBB70_201:
	v_mov_b32_e32 v56, 0
.LBB70_202:
	v_pk_add_f32 v[58:59], v[12:13], v[48:49]
	s_nop 0
	v_min3_f32 v57, v58, v59, v118
	v_pk_add_f32 v[58:59], v[14:15], v[50:51]
	s_nop 0
	v_min_f32_e32 v58, v58, v59
	v_min3_f32 v58, v56, v58, v57
	v_lshl_add_u64 v[56:57], v[74:75], 2, v[52:53]
	global_store_dword v[56:57], v58, off
	s_or_b64 exec, exec, s[26:27]
	s_and_b64 s[30:31], s[14:15], s[18:19]
	s_and_saveexec_b64 s[26:27], s[30:31]
	s_cbranch_execz .LBB70_178
.LBB70_203:
	s_and_b64 vcc, exec, s[0:1]
	s_cbranch_vccnz .LBB70_205
; %bb.204:
	v_lshl_add_u64 v[56:57], v[76:77], 2, v[54:55]
	global_load_dword v56, v[56:57], off
	s_waitcnt vmcnt(0)
	v_mul_f32_e32 v56, s33, v56
	s_branch .LBB70_206
.LBB70_205:
	v_mov_b32_e32 v56, 0
.LBB70_206:
	v_pk_add_f32 v[58:59], v[8:9], v[48:49]
	s_nop 0
	v_min3_f32 v57, v58, v59, v117
	v_pk_add_f32 v[58:59], v[10:11], v[50:51]
	s_nop 0
	v_min_f32_e32 v58, v58, v59
	v_min3_f32 v58, v56, v58, v57
	v_lshl_add_u64 v[56:57], v[76:77], 2, v[52:53]
	global_store_dword v[56:57], v58, off
	s_or_b64 exec, exec, s[26:27]
	s_and_b64 s[26:27], s[16:17], s[18:19]
	s_and_saveexec_b64 s[18:19], s[26:27]
	s_cbranch_execz .LBB70_211
.LBB70_207:
	s_and_b64 vcc, exec, s[0:1]
	s_cbranch_vccnz .LBB70_209
; %bb.208:
	v_lshl_add_u64 v[54:55], v[78:79], 2, v[54:55]
	global_load_dword v54, v[54:55], off
	s_waitcnt vmcnt(0)
	v_mul_f32_e32 v54, s33, v54
	s_branch .LBB70_210
.LBB70_209:
	v_mov_b32_e32 v54, 0
.LBB70_210:
	v_pk_add_f32 v[48:49], v[0:1], v[48:49]
	s_nop 0
	v_min3_f32 v55, v48, v49, v116
	v_pk_add_f32 v[48:49], v[2:3], v[50:51]
	s_nop 0
	v_min_f32_e32 v48, v48, v49
	v_min3_f32 v50, v54, v48, v55
	v_lshl_add_u64 v[48:49], v[78:79], 2, v[52:53]
	global_store_dword v[48:49], v50, off
.LBB70_211:
	s_or_b64 exec, exec, s[18:19]
	v_add_u32_e32 v52, 0x80, v123
	v_mad_i64_i32 v[48:49], s[26:27], v52, s29, 0
	v_cmp_gt_i32_e64 s[18:19], s21, v52
	v_lshl_add_u64 v[50:51], v[48:49], 2, s[24:25]
	v_mad_i64_i32 v[48:49], s[26:27], v52, s28, 0
	v_lshl_add_u64 v[48:49], v[48:49], 2, s[22:23]
	s_and_b64 s[30:31], s[2:3], s[18:19]
	s_and_saveexec_b64 s[26:27], s[30:31]
	s_cbranch_execnz .LBB70_219
; %bb.212:
	s_or_b64 exec, exec, s[26:27]
	s_and_b64 s[30:31], s[4:5], s[18:19]
	s_and_saveexec_b64 s[26:27], s[30:31]
	s_cbranch_execnz .LBB70_223
.LBB70_213:
	s_or_b64 exec, exec, s[26:27]
	s_and_b64 s[30:31], s[6:7], s[18:19]
	s_and_saveexec_b64 s[26:27], s[30:31]
	s_cbranch_execnz .LBB70_227
.LBB70_214:
	s_or_b64 exec, exec, s[26:27]
	s_and_b64 s[30:31], s[8:9], s[18:19]
	s_and_saveexec_b64 s[26:27], s[30:31]
	s_cbranch_execnz .LBB70_231
.LBB70_215:
	s_or_b64 exec, exec, s[26:27]
	s_and_b64 s[30:31], s[10:11], s[18:19]
	s_and_saveexec_b64 s[26:27], s[30:31]
	s_cbranch_execnz .LBB70_235
.LBB70_216:
	s_or_b64 exec, exec, s[26:27]
	s_and_b64 s[30:31], s[12:13], s[18:19]
	s_and_saveexec_b64 s[26:27], s[30:31]
	s_cbranch_execnz .LBB70_239
.LBB70_217:
	s_or_b64 exec, exec, s[26:27]
	s_and_b64 s[30:31], s[14:15], s[18:19]
	s_and_saveexec_b64 s[26:27], s[30:31]
	s_cbranch_execnz .LBB70_243
.LBB70_218:
	s_or_b64 exec, exec, s[26:27]
	s_and_b64 s[26:27], s[16:17], s[18:19]
	s_and_saveexec_b64 s[18:19], s[26:27]
	s_cbranch_execnz .LBB70_247
	s_branch .LBB70_251
.LBB70_219:
	s_and_b64 vcc, exec, s[0:1]
	s_cbranch_vccnz .LBB70_221
; %bb.220:
	v_lshl_add_u64 v[52:53], v[64:65], 2, v[50:51]
	global_load_dword v52, v[52:53], off
	s_waitcnt vmcnt(0)
	v_mul_f32_e32 v52, s33, v52
	s_branch .LBB70_222
.LBB70_221:
	v_mov_b32_e32 v52, 0
.LBB70_222:
	v_pk_add_f32 v[54:55], v[32:33], v[44:45]
	s_nop 0
	v_min3_f32 v53, v54, v55, v115
	v_pk_add_f32 v[54:55], v[34:35], v[46:47]
	s_nop 0
	v_min_f32_e32 v54, v54, v55
	v_min3_f32 v54, v52, v54, v53
	v_lshl_add_u64 v[52:53], v[64:65], 2, v[48:49]
	global_store_dword v[52:53], v54, off
	s_or_b64 exec, exec, s[26:27]
	s_and_b64 s[30:31], s[4:5], s[18:19]
	s_and_saveexec_b64 s[26:27], s[30:31]
	s_cbranch_execz .LBB70_213
.LBB70_223:
	s_and_b64 vcc, exec, s[0:1]
	s_cbranch_vccnz .LBB70_225
; %bb.224:
	v_lshl_add_u64 v[52:53], v[66:67], 2, v[50:51]
	global_load_dword v52, v[52:53], off
	s_waitcnt vmcnt(0)
	v_mul_f32_e32 v52, s33, v52
	s_branch .LBB70_226
.LBB70_225:
	v_mov_b32_e32 v52, 0
.LBB70_226:
	v_pk_add_f32 v[54:55], v[28:29], v[44:45]
	s_nop 0
	v_min3_f32 v53, v54, v55, v114
	v_pk_add_f32 v[54:55], v[30:31], v[46:47]
	s_nop 0
	v_min_f32_e32 v54, v54, v55
	v_min3_f32 v54, v52, v54, v53
	v_lshl_add_u64 v[52:53], v[66:67], 2, v[48:49]
	global_store_dword v[52:53], v54, off
	s_or_b64 exec, exec, s[26:27]
	s_and_b64 s[30:31], s[6:7], s[18:19]
	s_and_saveexec_b64 s[26:27], s[30:31]
	s_cbranch_execz .LBB70_214
.LBB70_227:
	s_and_b64 vcc, exec, s[0:1]
	s_cbranch_vccnz .LBB70_229
; %bb.228:
	v_lshl_add_u64 v[52:53], v[68:69], 2, v[50:51]
	global_load_dword v52, v[52:53], off
	s_waitcnt vmcnt(0)
	v_mul_f32_e32 v52, s33, v52
	s_branch .LBB70_230
.LBB70_229:
	v_mov_b32_e32 v52, 0
.LBB70_230:
	v_pk_add_f32 v[54:55], v[24:25], v[44:45]
	s_nop 0
	v_min3_f32 v53, v54, v55, v113
	v_pk_add_f32 v[54:55], v[26:27], v[46:47]
	s_nop 0
	v_min_f32_e32 v54, v54, v55
	v_min3_f32 v54, v52, v54, v53
	v_lshl_add_u64 v[52:53], v[68:69], 2, v[48:49]
	global_store_dword v[52:53], v54, off
	s_or_b64 exec, exec, s[26:27]
	s_and_b64 s[30:31], s[8:9], s[18:19]
	s_and_saveexec_b64 s[26:27], s[30:31]
	s_cbranch_execz .LBB70_215
.LBB70_231:
	s_and_b64 vcc, exec, s[0:1]
	s_cbranch_vccnz .LBB70_233
; %bb.232:
	v_lshl_add_u64 v[52:53], v[70:71], 2, v[50:51]
	global_load_dword v52, v[52:53], off
	s_waitcnt vmcnt(0)
	v_mul_f32_e32 v52, s33, v52
	s_branch .LBB70_234
.LBB70_233:
	v_mov_b32_e32 v52, 0
.LBB70_234:
	v_pk_add_f32 v[54:55], v[20:21], v[44:45]
	s_nop 0
	v_min3_f32 v53, v54, v55, v112
	v_pk_add_f32 v[54:55], v[22:23], v[46:47]
	s_nop 0
	v_min_f32_e32 v54, v54, v55
	v_min3_f32 v54, v52, v54, v53
	v_lshl_add_u64 v[52:53], v[70:71], 2, v[48:49]
	global_store_dword v[52:53], v54, off
	s_or_b64 exec, exec, s[26:27]
	s_and_b64 s[30:31], s[10:11], s[18:19]
	s_and_saveexec_b64 s[26:27], s[30:31]
	s_cbranch_execz .LBB70_216
.LBB70_235:
	s_and_b64 vcc, exec, s[0:1]
	s_cbranch_vccnz .LBB70_237
; %bb.236:
	v_lshl_add_u64 v[52:53], v[72:73], 2, v[50:51]
	global_load_dword v52, v[52:53], off
	s_waitcnt vmcnt(0)
	v_mul_f32_e32 v52, s33, v52
	s_branch .LBB70_238
.LBB70_237:
	v_mov_b32_e32 v52, 0
.LBB70_238:
	v_pk_add_f32 v[54:55], v[16:17], v[44:45]
	s_nop 0
	v_min3_f32 v53, v54, v55, v111
	v_pk_add_f32 v[54:55], v[18:19], v[46:47]
	s_nop 0
	v_min_f32_e32 v54, v54, v55
	v_min3_f32 v54, v52, v54, v53
	v_lshl_add_u64 v[52:53], v[72:73], 2, v[48:49]
	global_store_dword v[52:53], v54, off
	s_or_b64 exec, exec, s[26:27]
	s_and_b64 s[30:31], s[12:13], s[18:19]
	s_and_saveexec_b64 s[26:27], s[30:31]
	s_cbranch_execz .LBB70_217
.LBB70_239:
	s_and_b64 vcc, exec, s[0:1]
	s_cbranch_vccnz .LBB70_241
; %bb.240:
	v_lshl_add_u64 v[52:53], v[74:75], 2, v[50:51]
	global_load_dword v52, v[52:53], off
	s_waitcnt vmcnt(0)
	v_mul_f32_e32 v52, s33, v52
	s_branch .LBB70_242
.LBB70_241:
	v_mov_b32_e32 v52, 0
.LBB70_242:
	v_pk_add_f32 v[54:55], v[12:13], v[44:45]
	s_nop 0
	v_min3_f32 v53, v54, v55, v110
	v_pk_add_f32 v[54:55], v[14:15], v[46:47]
	s_nop 0
	v_min_f32_e32 v54, v54, v55
	v_min3_f32 v54, v52, v54, v53
	v_lshl_add_u64 v[52:53], v[74:75], 2, v[48:49]
	global_store_dword v[52:53], v54, off
	s_or_b64 exec, exec, s[26:27]
	s_and_b64 s[30:31], s[14:15], s[18:19]
	s_and_saveexec_b64 s[26:27], s[30:31]
	s_cbranch_execz .LBB70_218
.LBB70_243:
	s_and_b64 vcc, exec, s[0:1]
	s_cbranch_vccnz .LBB70_245
; %bb.244:
	v_lshl_add_u64 v[52:53], v[76:77], 2, v[50:51]
	global_load_dword v52, v[52:53], off
	s_waitcnt vmcnt(0)
	v_mul_f32_e32 v52, s33, v52
	s_branch .LBB70_246
.LBB70_245:
	v_mov_b32_e32 v52, 0
.LBB70_246:
	v_pk_add_f32 v[54:55], v[8:9], v[44:45]
	s_nop 0
	v_min3_f32 v53, v54, v55, v109
	v_pk_add_f32 v[54:55], v[10:11], v[46:47]
	s_nop 0
	v_min_f32_e32 v54, v54, v55
	v_min3_f32 v54, v52, v54, v53
	v_lshl_add_u64 v[52:53], v[76:77], 2, v[48:49]
	global_store_dword v[52:53], v54, off
	s_or_b64 exec, exec, s[26:27]
	s_and_b64 s[26:27], s[16:17], s[18:19]
	s_and_saveexec_b64 s[18:19], s[26:27]
	s_cbranch_execz .LBB70_251
.LBB70_247:
	s_and_b64 vcc, exec, s[0:1]
	s_cbranch_vccnz .LBB70_249
; %bb.248:
	v_lshl_add_u64 v[50:51], v[78:79], 2, v[50:51]
	global_load_dword v50, v[50:51], off
	s_waitcnt vmcnt(0)
	v_mul_f32_e32 v50, s33, v50
	s_branch .LBB70_250
.LBB70_249:
	v_mov_b32_e32 v50, 0
.LBB70_250:
	v_pk_add_f32 v[44:45], v[0:1], v[44:45]
	s_nop 0
	v_min3_f32 v51, v44, v45, v108
	v_pk_add_f32 v[44:45], v[2:3], v[46:47]
	s_nop 0
	v_min_f32_e32 v44, v44, v45
	v_min3_f32 v46, v50, v44, v51
	v_lshl_add_u64 v[44:45], v[78:79], 2, v[48:49]
	global_store_dword v[44:45], v46, off
.LBB70_251:
	s_or_b64 exec, exec, s[18:19]
	v_add_u32_e32 v48, 0xa0, v123
	v_mad_i64_i32 v[44:45], s[26:27], v48, s29, 0
	v_cmp_gt_i32_e64 s[18:19], s21, v48
	v_lshl_add_u64 v[46:47], v[44:45], 2, s[24:25]
	v_mad_i64_i32 v[44:45], s[26:27], v48, s28, 0
	v_lshl_add_u64 v[44:45], v[44:45], 2, s[22:23]
	s_and_b64 s[30:31], s[2:3], s[18:19]
	s_and_saveexec_b64 s[26:27], s[30:31]
	s_cbranch_execnz .LBB70_259
; %bb.252:
	s_or_b64 exec, exec, s[26:27]
	s_and_b64 s[30:31], s[4:5], s[18:19]
	s_and_saveexec_b64 s[26:27], s[30:31]
	s_cbranch_execnz .LBB70_263
.LBB70_253:
	s_or_b64 exec, exec, s[26:27]
	s_and_b64 s[30:31], s[6:7], s[18:19]
	s_and_saveexec_b64 s[26:27], s[30:31]
	s_cbranch_execnz .LBB70_267
.LBB70_254:
	s_or_b64 exec, exec, s[26:27]
	s_and_b64 s[30:31], s[8:9], s[18:19]
	s_and_saveexec_b64 s[26:27], s[30:31]
	s_cbranch_execnz .LBB70_271
.LBB70_255:
	s_or_b64 exec, exec, s[26:27]
	s_and_b64 s[30:31], s[10:11], s[18:19]
	s_and_saveexec_b64 s[26:27], s[30:31]
	s_cbranch_execnz .LBB70_275
.LBB70_256:
	s_or_b64 exec, exec, s[26:27]
	s_and_b64 s[30:31], s[12:13], s[18:19]
	s_and_saveexec_b64 s[26:27], s[30:31]
	s_cbranch_execnz .LBB70_279
.LBB70_257:
	s_or_b64 exec, exec, s[26:27]
	s_and_b64 s[30:31], s[14:15], s[18:19]
	s_and_saveexec_b64 s[26:27], s[30:31]
	s_cbranch_execnz .LBB70_283
.LBB70_258:
	s_or_b64 exec, exec, s[26:27]
	s_and_b64 s[26:27], s[16:17], s[18:19]
	s_and_saveexec_b64 s[18:19], s[26:27]
	s_cbranch_execnz .LBB70_287
	s_branch .LBB70_291
.LBB70_259:
	s_and_b64 vcc, exec, s[0:1]
	s_cbranch_vccnz .LBB70_261
; %bb.260:
	v_lshl_add_u64 v[48:49], v[64:65], 2, v[46:47]
	global_load_dword v48, v[48:49], off
	s_waitcnt vmcnt(0)
	v_mul_f32_e32 v48, s33, v48
	s_branch .LBB70_262
.LBB70_261:
	v_mov_b32_e32 v48, 0
.LBB70_262:
	v_pk_add_f32 v[50:51], v[32:33], v[40:41]
	s_nop 0
	v_min3_f32 v49, v50, v51, v107
	v_pk_add_f32 v[50:51], v[34:35], v[42:43]
	s_nop 0
	v_min_f32_e32 v50, v50, v51
	v_min3_f32 v50, v48, v50, v49
	v_lshl_add_u64 v[48:49], v[64:65], 2, v[44:45]
	global_store_dword v[48:49], v50, off
	s_or_b64 exec, exec, s[26:27]
	s_and_b64 s[30:31], s[4:5], s[18:19]
	s_and_saveexec_b64 s[26:27], s[30:31]
	s_cbranch_execz .LBB70_253
.LBB70_263:
	s_and_b64 vcc, exec, s[0:1]
	s_cbranch_vccnz .LBB70_265
; %bb.264:
	v_lshl_add_u64 v[48:49], v[66:67], 2, v[46:47]
	global_load_dword v48, v[48:49], off
	s_waitcnt vmcnt(0)
	v_mul_f32_e32 v48, s33, v48
	s_branch .LBB70_266
.LBB70_265:
	v_mov_b32_e32 v48, 0
.LBB70_266:
	v_pk_add_f32 v[50:51], v[28:29], v[40:41]
	s_nop 0
	v_min3_f32 v49, v50, v51, v106
	v_pk_add_f32 v[50:51], v[30:31], v[42:43]
	s_nop 0
	v_min_f32_e32 v50, v50, v51
	v_min3_f32 v50, v48, v50, v49
	v_lshl_add_u64 v[48:49], v[66:67], 2, v[44:45]
	global_store_dword v[48:49], v50, off
	s_or_b64 exec, exec, s[26:27]
	s_and_b64 s[30:31], s[6:7], s[18:19]
	s_and_saveexec_b64 s[26:27], s[30:31]
	s_cbranch_execz .LBB70_254
.LBB70_267:
	s_and_b64 vcc, exec, s[0:1]
	s_cbranch_vccnz .LBB70_269
; %bb.268:
	v_lshl_add_u64 v[48:49], v[68:69], 2, v[46:47]
	global_load_dword v48, v[48:49], off
	s_waitcnt vmcnt(0)
	v_mul_f32_e32 v48, s33, v48
	s_branch .LBB70_270
.LBB70_269:
	v_mov_b32_e32 v48, 0
.LBB70_270:
	v_pk_add_f32 v[50:51], v[24:25], v[40:41]
	s_nop 0
	v_min3_f32 v49, v50, v51, v105
	v_pk_add_f32 v[50:51], v[26:27], v[42:43]
	s_nop 0
	v_min_f32_e32 v50, v50, v51
	v_min3_f32 v50, v48, v50, v49
	v_lshl_add_u64 v[48:49], v[68:69], 2, v[44:45]
	global_store_dword v[48:49], v50, off
	s_or_b64 exec, exec, s[26:27]
	s_and_b64 s[30:31], s[8:9], s[18:19]
	s_and_saveexec_b64 s[26:27], s[30:31]
	s_cbranch_execz .LBB70_255
.LBB70_271:
	s_and_b64 vcc, exec, s[0:1]
	s_cbranch_vccnz .LBB70_273
; %bb.272:
	v_lshl_add_u64 v[48:49], v[70:71], 2, v[46:47]
	global_load_dword v48, v[48:49], off
	s_waitcnt vmcnt(0)
	v_mul_f32_e32 v48, s33, v48
	s_branch .LBB70_274
.LBB70_273:
	v_mov_b32_e32 v48, 0
.LBB70_274:
	v_pk_add_f32 v[50:51], v[20:21], v[40:41]
	s_nop 0
	v_min3_f32 v49, v50, v51, v104
	v_pk_add_f32 v[50:51], v[22:23], v[42:43]
	s_nop 0
	v_min_f32_e32 v50, v50, v51
	v_min3_f32 v50, v48, v50, v49
	v_lshl_add_u64 v[48:49], v[70:71], 2, v[44:45]
	global_store_dword v[48:49], v50, off
	s_or_b64 exec, exec, s[26:27]
	s_and_b64 s[30:31], s[10:11], s[18:19]
	s_and_saveexec_b64 s[26:27], s[30:31]
	s_cbranch_execz .LBB70_256
.LBB70_275:
	s_and_b64 vcc, exec, s[0:1]
	s_cbranch_vccnz .LBB70_277
; %bb.276:
	v_lshl_add_u64 v[48:49], v[72:73], 2, v[46:47]
	global_load_dword v48, v[48:49], off
	s_waitcnt vmcnt(0)
	v_mul_f32_e32 v48, s33, v48
	s_branch .LBB70_278
.LBB70_277:
	v_mov_b32_e32 v48, 0
.LBB70_278:
	v_pk_add_f32 v[50:51], v[16:17], v[40:41]
	s_nop 0
	v_min3_f32 v49, v50, v51, v103
	v_pk_add_f32 v[50:51], v[18:19], v[42:43]
	s_nop 0
	v_min_f32_e32 v50, v50, v51
	v_min3_f32 v50, v48, v50, v49
	v_lshl_add_u64 v[48:49], v[72:73], 2, v[44:45]
	global_store_dword v[48:49], v50, off
	s_or_b64 exec, exec, s[26:27]
	s_and_b64 s[30:31], s[12:13], s[18:19]
	s_and_saveexec_b64 s[26:27], s[30:31]
	s_cbranch_execz .LBB70_257
.LBB70_279:
	s_and_b64 vcc, exec, s[0:1]
	s_cbranch_vccnz .LBB70_281
; %bb.280:
	v_lshl_add_u64 v[48:49], v[74:75], 2, v[46:47]
	global_load_dword v48, v[48:49], off
	s_waitcnt vmcnt(0)
	v_mul_f32_e32 v48, s33, v48
	s_branch .LBB70_282
.LBB70_281:
	v_mov_b32_e32 v48, 0
.LBB70_282:
	v_pk_add_f32 v[50:51], v[12:13], v[40:41]
	s_nop 0
	v_min3_f32 v49, v50, v51, v102
	v_pk_add_f32 v[50:51], v[14:15], v[42:43]
	s_nop 0
	v_min_f32_e32 v50, v50, v51
	v_min3_f32 v50, v48, v50, v49
	v_lshl_add_u64 v[48:49], v[74:75], 2, v[44:45]
	global_store_dword v[48:49], v50, off
	s_or_b64 exec, exec, s[26:27]
	s_and_b64 s[30:31], s[14:15], s[18:19]
	s_and_saveexec_b64 s[26:27], s[30:31]
	s_cbranch_execz .LBB70_258
.LBB70_283:
	s_and_b64 vcc, exec, s[0:1]
	s_cbranch_vccnz .LBB70_285
; %bb.284:
	v_lshl_add_u64 v[48:49], v[76:77], 2, v[46:47]
	global_load_dword v48, v[48:49], off
	s_waitcnt vmcnt(0)
	v_mul_f32_e32 v48, s33, v48
	s_branch .LBB70_286
.LBB70_285:
	v_mov_b32_e32 v48, 0
.LBB70_286:
	v_pk_add_f32 v[50:51], v[8:9], v[40:41]
	s_nop 0
	v_min3_f32 v49, v50, v51, v101
	v_pk_add_f32 v[50:51], v[10:11], v[42:43]
	s_nop 0
	v_min_f32_e32 v50, v50, v51
	v_min3_f32 v50, v48, v50, v49
	v_lshl_add_u64 v[48:49], v[76:77], 2, v[44:45]
	global_store_dword v[48:49], v50, off
	s_or_b64 exec, exec, s[26:27]
	s_and_b64 s[26:27], s[16:17], s[18:19]
	s_and_saveexec_b64 s[18:19], s[26:27]
	s_cbranch_execz .LBB70_291
.LBB70_287:
	s_and_b64 vcc, exec, s[0:1]
	s_cbranch_vccnz .LBB70_289
; %bb.288:
	v_lshl_add_u64 v[46:47], v[78:79], 2, v[46:47]
	global_load_dword v46, v[46:47], off
	s_waitcnt vmcnt(0)
	v_mul_f32_e32 v46, s33, v46
	s_branch .LBB70_290
.LBB70_289:
	v_mov_b32_e32 v46, 0
.LBB70_290:
	v_pk_add_f32 v[40:41], v[0:1], v[40:41]
	s_nop 0
	v_min3_f32 v47, v40, v41, v100
	v_pk_add_f32 v[40:41], v[2:3], v[42:43]
	s_nop 0
	v_min_f32_e32 v40, v40, v41
	v_min3_f32 v42, v46, v40, v47
	v_lshl_add_u64 v[40:41], v[78:79], 2, v[44:45]
	global_store_dword v[40:41], v42, off
.LBB70_291:
	s_or_b64 exec, exec, s[18:19]
	v_add_u32_e32 v44, 0xc0, v123
	v_mad_i64_i32 v[40:41], s[26:27], v44, s29, 0
	v_cmp_gt_i32_e64 s[18:19], s21, v44
	v_lshl_add_u64 v[42:43], v[40:41], 2, s[24:25]
	v_mad_i64_i32 v[40:41], s[26:27], v44, s28, 0
	v_lshl_add_u64 v[40:41], v[40:41], 2, s[22:23]
	s_and_b64 s[30:31], s[2:3], s[18:19]
	s_and_saveexec_b64 s[26:27], s[30:31]
	s_cbranch_execnz .LBB70_299
; %bb.292:
	s_or_b64 exec, exec, s[26:27]
	s_and_b64 s[30:31], s[4:5], s[18:19]
	s_and_saveexec_b64 s[26:27], s[30:31]
	s_cbranch_execnz .LBB70_303
.LBB70_293:
	s_or_b64 exec, exec, s[26:27]
	s_and_b64 s[30:31], s[6:7], s[18:19]
	s_and_saveexec_b64 s[26:27], s[30:31]
	s_cbranch_execnz .LBB70_307
.LBB70_294:
	s_or_b64 exec, exec, s[26:27]
	s_and_b64 s[30:31], s[8:9], s[18:19]
	s_and_saveexec_b64 s[26:27], s[30:31]
	s_cbranch_execnz .LBB70_311
.LBB70_295:
	s_or_b64 exec, exec, s[26:27]
	s_and_b64 s[30:31], s[10:11], s[18:19]
	s_and_saveexec_b64 s[26:27], s[30:31]
	s_cbranch_execnz .LBB70_315
.LBB70_296:
	s_or_b64 exec, exec, s[26:27]
	s_and_b64 s[30:31], s[12:13], s[18:19]
	s_and_saveexec_b64 s[26:27], s[30:31]
	s_cbranch_execnz .LBB70_319
.LBB70_297:
	s_or_b64 exec, exec, s[26:27]
	s_and_b64 s[30:31], s[14:15], s[18:19]
	s_and_saveexec_b64 s[26:27], s[30:31]
	s_cbranch_execnz .LBB70_323
.LBB70_298:
	s_or_b64 exec, exec, s[26:27]
	s_and_b64 s[26:27], s[16:17], s[18:19]
	s_and_saveexec_b64 s[18:19], s[26:27]
	s_cbranch_execnz .LBB70_327
	s_branch .LBB70_331
.LBB70_299:
	s_and_b64 vcc, exec, s[0:1]
	s_cbranch_vccnz .LBB70_301
; %bb.300:
	v_lshl_add_u64 v[44:45], v[64:65], 2, v[42:43]
	global_load_dword v44, v[44:45], off
	s_waitcnt vmcnt(0)
	v_mul_f32_e32 v44, s33, v44
	s_branch .LBB70_302
.LBB70_301:
	v_mov_b32_e32 v44, 0
.LBB70_302:
	v_pk_add_f32 v[46:47], v[32:33], v[36:37]
	s_nop 0
	v_min3_f32 v45, v46, v47, v99
	v_pk_add_f32 v[46:47], v[34:35], v[38:39]
	s_nop 0
	v_min_f32_e32 v46, v46, v47
	v_min3_f32 v46, v44, v46, v45
	v_lshl_add_u64 v[44:45], v[64:65], 2, v[40:41]
	global_store_dword v[44:45], v46, off
	s_or_b64 exec, exec, s[26:27]
	s_and_b64 s[30:31], s[4:5], s[18:19]
	s_and_saveexec_b64 s[26:27], s[30:31]
	s_cbranch_execz .LBB70_293
.LBB70_303:
	s_and_b64 vcc, exec, s[0:1]
	s_cbranch_vccnz .LBB70_305
; %bb.304:
	v_lshl_add_u64 v[44:45], v[66:67], 2, v[42:43]
	global_load_dword v44, v[44:45], off
	s_waitcnt vmcnt(0)
	v_mul_f32_e32 v44, s33, v44
	s_branch .LBB70_306
.LBB70_305:
	v_mov_b32_e32 v44, 0
.LBB70_306:
	v_pk_add_f32 v[46:47], v[28:29], v[36:37]
	s_nop 0
	v_min3_f32 v45, v46, v47, v98
	v_pk_add_f32 v[46:47], v[30:31], v[38:39]
	s_nop 0
	v_min_f32_e32 v46, v46, v47
	v_min3_f32 v46, v44, v46, v45
	v_lshl_add_u64 v[44:45], v[66:67], 2, v[40:41]
	global_store_dword v[44:45], v46, off
	s_or_b64 exec, exec, s[26:27]
	s_and_b64 s[30:31], s[6:7], s[18:19]
	s_and_saveexec_b64 s[26:27], s[30:31]
	s_cbranch_execz .LBB70_294
.LBB70_307:
	s_and_b64 vcc, exec, s[0:1]
	s_cbranch_vccnz .LBB70_309
; %bb.308:
	v_lshl_add_u64 v[44:45], v[68:69], 2, v[42:43]
	global_load_dword v44, v[44:45], off
	s_waitcnt vmcnt(0)
	v_mul_f32_e32 v44, s33, v44
	s_branch .LBB70_310
.LBB70_309:
	v_mov_b32_e32 v44, 0
.LBB70_310:
	v_pk_add_f32 v[46:47], v[24:25], v[36:37]
	s_nop 0
	v_min3_f32 v45, v46, v47, v97
	v_pk_add_f32 v[46:47], v[26:27], v[38:39]
	s_nop 0
	v_min_f32_e32 v46, v46, v47
	v_min3_f32 v46, v44, v46, v45
	v_lshl_add_u64 v[44:45], v[68:69], 2, v[40:41]
	global_store_dword v[44:45], v46, off
	s_or_b64 exec, exec, s[26:27]
	s_and_b64 s[30:31], s[8:9], s[18:19]
	s_and_saveexec_b64 s[26:27], s[30:31]
	s_cbranch_execz .LBB70_295
.LBB70_311:
	s_and_b64 vcc, exec, s[0:1]
	s_cbranch_vccnz .LBB70_313
; %bb.312:
	v_lshl_add_u64 v[44:45], v[70:71], 2, v[42:43]
	global_load_dword v44, v[44:45], off
	s_waitcnt vmcnt(0)
	v_mul_f32_e32 v44, s33, v44
	s_branch .LBB70_314
.LBB70_313:
	v_mov_b32_e32 v44, 0
.LBB70_314:
	v_pk_add_f32 v[46:47], v[20:21], v[36:37]
	s_nop 0
	v_min3_f32 v45, v46, v47, v96
	v_pk_add_f32 v[46:47], v[22:23], v[38:39]
	s_nop 0
	v_min_f32_e32 v46, v46, v47
	v_min3_f32 v46, v44, v46, v45
	v_lshl_add_u64 v[44:45], v[70:71], 2, v[40:41]
	global_store_dword v[44:45], v46, off
	s_or_b64 exec, exec, s[26:27]
	s_and_b64 s[30:31], s[10:11], s[18:19]
	s_and_saveexec_b64 s[26:27], s[30:31]
	s_cbranch_execz .LBB70_296
.LBB70_315:
	s_and_b64 vcc, exec, s[0:1]
	s_cbranch_vccnz .LBB70_317
; %bb.316:
	v_lshl_add_u64 v[44:45], v[72:73], 2, v[42:43]
	global_load_dword v44, v[44:45], off
	s_waitcnt vmcnt(0)
	v_mul_f32_e32 v44, s33, v44
	s_branch .LBB70_318
.LBB70_317:
	v_mov_b32_e32 v44, 0
.LBB70_318:
	v_pk_add_f32 v[46:47], v[16:17], v[36:37]
	s_nop 0
	v_min3_f32 v45, v46, v47, v95
	v_pk_add_f32 v[46:47], v[18:19], v[38:39]
	s_nop 0
	v_min_f32_e32 v46, v46, v47
	v_min3_f32 v46, v44, v46, v45
	v_lshl_add_u64 v[44:45], v[72:73], 2, v[40:41]
	global_store_dword v[44:45], v46, off
	s_or_b64 exec, exec, s[26:27]
	s_and_b64 s[30:31], s[12:13], s[18:19]
	s_and_saveexec_b64 s[26:27], s[30:31]
	s_cbranch_execz .LBB70_297
.LBB70_319:
	s_and_b64 vcc, exec, s[0:1]
	s_cbranch_vccnz .LBB70_321
; %bb.320:
	v_lshl_add_u64 v[44:45], v[74:75], 2, v[42:43]
	global_load_dword v44, v[44:45], off
	s_waitcnt vmcnt(0)
	v_mul_f32_e32 v44, s33, v44
	s_branch .LBB70_322
.LBB70_321:
	v_mov_b32_e32 v44, 0
.LBB70_322:
	v_pk_add_f32 v[46:47], v[12:13], v[36:37]
	s_nop 0
	v_min3_f32 v45, v46, v47, v94
	v_pk_add_f32 v[46:47], v[14:15], v[38:39]
	s_nop 0
	v_min_f32_e32 v46, v46, v47
	v_min3_f32 v46, v44, v46, v45
	v_lshl_add_u64 v[44:45], v[74:75], 2, v[40:41]
	global_store_dword v[44:45], v46, off
	s_or_b64 exec, exec, s[26:27]
	s_and_b64 s[30:31], s[14:15], s[18:19]
	s_and_saveexec_b64 s[26:27], s[30:31]
	s_cbranch_execz .LBB70_298
.LBB70_323:
	s_and_b64 vcc, exec, s[0:1]
	s_cbranch_vccnz .LBB70_325
; %bb.324:
	v_lshl_add_u64 v[44:45], v[76:77], 2, v[42:43]
	global_load_dword v44, v[44:45], off
	s_waitcnt vmcnt(0)
	v_mul_f32_e32 v44, s33, v44
	s_branch .LBB70_326
.LBB70_325:
	v_mov_b32_e32 v44, 0
.LBB70_326:
	v_pk_add_f32 v[46:47], v[8:9], v[36:37]
	s_nop 0
	v_min3_f32 v45, v46, v47, v93
	v_pk_add_f32 v[46:47], v[10:11], v[38:39]
	s_nop 0
	v_min_f32_e32 v46, v46, v47
	v_min3_f32 v46, v44, v46, v45
	v_lshl_add_u64 v[44:45], v[76:77], 2, v[40:41]
	global_store_dword v[44:45], v46, off
	s_or_b64 exec, exec, s[26:27]
	s_and_b64 s[26:27], s[16:17], s[18:19]
	s_and_saveexec_b64 s[18:19], s[26:27]
	s_cbranch_execz .LBB70_331
.LBB70_327:
	s_and_b64 vcc, exec, s[0:1]
	s_cbranch_vccnz .LBB70_329
; %bb.328:
	v_lshl_add_u64 v[42:43], v[78:79], 2, v[42:43]
	global_load_dword v42, v[42:43], off
	s_waitcnt vmcnt(0)
	v_mul_f32_e32 v42, s33, v42
	s_branch .LBB70_330
.LBB70_329:
	v_mov_b32_e32 v42, 0
.LBB70_330:
	v_pk_add_f32 v[36:37], v[0:1], v[36:37]
	s_nop 0
	v_min3_f32 v43, v36, v37, v92
	v_pk_add_f32 v[36:37], v[2:3], v[38:39]
	s_nop 0
	v_min_f32_e32 v36, v36, v37
	v_min3_f32 v38, v42, v36, v43
	v_lshl_add_u64 v[36:37], v[78:79], 2, v[40:41]
	global_store_dword v[36:37], v38, off
.LBB70_331:
	s_or_b64 exec, exec, s[18:19]
	v_add_u32_e32 v40, 0xe0, v123
	v_cmp_gt_i32_e64 s[18:19], s21, v40
	v_mad_i64_i32 v[36:37], s[20:21], v40, s29, 0
	v_lshl_add_u64 v[38:39], v[36:37], 2, s[24:25]
	v_mad_i64_i32 v[36:37], s[20:21], v40, s28, 0
	v_lshl_add_u64 v[36:37], v[36:37], 2, s[22:23]
	s_and_b64 s[20:21], s[2:3], s[18:19]
	s_and_saveexec_b64 s[2:3], s[20:21]
	s_cbranch_execnz .LBB70_340
; %bb.332:
	s_or_b64 exec, exec, s[2:3]
	s_and_b64 s[4:5], s[4:5], s[18:19]
	s_and_saveexec_b64 s[2:3], s[4:5]
	s_cbranch_execnz .LBB70_344
.LBB70_333:
	s_or_b64 exec, exec, s[2:3]
	s_and_b64 s[4:5], s[6:7], s[18:19]
	s_and_saveexec_b64 s[2:3], s[4:5]
	s_cbranch_execnz .LBB70_348
.LBB70_334:
	s_or_b64 exec, exec, s[2:3]
	s_and_b64 s[4:5], s[8:9], s[18:19]
	s_and_saveexec_b64 s[2:3], s[4:5]
	s_cbranch_execnz .LBB70_352
.LBB70_335:
	s_or_b64 exec, exec, s[2:3]
	s_and_b64 s[4:5], s[10:11], s[18:19]
	s_and_saveexec_b64 s[2:3], s[4:5]
	s_cbranch_execnz .LBB70_356
.LBB70_336:
	s_or_b64 exec, exec, s[2:3]
	s_and_b64 s[4:5], s[12:13], s[18:19]
	s_and_saveexec_b64 s[2:3], s[4:5]
	s_cbranch_execnz .LBB70_360
.LBB70_337:
	s_or_b64 exec, exec, s[2:3]
	s_and_b64 s[4:5], s[14:15], s[18:19]
	s_and_saveexec_b64 s[2:3], s[4:5]
	s_cbranch_execnz .LBB70_364
.LBB70_338:
	s_or_b64 exec, exec, s[2:3]
	s_and_b64 s[2:3], s[16:17], s[18:19]
	s_and_saveexec_b64 s[4:5], s[2:3]
	s_cbranch_execnz .LBB70_368
.LBB70_339:
	s_endpgm
.LBB70_340:
	s_and_b64 vcc, exec, s[0:1]
	s_cbranch_vccnz .LBB70_342
; %bb.341:
	v_lshl_add_u64 v[40:41], v[64:65], 2, v[38:39]
	global_load_dword v40, v[40:41], off
	s_waitcnt vmcnt(0)
	v_mul_f32_e32 v40, s33, v40
	s_branch .LBB70_343
.LBB70_342:
	v_mov_b32_e32 v40, 0
.LBB70_343:
	v_pk_add_f32 v[32:33], v[32:33], v[4:5]
	s_nop 0
	v_min3_f32 v41, v32, v33, v91
	v_pk_add_f32 v[32:33], v[34:35], v[6:7]
	s_nop 0
	v_min_f32_e32 v32, v32, v33
	v_min3_f32 v34, v40, v32, v41
	v_lshl_add_u64 v[32:33], v[64:65], 2, v[36:37]
	global_store_dword v[32:33], v34, off
	s_or_b64 exec, exec, s[2:3]
	s_and_b64 s[4:5], s[4:5], s[18:19]
	s_and_saveexec_b64 s[2:3], s[4:5]
	s_cbranch_execz .LBB70_333
.LBB70_344:
	s_and_b64 vcc, exec, s[0:1]
	s_cbranch_vccnz .LBB70_346
; %bb.345:
	v_lshl_add_u64 v[32:33], v[66:67], 2, v[38:39]
	global_load_dword v32, v[32:33], off
	s_waitcnt vmcnt(0)
	v_mul_f32_e32 v32, s33, v32
	s_branch .LBB70_347
.LBB70_346:
	v_mov_b32_e32 v32, 0
.LBB70_347:
	v_pk_add_f32 v[28:29], v[28:29], v[4:5]
	s_nop 0
	v_min3_f32 v33, v28, v29, v90
	v_pk_add_f32 v[28:29], v[30:31], v[6:7]
	s_nop 0
	v_min_f32_e32 v28, v28, v29
	v_min3_f32 v30, v32, v28, v33
	v_lshl_add_u64 v[28:29], v[66:67], 2, v[36:37]
	global_store_dword v[28:29], v30, off
	s_or_b64 exec, exec, s[2:3]
	s_and_b64 s[4:5], s[6:7], s[18:19]
	s_and_saveexec_b64 s[2:3], s[4:5]
	s_cbranch_execz .LBB70_334
.LBB70_348:
	s_and_b64 vcc, exec, s[0:1]
	s_cbranch_vccnz .LBB70_350
; %bb.349:
	v_lshl_add_u64 v[28:29], v[68:69], 2, v[38:39]
	global_load_dword v28, v[28:29], off
	s_waitcnt vmcnt(0)
	v_mul_f32_e32 v28, s33, v28
	s_branch .LBB70_351
.LBB70_350:
	v_mov_b32_e32 v28, 0
.LBB70_351:
	v_pk_add_f32 v[24:25], v[24:25], v[4:5]
	s_nop 0
	v_min3_f32 v29, v24, v25, v89
	v_pk_add_f32 v[24:25], v[26:27], v[6:7]
	s_nop 0
	v_min_f32_e32 v24, v24, v25
	v_min3_f32 v26, v28, v24, v29
	v_lshl_add_u64 v[24:25], v[68:69], 2, v[36:37]
	global_store_dword v[24:25], v26, off
	s_or_b64 exec, exec, s[2:3]
	s_and_b64 s[4:5], s[8:9], s[18:19]
	s_and_saveexec_b64 s[2:3], s[4:5]
	s_cbranch_execz .LBB70_335
.LBB70_352:
	s_and_b64 vcc, exec, s[0:1]
	s_cbranch_vccnz .LBB70_354
; %bb.353:
	v_lshl_add_u64 v[24:25], v[70:71], 2, v[38:39]
	global_load_dword v24, v[24:25], off
	s_waitcnt vmcnt(0)
	v_mul_f32_e32 v24, s33, v24
	s_branch .LBB70_355
.LBB70_354:
	v_mov_b32_e32 v24, 0
.LBB70_355:
	v_pk_add_f32 v[20:21], v[20:21], v[4:5]
	s_nop 0
	v_min3_f32 v25, v20, v21, v87
	v_pk_add_f32 v[20:21], v[22:23], v[6:7]
	s_nop 0
	v_min_f32_e32 v20, v20, v21
	v_min3_f32 v22, v24, v20, v25
	v_lshl_add_u64 v[20:21], v[70:71], 2, v[36:37]
	global_store_dword v[20:21], v22, off
	s_or_b64 exec, exec, s[2:3]
	s_and_b64 s[4:5], s[10:11], s[18:19]
	s_and_saveexec_b64 s[2:3], s[4:5]
	s_cbranch_execz .LBB70_336
.LBB70_356:
	s_and_b64 vcc, exec, s[0:1]
	s_cbranch_vccnz .LBB70_358
; %bb.357:
	v_lshl_add_u64 v[20:21], v[72:73], 2, v[38:39]
	global_load_dword v20, v[20:21], off
	s_waitcnt vmcnt(0)
	v_mul_f32_e32 v20, s33, v20
	s_branch .LBB70_359
.LBB70_358:
	v_mov_b32_e32 v20, 0
.LBB70_359:
	v_pk_add_f32 v[16:17], v[16:17], v[4:5]
	s_nop 0
	v_min3_f32 v21, v16, v17, v86
	v_pk_add_f32 v[16:17], v[18:19], v[6:7]
	s_nop 0
	v_min_f32_e32 v16, v16, v17
	v_min3_f32 v18, v20, v16, v21
	v_lshl_add_u64 v[16:17], v[72:73], 2, v[36:37]
	global_store_dword v[16:17], v18, off
	s_or_b64 exec, exec, s[2:3]
	s_and_b64 s[4:5], s[12:13], s[18:19]
	s_and_saveexec_b64 s[2:3], s[4:5]
	s_cbranch_execz .LBB70_337
.LBB70_360:
	s_and_b64 vcc, exec, s[0:1]
	s_cbranch_vccnz .LBB70_362
; %bb.361:
	v_lshl_add_u64 v[16:17], v[74:75], 2, v[38:39]
	global_load_dword v16, v[16:17], off
	s_waitcnt vmcnt(0)
	v_mul_f32_e32 v16, s33, v16
	s_branch .LBB70_363
.LBB70_362:
	v_mov_b32_e32 v16, 0
.LBB70_363:
	v_pk_add_f32 v[12:13], v[12:13], v[4:5]
	s_nop 0
	v_min3_f32 v17, v12, v13, v85
	v_pk_add_f32 v[12:13], v[14:15], v[6:7]
	s_nop 0
	v_min_f32_e32 v12, v12, v13
	v_min3_f32 v14, v16, v12, v17
	v_lshl_add_u64 v[12:13], v[74:75], 2, v[36:37]
	global_store_dword v[12:13], v14, off
	s_or_b64 exec, exec, s[2:3]
	s_and_b64 s[4:5], s[14:15], s[18:19]
	s_and_saveexec_b64 s[2:3], s[4:5]
	s_cbranch_execz .LBB70_338
.LBB70_364:
	s_and_b64 vcc, exec, s[0:1]
	s_cbranch_vccnz .LBB70_366
; %bb.365:
	v_lshl_add_u64 v[12:13], v[76:77], 2, v[38:39]
	global_load_dword v12, v[12:13], off
	s_waitcnt vmcnt(0)
	v_mul_f32_e32 v12, s33, v12
	s_branch .LBB70_367
.LBB70_366:
	v_mov_b32_e32 v12, 0
.LBB70_367:
	v_pk_add_f32 v[8:9], v[8:9], v[4:5]
	s_nop 0
	v_min3_f32 v13, v8, v9, v84
	v_pk_add_f32 v[8:9], v[10:11], v[6:7]
	s_nop 0
	v_min_f32_e32 v8, v8, v9
	v_min3_f32 v10, v12, v8, v13
	v_lshl_add_u64 v[8:9], v[76:77], 2, v[36:37]
	global_store_dword v[8:9], v10, off
	s_or_b64 exec, exec, s[2:3]
	s_and_b64 s[2:3], s[16:17], s[18:19]
	s_and_saveexec_b64 s[4:5], s[2:3]
	s_cbranch_execz .LBB70_339
.LBB70_368:
	s_and_b64 vcc, exec, s[0:1]
	s_cbranch_vccnz .LBB70_370
; %bb.369:
	v_lshl_add_u64 v[8:9], v[78:79], 2, v[38:39]
	global_load_dword v8, v[8:9], off
	s_waitcnt vmcnt(0)
	v_mul_f32_e32 v8, s33, v8
	s_branch .LBB70_371
.LBB70_370:
	v_mov_b32_e32 v8, 0
.LBB70_371:
	v_pk_add_f32 v[0:1], v[0:1], v[4:5]
	s_nop 0
	v_min3_f32 v4, v0, v1, v88
	v_pk_add_f32 v[0:1], v[2:3], v[6:7]
	s_nop 0
	v_min_f32_e32 v0, v0, v1
	v_min3_f32 v2, v8, v0, v4
	v_lshl_add_u64 v[0:1], v[78:79], 2, v[36:37]
	global_store_dword v[0:1], v2, off
	s_endpgm
	.section	.rodata,"a",@progbits
	.p2align	6, 0x0
	.amdhsa_kernel _ZN12_GLOBAL__N_120geam_min_plus_kernelIf15HIP_vector_typeIfLj2EEfLi8ELi32ELi64ELi256ELi4ELi64ELi4ELi64ELi4ELc78ELc84ELb1ELb1ELb1EfKffEEviiiT16_PT17_ilS6_ilS4_S6_ilPT18_ili26rocblas_geam_ex_operation_
		.amdhsa_group_segment_fixed_size 10240
		.amdhsa_private_segment_fixed_size 0
		.amdhsa_kernarg_size 128
		.amdhsa_user_sgpr_count 2
		.amdhsa_user_sgpr_dispatch_ptr 0
		.amdhsa_user_sgpr_queue_ptr 0
		.amdhsa_user_sgpr_kernarg_segment_ptr 1
		.amdhsa_user_sgpr_dispatch_id 0
		.amdhsa_user_sgpr_kernarg_preload_length 0
		.amdhsa_user_sgpr_kernarg_preload_offset 0
		.amdhsa_user_sgpr_private_segment_size 0
		.amdhsa_uses_dynamic_stack 0
		.amdhsa_enable_private_segment 0
		.amdhsa_system_sgpr_workgroup_id_x 1
		.amdhsa_system_sgpr_workgroup_id_y 0
		.amdhsa_system_sgpr_workgroup_id_z 1
		.amdhsa_system_sgpr_workgroup_info 0
		.amdhsa_system_vgpr_workitem_id 1
		.amdhsa_next_free_vgpr 164
		.amdhsa_next_free_sgpr 40
		.amdhsa_accum_offset 164
		.amdhsa_reserve_vcc 1
		.amdhsa_float_round_mode_32 0
		.amdhsa_float_round_mode_16_64 0
		.amdhsa_float_denorm_mode_32 3
		.amdhsa_float_denorm_mode_16_64 3
		.amdhsa_dx10_clamp 1
		.amdhsa_ieee_mode 1
		.amdhsa_fp16_overflow 0
		.amdhsa_tg_split 0
		.amdhsa_exception_fp_ieee_invalid_op 0
		.amdhsa_exception_fp_denorm_src 0
		.amdhsa_exception_fp_ieee_div_zero 0
		.amdhsa_exception_fp_ieee_overflow 0
		.amdhsa_exception_fp_ieee_underflow 0
		.amdhsa_exception_fp_ieee_inexact 0
		.amdhsa_exception_int_div_zero 0
	.end_amdhsa_kernel
	.section	.text._ZN12_GLOBAL__N_120geam_min_plus_kernelIf15HIP_vector_typeIfLj2EEfLi8ELi32ELi64ELi256ELi4ELi64ELi4ELi64ELi4ELc78ELc84ELb1ELb1ELb1EfKffEEviiiT16_PT17_ilS6_ilS4_S6_ilPT18_ili26rocblas_geam_ex_operation_,"axG",@progbits,_ZN12_GLOBAL__N_120geam_min_plus_kernelIf15HIP_vector_typeIfLj2EEfLi8ELi32ELi64ELi256ELi4ELi64ELi4ELi64ELi4ELc78ELc84ELb1ELb1ELb1EfKffEEviiiT16_PT17_ilS6_ilS4_S6_ilPT18_ili26rocblas_geam_ex_operation_,comdat
.Lfunc_end70:
	.size	_ZN12_GLOBAL__N_120geam_min_plus_kernelIf15HIP_vector_typeIfLj2EEfLi8ELi32ELi64ELi256ELi4ELi64ELi4ELi64ELi4ELc78ELc84ELb1ELb1ELb1EfKffEEviiiT16_PT17_ilS6_ilS4_S6_ilPT18_ili26rocblas_geam_ex_operation_, .Lfunc_end70-_ZN12_GLOBAL__N_120geam_min_plus_kernelIf15HIP_vector_typeIfLj2EEfLi8ELi32ELi64ELi256ELi4ELi64ELi4ELi64ELi4ELc78ELc84ELb1ELb1ELb1EfKffEEviiiT16_PT17_ilS6_ilS4_S6_ilPT18_ili26rocblas_geam_ex_operation_
                                        ; -- End function
	.set _ZN12_GLOBAL__N_120geam_min_plus_kernelIf15HIP_vector_typeIfLj2EEfLi8ELi32ELi64ELi256ELi4ELi64ELi4ELi64ELi4ELc78ELc84ELb1ELb1ELb1EfKffEEviiiT16_PT17_ilS6_ilS4_S6_ilPT18_ili26rocblas_geam_ex_operation_.num_vgpr, 164
	.set _ZN12_GLOBAL__N_120geam_min_plus_kernelIf15HIP_vector_typeIfLj2EEfLi8ELi32ELi64ELi256ELi4ELi64ELi4ELi64ELi4ELc78ELc84ELb1ELb1ELb1EfKffEEviiiT16_PT17_ilS6_ilS4_S6_ilPT18_ili26rocblas_geam_ex_operation_.num_agpr, 0
	.set _ZN12_GLOBAL__N_120geam_min_plus_kernelIf15HIP_vector_typeIfLj2EEfLi8ELi32ELi64ELi256ELi4ELi64ELi4ELi64ELi4ELc78ELc84ELb1ELb1ELb1EfKffEEviiiT16_PT17_ilS6_ilS4_S6_ilPT18_ili26rocblas_geam_ex_operation_.numbered_sgpr, 40
	.set _ZN12_GLOBAL__N_120geam_min_plus_kernelIf15HIP_vector_typeIfLj2EEfLi8ELi32ELi64ELi256ELi4ELi64ELi4ELi64ELi4ELc78ELc84ELb1ELb1ELb1EfKffEEviiiT16_PT17_ilS6_ilS4_S6_ilPT18_ili26rocblas_geam_ex_operation_.num_named_barrier, 0
	.set _ZN12_GLOBAL__N_120geam_min_plus_kernelIf15HIP_vector_typeIfLj2EEfLi8ELi32ELi64ELi256ELi4ELi64ELi4ELi64ELi4ELc78ELc84ELb1ELb1ELb1EfKffEEviiiT16_PT17_ilS6_ilS4_S6_ilPT18_ili26rocblas_geam_ex_operation_.private_seg_size, 0
	.set _ZN12_GLOBAL__N_120geam_min_plus_kernelIf15HIP_vector_typeIfLj2EEfLi8ELi32ELi64ELi256ELi4ELi64ELi4ELi64ELi4ELc78ELc84ELb1ELb1ELb1EfKffEEviiiT16_PT17_ilS6_ilS4_S6_ilPT18_ili26rocblas_geam_ex_operation_.uses_vcc, 1
	.set _ZN12_GLOBAL__N_120geam_min_plus_kernelIf15HIP_vector_typeIfLj2EEfLi8ELi32ELi64ELi256ELi4ELi64ELi4ELi64ELi4ELc78ELc84ELb1ELb1ELb1EfKffEEviiiT16_PT17_ilS6_ilS4_S6_ilPT18_ili26rocblas_geam_ex_operation_.uses_flat_scratch, 0
	.set _ZN12_GLOBAL__N_120geam_min_plus_kernelIf15HIP_vector_typeIfLj2EEfLi8ELi32ELi64ELi256ELi4ELi64ELi4ELi64ELi4ELc78ELc84ELb1ELb1ELb1EfKffEEviiiT16_PT17_ilS6_ilS4_S6_ilPT18_ili26rocblas_geam_ex_operation_.has_dyn_sized_stack, 0
	.set _ZN12_GLOBAL__N_120geam_min_plus_kernelIf15HIP_vector_typeIfLj2EEfLi8ELi32ELi64ELi256ELi4ELi64ELi4ELi64ELi4ELc78ELc84ELb1ELb1ELb1EfKffEEviiiT16_PT17_ilS6_ilS4_S6_ilPT18_ili26rocblas_geam_ex_operation_.has_recursion, 0
	.set _ZN12_GLOBAL__N_120geam_min_plus_kernelIf15HIP_vector_typeIfLj2EEfLi8ELi32ELi64ELi256ELi4ELi64ELi4ELi64ELi4ELc78ELc84ELb1ELb1ELb1EfKffEEviiiT16_PT17_ilS6_ilS4_S6_ilPT18_ili26rocblas_geam_ex_operation_.has_indirect_call, 0
	.section	.AMDGPU.csdata,"",@progbits
; Kernel info:
; codeLenInByte = 18288
; TotalNumSgprs: 46
; NumVgprs: 164
; NumAgprs: 0
; TotalNumVgprs: 164
; ScratchSize: 0
; MemoryBound: 0
; FloatMode: 240
; IeeeMode: 1
; LDSByteSize: 10240 bytes/workgroup (compile time only)
; SGPRBlocks: 5
; VGPRBlocks: 20
; NumSGPRsForWavesPerEU: 46
; NumVGPRsForWavesPerEU: 164
; AccumOffset: 164
; Occupancy: 3
; WaveLimiterHint : 0
; COMPUTE_PGM_RSRC2:SCRATCH_EN: 0
; COMPUTE_PGM_RSRC2:USER_SGPR: 2
; COMPUTE_PGM_RSRC2:TRAP_HANDLER: 0
; COMPUTE_PGM_RSRC2:TGID_X_EN: 1
; COMPUTE_PGM_RSRC2:TGID_Y_EN: 0
; COMPUTE_PGM_RSRC2:TGID_Z_EN: 1
; COMPUTE_PGM_RSRC2:TIDIG_COMP_CNT: 1
; COMPUTE_PGM_RSRC3_GFX90A:ACCUM_OFFSET: 40
; COMPUTE_PGM_RSRC3_GFX90A:TG_SPLIT: 0
	.section	.text._ZN12_GLOBAL__N_120geam_min_plus_kernelIf15HIP_vector_typeIfLj2EEfLi8ELi32ELi64ELi256ELi4ELi64ELi4ELi64ELi4ELc78ELc84ELb0ELb1ELb1EfKffEEviiiT16_PT17_ilS6_ilS4_S6_ilPT18_ili26rocblas_geam_ex_operation_,"axG",@progbits,_ZN12_GLOBAL__N_120geam_min_plus_kernelIf15HIP_vector_typeIfLj2EEfLi8ELi32ELi64ELi256ELi4ELi64ELi4ELi64ELi4ELc78ELc84ELb0ELb1ELb1EfKffEEviiiT16_PT17_ilS6_ilS4_S6_ilPT18_ili26rocblas_geam_ex_operation_,comdat
	.globl	_ZN12_GLOBAL__N_120geam_min_plus_kernelIf15HIP_vector_typeIfLj2EEfLi8ELi32ELi64ELi256ELi4ELi64ELi4ELi64ELi4ELc78ELc84ELb0ELb1ELb1EfKffEEviiiT16_PT17_ilS6_ilS4_S6_ilPT18_ili26rocblas_geam_ex_operation_ ; -- Begin function _ZN12_GLOBAL__N_120geam_min_plus_kernelIf15HIP_vector_typeIfLj2EEfLi8ELi32ELi64ELi256ELi4ELi64ELi4ELi64ELi4ELc78ELc84ELb0ELb1ELb1EfKffEEviiiT16_PT17_ilS6_ilS4_S6_ilPT18_ili26rocblas_geam_ex_operation_
	.p2align	8
	.type	_ZN12_GLOBAL__N_120geam_min_plus_kernelIf15HIP_vector_typeIfLj2EEfLi8ELi32ELi64ELi256ELi4ELi64ELi4ELi64ELi4ELc78ELc84ELb0ELb1ELb1EfKffEEviiiT16_PT17_ilS6_ilS4_S6_ilPT18_ili26rocblas_geam_ex_operation_,@function
_ZN12_GLOBAL__N_120geam_min_plus_kernelIf15HIP_vector_typeIfLj2EEfLi8ELi32ELi64ELi256ELi4ELi64ELi4ELi64ELi4ELc78ELc84ELb0ELb1ELb1EfKffEEviiiT16_PT17_ilS6_ilS4_S6_ilPT18_ili26rocblas_geam_ex_operation_: ; @_ZN12_GLOBAL__N_120geam_min_plus_kernelIf15HIP_vector_typeIfLj2EEfLi8ELi32ELi64ELi256ELi4ELi64ELi4ELi64ELi4ELc78ELc84ELb0ELb1ELb1EfKffEEviiiT16_PT17_ilS6_ilS4_S6_ilPT18_ili26rocblas_geam_ex_operation_
; %bb.0:
	s_load_dwordx4 s[20:23], s[0:1], 0x0
	s_load_dwordx4 s[4:7], s[0:1], 0x20
	s_waitcnt lgkmcnt(0)
	v_cmp_eq_f32_e64 s[8:9], s23, 0
	s_and_b64 vcc, exec, s[8:9]
	s_cbranch_vccnz .LBB71_61
; %bb.1:
	s_load_dwordx2 s[10:11], s[0:1], 0x10
	s_mul_i32 s5, s5, s3
	s_mul_hi_u32 s12, s4, s3
	s_add_i32 s5, s12, s5
	s_mul_i32 s4, s4, s3
	s_lshl_b64 s[4:5], s[4:5], 2
	s_waitcnt lgkmcnt(0)
	s_add_u32 s30, s10, s4
	s_addc_u32 s31, s11, s5
	s_andn2_b64 vcc, exec, s[8:9]
	s_mov_b64 s[4:5], -1
	s_cbranch_vccnz .LBB71_3
.LBB71_2:
	s_mov_b64 s[4:5], 0
.LBB71_3:
	s_mov_b64 s[24:25], 0
	s_andn2_b64 vcc, exec, s[4:5]
	s_mov_b64 s[28:29], 0
	s_cbranch_vccnz .LBB71_5
; %bb.4:
	s_load_dwordx2 s[4:5], s[0:1], 0x38
	s_waitcnt lgkmcnt(0)
	s_mul_i32 s5, s5, s3
	s_mul_hi_u32 s8, s4, s3
	s_add_i32 s5, s8, s5
	s_mul_i32 s4, s4, s3
	s_lshl_b64 s[4:5], s[4:5], 2
	s_add_u32 s28, s6, s4
	s_addc_u32 s29, s7, s5
.LBB71_5:
	s_load_dword s33, s[0:1], 0x40
	s_load_dwordx4 s[16:19], s[0:1], 0x58
	s_waitcnt lgkmcnt(0)
	v_cmp_eq_f32_e64 s[4:5], s33, 0
	v_cmp_neq_f32_e64 s[26:27], s33, 0
	s_and_b64 vcc, exec, s[4:5]
	s_cbranch_vccnz .LBB71_7
; %bb.6:
	s_load_dwordx2 s[4:5], s[0:1], 0x48
	s_mul_i32 s6, s17, s3
	s_mul_hi_u32 s7, s16, s3
	s_add_i32 s7, s7, s6
	s_mul_i32 s6, s16, s3
	s_lshl_b64 s[6:7], s[6:7], 2
	s_waitcnt lgkmcnt(0)
	s_add_u32 s24, s4, s6
	s_addc_u32 s25, s5, s7
.LBB71_7:
	s_add_i32 s4, s20, -1
	s_ashr_i32 s5, s4, 31
	s_lshr_b32 s5, s5, 26
	s_add_i32 s4, s4, s5
	s_ashr_i32 s4, s4, 6
	s_add_i32 s5, s4, 1
	v_cvt_f32_u32_e32 v1, s5
	s_not_b32 s4, s4
	s_load_dword s34, s[0:1], 0x18
	v_and_b32_e32 v74, 0x3ff, v0
	v_rcp_iflag_f32_e32 v1, v1
	v_bfe_u32 v75, v0, 10, 10
	v_lshl_add_u32 v0, v75, 3, v74
	s_waitcnt lgkmcnt(0)
	s_ashr_i32 s35, s34, 31
	v_mul_f32_e32 v1, 0x4f7ffffe, v1
	v_cvt_u32_f32_e32 v1, v1
	v_and_b32_e32 v2, 63, v0
	v_lshrrev_b32_e32 v76, 6, v0
	v_cmp_le_i32_e64 s[10:11], s22, v76
	v_readfirstlane_b32 s6, v1
	s_mul_i32 s4, s4, s6
	s_mul_hi_u32 s4, s6, s4
	s_add_i32 s6, s6, s4
	s_mul_hi_u32 s4, s2, s6
	s_mul_i32 s6, s4, s5
	s_sub_i32 s6, s2, s6
	s_add_i32 s7, s4, 1
	s_sub_i32 s8, s6, s5
	s_cmp_ge_u32 s6, s5
	s_cselect_b32 s4, s7, s4
	s_cselect_b32 s6, s8, s6
	s_add_i32 s7, s4, 1
	s_cmp_ge_u32 s6, s5
	s_cselect_b32 s8, s7, s4
	s_mul_i32 s4, s8, s5
	s_sub_i32 s2, s2, s4
	s_lshl_b32 s2, s2, 6
	v_or_b32_e32 v56, s2, v2
	v_cmp_le_i32_e32 vcc, s20, v56
	s_or_b64 s[4:5], vcc, s[10:11]
	v_cmp_eq_f32_e64 s[16:17], s23, 0
	s_nor_b64 s[6:7], s[16:17], s[4:5]
	v_ashrrev_i32_e32 v57, 31, v56
                                        ; implicit-def: $vgpr3
                                        ; implicit-def: $sgpr9
	s_and_saveexec_b64 s[12:13], s[6:7]
	s_xor_b64 s[6:7], exec, s[12:13]
	s_cbranch_execz .LBB71_9
; %bb.8:
	s_add_i32 s9, s22, -1
	v_min_u32_e32 v0, s9, v76
	v_mad_i64_i32 v[0:1], s[12:13], s34, v0, 0
	v_lshl_add_u64 v[0:1], v[0:1], 2, s[30:31]
	v_lshl_add_u64 v[0:1], v[56:57], 2, v[0:1]
	global_load_dword v0, v[0:1], off
	s_waitcnt vmcnt(0)
	v_mul_f32_e32 v3, s23, v0
.LBB71_9:
	s_or_saveexec_b64 s[6:7], s[6:7]
	v_mov_b32_e32 v0, s9
	s_xor_b64 exec, exec, s[6:7]
; %bb.10:
	v_mov_b32_e32 v0, 0x7f7fffff
	v_cndmask_b32_e64 v3, 0, v0, s[4:5]
	s_add_i32 s4, s22, -1
	v_mov_b32_e32 v0, s4
; %bb.11:
	s_or_b64 exec, exec, s[6:7]
	s_load_dword s39, s[0:1], 0x30
	s_lshl_b32 s38, s8, 8
	v_min_i32_e32 v0, v76, v0
	v_or_b32_e32 v64, s38, v2
	v_cmp_le_i32_e64 s[14:15], s21, v64
	s_waitcnt lgkmcnt(0)
	v_mad_i64_i32 v[0:1], s[4:5], v0, s39, 0
	v_mov_b32_e32 v5, 0x7f7fffff
	s_or_b64 s[4:5], s[14:15], s[10:11]
	v_lshl_add_u64 v[0:1], v[0:1], 2, s[28:29]
	v_cndmask_b32_e64 v4, 0, v5, s[4:5]
	s_nor_b64 s[6:7], s[16:17], s[4:5]
	v_ashrrev_i32_e32 v65, 31, v64
	s_and_saveexec_b64 s[4:5], s[6:7]
	s_cbranch_execz .LBB71_13
; %bb.12:
	v_lshl_add_u64 v[6:7], v[64:65], 2, v[0:1]
	global_load_dword v4, v[6:7], off
	s_waitcnt vmcnt(0)
	v_mul_f32_e32 v4, s23, v4
.LBB71_13:
	s_or_b64 exec, exec, s[4:5]
	v_or_b32_e32 v6, 64, v64
	v_cmp_le_i32_e64 s[4:5], s21, v6
	s_or_b64 s[6:7], s[4:5], s[10:11]
	v_cndmask_b32_e64 v5, 0, v5, s[6:7]
	s_nor_b64 s[8:9], s[16:17], s[6:7]
	s_and_saveexec_b64 s[6:7], s[8:9]
	s_cbranch_execz .LBB71_15
; %bb.14:
	v_lshl_add_u64 v[6:7], v[64:65], 2, v[0:1]
	global_load_dword v5, v[6:7], off offset:256
	s_waitcnt vmcnt(0)
	v_mul_f32_e32 v5, s23, v5
.LBB71_15:
	s_or_b64 exec, exec, s[6:7]
	v_or_b32_e32 v6, 0x80, v64
	v_cmp_le_i32_e64 s[6:7], s21, v6
	v_mov_b32_e32 v7, 0x7f7fffff
	s_or_b64 s[8:9], s[6:7], s[10:11]
	v_cndmask_b32_e64 v6, 0, v7, s[8:9]
	s_nor_b64 s[12:13], s[16:17], s[8:9]
	s_and_saveexec_b64 s[8:9], s[12:13]
	s_cbranch_execz .LBB71_17
; %bb.16:
	v_lshl_add_u64 v[8:9], v[64:65], 2, v[0:1]
	global_load_dword v6, v[8:9], off offset:512
	s_waitcnt vmcnt(0)
	v_mul_f32_e32 v6, s23, v6
.LBB71_17:
	s_or_b64 exec, exec, s[8:9]
	v_or_b32_e32 v8, 0xc0, v64
	v_cmp_le_i32_e64 s[8:9], s21, v8
	s_or_b64 s[10:11], s[8:9], s[10:11]
	v_cndmask_b32_e64 v7, 0, v7, s[10:11]
	s_nor_b64 s[12:13], s[16:17], s[10:11]
	s_and_saveexec_b64 s[10:11], s[12:13]
	s_cbranch_execz .LBB71_19
; %bb.18:
	v_lshl_add_u64 v[0:1], v[64:65], 2, v[0:1]
	global_load_dword v0, v[0:1], off offset:768
	s_waitcnt vmcnt(0)
	v_mul_f32_e32 v7, s23, v0
.LBB71_19:
	s_or_b64 exec, exec, s[10:11]
	v_add_u32_e32 v0, 4, v76
	v_cmp_le_i32_e64 s[10:11], s22, v0
	s_or_b64 s[12:13], vcc, s[10:11]
	s_nor_b64 s[36:37], s[16:17], s[12:13]
                                        ; implicit-def: $vgpr58
                                        ; implicit-def: $sgpr40
	s_and_saveexec_b64 s[42:43], s[36:37]
	s_xor_b64 s[36:37], exec, s[42:43]
	s_cbranch_execz .LBB71_21
; %bb.20:
	s_add_i32 s40, s22, -1
	v_min_u32_e32 v1, s40, v0
	v_mad_u64_u32 v[8:9], s[42:43], s34, v1, 0
	v_mov_b32_e32 v10, v9
	v_mad_u64_u32 v[10:11], s[42:43], s35, v1, v[10:11]
	v_mov_b32_e32 v9, v10
	v_lshl_add_u64 v[8:9], v[8:9], 2, s[30:31]
	v_lshl_add_u64 v[8:9], v[56:57], 2, v[8:9]
	global_load_dword v1, v[8:9], off
	s_waitcnt vmcnt(0)
	v_mul_f32_e32 v58, s23, v1
.LBB71_21:
	s_or_saveexec_b64 s[36:37], s[36:37]
	v_mov_b32_e32 v1, s40
	s_xor_b64 exec, exec, s[36:37]
; %bb.22:
	v_mov_b32_e32 v1, 0x7f7fffff
	v_cndmask_b32_e64 v58, 0, v1, s[12:13]
	s_add_i32 s12, s22, -1
	v_mov_b32_e32 v1, s12
; %bb.23:
	s_or_b64 exec, exec, s[36:37]
	v_min_i32_e32 v0, v0, v1
	v_mad_i64_i32 v[0:1], s[12:13], v0, s39, 0
	v_mov_b32_e32 v8, 0x7f7fffff
	s_or_b64 s[12:13], s[14:15], s[10:11]
	v_lshl_add_u64 v[0:1], v[0:1], 2, s[28:29]
	v_cndmask_b32_e64 v59, 0, v8, s[12:13]
	s_nor_b64 s[36:37], s[16:17], s[12:13]
	s_and_saveexec_b64 s[12:13], s[36:37]
	s_cbranch_execz .LBB71_25
; %bb.24:
	v_lshl_add_u64 v[10:11], v[64:65], 2, v[0:1]
	global_load_dword v9, v[10:11], off
	s_waitcnt vmcnt(0)
	v_mul_f32_e32 v59, s23, v9
.LBB71_25:
	s_or_b64 exec, exec, s[12:13]
	s_or_b64 s[12:13], s[4:5], s[10:11]
	v_cndmask_b32_e64 v60, 0, v8, s[12:13]
	s_nor_b64 s[36:37], s[16:17], s[12:13]
	s_and_saveexec_b64 s[12:13], s[36:37]
	s_cbranch_execz .LBB71_27
; %bb.26:
	v_lshl_add_u64 v[8:9], v[64:65], 2, v[0:1]
	global_load_dword v8, v[8:9], off offset:256
	s_waitcnt vmcnt(0)
	v_mul_f32_e32 v60, s23, v8
.LBB71_27:
	s_or_b64 exec, exec, s[12:13]
	v_mov_b32_e32 v8, 0x7f7fffff
	s_or_b64 s[12:13], s[6:7], s[10:11]
	v_cndmask_b32_e64 v61, 0, v8, s[12:13]
	s_nor_b64 s[36:37], s[16:17], s[12:13]
	s_and_saveexec_b64 s[12:13], s[36:37]
	s_cbranch_execz .LBB71_29
; %bb.28:
	v_lshl_add_u64 v[10:11], v[64:65], 2, v[0:1]
	global_load_dword v9, v[10:11], off offset:512
	s_waitcnt vmcnt(0)
	v_mul_f32_e32 v61, s23, v9
.LBB71_29:
	s_or_b64 exec, exec, s[12:13]
	s_or_b64 s[10:11], s[8:9], s[10:11]
	v_cndmask_b32_e64 v62, 0, v8, s[10:11]
	s_nor_b64 s[36:37], s[16:17], s[10:11]
	s_mov_b32 s12, 0x7f7fffff
	s_and_saveexec_b64 s[10:11], s[36:37]
	s_cbranch_execz .LBB71_31
; %bb.30:
	v_lshl_add_u64 v[0:1], v[64:65], 2, v[0:1]
	global_load_dword v0, v[0:1], off offset:768
	s_waitcnt vmcnt(0)
	v_mul_f32_e32 v62, s23, v0
.LBB71_31:
	s_or_b64 exec, exec, s[10:11]
	v_lshlrev_b32_e32 v0, 4, v2
	v_lshl_add_u32 v79, v76, 2, v0
	v_lshlrev_b32_e32 v78, 4, v74
	ds_write_b32 v79, v3 offset:8192
	ds_write2st64_b32 v79, v4, v5 offset1:4
	ds_write2st64_b32 v79, v6, v7 offset0:8 offset1:12
	s_waitcnt lgkmcnt(0)
	s_barrier
	v_lshlrev_b32_e32 v77, 4, v75
	ds_read_b128 v[28:31], v78 offset:8192
	ds_read_b128 v[24:27], v78 offset:8320
	;; [unrolled: 1-line block ×8, first 2 shown]
	ds_read_b128 v[52:55], v77
	ds_read_b128 v[48:51], v77 offset:512
	ds_read_b128 v[44:47], v77 offset:1024
	;; [unrolled: 1-line block ×5, first 2 shown]
	s_waitcnt lgkmcnt(5)
	v_pk_add_f32 v[66:67], v[28:29], v[52:53]
	s_cmp_lt_i32 s22, 9
	v_min3_f32 v63, v66, v67, s12
	v_pk_add_f32 v[66:67], v[24:25], v[52:53]
	s_nop 0
	v_min3_f32 v68, v66, v67, s12
	v_pk_add_f32 v[66:67], v[20:21], v[52:53]
	s_nop 0
	v_min3_f32 v69, v66, v67, s12
	v_pk_add_f32 v[66:67], v[16:17], v[52:53]
	s_nop 0
	v_min3_f32 v70, v66, v67, s12
	v_pk_add_f32 v[66:67], v[12:13], v[52:53]
	s_nop 0
	v_min3_f32 v71, v66, v67, s12
	v_pk_add_f32 v[66:67], v[8:9], v[52:53]
	s_nop 0
	v_min3_f32 v72, v66, v67, s12
	v_pk_add_f32 v[66:67], v[4:5], v[52:53]
	v_pk_add_f32 v[52:53], v[0:1], v[52:53]
	v_min3_f32 v66, v66, v67, s12
	v_min3_f32 v67, v52, v53, s12
	s_waitcnt lgkmcnt(4)
	v_pk_add_f32 v[52:53], v[28:29], v[48:49]
	s_nop 0
	v_min3_f32 v73, v52, v53, s12
	v_pk_add_f32 v[52:53], v[24:25], v[48:49]
	s_nop 0
	v_min3_f32 v80, v52, v53, s12
	v_pk_add_f32 v[52:53], v[20:21], v[48:49]
	s_nop 0
	v_min3_f32 v81, v52, v53, s12
	v_pk_add_f32 v[52:53], v[16:17], v[48:49]
	s_nop 0
	v_min3_f32 v82, v52, v53, s12
	v_pk_add_f32 v[52:53], v[12:13], v[48:49]
	s_nop 0
	v_min3_f32 v83, v52, v53, s12
	v_pk_add_f32 v[52:53], v[8:9], v[48:49]
	s_nop 0
	v_min3_f32 v84, v52, v53, s12
	v_pk_add_f32 v[52:53], v[4:5], v[48:49]
	v_pk_add_f32 v[48:49], v[0:1], v[48:49]
	v_min3_f32 v85, v52, v53, s12
	v_min3_f32 v86, v48, v49, s12
	s_waitcnt lgkmcnt(3)
	v_pk_add_f32 v[48:49], v[28:29], v[44:45]
	s_nop 0
	;; [unrolled: 23-line block ×5, first 2 shown]
	v_min3_f32 v105, v36, v37, s12
	v_pk_add_f32 v[36:37], v[24:25], v[32:33]
	s_nop 0
	v_min3_f32 v106, v36, v37, s12
	v_pk_add_f32 v[36:37], v[20:21], v[32:33]
	s_nop 0
	;; [unrolled: 3-line block ×5, first 2 shown]
	v_min3_f32 v151, v36, v37, s12
	v_pk_add_f32 v[36:37], v[4:5], v[32:33]
	v_pk_add_f32 v[32:33], v[0:1], v[32:33]
	v_min3_f32 v152, v36, v37, s12
	v_min3_f32 v153, v32, v33, s12
	v_pk_add_f32 v[32:33], v[30:31], v[54:55]
	s_nop 0
	v_min3_f32 v148, v32, v33, v63
	v_pk_add_f32 v[32:33], v[26:27], v[54:55]
	s_nop 0
	;; [unrolled: 3-line block ×7, first 2 shown]
	v_min3_f32 v142, v32, v33, v66
	v_pk_add_f32 v[32:33], v[2:3], v[54:55]
	ds_read_b128 v[52:55], v77 offset:3072
	v_min3_f32 v141, v32, v33, v67
	v_pk_add_f32 v[32:33], v[30:31], v[50:51]
	ds_read_b128 v[66:69], v77 offset:3584
	v_min3_f32 v140, v32, v33, v73
	v_pk_add_f32 v[32:33], v[26:27], v[50:51]
	s_waitcnt lgkmcnt(1)
	v_pk_add_f32 v[36:37], v[20:21], v[52:53]
	v_min3_f32 v139, v32, v33, v80
	v_pk_add_f32 v[32:33], v[22:23], v[50:51]
	s_waitcnt lgkmcnt(0)
	v_pk_add_f32 v[20:21], v[20:21], v[66:67]
	v_min3_f32 v138, v32, v33, v81
	v_pk_add_f32 v[32:33], v[18:19], v[50:51]
	v_min3_f32 v20, v20, v21, s12
	v_min3_f32 v137, v32, v33, v82
	v_pk_add_f32 v[32:33], v[14:15], v[50:51]
	ds_write_b32 v79, v58 offset:9216
	ds_write2st64_b32 v79, v59, v60 offset0:16 offset1:20
	ds_write2st64_b32 v79, v61, v62 offset0:24 offset1:28
	v_min3_f32 v136, v32, v33, v83
	v_pk_add_f32 v[32:33], v[10:11], v[50:51]
	s_waitcnt lgkmcnt(0)
	v_min3_f32 v134, v32, v33, v84
	v_pk_add_f32 v[32:33], v[6:7], v[50:51]
	s_barrier
	v_min3_f32 v132, v32, v33, v85
	v_pk_add_f32 v[32:33], v[28:29], v[52:53]
	v_pk_add_f32 v[28:29], v[28:29], v[66:67]
	v_min3_f32 v63, v32, v33, s12
	v_pk_add_f32 v[32:33], v[24:25], v[52:53]
	v_min3_f32 v28, v28, v29, s12
	v_min3_f32 v70, v32, v33, s12
	v_pk_add_f32 v[32:33], v[2:3], v[50:51]
	v_min3_f32 v50, v36, v37, s12
	v_min3_f32 v135, v32, v33, v86
	v_pk_add_f32 v[32:33], v[30:31], v[46:47]
	v_pk_add_f32 v[36:37], v[16:17], v[52:53]
	v_min3_f32 v133, v32, v33, v87
	v_pk_add_f32 v[32:33], v[26:27], v[46:47]
	v_min3_f32 v51, v36, v37, s12
	v_min3_f32 v131, v32, v33, v88
	v_pk_add_f32 v[32:33], v[22:23], v[46:47]
	v_pk_add_f32 v[36:37], v[4:5], v[52:53]
	v_min3_f32 v130, v32, v33, v89
	v_pk_add_f32 v[32:33], v[18:19], v[46:47]
	v_pk_add_f32 v[4:5], v[4:5], v[66:67]
	v_min3_f32 v129, v32, v33, v90
	v_pk_add_f32 v[32:33], v[14:15], v[46:47]
	v_min3_f32 v4, v4, v5, s12
	v_min3_f32 v128, v32, v33, v91
	v_pk_add_f32 v[32:33], v[10:11], v[46:47]
	v_pk_add_f32 v[24:25], v[24:25], v[66:67]
	v_min3_f32 v127, v32, v33, v92
	v_pk_add_f32 v[32:33], v[6:7], v[46:47]
	v_pk_add_f32 v[16:17], v[16:17], v[66:67]
	v_min3_f32 v126, v32, v33, v48
	v_pk_add_f32 v[32:33], v[12:13], v[52:53]
	v_min3_f32 v29, v24, v25, s12
	v_min3_f32 v48, v32, v33, s12
	v_pk_add_f32 v[32:33], v[8:9], v[52:53]
	v_min3_f32 v21, v16, v17, s12
	;; [unrolled: 3-line block ×3, first 2 shown]
	v_min3_f32 v125, v32, v33, v49
	v_pk_add_f32 v[32:33], v[30:31], v[42:43]
	v_pk_add_f32 v[36:37], v[0:1], v[52:53]
	v_min3_f32 v123, v32, v33, v93
	v_pk_add_f32 v[32:33], v[26:27], v[42:43]
	v_pk_add_f32 v[0:1], v[0:1], v[66:67]
	v_min3_f32 v122, v32, v33, v94
	v_pk_add_f32 v[32:33], v[22:23], v[42:43]
	v_min3_f32 v5, v0, v1, s12
	v_min3_f32 v121, v32, v33, v95
	v_pk_add_f32 v[32:33], v[18:19], v[42:43]
	v_pk_add_f32 v[0:1], v[30:31], v[54:55]
	v_min3_f32 v120, v32, v33, v96
	v_pk_add_f32 v[32:33], v[14:15], v[42:43]
	v_min3_f32 v36, v36, v37, s12
	;; [unrolled: 6-line block ×4, first 2 shown]
	v_min3_f32 v115, v32, v33, v99
	v_min3_f32 v99, v0, v1, v63
	v_pk_add_f32 v[0:1], v[26:27], v[54:55]
	v_pk_add_f32 v[32:33], v[26:27], v[38:39]
	v_min3_f32 v98, v0, v1, v70
	v_pk_add_f32 v[0:1], v[22:23], v[54:55]
	v_min3_f32 v114, v32, v33, v100
	v_min3_f32 v97, v0, v1, v50
	v_pk_add_f32 v[0:1], v[18:19], v[54:55]
	v_pk_add_f32 v[32:33], v[22:23], v[38:39]
	v_min3_f32 v96, v0, v1, v51
	v_pk_add_f32 v[0:1], v[14:15], v[54:55]
	;; [unrolled: 6-line block ×4, first 2 shown]
	v_pk_add_f32 v[16:17], v[22:23], v[34:35]
	v_min3_f32 v91, v0, v1, v28
	v_pk_add_f32 v[0:1], v[26:27], v[68:69]
	v_pk_add_f32 v[12:13], v[12:13], v[66:67]
	v_min3_f32 v90, v0, v1, v29
	v_pk_add_f32 v[0:1], v[22:23], v[68:69]
	v_min3_f32 v111, v32, v33, v103
	v_min3_f32 v89, v0, v1, v20
	v_pk_add_f32 v[0:1], v[18:19], v[68:69]
	v_pk_add_f32 v[32:33], v[10:11], v[38:39]
	v_min3_f32 v105, v16, v17, v124
	v_pk_add_f32 v[16:17], v[18:19], v[34:35]
	v_min3_f32 v12, v12, v13, s12
	;; [unrolled: 2-line block ×4, first 2 shown]
	v_min3_f32 v104, v16, v17, v149
	v_pk_add_f32 v[16:17], v[14:15], v[34:35]
	v_min3_f32 v13, v8, v9, s12
	v_min3_f32 v86, v0, v1, v12
	v_pk_add_f32 v[0:1], v[10:11], v[68:69]
	v_min3_f32 v103, v16, v17, v150
	v_pk_add_f32 v[16:17], v[10:11], v[34:35]
	;; [unrolled: 2-line block ×3, first 2 shown]
	v_pk_add_f32 v[32:33], v[6:7], v[38:39]
	v_pk_add_f32 v[24:25], v[2:3], v[38:39]
	v_min3_f32 v102, v16, v17, v151
	v_pk_add_f32 v[16:17], v[6:7], v[34:35]
	v_pk_add_f32 v[8:9], v[2:3], v[34:35]
	v_min3_f32 v84, v0, v1, v4
	v_pk_add_f32 v[0:1], v[2:3], v[68:69]
	v_min3_f32 v109, v32, v33, v40
	v_min3_f32 v108, v24, v25, v41
	;; [unrolled: 1-line block ×5, first 2 shown]
	s_cbranch_scc1 .LBB71_58
; %bb.32:
	v_mov_b32_e32 v0, 0x2400
	v_lshl_add_u32 v124, v74, 4, v0
	v_mov_b32_e32 v0, 0x1000
	v_lshl_add_u32 v149, v75, 4, v0
	v_add_u32_e32 v0, 12, v76
	v_mad_i64_i32 v[0:1], s[10:11], v0, s34, 0
	v_lshlrev_b64 v[68:69], 2, v[0:1]
	v_add_u32_e32 v0, 8, v76
	v_mad_i64_i32 v[0:1], s[10:11], v0, s34, 0
	v_or_b32_e32 v80, 0x2000, v79
	v_add_u32_e32 v81, 0x2000, v78
	v_add_u32_e32 v82, 0x2400, v79
	v_or_b32_e32 v83, 0x1000, v79
	s_add_i32 s36, s22, -8
	v_lshl_add_u64 v[66:67], v[56:57], 2, s[30:31]
	s_add_i32 s37, s22, -1
	s_lshl_b64 s[30:31], s[34:35], 5
	v_lshlrev_b64 v[70:71], 2, v[0:1]
	s_mov_b32 s40, 0
	v_mov_b32_e32 v150, 0x7f7fffff
	s_branch .LBB71_34
.LBB71_33:                              ;   in Loop: Header=BB71_34 Depth=1
	s_or_b64 exec, exec, s[10:11]
	v_pk_add_f32 v[72:73], v[28:29], v[60:61]
	s_add_i32 s40, s40, 8
	v_min3_f32 v148, v72, v73, v148
	v_pk_add_f32 v[72:73], v[24:25], v[60:61]
	s_cmp_ge_i32 s40, s36
	v_min3_f32 v147, v72, v73, v147
	v_pk_add_f32 v[72:73], v[20:21], v[60:61]
	v_lshl_add_u64 v[66:67], v[66:67], 0, s[30:31]
	v_min3_f32 v146, v72, v73, v146
	v_pk_add_f32 v[72:73], v[16:17], v[60:61]
	s_nop 0
	v_min3_f32 v145, v72, v73, v145
	v_pk_add_f32 v[72:73], v[12:13], v[60:61]
	s_nop 0
	v_min3_f32 v144, v72, v73, v144
	v_pk_add_f32 v[72:73], v[8:9], v[60:61]
	s_nop 0
	v_min3_f32 v143, v72, v73, v143
	v_pk_add_f32 v[72:73], v[4:5], v[60:61]
	v_pk_add_f32 v[60:61], v[0:1], v[60:61]
	v_min3_f32 v72, v72, v73, v142
	v_min3_f32 v73, v60, v61, v141
	v_pk_add_f32 v[60:61], v[28:29], v[56:57]
	s_nop 0
	v_min3_f32 v140, v60, v61, v140
	v_pk_add_f32 v[60:61], v[24:25], v[56:57]
	s_nop 0
	v_min3_f32 v139, v60, v61, v139
	v_pk_add_f32 v[60:61], v[20:21], v[56:57]
	s_nop 0
	v_min3_f32 v138, v60, v61, v138
	v_pk_add_f32 v[60:61], v[16:17], v[56:57]
	s_nop 0
	v_min3_f32 v137, v60, v61, v137
	v_pk_add_f32 v[60:61], v[12:13], v[56:57]
	s_nop 0
	v_min3_f32 v136, v60, v61, v136
	v_pk_add_f32 v[60:61], v[8:9], v[56:57]
	s_nop 0
	v_min3_f32 v134, v60, v61, v134
	v_pk_add_f32 v[60:61], v[4:5], v[56:57]
	v_pk_add_f32 v[56:57], v[0:1], v[56:57]
	v_min3_f32 v60, v60, v61, v132
	v_min3_f32 v61, v56, v57, v135
	v_pk_add_f32 v[56:57], v[28:29], v[52:53]
	s_nop 0
	v_min3_f32 v132, v56, v57, v133
	v_pk_add_f32 v[56:57], v[24:25], v[52:53]
	s_nop 0
	v_min3_f32 v131, v56, v57, v131
	v_pk_add_f32 v[56:57], v[20:21], v[52:53]
	s_nop 0
	;; [unrolled: 22-line block ×5, first 2 shown]
	v_min3_f32 v105, v44, v45, v105
	v_pk_add_f32 v[44:45], v[16:17], v[40:41]
	s_nop 0
	v_min3_f32 v104, v44, v45, v104
	v_pk_add_f32 v[44:45], v[12:13], v[40:41]
	s_nop 0
	;; [unrolled: 3-line block ×3, first 2 shown]
	v_min3_f32 v102, v44, v45, v102
	v_pk_add_f32 v[44:45], v[4:5], v[40:41]
	v_pk_add_f32 v[40:41], v[0:1], v[40:41]
	v_min3_f32 v44, v44, v45, v101
	v_min3_f32 v45, v40, v41, v100
	v_pk_add_f32 v[40:41], v[28:29], v[36:37]
	v_pk_add_f32 v[28:29], v[28:29], v[32:33]
	v_min3_f32 v99, v40, v41, v99
	v_pk_add_f32 v[40:41], v[24:25], v[36:37]
	v_pk_add_f32 v[24:25], v[24:25], v[32:33]
	;; [unrolled: 3-line block ×7, first 2 shown]
	v_pk_add_f32 v[4:5], v[4:5], v[32:33]
	v_pk_add_f32 v[0:1], v[0:1], v[32:33]
	v_min3_f32 v4, v4, v5, v84
	v_min3_f32 v5, v0, v1, v88
	v_pk_add_f32 v[0:1], v[30:31], v[62:63]
	v_min3_f32 v8, v8, v9, v85
	v_min3_f32 v84, v0, v1, v148
	;; [unrolled: 3-line block ×9, first 2 shown]
	v_pk_add_f32 v[0:1], v[30:31], v[58:59]
	s_nop 0
	v_min3_f32 v92, v0, v1, v140
	v_pk_add_f32 v[0:1], v[26:27], v[58:59]
	s_nop 0
	v_min3_f32 v93, v0, v1, v139
	;; [unrolled: 3-line block ×56, first 2 shown]
	ds_read_b128 v[0:3], v81
	ds_read_b128 v[4:7], v81 offset:128
	ds_read_b128 v[8:11], v81 offset:256
	;; [unrolled: 1-line block ×7, first 2 shown]
	ds_read_b128 v[36:39], v77
	ds_read_b128 v[40:43], v77 offset:512
	ds_read_b128 v[44:47], v77 offset:1024
	;; [unrolled: 1-line block ×7, first 2 shown]
	s_waitcnt lgkmcnt(7)
	v_pk_add_f32 v[72:73], v[0:1], v[36:37]
	ds_write_b32 v82, v151
	ds_write2st64_b32 v83, v152, v153 offset1:4
	ds_write2st64_b32 v83, v154, v155 offset0:8 offset1:12
	v_min3_f32 v84, v72, v73, v84
	v_pk_add_f32 v[72:73], v[4:5], v[36:37]
	s_waitcnt lgkmcnt(0)
	v_min3_f32 v85, v72, v73, v85
	v_pk_add_f32 v[72:73], v[8:9], v[36:37]
	s_barrier
	v_min3_f32 v86, v72, v73, v86
	v_pk_add_f32 v[72:73], v[12:13], v[36:37]
	s_nop 0
	v_min3_f32 v87, v72, v73, v87
	v_pk_add_f32 v[72:73], v[16:17], v[36:37]
	s_nop 0
	;; [unrolled: 3-line block ×3, first 2 shown]
	v_min3_f32 v89, v72, v73, v89
	v_pk_add_f32 v[72:73], v[24:25], v[36:37]
	v_pk_add_f32 v[36:37], v[28:29], v[36:37]
	v_min3_f32 v72, v72, v73, v90
	v_min3_f32 v73, v36, v37, v91
	v_pk_add_f32 v[36:37], v[0:1], v[40:41]
	s_nop 0
	v_min3_f32 v90, v36, v37, v92
	v_pk_add_f32 v[36:37], v[4:5], v[40:41]
	s_nop 0
	;; [unrolled: 3-line block ×40, first 2 shown]
	v_min3_f32 v56, v36, v37, v138
	v_pk_add_f32 v[36:37], v[0:1], v[60:61]
	v_pk_add_f32 v[0:1], v[0:1], v[32:33]
	v_min3_f32 v57, v36, v37, v99
	v_pk_add_f32 v[36:37], v[4:5], v[60:61]
	s_nop 0
	v_min3_f32 v98, v36, v37, v98
	v_pk_add_f32 v[36:37], v[8:9], v[60:61]
	s_nop 0
	;; [unrolled: 3-line block ×7, first 2 shown]
	v_min3_f32 v36, v36, v37, v140
	v_min3_f32 v37, v0, v1, v141
	v_pk_add_f32 v[0:1], v[4:5], v[32:33]
	s_nop 0
	v_min3_f32 v4, v0, v1, v142
	v_pk_add_f32 v[0:1], v[8:9], v[32:33]
	s_nop 0
	;; [unrolled: 3-line block ×71, first 2 shown]
	v_min3_f32 v88, v0, v1, v16
	s_cbranch_scc1 .LBB71_58
.LBB71_34:                              ; =>This Inner Loop Header: Depth=1
	v_add_u32_e32 v72, s40, v76
	v_add_u32_e32 v0, 8, v72
	v_cmp_le_i32_e64 s[10:11], s22, v0
	s_or_b64 s[12:13], vcc, s[10:11]
	s_nor_b64 s[34:35], s[16:17], s[12:13]
                                        ; implicit-def: $vgpr73
	s_and_saveexec_b64 s[42:43], s[34:35]
	s_xor_b64 s[34:35], exec, s[42:43]
	s_cbranch_execz .LBB71_36
; %bb.35:                               ;   in Loop: Header=BB71_34 Depth=1
	v_lshl_add_u64 v[2:3], v[66:67], 0, v[70:71]
	global_load_dword v1, v[2:3], off
	s_waitcnt vmcnt(0)
	v_mul_f32_e32 v73, s23, v1
.LBB71_36:                              ;   in Loop: Header=BB71_34 Depth=1
	s_andn2_saveexec_b64 s[34:35], s[34:35]
; %bb.37:                               ;   in Loop: Header=BB71_34 Depth=1
	v_cndmask_b32_e64 v73, 0, v150, s[12:13]
; %bb.38:                               ;   in Loop: Header=BB71_34 Depth=1
	s_or_b64 exec, exec, s[34:35]
	v_min_i32_e32 v0, s37, v0
	v_mad_i64_i32 v[0:1], s[12:13], v0, s39, 0
	v_lshl_add_u64 v[0:1], v[0:1], 2, s[28:29]
	s_or_b64 s[12:13], s[14:15], s[10:11]
	v_cndmask_b32_e64 v151, 0, v150, s[12:13]
	s_nor_b64 s[34:35], s[16:17], s[12:13]
	v_lshl_add_u64 v[0:1], v[64:65], 2, v[0:1]
	s_and_saveexec_b64 s[12:13], s[34:35]
	s_cbranch_execz .LBB71_40
; %bb.39:                               ;   in Loop: Header=BB71_34 Depth=1
	global_load_dword v2, v[0:1], off
	s_waitcnt vmcnt(0)
	v_mul_f32_e32 v151, s23, v2
.LBB71_40:                              ;   in Loop: Header=BB71_34 Depth=1
	s_or_b64 exec, exec, s[12:13]
	s_or_b64 s[12:13], s[4:5], s[10:11]
	v_cndmask_b32_e64 v152, 0, v150, s[12:13]
	s_nor_b64 s[34:35], s[16:17], s[12:13]
	s_and_saveexec_b64 s[12:13], s[34:35]
	s_cbranch_execz .LBB71_42
; %bb.41:                               ;   in Loop: Header=BB71_34 Depth=1
	global_load_dword v2, v[0:1], off offset:256
	s_waitcnt vmcnt(0)
	v_mul_f32_e32 v152, s23, v2
.LBB71_42:                              ;   in Loop: Header=BB71_34 Depth=1
	s_or_b64 exec, exec, s[12:13]
	s_or_b64 s[12:13], s[6:7], s[10:11]
	v_cndmask_b32_e64 v153, 0, v150, s[12:13]
	s_nor_b64 s[34:35], s[16:17], s[12:13]
	s_and_saveexec_b64 s[12:13], s[34:35]
	s_cbranch_execz .LBB71_44
; %bb.43:                               ;   in Loop: Header=BB71_34 Depth=1
	global_load_dword v2, v[0:1], off offset:512
	s_waitcnt vmcnt(0)
	v_mul_f32_e32 v153, s23, v2
.LBB71_44:                              ;   in Loop: Header=BB71_34 Depth=1
	;; [unrolled: 11-line block ×3, first 2 shown]
	s_or_b64 exec, exec, s[10:11]
	ds_read_b128 v[28:31], v124
	ds_read_b128 v[24:27], v124 offset:128
	ds_read_b128 v[20:23], v124 offset:256
	;; [unrolled: 1-line block ×7, first 2 shown]
	ds_read_b128 v[60:63], v149
	ds_read_b128 v[56:59], v149 offset:512
	ds_read_b128 v[52:55], v149 offset:1024
	ds_read_b128 v[48:51], v149 offset:1536
	ds_read_b128 v[44:47], v149 offset:2048
	ds_read_b128 v[40:43], v149 offset:2560
	ds_read_b128 v[36:39], v149 offset:3072
	ds_read_b128 v[32:35], v149 offset:3584
	v_add_u32_e32 v72, 12, v72
	v_cmp_le_i32_e64 s[10:11], s22, v72
	s_or_b64 s[12:13], vcc, s[10:11]
	s_nor_b64 s[34:35], s[16:17], s[12:13]
	ds_write_b32 v80, v73
	ds_write2st64_b32 v79, v151, v152 offset1:4
	ds_write2st64_b32 v79, v153, v154 offset0:8 offset1:12
	s_waitcnt lgkmcnt(0)
	s_barrier
                                        ; implicit-def: $vgpr151
	s_and_saveexec_b64 s[42:43], s[34:35]
	s_xor_b64 s[34:35], exec, s[42:43]
	s_cbranch_execz .LBB71_48
; %bb.47:                               ;   in Loop: Header=BB71_34 Depth=1
	v_lshl_add_u64 v[152:153], v[66:67], 0, v[68:69]
	global_load_dword v73, v[152:153], off
	s_waitcnt vmcnt(0)
	v_mul_f32_e32 v151, s23, v73
.LBB71_48:                              ;   in Loop: Header=BB71_34 Depth=1
	s_andn2_saveexec_b64 s[34:35], s[34:35]
; %bb.49:                               ;   in Loop: Header=BB71_34 Depth=1
	v_cndmask_b32_e64 v151, 0, v150, s[12:13]
; %bb.50:                               ;   in Loop: Header=BB71_34 Depth=1
	s_or_b64 exec, exec, s[34:35]
	v_min_i32_e32 v72, s37, v72
	v_mad_i64_i32 v[72:73], s[12:13], v72, s39, 0
	v_lshl_add_u64 v[72:73], v[72:73], 2, s[28:29]
	s_or_b64 s[12:13], s[14:15], s[10:11]
	v_cndmask_b32_e64 v152, 0, v150, s[12:13]
	s_nor_b64 s[34:35], s[16:17], s[12:13]
	v_lshl_add_u64 v[72:73], v[64:65], 2, v[72:73]
	s_and_saveexec_b64 s[12:13], s[34:35]
	s_cbranch_execz .LBB71_52
; %bb.51:                               ;   in Loop: Header=BB71_34 Depth=1
	global_load_dword v152, v[72:73], off
	s_waitcnt vmcnt(0)
	v_mul_f32_e32 v152, s23, v152
.LBB71_52:                              ;   in Loop: Header=BB71_34 Depth=1
	s_or_b64 exec, exec, s[12:13]
	s_or_b64 s[12:13], s[4:5], s[10:11]
	v_cndmask_b32_e64 v153, 0, v150, s[12:13]
	s_nor_b64 s[34:35], s[16:17], s[12:13]
	s_and_saveexec_b64 s[12:13], s[34:35]
	s_cbranch_execz .LBB71_54
; %bb.53:                               ;   in Loop: Header=BB71_34 Depth=1
	global_load_dword v153, v[72:73], off offset:256
	s_waitcnt vmcnt(0)
	v_mul_f32_e32 v153, s23, v153
.LBB71_54:                              ;   in Loop: Header=BB71_34 Depth=1
	s_or_b64 exec, exec, s[12:13]
	s_or_b64 s[12:13], s[6:7], s[10:11]
	v_cndmask_b32_e64 v154, 0, v150, s[12:13]
	s_nor_b64 s[34:35], s[16:17], s[12:13]
	s_and_saveexec_b64 s[12:13], s[34:35]
	s_cbranch_execz .LBB71_56
; %bb.55:                               ;   in Loop: Header=BB71_34 Depth=1
	global_load_dword v154, v[72:73], off offset:512
	s_waitcnt vmcnt(0)
	v_mul_f32_e32 v154, s23, v154
.LBB71_56:                              ;   in Loop: Header=BB71_34 Depth=1
	s_or_b64 exec, exec, s[12:13]
	s_or_b64 s[10:11], s[8:9], s[10:11]
	v_cndmask_b32_e64 v155, 0, v150, s[10:11]
	s_nor_b64 s[12:13], s[16:17], s[10:11]
	s_and_saveexec_b64 s[10:11], s[12:13]
	s_cbranch_execz .LBB71_33
; %bb.57:                               ;   in Loop: Header=BB71_34 Depth=1
	global_load_dword v72, v[72:73], off offset:768
	s_waitcnt vmcnt(0)
	v_mul_f32_e32 v155, s23, v72
	s_branch .LBB71_33
.LBB71_58:
	s_load_dwordx2 s[4:5], s[0:1], 0x70
	s_load_dword s29, s[0:1], 0x50
	s_load_dword s28, s[0:1], 0x68
	ds_read_b128 v[32:35], v78 offset:9216
	ds_read_b128 v[28:31], v78 offset:9344
	;; [unrolled: 1-line block ×16, first 2 shown]
	v_add_u32_e32 v124, s38, v75
	s_waitcnt lgkmcnt(0)
	s_mul_i32 s1, s5, s3
	s_mul_hi_u32 s5, s4, s3
	s_mul_i32 s0, s4, s3
	s_add_i32 s1, s5, s1
	s_lshl_b64 s[0:1], s[0:1], 2
	s_add_u32 s22, s18, s0
	s_addc_u32 s23, s19, s1
	v_mad_i64_i32 v[66:67], s[0:1], v124, s29, 0
	v_add_u32_e32 v64, s2, v74
	v_lshl_add_u64 v[82:83], v[66:67], 2, s[24:25]
	v_mad_i64_i32 v[66:67], s[0:1], v124, s28, 0
	v_cmp_gt_i32_e64 s[18:19], s21, v124
	v_lshl_add_u64 v[80:81], v[66:67], 2, s[22:23]
	v_cmp_gt_i32_e64 s[2:3], s20, v64
	v_cndmask_b32_e64 v66, 0, 1, s[26:27]
	s_and_b64 s[6:7], s[2:3], s[18:19]
	v_ashrrev_i32_e32 v65, 31, v64
	v_cmp_ne_u32_e64 s[0:1], 1, v66
	s_and_saveexec_b64 s[4:5], s[6:7]
	s_cbranch_execz .LBB71_64
; %bb.59:
	s_and_b64 vcc, exec, s[0:1]
	s_cbranch_vccnz .LBB71_62
; %bb.60:
	v_lshl_add_u64 v[66:67], v[64:65], 2, v[82:83]
	global_load_dword v66, v[66:67], off
	s_waitcnt vmcnt(0)
	v_mul_f32_e32 v66, s33, v66
	s_branch .LBB71_63
.LBB71_61:
	s_mov_b64 s[30:31], 0
	s_andn2_b64 vcc, exec, s[8:9]
	s_mov_b64 s[4:5], -1
	s_cbranch_vccz .LBB71_2
	s_branch .LBB71_3
.LBB71_62:
	v_mov_b32_e32 v66, 0
.LBB71_63:
	v_pk_add_f32 v[68:69], v[32:33], v[60:61]
	s_nop 0
	v_min3_f32 v67, v68, v69, v148
	v_pk_add_f32 v[68:69], v[34:35], v[62:63]
	s_nop 0
	v_min_f32_e32 v68, v68, v69
	v_min3_f32 v68, v66, v68, v67
	v_lshl_add_u64 v[66:67], v[64:65], 2, v[80:81]
	global_store_dword v[66:67], v68, off
.LBB71_64:
	s_or_b64 exec, exec, s[4:5]
	v_add_u32_e32 v66, 8, v64
	v_cmp_gt_i32_e64 s[4:5], s20, v66
	s_and_b64 s[8:9], s[4:5], s[18:19]
	v_ashrrev_i32_e32 v67, 31, v66
	s_and_saveexec_b64 s[6:7], s[8:9]
	s_cbranch_execz .LBB71_69
; %bb.65:
	s_and_b64 vcc, exec, s[0:1]
	s_cbranch_vccnz .LBB71_67
; %bb.66:
	v_lshl_add_u64 v[68:69], v[66:67], 2, v[82:83]
	global_load_dword v68, v[68:69], off
	s_waitcnt vmcnt(0)
	v_mul_f32_e32 v68, s33, v68
	s_branch .LBB71_68
.LBB71_67:
	v_mov_b32_e32 v68, 0
.LBB71_68:
	v_pk_add_f32 v[70:71], v[28:29], v[60:61]
	s_nop 0
	v_min3_f32 v69, v70, v71, v147
	v_pk_add_f32 v[70:71], v[30:31], v[62:63]
	s_nop 0
	v_min_f32_e32 v70, v70, v71
	v_min3_f32 v70, v68, v70, v69
	v_lshl_add_u64 v[68:69], v[66:67], 2, v[80:81]
	global_store_dword v[68:69], v70, off
.LBB71_69:
	s_or_b64 exec, exec, s[6:7]
	v_add_u32_e32 v68, 16, v64
	v_cmp_gt_i32_e64 s[6:7], s20, v68
	s_and_b64 s[10:11], s[6:7], s[18:19]
	v_ashrrev_i32_e32 v69, 31, v68
	s_and_saveexec_b64 s[8:9], s[10:11]
	s_cbranch_execz .LBB71_74
; %bb.70:
	s_and_b64 vcc, exec, s[0:1]
	s_cbranch_vccnz .LBB71_72
; %bb.71:
	v_lshl_add_u64 v[70:71], v[68:69], 2, v[82:83]
	global_load_dword v70, v[70:71], off
	s_waitcnt vmcnt(0)
	v_mul_f32_e32 v70, s33, v70
	s_branch .LBB71_73
.LBB71_72:
	v_mov_b32_e32 v70, 0
.LBB71_73:
	v_pk_add_f32 v[72:73], v[24:25], v[60:61]
	s_nop 0
	v_min3_f32 v71, v72, v73, v146
	v_pk_add_f32 v[72:73], v[26:27], v[62:63]
	s_nop 0
	v_min_f32_e32 v72, v72, v73
	v_min3_f32 v72, v70, v72, v71
	v_lshl_add_u64 v[70:71], v[68:69], 2, v[80:81]
	global_store_dword v[70:71], v72, off
.LBB71_74:
	;; [unrolled: 29-line block ×7, first 2 shown]
	s_or_b64 exec, exec, s[18:19]
	v_add_u32_e32 v80, 32, v124
	v_mad_i64_i32 v[60:61], s[26:27], v80, s29, 0
	v_cmp_gt_i32_e64 s[18:19], s21, v80
	v_lshl_add_u64 v[62:63], v[60:61], 2, s[24:25]
	v_mad_i64_i32 v[60:61], s[26:27], v80, s28, 0
	v_lshl_add_u64 v[60:61], v[60:61], 2, s[22:23]
	s_and_b64 s[30:31], s[2:3], s[18:19]
	s_and_saveexec_b64 s[26:27], s[30:31]
	s_cbranch_execnz .LBB71_107
; %bb.100:
	s_or_b64 exec, exec, s[26:27]
	s_and_b64 s[30:31], s[4:5], s[18:19]
	s_and_saveexec_b64 s[26:27], s[30:31]
	s_cbranch_execnz .LBB71_111
.LBB71_101:
	s_or_b64 exec, exec, s[26:27]
	s_and_b64 s[30:31], s[6:7], s[18:19]
	s_and_saveexec_b64 s[26:27], s[30:31]
	s_cbranch_execnz .LBB71_115
.LBB71_102:
	s_or_b64 exec, exec, s[26:27]
	s_and_b64 s[30:31], s[8:9], s[18:19]
	s_and_saveexec_b64 s[26:27], s[30:31]
	s_cbranch_execnz .LBB71_119
.LBB71_103:
	s_or_b64 exec, exec, s[26:27]
	s_and_b64 s[30:31], s[10:11], s[18:19]
	s_and_saveexec_b64 s[26:27], s[30:31]
	s_cbranch_execnz .LBB71_123
.LBB71_104:
	s_or_b64 exec, exec, s[26:27]
	s_and_b64 s[30:31], s[12:13], s[18:19]
	s_and_saveexec_b64 s[26:27], s[30:31]
	s_cbranch_execnz .LBB71_127
.LBB71_105:
	s_or_b64 exec, exec, s[26:27]
	s_and_b64 s[30:31], s[14:15], s[18:19]
	s_and_saveexec_b64 s[26:27], s[30:31]
	s_cbranch_execnz .LBB71_131
.LBB71_106:
	s_or_b64 exec, exec, s[26:27]
	s_and_b64 s[26:27], s[16:17], s[18:19]
	s_and_saveexec_b64 s[18:19], s[26:27]
	s_cbranch_execnz .LBB71_135
	s_branch .LBB71_139
.LBB71_107:
	s_and_b64 vcc, exec, s[0:1]
	s_cbranch_vccnz .LBB71_109
; %bb.108:
	v_lshl_add_u64 v[80:81], v[64:65], 2, v[62:63]
	global_load_dword v80, v[80:81], off
	s_waitcnt vmcnt(0)
	v_mul_f32_e32 v80, s33, v80
	s_branch .LBB71_110
.LBB71_109:
	v_mov_b32_e32 v80, 0
.LBB71_110:
	v_pk_add_f32 v[82:83], v[32:33], v[56:57]
	s_nop 0
	v_min3_f32 v81, v82, v83, v140
	v_pk_add_f32 v[82:83], v[34:35], v[58:59]
	s_nop 0
	v_min_f32_e32 v82, v82, v83
	v_min3_f32 v82, v80, v82, v81
	v_lshl_add_u64 v[80:81], v[64:65], 2, v[60:61]
	global_store_dword v[80:81], v82, off
	s_or_b64 exec, exec, s[26:27]
	s_and_b64 s[30:31], s[4:5], s[18:19]
	s_and_saveexec_b64 s[26:27], s[30:31]
	s_cbranch_execz .LBB71_101
.LBB71_111:
	s_and_b64 vcc, exec, s[0:1]
	s_cbranch_vccnz .LBB71_113
; %bb.112:
	v_lshl_add_u64 v[80:81], v[66:67], 2, v[62:63]
	global_load_dword v80, v[80:81], off
	s_waitcnt vmcnt(0)
	v_mul_f32_e32 v80, s33, v80
	s_branch .LBB71_114
.LBB71_113:
	v_mov_b32_e32 v80, 0
.LBB71_114:
	v_pk_add_f32 v[82:83], v[28:29], v[56:57]
	s_nop 0
	v_min3_f32 v81, v82, v83, v139
	v_pk_add_f32 v[82:83], v[30:31], v[58:59]
	s_nop 0
	v_min_f32_e32 v82, v82, v83
	v_min3_f32 v82, v80, v82, v81
	v_lshl_add_u64 v[80:81], v[66:67], 2, v[60:61]
	global_store_dword v[80:81], v82, off
	s_or_b64 exec, exec, s[26:27]
	s_and_b64 s[30:31], s[6:7], s[18:19]
	s_and_saveexec_b64 s[26:27], s[30:31]
	s_cbranch_execz .LBB71_102
.LBB71_115:
	s_and_b64 vcc, exec, s[0:1]
	s_cbranch_vccnz .LBB71_117
; %bb.116:
	v_lshl_add_u64 v[80:81], v[68:69], 2, v[62:63]
	global_load_dword v80, v[80:81], off
	s_waitcnt vmcnt(0)
	v_mul_f32_e32 v80, s33, v80
	s_branch .LBB71_118
.LBB71_117:
	v_mov_b32_e32 v80, 0
.LBB71_118:
	v_pk_add_f32 v[82:83], v[24:25], v[56:57]
	s_nop 0
	v_min3_f32 v81, v82, v83, v138
	v_pk_add_f32 v[82:83], v[26:27], v[58:59]
	s_nop 0
	v_min_f32_e32 v82, v82, v83
	v_min3_f32 v82, v80, v82, v81
	v_lshl_add_u64 v[80:81], v[68:69], 2, v[60:61]
	global_store_dword v[80:81], v82, off
	s_or_b64 exec, exec, s[26:27]
	s_and_b64 s[30:31], s[8:9], s[18:19]
	s_and_saveexec_b64 s[26:27], s[30:31]
	s_cbranch_execz .LBB71_103
.LBB71_119:
	s_and_b64 vcc, exec, s[0:1]
	s_cbranch_vccnz .LBB71_121
; %bb.120:
	v_lshl_add_u64 v[80:81], v[70:71], 2, v[62:63]
	global_load_dword v80, v[80:81], off
	s_waitcnt vmcnt(0)
	v_mul_f32_e32 v80, s33, v80
	s_branch .LBB71_122
.LBB71_121:
	v_mov_b32_e32 v80, 0
.LBB71_122:
	v_pk_add_f32 v[82:83], v[20:21], v[56:57]
	s_nop 0
	v_min3_f32 v81, v82, v83, v137
	v_pk_add_f32 v[82:83], v[22:23], v[58:59]
	s_nop 0
	v_min_f32_e32 v82, v82, v83
	v_min3_f32 v82, v80, v82, v81
	v_lshl_add_u64 v[80:81], v[70:71], 2, v[60:61]
	global_store_dword v[80:81], v82, off
	s_or_b64 exec, exec, s[26:27]
	s_and_b64 s[30:31], s[10:11], s[18:19]
	s_and_saveexec_b64 s[26:27], s[30:31]
	s_cbranch_execz .LBB71_104
.LBB71_123:
	s_and_b64 vcc, exec, s[0:1]
	s_cbranch_vccnz .LBB71_125
; %bb.124:
	v_lshl_add_u64 v[80:81], v[72:73], 2, v[62:63]
	global_load_dword v80, v[80:81], off
	s_waitcnt vmcnt(0)
	v_mul_f32_e32 v80, s33, v80
	s_branch .LBB71_126
.LBB71_125:
	v_mov_b32_e32 v80, 0
.LBB71_126:
	v_pk_add_f32 v[82:83], v[16:17], v[56:57]
	s_nop 0
	v_min3_f32 v81, v82, v83, v136
	v_pk_add_f32 v[82:83], v[18:19], v[58:59]
	s_nop 0
	v_min_f32_e32 v82, v82, v83
	v_min3_f32 v82, v80, v82, v81
	v_lshl_add_u64 v[80:81], v[72:73], 2, v[60:61]
	global_store_dword v[80:81], v82, off
	s_or_b64 exec, exec, s[26:27]
	s_and_b64 s[30:31], s[12:13], s[18:19]
	s_and_saveexec_b64 s[26:27], s[30:31]
	s_cbranch_execz .LBB71_105
.LBB71_127:
	s_and_b64 vcc, exec, s[0:1]
	s_cbranch_vccnz .LBB71_129
; %bb.128:
	v_lshl_add_u64 v[80:81], v[74:75], 2, v[62:63]
	global_load_dword v80, v[80:81], off
	s_waitcnt vmcnt(0)
	v_mul_f32_e32 v80, s33, v80
	s_branch .LBB71_130
.LBB71_129:
	v_mov_b32_e32 v80, 0
.LBB71_130:
	v_pk_add_f32 v[82:83], v[12:13], v[56:57]
	s_nop 0
	v_min3_f32 v81, v82, v83, v134
	v_pk_add_f32 v[82:83], v[14:15], v[58:59]
	s_nop 0
	v_min_f32_e32 v82, v82, v83
	v_min3_f32 v82, v80, v82, v81
	v_lshl_add_u64 v[80:81], v[74:75], 2, v[60:61]
	global_store_dword v[80:81], v82, off
	s_or_b64 exec, exec, s[26:27]
	s_and_b64 s[30:31], s[14:15], s[18:19]
	s_and_saveexec_b64 s[26:27], s[30:31]
	s_cbranch_execz .LBB71_106
.LBB71_131:
	s_and_b64 vcc, exec, s[0:1]
	s_cbranch_vccnz .LBB71_133
; %bb.132:
	v_lshl_add_u64 v[80:81], v[76:77], 2, v[62:63]
	global_load_dword v80, v[80:81], off
	s_waitcnt vmcnt(0)
	v_mul_f32_e32 v80, s33, v80
	s_branch .LBB71_134
.LBB71_133:
	v_mov_b32_e32 v80, 0
.LBB71_134:
	v_pk_add_f32 v[82:83], v[8:9], v[56:57]
	s_nop 0
	v_min3_f32 v81, v82, v83, v132
	v_pk_add_f32 v[82:83], v[10:11], v[58:59]
	s_nop 0
	v_min_f32_e32 v82, v82, v83
	v_min3_f32 v82, v80, v82, v81
	v_lshl_add_u64 v[80:81], v[76:77], 2, v[60:61]
	global_store_dword v[80:81], v82, off
	s_or_b64 exec, exec, s[26:27]
	s_and_b64 s[26:27], s[16:17], s[18:19]
	s_and_saveexec_b64 s[18:19], s[26:27]
	s_cbranch_execz .LBB71_139
.LBB71_135:
	s_and_b64 vcc, exec, s[0:1]
	s_cbranch_vccnz .LBB71_137
; %bb.136:
	v_lshl_add_u64 v[62:63], v[78:79], 2, v[62:63]
	global_load_dword v62, v[62:63], off
	s_waitcnt vmcnt(0)
	v_mul_f32_e32 v62, s33, v62
	s_branch .LBB71_138
.LBB71_137:
	v_mov_b32_e32 v62, 0
.LBB71_138:
	v_pk_add_f32 v[56:57], v[0:1], v[56:57]
	s_nop 0
	v_min3_f32 v63, v56, v57, v135
	v_pk_add_f32 v[56:57], v[2:3], v[58:59]
	s_nop 0
	v_min_f32_e32 v56, v56, v57
	v_min3_f32 v58, v62, v56, v63
	v_lshl_add_u64 v[56:57], v[78:79], 2, v[60:61]
	global_store_dword v[56:57], v58, off
.LBB71_139:
	s_or_b64 exec, exec, s[18:19]
	v_add_u32_e32 v60, 64, v124
	v_mad_i64_i32 v[56:57], s[26:27], v60, s29, 0
	v_cmp_gt_i32_e64 s[18:19], s21, v60
	v_lshl_add_u64 v[58:59], v[56:57], 2, s[24:25]
	v_mad_i64_i32 v[56:57], s[26:27], v60, s28, 0
	v_lshl_add_u64 v[56:57], v[56:57], 2, s[22:23]
	s_and_b64 s[30:31], s[2:3], s[18:19]
	s_and_saveexec_b64 s[26:27], s[30:31]
	s_cbranch_execnz .LBB71_147
; %bb.140:
	s_or_b64 exec, exec, s[26:27]
	s_and_b64 s[30:31], s[4:5], s[18:19]
	s_and_saveexec_b64 s[26:27], s[30:31]
	s_cbranch_execnz .LBB71_151
.LBB71_141:
	s_or_b64 exec, exec, s[26:27]
	s_and_b64 s[30:31], s[6:7], s[18:19]
	s_and_saveexec_b64 s[26:27], s[30:31]
	s_cbranch_execnz .LBB71_155
.LBB71_142:
	s_or_b64 exec, exec, s[26:27]
	s_and_b64 s[30:31], s[8:9], s[18:19]
	s_and_saveexec_b64 s[26:27], s[30:31]
	s_cbranch_execnz .LBB71_159
.LBB71_143:
	s_or_b64 exec, exec, s[26:27]
	s_and_b64 s[30:31], s[10:11], s[18:19]
	s_and_saveexec_b64 s[26:27], s[30:31]
	s_cbranch_execnz .LBB71_163
.LBB71_144:
	s_or_b64 exec, exec, s[26:27]
	s_and_b64 s[30:31], s[12:13], s[18:19]
	s_and_saveexec_b64 s[26:27], s[30:31]
	s_cbranch_execnz .LBB71_167
.LBB71_145:
	s_or_b64 exec, exec, s[26:27]
	s_and_b64 s[30:31], s[14:15], s[18:19]
	s_and_saveexec_b64 s[26:27], s[30:31]
	s_cbranch_execnz .LBB71_171
.LBB71_146:
	s_or_b64 exec, exec, s[26:27]
	s_and_b64 s[26:27], s[16:17], s[18:19]
	s_and_saveexec_b64 s[18:19], s[26:27]
	s_cbranch_execnz .LBB71_175
	s_branch .LBB71_179
.LBB71_147:
	s_and_b64 vcc, exec, s[0:1]
	s_cbranch_vccnz .LBB71_149
; %bb.148:
	v_lshl_add_u64 v[60:61], v[64:65], 2, v[58:59]
	global_load_dword v60, v[60:61], off
	s_waitcnt vmcnt(0)
	v_mul_f32_e32 v60, s33, v60
	s_branch .LBB71_150
.LBB71_149:
	v_mov_b32_e32 v60, 0
.LBB71_150:
	v_pk_add_f32 v[62:63], v[32:33], v[52:53]
	s_nop 0
	v_min3_f32 v61, v62, v63, v133
	v_pk_add_f32 v[62:63], v[34:35], v[54:55]
	s_nop 0
	v_min_f32_e32 v62, v62, v63
	v_min3_f32 v62, v60, v62, v61
	v_lshl_add_u64 v[60:61], v[64:65], 2, v[56:57]
	global_store_dword v[60:61], v62, off
	s_or_b64 exec, exec, s[26:27]
	s_and_b64 s[30:31], s[4:5], s[18:19]
	s_and_saveexec_b64 s[26:27], s[30:31]
	s_cbranch_execz .LBB71_141
.LBB71_151:
	s_and_b64 vcc, exec, s[0:1]
	s_cbranch_vccnz .LBB71_153
; %bb.152:
	v_lshl_add_u64 v[60:61], v[66:67], 2, v[58:59]
	global_load_dword v60, v[60:61], off
	s_waitcnt vmcnt(0)
	v_mul_f32_e32 v60, s33, v60
	s_branch .LBB71_154
.LBB71_153:
	v_mov_b32_e32 v60, 0
.LBB71_154:
	v_pk_add_f32 v[62:63], v[28:29], v[52:53]
	s_nop 0
	v_min3_f32 v61, v62, v63, v131
	v_pk_add_f32 v[62:63], v[30:31], v[54:55]
	s_nop 0
	v_min_f32_e32 v62, v62, v63
	v_min3_f32 v62, v60, v62, v61
	v_lshl_add_u64 v[60:61], v[66:67], 2, v[56:57]
	global_store_dword v[60:61], v62, off
	s_or_b64 exec, exec, s[26:27]
	s_and_b64 s[30:31], s[6:7], s[18:19]
	s_and_saveexec_b64 s[26:27], s[30:31]
	s_cbranch_execz .LBB71_142
.LBB71_155:
	s_and_b64 vcc, exec, s[0:1]
	s_cbranch_vccnz .LBB71_157
; %bb.156:
	v_lshl_add_u64 v[60:61], v[68:69], 2, v[58:59]
	global_load_dword v60, v[60:61], off
	s_waitcnt vmcnt(0)
	v_mul_f32_e32 v60, s33, v60
	s_branch .LBB71_158
.LBB71_157:
	v_mov_b32_e32 v60, 0
.LBB71_158:
	v_pk_add_f32 v[62:63], v[24:25], v[52:53]
	s_nop 0
	v_min3_f32 v61, v62, v63, v130
	v_pk_add_f32 v[62:63], v[26:27], v[54:55]
	s_nop 0
	v_min_f32_e32 v62, v62, v63
	v_min3_f32 v62, v60, v62, v61
	v_lshl_add_u64 v[60:61], v[68:69], 2, v[56:57]
	global_store_dword v[60:61], v62, off
	s_or_b64 exec, exec, s[26:27]
	s_and_b64 s[30:31], s[8:9], s[18:19]
	s_and_saveexec_b64 s[26:27], s[30:31]
	s_cbranch_execz .LBB71_143
.LBB71_159:
	s_and_b64 vcc, exec, s[0:1]
	s_cbranch_vccnz .LBB71_161
; %bb.160:
	v_lshl_add_u64 v[60:61], v[70:71], 2, v[58:59]
	global_load_dword v60, v[60:61], off
	s_waitcnt vmcnt(0)
	v_mul_f32_e32 v60, s33, v60
	s_branch .LBB71_162
.LBB71_161:
	v_mov_b32_e32 v60, 0
.LBB71_162:
	v_pk_add_f32 v[62:63], v[20:21], v[52:53]
	s_nop 0
	v_min3_f32 v61, v62, v63, v129
	v_pk_add_f32 v[62:63], v[22:23], v[54:55]
	s_nop 0
	v_min_f32_e32 v62, v62, v63
	v_min3_f32 v62, v60, v62, v61
	v_lshl_add_u64 v[60:61], v[70:71], 2, v[56:57]
	global_store_dword v[60:61], v62, off
	s_or_b64 exec, exec, s[26:27]
	s_and_b64 s[30:31], s[10:11], s[18:19]
	s_and_saveexec_b64 s[26:27], s[30:31]
	s_cbranch_execz .LBB71_144
.LBB71_163:
	s_and_b64 vcc, exec, s[0:1]
	s_cbranch_vccnz .LBB71_165
; %bb.164:
	v_lshl_add_u64 v[60:61], v[72:73], 2, v[58:59]
	global_load_dword v60, v[60:61], off
	s_waitcnt vmcnt(0)
	v_mul_f32_e32 v60, s33, v60
	s_branch .LBB71_166
.LBB71_165:
	v_mov_b32_e32 v60, 0
.LBB71_166:
	v_pk_add_f32 v[62:63], v[16:17], v[52:53]
	s_nop 0
	v_min3_f32 v61, v62, v63, v128
	v_pk_add_f32 v[62:63], v[18:19], v[54:55]
	s_nop 0
	v_min_f32_e32 v62, v62, v63
	v_min3_f32 v62, v60, v62, v61
	v_lshl_add_u64 v[60:61], v[72:73], 2, v[56:57]
	global_store_dword v[60:61], v62, off
	s_or_b64 exec, exec, s[26:27]
	s_and_b64 s[30:31], s[12:13], s[18:19]
	s_and_saveexec_b64 s[26:27], s[30:31]
	s_cbranch_execz .LBB71_145
.LBB71_167:
	s_and_b64 vcc, exec, s[0:1]
	s_cbranch_vccnz .LBB71_169
; %bb.168:
	v_lshl_add_u64 v[60:61], v[74:75], 2, v[58:59]
	global_load_dword v60, v[60:61], off
	s_waitcnt vmcnt(0)
	v_mul_f32_e32 v60, s33, v60
	s_branch .LBB71_170
.LBB71_169:
	v_mov_b32_e32 v60, 0
.LBB71_170:
	v_pk_add_f32 v[62:63], v[12:13], v[52:53]
	s_nop 0
	v_min3_f32 v61, v62, v63, v127
	v_pk_add_f32 v[62:63], v[14:15], v[54:55]
	s_nop 0
	v_min_f32_e32 v62, v62, v63
	v_min3_f32 v62, v60, v62, v61
	v_lshl_add_u64 v[60:61], v[74:75], 2, v[56:57]
	global_store_dword v[60:61], v62, off
	s_or_b64 exec, exec, s[26:27]
	s_and_b64 s[30:31], s[14:15], s[18:19]
	s_and_saveexec_b64 s[26:27], s[30:31]
	s_cbranch_execz .LBB71_146
.LBB71_171:
	s_and_b64 vcc, exec, s[0:1]
	s_cbranch_vccnz .LBB71_173
; %bb.172:
	v_lshl_add_u64 v[60:61], v[76:77], 2, v[58:59]
	global_load_dword v60, v[60:61], off
	s_waitcnt vmcnt(0)
	v_mul_f32_e32 v60, s33, v60
	s_branch .LBB71_174
.LBB71_173:
	v_mov_b32_e32 v60, 0
.LBB71_174:
	v_pk_add_f32 v[62:63], v[8:9], v[52:53]
	s_nop 0
	v_min3_f32 v61, v62, v63, v126
	v_pk_add_f32 v[62:63], v[10:11], v[54:55]
	s_nop 0
	v_min_f32_e32 v62, v62, v63
	v_min3_f32 v62, v60, v62, v61
	v_lshl_add_u64 v[60:61], v[76:77], 2, v[56:57]
	global_store_dword v[60:61], v62, off
	s_or_b64 exec, exec, s[26:27]
	s_and_b64 s[26:27], s[16:17], s[18:19]
	s_and_saveexec_b64 s[18:19], s[26:27]
	s_cbranch_execz .LBB71_179
.LBB71_175:
	s_and_b64 vcc, exec, s[0:1]
	s_cbranch_vccnz .LBB71_177
; %bb.176:
	v_lshl_add_u64 v[58:59], v[78:79], 2, v[58:59]
	global_load_dword v58, v[58:59], off
	s_waitcnt vmcnt(0)
	v_mul_f32_e32 v58, s33, v58
	s_branch .LBB71_178
.LBB71_177:
	v_mov_b32_e32 v58, 0
.LBB71_178:
	v_pk_add_f32 v[52:53], v[0:1], v[52:53]
	s_nop 0
	v_min3_f32 v59, v52, v53, v125
	v_pk_add_f32 v[52:53], v[2:3], v[54:55]
	s_nop 0
	v_min_f32_e32 v52, v52, v53
	v_min3_f32 v54, v58, v52, v59
	v_lshl_add_u64 v[52:53], v[78:79], 2, v[56:57]
	global_store_dword v[52:53], v54, off
.LBB71_179:
	s_or_b64 exec, exec, s[18:19]
	v_add_u32_e32 v56, 0x60, v124
	v_mad_i64_i32 v[52:53], s[26:27], v56, s29, 0
	v_cmp_gt_i32_e64 s[18:19], s21, v56
	v_lshl_add_u64 v[54:55], v[52:53], 2, s[24:25]
	v_mad_i64_i32 v[52:53], s[26:27], v56, s28, 0
	v_lshl_add_u64 v[52:53], v[52:53], 2, s[22:23]
	s_and_b64 s[30:31], s[2:3], s[18:19]
	s_and_saveexec_b64 s[26:27], s[30:31]
	s_cbranch_execnz .LBB71_187
; %bb.180:
	s_or_b64 exec, exec, s[26:27]
	s_and_b64 s[30:31], s[4:5], s[18:19]
	s_and_saveexec_b64 s[26:27], s[30:31]
	s_cbranch_execnz .LBB71_191
.LBB71_181:
	s_or_b64 exec, exec, s[26:27]
	s_and_b64 s[30:31], s[6:7], s[18:19]
	s_and_saveexec_b64 s[26:27], s[30:31]
	s_cbranch_execnz .LBB71_195
.LBB71_182:
	s_or_b64 exec, exec, s[26:27]
	s_and_b64 s[30:31], s[8:9], s[18:19]
	s_and_saveexec_b64 s[26:27], s[30:31]
	s_cbranch_execnz .LBB71_199
.LBB71_183:
	s_or_b64 exec, exec, s[26:27]
	s_and_b64 s[30:31], s[10:11], s[18:19]
	s_and_saveexec_b64 s[26:27], s[30:31]
	s_cbranch_execnz .LBB71_203
.LBB71_184:
	s_or_b64 exec, exec, s[26:27]
	s_and_b64 s[30:31], s[12:13], s[18:19]
	s_and_saveexec_b64 s[26:27], s[30:31]
	s_cbranch_execnz .LBB71_207
.LBB71_185:
	s_or_b64 exec, exec, s[26:27]
	s_and_b64 s[30:31], s[14:15], s[18:19]
	s_and_saveexec_b64 s[26:27], s[30:31]
	s_cbranch_execnz .LBB71_211
.LBB71_186:
	s_or_b64 exec, exec, s[26:27]
	s_and_b64 s[26:27], s[16:17], s[18:19]
	s_and_saveexec_b64 s[18:19], s[26:27]
	s_cbranch_execnz .LBB71_215
	s_branch .LBB71_219
.LBB71_187:
	s_and_b64 vcc, exec, s[0:1]
	s_cbranch_vccnz .LBB71_189
; %bb.188:
	v_lshl_add_u64 v[56:57], v[64:65], 2, v[54:55]
	global_load_dword v56, v[56:57], off
	s_waitcnt vmcnt(0)
	v_mul_f32_e32 v56, s33, v56
	s_branch .LBB71_190
.LBB71_189:
	v_mov_b32_e32 v56, 0
.LBB71_190:
	v_pk_add_f32 v[58:59], v[32:33], v[48:49]
	s_nop 0
	v_min3_f32 v57, v58, v59, v123
	v_pk_add_f32 v[58:59], v[34:35], v[50:51]
	s_nop 0
	v_min_f32_e32 v58, v58, v59
	v_min3_f32 v58, v56, v58, v57
	v_lshl_add_u64 v[56:57], v[64:65], 2, v[52:53]
	global_store_dword v[56:57], v58, off
	s_or_b64 exec, exec, s[26:27]
	s_and_b64 s[30:31], s[4:5], s[18:19]
	s_and_saveexec_b64 s[26:27], s[30:31]
	s_cbranch_execz .LBB71_181
.LBB71_191:
	s_and_b64 vcc, exec, s[0:1]
	s_cbranch_vccnz .LBB71_193
; %bb.192:
	v_lshl_add_u64 v[56:57], v[66:67], 2, v[54:55]
	global_load_dword v56, v[56:57], off
	s_waitcnt vmcnt(0)
	v_mul_f32_e32 v56, s33, v56
	s_branch .LBB71_194
.LBB71_193:
	v_mov_b32_e32 v56, 0
.LBB71_194:
	v_pk_add_f32 v[58:59], v[28:29], v[48:49]
	s_nop 0
	v_min3_f32 v57, v58, v59, v122
	v_pk_add_f32 v[58:59], v[30:31], v[50:51]
	s_nop 0
	v_min_f32_e32 v58, v58, v59
	v_min3_f32 v58, v56, v58, v57
	v_lshl_add_u64 v[56:57], v[66:67], 2, v[52:53]
	global_store_dword v[56:57], v58, off
	s_or_b64 exec, exec, s[26:27]
	s_and_b64 s[30:31], s[6:7], s[18:19]
	s_and_saveexec_b64 s[26:27], s[30:31]
	s_cbranch_execz .LBB71_182
.LBB71_195:
	s_and_b64 vcc, exec, s[0:1]
	s_cbranch_vccnz .LBB71_197
; %bb.196:
	v_lshl_add_u64 v[56:57], v[68:69], 2, v[54:55]
	global_load_dword v56, v[56:57], off
	s_waitcnt vmcnt(0)
	v_mul_f32_e32 v56, s33, v56
	s_branch .LBB71_198
.LBB71_197:
	v_mov_b32_e32 v56, 0
.LBB71_198:
	v_pk_add_f32 v[58:59], v[24:25], v[48:49]
	s_nop 0
	v_min3_f32 v57, v58, v59, v121
	v_pk_add_f32 v[58:59], v[26:27], v[50:51]
	s_nop 0
	v_min_f32_e32 v58, v58, v59
	v_min3_f32 v58, v56, v58, v57
	v_lshl_add_u64 v[56:57], v[68:69], 2, v[52:53]
	global_store_dword v[56:57], v58, off
	s_or_b64 exec, exec, s[26:27]
	s_and_b64 s[30:31], s[8:9], s[18:19]
	s_and_saveexec_b64 s[26:27], s[30:31]
	s_cbranch_execz .LBB71_183
.LBB71_199:
	s_and_b64 vcc, exec, s[0:1]
	s_cbranch_vccnz .LBB71_201
; %bb.200:
	v_lshl_add_u64 v[56:57], v[70:71], 2, v[54:55]
	global_load_dword v56, v[56:57], off
	s_waitcnt vmcnt(0)
	v_mul_f32_e32 v56, s33, v56
	s_branch .LBB71_202
.LBB71_201:
	v_mov_b32_e32 v56, 0
.LBB71_202:
	v_pk_add_f32 v[58:59], v[20:21], v[48:49]
	s_nop 0
	v_min3_f32 v57, v58, v59, v120
	v_pk_add_f32 v[58:59], v[22:23], v[50:51]
	s_nop 0
	v_min_f32_e32 v58, v58, v59
	v_min3_f32 v58, v56, v58, v57
	v_lshl_add_u64 v[56:57], v[70:71], 2, v[52:53]
	global_store_dword v[56:57], v58, off
	s_or_b64 exec, exec, s[26:27]
	s_and_b64 s[30:31], s[10:11], s[18:19]
	s_and_saveexec_b64 s[26:27], s[30:31]
	s_cbranch_execz .LBB71_184
.LBB71_203:
	s_and_b64 vcc, exec, s[0:1]
	s_cbranch_vccnz .LBB71_205
; %bb.204:
	v_lshl_add_u64 v[56:57], v[72:73], 2, v[54:55]
	global_load_dword v56, v[56:57], off
	s_waitcnt vmcnt(0)
	v_mul_f32_e32 v56, s33, v56
	s_branch .LBB71_206
.LBB71_205:
	v_mov_b32_e32 v56, 0
.LBB71_206:
	v_pk_add_f32 v[58:59], v[16:17], v[48:49]
	s_nop 0
	v_min3_f32 v57, v58, v59, v119
	v_pk_add_f32 v[58:59], v[18:19], v[50:51]
	s_nop 0
	v_min_f32_e32 v58, v58, v59
	v_min3_f32 v58, v56, v58, v57
	v_lshl_add_u64 v[56:57], v[72:73], 2, v[52:53]
	global_store_dword v[56:57], v58, off
	s_or_b64 exec, exec, s[26:27]
	s_and_b64 s[30:31], s[12:13], s[18:19]
	s_and_saveexec_b64 s[26:27], s[30:31]
	s_cbranch_execz .LBB71_185
.LBB71_207:
	s_and_b64 vcc, exec, s[0:1]
	s_cbranch_vccnz .LBB71_209
; %bb.208:
	v_lshl_add_u64 v[56:57], v[74:75], 2, v[54:55]
	global_load_dword v56, v[56:57], off
	s_waitcnt vmcnt(0)
	v_mul_f32_e32 v56, s33, v56
	s_branch .LBB71_210
.LBB71_209:
	v_mov_b32_e32 v56, 0
.LBB71_210:
	v_pk_add_f32 v[58:59], v[12:13], v[48:49]
	s_nop 0
	v_min3_f32 v57, v58, v59, v118
	v_pk_add_f32 v[58:59], v[14:15], v[50:51]
	s_nop 0
	v_min_f32_e32 v58, v58, v59
	v_min3_f32 v58, v56, v58, v57
	v_lshl_add_u64 v[56:57], v[74:75], 2, v[52:53]
	global_store_dword v[56:57], v58, off
	s_or_b64 exec, exec, s[26:27]
	s_and_b64 s[30:31], s[14:15], s[18:19]
	s_and_saveexec_b64 s[26:27], s[30:31]
	s_cbranch_execz .LBB71_186
.LBB71_211:
	s_and_b64 vcc, exec, s[0:1]
	s_cbranch_vccnz .LBB71_213
; %bb.212:
	v_lshl_add_u64 v[56:57], v[76:77], 2, v[54:55]
	global_load_dword v56, v[56:57], off
	s_waitcnt vmcnt(0)
	v_mul_f32_e32 v56, s33, v56
	s_branch .LBB71_214
.LBB71_213:
	v_mov_b32_e32 v56, 0
.LBB71_214:
	v_pk_add_f32 v[58:59], v[8:9], v[48:49]
	s_nop 0
	v_min3_f32 v57, v58, v59, v117
	v_pk_add_f32 v[58:59], v[10:11], v[50:51]
	s_nop 0
	v_min_f32_e32 v58, v58, v59
	v_min3_f32 v58, v56, v58, v57
	v_lshl_add_u64 v[56:57], v[76:77], 2, v[52:53]
	global_store_dword v[56:57], v58, off
	s_or_b64 exec, exec, s[26:27]
	s_and_b64 s[26:27], s[16:17], s[18:19]
	s_and_saveexec_b64 s[18:19], s[26:27]
	s_cbranch_execz .LBB71_219
.LBB71_215:
	s_and_b64 vcc, exec, s[0:1]
	s_cbranch_vccnz .LBB71_217
; %bb.216:
	v_lshl_add_u64 v[54:55], v[78:79], 2, v[54:55]
	global_load_dword v54, v[54:55], off
	s_waitcnt vmcnt(0)
	v_mul_f32_e32 v54, s33, v54
	s_branch .LBB71_218
.LBB71_217:
	v_mov_b32_e32 v54, 0
.LBB71_218:
	v_pk_add_f32 v[48:49], v[0:1], v[48:49]
	s_nop 0
	v_min3_f32 v55, v48, v49, v116
	v_pk_add_f32 v[48:49], v[2:3], v[50:51]
	s_nop 0
	v_min_f32_e32 v48, v48, v49
	v_min3_f32 v50, v54, v48, v55
	v_lshl_add_u64 v[48:49], v[78:79], 2, v[52:53]
	global_store_dword v[48:49], v50, off
.LBB71_219:
	s_or_b64 exec, exec, s[18:19]
	v_add_u32_e32 v52, 0x80, v124
	v_mad_i64_i32 v[48:49], s[26:27], v52, s29, 0
	v_cmp_gt_i32_e64 s[18:19], s21, v52
	v_lshl_add_u64 v[50:51], v[48:49], 2, s[24:25]
	v_mad_i64_i32 v[48:49], s[26:27], v52, s28, 0
	v_lshl_add_u64 v[48:49], v[48:49], 2, s[22:23]
	s_and_b64 s[30:31], s[2:3], s[18:19]
	s_and_saveexec_b64 s[26:27], s[30:31]
	s_cbranch_execnz .LBB71_227
; %bb.220:
	s_or_b64 exec, exec, s[26:27]
	s_and_b64 s[30:31], s[4:5], s[18:19]
	s_and_saveexec_b64 s[26:27], s[30:31]
	s_cbranch_execnz .LBB71_231
.LBB71_221:
	s_or_b64 exec, exec, s[26:27]
	s_and_b64 s[30:31], s[6:7], s[18:19]
	s_and_saveexec_b64 s[26:27], s[30:31]
	s_cbranch_execnz .LBB71_235
.LBB71_222:
	s_or_b64 exec, exec, s[26:27]
	s_and_b64 s[30:31], s[8:9], s[18:19]
	s_and_saveexec_b64 s[26:27], s[30:31]
	s_cbranch_execnz .LBB71_239
.LBB71_223:
	s_or_b64 exec, exec, s[26:27]
	s_and_b64 s[30:31], s[10:11], s[18:19]
	s_and_saveexec_b64 s[26:27], s[30:31]
	s_cbranch_execnz .LBB71_243
.LBB71_224:
	s_or_b64 exec, exec, s[26:27]
	s_and_b64 s[30:31], s[12:13], s[18:19]
	s_and_saveexec_b64 s[26:27], s[30:31]
	s_cbranch_execnz .LBB71_247
.LBB71_225:
	s_or_b64 exec, exec, s[26:27]
	s_and_b64 s[30:31], s[14:15], s[18:19]
	s_and_saveexec_b64 s[26:27], s[30:31]
	s_cbranch_execnz .LBB71_251
.LBB71_226:
	s_or_b64 exec, exec, s[26:27]
	s_and_b64 s[26:27], s[16:17], s[18:19]
	s_and_saveexec_b64 s[18:19], s[26:27]
	s_cbranch_execnz .LBB71_255
	s_branch .LBB71_259
.LBB71_227:
	s_and_b64 vcc, exec, s[0:1]
	s_cbranch_vccnz .LBB71_229
; %bb.228:
	v_lshl_add_u64 v[52:53], v[64:65], 2, v[50:51]
	global_load_dword v52, v[52:53], off
	s_waitcnt vmcnt(0)
	v_mul_f32_e32 v52, s33, v52
	s_branch .LBB71_230
.LBB71_229:
	v_mov_b32_e32 v52, 0
.LBB71_230:
	v_pk_add_f32 v[54:55], v[32:33], v[44:45]
	s_nop 0
	v_min3_f32 v53, v54, v55, v115
	v_pk_add_f32 v[54:55], v[34:35], v[46:47]
	s_nop 0
	v_min_f32_e32 v54, v54, v55
	v_min3_f32 v54, v52, v54, v53
	v_lshl_add_u64 v[52:53], v[64:65], 2, v[48:49]
	global_store_dword v[52:53], v54, off
	s_or_b64 exec, exec, s[26:27]
	s_and_b64 s[30:31], s[4:5], s[18:19]
	s_and_saveexec_b64 s[26:27], s[30:31]
	s_cbranch_execz .LBB71_221
.LBB71_231:
	s_and_b64 vcc, exec, s[0:1]
	s_cbranch_vccnz .LBB71_233
; %bb.232:
	v_lshl_add_u64 v[52:53], v[66:67], 2, v[50:51]
	global_load_dword v52, v[52:53], off
	s_waitcnt vmcnt(0)
	v_mul_f32_e32 v52, s33, v52
	s_branch .LBB71_234
.LBB71_233:
	v_mov_b32_e32 v52, 0
.LBB71_234:
	v_pk_add_f32 v[54:55], v[28:29], v[44:45]
	s_nop 0
	v_min3_f32 v53, v54, v55, v114
	v_pk_add_f32 v[54:55], v[30:31], v[46:47]
	s_nop 0
	v_min_f32_e32 v54, v54, v55
	v_min3_f32 v54, v52, v54, v53
	v_lshl_add_u64 v[52:53], v[66:67], 2, v[48:49]
	global_store_dword v[52:53], v54, off
	s_or_b64 exec, exec, s[26:27]
	s_and_b64 s[30:31], s[6:7], s[18:19]
	s_and_saveexec_b64 s[26:27], s[30:31]
	s_cbranch_execz .LBB71_222
.LBB71_235:
	s_and_b64 vcc, exec, s[0:1]
	s_cbranch_vccnz .LBB71_237
; %bb.236:
	v_lshl_add_u64 v[52:53], v[68:69], 2, v[50:51]
	global_load_dword v52, v[52:53], off
	s_waitcnt vmcnt(0)
	v_mul_f32_e32 v52, s33, v52
	s_branch .LBB71_238
.LBB71_237:
	v_mov_b32_e32 v52, 0
.LBB71_238:
	v_pk_add_f32 v[54:55], v[24:25], v[44:45]
	s_nop 0
	v_min3_f32 v53, v54, v55, v113
	v_pk_add_f32 v[54:55], v[26:27], v[46:47]
	s_nop 0
	v_min_f32_e32 v54, v54, v55
	v_min3_f32 v54, v52, v54, v53
	v_lshl_add_u64 v[52:53], v[68:69], 2, v[48:49]
	global_store_dword v[52:53], v54, off
	s_or_b64 exec, exec, s[26:27]
	s_and_b64 s[30:31], s[8:9], s[18:19]
	s_and_saveexec_b64 s[26:27], s[30:31]
	s_cbranch_execz .LBB71_223
.LBB71_239:
	s_and_b64 vcc, exec, s[0:1]
	s_cbranch_vccnz .LBB71_241
; %bb.240:
	v_lshl_add_u64 v[52:53], v[70:71], 2, v[50:51]
	global_load_dword v52, v[52:53], off
	s_waitcnt vmcnt(0)
	v_mul_f32_e32 v52, s33, v52
	s_branch .LBB71_242
.LBB71_241:
	v_mov_b32_e32 v52, 0
.LBB71_242:
	v_pk_add_f32 v[54:55], v[20:21], v[44:45]
	s_nop 0
	v_min3_f32 v53, v54, v55, v112
	v_pk_add_f32 v[54:55], v[22:23], v[46:47]
	s_nop 0
	v_min_f32_e32 v54, v54, v55
	v_min3_f32 v54, v52, v54, v53
	v_lshl_add_u64 v[52:53], v[70:71], 2, v[48:49]
	global_store_dword v[52:53], v54, off
	s_or_b64 exec, exec, s[26:27]
	s_and_b64 s[30:31], s[10:11], s[18:19]
	s_and_saveexec_b64 s[26:27], s[30:31]
	s_cbranch_execz .LBB71_224
.LBB71_243:
	s_and_b64 vcc, exec, s[0:1]
	s_cbranch_vccnz .LBB71_245
; %bb.244:
	v_lshl_add_u64 v[52:53], v[72:73], 2, v[50:51]
	global_load_dword v52, v[52:53], off
	s_waitcnt vmcnt(0)
	v_mul_f32_e32 v52, s33, v52
	s_branch .LBB71_246
.LBB71_245:
	v_mov_b32_e32 v52, 0
.LBB71_246:
	v_pk_add_f32 v[54:55], v[16:17], v[44:45]
	s_nop 0
	v_min3_f32 v53, v54, v55, v111
	v_pk_add_f32 v[54:55], v[18:19], v[46:47]
	s_nop 0
	v_min_f32_e32 v54, v54, v55
	v_min3_f32 v54, v52, v54, v53
	v_lshl_add_u64 v[52:53], v[72:73], 2, v[48:49]
	global_store_dword v[52:53], v54, off
	s_or_b64 exec, exec, s[26:27]
	s_and_b64 s[30:31], s[12:13], s[18:19]
	s_and_saveexec_b64 s[26:27], s[30:31]
	s_cbranch_execz .LBB71_225
.LBB71_247:
	s_and_b64 vcc, exec, s[0:1]
	s_cbranch_vccnz .LBB71_249
; %bb.248:
	v_lshl_add_u64 v[52:53], v[74:75], 2, v[50:51]
	global_load_dword v52, v[52:53], off
	s_waitcnt vmcnt(0)
	v_mul_f32_e32 v52, s33, v52
	s_branch .LBB71_250
.LBB71_249:
	v_mov_b32_e32 v52, 0
.LBB71_250:
	v_pk_add_f32 v[54:55], v[12:13], v[44:45]
	s_nop 0
	v_min3_f32 v53, v54, v55, v110
	v_pk_add_f32 v[54:55], v[14:15], v[46:47]
	s_nop 0
	v_min_f32_e32 v54, v54, v55
	v_min3_f32 v54, v52, v54, v53
	v_lshl_add_u64 v[52:53], v[74:75], 2, v[48:49]
	global_store_dword v[52:53], v54, off
	s_or_b64 exec, exec, s[26:27]
	s_and_b64 s[30:31], s[14:15], s[18:19]
	s_and_saveexec_b64 s[26:27], s[30:31]
	s_cbranch_execz .LBB71_226
.LBB71_251:
	s_and_b64 vcc, exec, s[0:1]
	s_cbranch_vccnz .LBB71_253
; %bb.252:
	v_lshl_add_u64 v[52:53], v[76:77], 2, v[50:51]
	global_load_dword v52, v[52:53], off
	s_waitcnt vmcnt(0)
	v_mul_f32_e32 v52, s33, v52
	s_branch .LBB71_254
.LBB71_253:
	v_mov_b32_e32 v52, 0
.LBB71_254:
	v_pk_add_f32 v[54:55], v[8:9], v[44:45]
	s_nop 0
	v_min3_f32 v53, v54, v55, v109
	v_pk_add_f32 v[54:55], v[10:11], v[46:47]
	s_nop 0
	v_min_f32_e32 v54, v54, v55
	v_min3_f32 v54, v52, v54, v53
	v_lshl_add_u64 v[52:53], v[76:77], 2, v[48:49]
	global_store_dword v[52:53], v54, off
	s_or_b64 exec, exec, s[26:27]
	s_and_b64 s[26:27], s[16:17], s[18:19]
	s_and_saveexec_b64 s[18:19], s[26:27]
	s_cbranch_execz .LBB71_259
.LBB71_255:
	s_and_b64 vcc, exec, s[0:1]
	s_cbranch_vccnz .LBB71_257
; %bb.256:
	v_lshl_add_u64 v[50:51], v[78:79], 2, v[50:51]
	global_load_dword v50, v[50:51], off
	s_waitcnt vmcnt(0)
	v_mul_f32_e32 v50, s33, v50
	s_branch .LBB71_258
.LBB71_257:
	v_mov_b32_e32 v50, 0
.LBB71_258:
	v_pk_add_f32 v[44:45], v[0:1], v[44:45]
	s_nop 0
	v_min3_f32 v51, v44, v45, v108
	v_pk_add_f32 v[44:45], v[2:3], v[46:47]
	s_nop 0
	v_min_f32_e32 v44, v44, v45
	v_min3_f32 v46, v50, v44, v51
	v_lshl_add_u64 v[44:45], v[78:79], 2, v[48:49]
	global_store_dword v[44:45], v46, off
.LBB71_259:
	s_or_b64 exec, exec, s[18:19]
	v_add_u32_e32 v48, 0xa0, v124
	v_mad_i64_i32 v[44:45], s[26:27], v48, s29, 0
	v_cmp_gt_i32_e64 s[18:19], s21, v48
	v_lshl_add_u64 v[46:47], v[44:45], 2, s[24:25]
	v_mad_i64_i32 v[44:45], s[26:27], v48, s28, 0
	v_lshl_add_u64 v[44:45], v[44:45], 2, s[22:23]
	s_and_b64 s[30:31], s[2:3], s[18:19]
	s_and_saveexec_b64 s[26:27], s[30:31]
	s_cbranch_execnz .LBB71_267
; %bb.260:
	s_or_b64 exec, exec, s[26:27]
	s_and_b64 s[30:31], s[4:5], s[18:19]
	s_and_saveexec_b64 s[26:27], s[30:31]
	s_cbranch_execnz .LBB71_271
.LBB71_261:
	s_or_b64 exec, exec, s[26:27]
	s_and_b64 s[30:31], s[6:7], s[18:19]
	s_and_saveexec_b64 s[26:27], s[30:31]
	s_cbranch_execnz .LBB71_275
.LBB71_262:
	s_or_b64 exec, exec, s[26:27]
	s_and_b64 s[30:31], s[8:9], s[18:19]
	s_and_saveexec_b64 s[26:27], s[30:31]
	s_cbranch_execnz .LBB71_279
.LBB71_263:
	s_or_b64 exec, exec, s[26:27]
	s_and_b64 s[30:31], s[10:11], s[18:19]
	s_and_saveexec_b64 s[26:27], s[30:31]
	s_cbranch_execnz .LBB71_283
.LBB71_264:
	s_or_b64 exec, exec, s[26:27]
	s_and_b64 s[30:31], s[12:13], s[18:19]
	s_and_saveexec_b64 s[26:27], s[30:31]
	s_cbranch_execnz .LBB71_287
.LBB71_265:
	s_or_b64 exec, exec, s[26:27]
	s_and_b64 s[30:31], s[14:15], s[18:19]
	s_and_saveexec_b64 s[26:27], s[30:31]
	s_cbranch_execnz .LBB71_291
.LBB71_266:
	s_or_b64 exec, exec, s[26:27]
	s_and_b64 s[26:27], s[16:17], s[18:19]
	s_and_saveexec_b64 s[18:19], s[26:27]
	s_cbranch_execnz .LBB71_295
	s_branch .LBB71_299
.LBB71_267:
	s_and_b64 vcc, exec, s[0:1]
	s_cbranch_vccnz .LBB71_269
; %bb.268:
	v_lshl_add_u64 v[48:49], v[64:65], 2, v[46:47]
	global_load_dword v48, v[48:49], off
	s_waitcnt vmcnt(0)
	v_mul_f32_e32 v48, s33, v48
	s_branch .LBB71_270
.LBB71_269:
	v_mov_b32_e32 v48, 0
.LBB71_270:
	v_pk_add_f32 v[50:51], v[32:33], v[40:41]
	s_nop 0
	v_min3_f32 v49, v50, v51, v107
	v_pk_add_f32 v[50:51], v[34:35], v[42:43]
	s_nop 0
	v_min_f32_e32 v50, v50, v51
	v_min3_f32 v50, v48, v50, v49
	v_lshl_add_u64 v[48:49], v[64:65], 2, v[44:45]
	global_store_dword v[48:49], v50, off
	s_or_b64 exec, exec, s[26:27]
	s_and_b64 s[30:31], s[4:5], s[18:19]
	s_and_saveexec_b64 s[26:27], s[30:31]
	s_cbranch_execz .LBB71_261
.LBB71_271:
	s_and_b64 vcc, exec, s[0:1]
	s_cbranch_vccnz .LBB71_273
; %bb.272:
	v_lshl_add_u64 v[48:49], v[66:67], 2, v[46:47]
	global_load_dword v48, v[48:49], off
	s_waitcnt vmcnt(0)
	v_mul_f32_e32 v48, s33, v48
	s_branch .LBB71_274
.LBB71_273:
	v_mov_b32_e32 v48, 0
.LBB71_274:
	v_pk_add_f32 v[50:51], v[28:29], v[40:41]
	s_nop 0
	v_min3_f32 v49, v50, v51, v106
	v_pk_add_f32 v[50:51], v[30:31], v[42:43]
	s_nop 0
	v_min_f32_e32 v50, v50, v51
	v_min3_f32 v50, v48, v50, v49
	v_lshl_add_u64 v[48:49], v[66:67], 2, v[44:45]
	global_store_dword v[48:49], v50, off
	s_or_b64 exec, exec, s[26:27]
	s_and_b64 s[30:31], s[6:7], s[18:19]
	s_and_saveexec_b64 s[26:27], s[30:31]
	s_cbranch_execz .LBB71_262
.LBB71_275:
	s_and_b64 vcc, exec, s[0:1]
	s_cbranch_vccnz .LBB71_277
; %bb.276:
	v_lshl_add_u64 v[48:49], v[68:69], 2, v[46:47]
	global_load_dword v48, v[48:49], off
	s_waitcnt vmcnt(0)
	v_mul_f32_e32 v48, s33, v48
	s_branch .LBB71_278
.LBB71_277:
	v_mov_b32_e32 v48, 0
.LBB71_278:
	v_pk_add_f32 v[50:51], v[24:25], v[40:41]
	s_nop 0
	v_min3_f32 v49, v50, v51, v105
	v_pk_add_f32 v[50:51], v[26:27], v[42:43]
	s_nop 0
	v_min_f32_e32 v50, v50, v51
	v_min3_f32 v50, v48, v50, v49
	v_lshl_add_u64 v[48:49], v[68:69], 2, v[44:45]
	global_store_dword v[48:49], v50, off
	s_or_b64 exec, exec, s[26:27]
	s_and_b64 s[30:31], s[8:9], s[18:19]
	s_and_saveexec_b64 s[26:27], s[30:31]
	s_cbranch_execz .LBB71_263
.LBB71_279:
	s_and_b64 vcc, exec, s[0:1]
	s_cbranch_vccnz .LBB71_281
; %bb.280:
	v_lshl_add_u64 v[48:49], v[70:71], 2, v[46:47]
	global_load_dword v48, v[48:49], off
	s_waitcnt vmcnt(0)
	v_mul_f32_e32 v48, s33, v48
	s_branch .LBB71_282
.LBB71_281:
	v_mov_b32_e32 v48, 0
.LBB71_282:
	v_pk_add_f32 v[50:51], v[20:21], v[40:41]
	s_nop 0
	v_min3_f32 v49, v50, v51, v104
	v_pk_add_f32 v[50:51], v[22:23], v[42:43]
	s_nop 0
	v_min_f32_e32 v50, v50, v51
	v_min3_f32 v50, v48, v50, v49
	v_lshl_add_u64 v[48:49], v[70:71], 2, v[44:45]
	global_store_dword v[48:49], v50, off
	s_or_b64 exec, exec, s[26:27]
	s_and_b64 s[30:31], s[10:11], s[18:19]
	s_and_saveexec_b64 s[26:27], s[30:31]
	s_cbranch_execz .LBB71_264
.LBB71_283:
	s_and_b64 vcc, exec, s[0:1]
	s_cbranch_vccnz .LBB71_285
; %bb.284:
	v_lshl_add_u64 v[48:49], v[72:73], 2, v[46:47]
	global_load_dword v48, v[48:49], off
	s_waitcnt vmcnt(0)
	v_mul_f32_e32 v48, s33, v48
	s_branch .LBB71_286
.LBB71_285:
	v_mov_b32_e32 v48, 0
.LBB71_286:
	v_pk_add_f32 v[50:51], v[16:17], v[40:41]
	s_nop 0
	v_min3_f32 v49, v50, v51, v103
	v_pk_add_f32 v[50:51], v[18:19], v[42:43]
	s_nop 0
	v_min_f32_e32 v50, v50, v51
	v_min3_f32 v50, v48, v50, v49
	v_lshl_add_u64 v[48:49], v[72:73], 2, v[44:45]
	global_store_dword v[48:49], v50, off
	s_or_b64 exec, exec, s[26:27]
	s_and_b64 s[30:31], s[12:13], s[18:19]
	s_and_saveexec_b64 s[26:27], s[30:31]
	s_cbranch_execz .LBB71_265
.LBB71_287:
	s_and_b64 vcc, exec, s[0:1]
	s_cbranch_vccnz .LBB71_289
; %bb.288:
	v_lshl_add_u64 v[48:49], v[74:75], 2, v[46:47]
	global_load_dword v48, v[48:49], off
	s_waitcnt vmcnt(0)
	v_mul_f32_e32 v48, s33, v48
	s_branch .LBB71_290
.LBB71_289:
	v_mov_b32_e32 v48, 0
.LBB71_290:
	v_pk_add_f32 v[50:51], v[12:13], v[40:41]
	s_nop 0
	v_min3_f32 v49, v50, v51, v102
	v_pk_add_f32 v[50:51], v[14:15], v[42:43]
	s_nop 0
	v_min_f32_e32 v50, v50, v51
	v_min3_f32 v50, v48, v50, v49
	v_lshl_add_u64 v[48:49], v[74:75], 2, v[44:45]
	global_store_dword v[48:49], v50, off
	s_or_b64 exec, exec, s[26:27]
	s_and_b64 s[30:31], s[14:15], s[18:19]
	s_and_saveexec_b64 s[26:27], s[30:31]
	s_cbranch_execz .LBB71_266
.LBB71_291:
	s_and_b64 vcc, exec, s[0:1]
	s_cbranch_vccnz .LBB71_293
; %bb.292:
	v_lshl_add_u64 v[48:49], v[76:77], 2, v[46:47]
	global_load_dword v48, v[48:49], off
	s_waitcnt vmcnt(0)
	v_mul_f32_e32 v48, s33, v48
	s_branch .LBB71_294
.LBB71_293:
	v_mov_b32_e32 v48, 0
.LBB71_294:
	v_pk_add_f32 v[50:51], v[8:9], v[40:41]
	s_nop 0
	v_min3_f32 v49, v50, v51, v101
	v_pk_add_f32 v[50:51], v[10:11], v[42:43]
	s_nop 0
	v_min_f32_e32 v50, v50, v51
	v_min3_f32 v50, v48, v50, v49
	v_lshl_add_u64 v[48:49], v[76:77], 2, v[44:45]
	global_store_dword v[48:49], v50, off
	s_or_b64 exec, exec, s[26:27]
	s_and_b64 s[26:27], s[16:17], s[18:19]
	s_and_saveexec_b64 s[18:19], s[26:27]
	s_cbranch_execz .LBB71_299
.LBB71_295:
	s_and_b64 vcc, exec, s[0:1]
	s_cbranch_vccnz .LBB71_297
; %bb.296:
	v_lshl_add_u64 v[46:47], v[78:79], 2, v[46:47]
	global_load_dword v46, v[46:47], off
	s_waitcnt vmcnt(0)
	v_mul_f32_e32 v46, s33, v46
	s_branch .LBB71_298
.LBB71_297:
	v_mov_b32_e32 v46, 0
.LBB71_298:
	v_pk_add_f32 v[40:41], v[0:1], v[40:41]
	s_nop 0
	v_min3_f32 v47, v40, v41, v100
	v_pk_add_f32 v[40:41], v[2:3], v[42:43]
	s_nop 0
	v_min_f32_e32 v40, v40, v41
	v_min3_f32 v42, v46, v40, v47
	v_lshl_add_u64 v[40:41], v[78:79], 2, v[44:45]
	global_store_dword v[40:41], v42, off
.LBB71_299:
	s_or_b64 exec, exec, s[18:19]
	v_add_u32_e32 v44, 0xc0, v124
	v_mad_i64_i32 v[40:41], s[26:27], v44, s29, 0
	v_cmp_gt_i32_e64 s[18:19], s21, v44
	v_lshl_add_u64 v[42:43], v[40:41], 2, s[24:25]
	v_mad_i64_i32 v[40:41], s[26:27], v44, s28, 0
	v_lshl_add_u64 v[40:41], v[40:41], 2, s[22:23]
	s_and_b64 s[30:31], s[2:3], s[18:19]
	s_and_saveexec_b64 s[26:27], s[30:31]
	s_cbranch_execnz .LBB71_307
; %bb.300:
	s_or_b64 exec, exec, s[26:27]
	s_and_b64 s[30:31], s[4:5], s[18:19]
	s_and_saveexec_b64 s[26:27], s[30:31]
	s_cbranch_execnz .LBB71_311
.LBB71_301:
	s_or_b64 exec, exec, s[26:27]
	s_and_b64 s[30:31], s[6:7], s[18:19]
	s_and_saveexec_b64 s[26:27], s[30:31]
	s_cbranch_execnz .LBB71_315
.LBB71_302:
	s_or_b64 exec, exec, s[26:27]
	s_and_b64 s[30:31], s[8:9], s[18:19]
	s_and_saveexec_b64 s[26:27], s[30:31]
	s_cbranch_execnz .LBB71_319
.LBB71_303:
	s_or_b64 exec, exec, s[26:27]
	s_and_b64 s[30:31], s[10:11], s[18:19]
	s_and_saveexec_b64 s[26:27], s[30:31]
	s_cbranch_execnz .LBB71_323
.LBB71_304:
	s_or_b64 exec, exec, s[26:27]
	s_and_b64 s[30:31], s[12:13], s[18:19]
	s_and_saveexec_b64 s[26:27], s[30:31]
	s_cbranch_execnz .LBB71_327
.LBB71_305:
	s_or_b64 exec, exec, s[26:27]
	s_and_b64 s[30:31], s[14:15], s[18:19]
	s_and_saveexec_b64 s[26:27], s[30:31]
	s_cbranch_execnz .LBB71_331
.LBB71_306:
	s_or_b64 exec, exec, s[26:27]
	s_and_b64 s[26:27], s[16:17], s[18:19]
	s_and_saveexec_b64 s[18:19], s[26:27]
	s_cbranch_execnz .LBB71_335
	s_branch .LBB71_339
.LBB71_307:
	s_and_b64 vcc, exec, s[0:1]
	s_cbranch_vccnz .LBB71_309
; %bb.308:
	v_lshl_add_u64 v[44:45], v[64:65], 2, v[42:43]
	global_load_dword v44, v[44:45], off
	s_waitcnt vmcnt(0)
	v_mul_f32_e32 v44, s33, v44
	s_branch .LBB71_310
.LBB71_309:
	v_mov_b32_e32 v44, 0
.LBB71_310:
	v_pk_add_f32 v[46:47], v[32:33], v[36:37]
	s_nop 0
	v_min3_f32 v45, v46, v47, v99
	v_pk_add_f32 v[46:47], v[34:35], v[38:39]
	s_nop 0
	v_min_f32_e32 v46, v46, v47
	v_min3_f32 v46, v44, v46, v45
	v_lshl_add_u64 v[44:45], v[64:65], 2, v[40:41]
	global_store_dword v[44:45], v46, off
	s_or_b64 exec, exec, s[26:27]
	s_and_b64 s[30:31], s[4:5], s[18:19]
	s_and_saveexec_b64 s[26:27], s[30:31]
	s_cbranch_execz .LBB71_301
.LBB71_311:
	s_and_b64 vcc, exec, s[0:1]
	s_cbranch_vccnz .LBB71_313
; %bb.312:
	v_lshl_add_u64 v[44:45], v[66:67], 2, v[42:43]
	global_load_dword v44, v[44:45], off
	s_waitcnt vmcnt(0)
	v_mul_f32_e32 v44, s33, v44
	s_branch .LBB71_314
.LBB71_313:
	v_mov_b32_e32 v44, 0
.LBB71_314:
	v_pk_add_f32 v[46:47], v[28:29], v[36:37]
	s_nop 0
	v_min3_f32 v45, v46, v47, v98
	v_pk_add_f32 v[46:47], v[30:31], v[38:39]
	s_nop 0
	v_min_f32_e32 v46, v46, v47
	v_min3_f32 v46, v44, v46, v45
	v_lshl_add_u64 v[44:45], v[66:67], 2, v[40:41]
	global_store_dword v[44:45], v46, off
	s_or_b64 exec, exec, s[26:27]
	s_and_b64 s[30:31], s[6:7], s[18:19]
	s_and_saveexec_b64 s[26:27], s[30:31]
	s_cbranch_execz .LBB71_302
.LBB71_315:
	s_and_b64 vcc, exec, s[0:1]
	s_cbranch_vccnz .LBB71_317
; %bb.316:
	v_lshl_add_u64 v[44:45], v[68:69], 2, v[42:43]
	global_load_dword v44, v[44:45], off
	s_waitcnt vmcnt(0)
	v_mul_f32_e32 v44, s33, v44
	s_branch .LBB71_318
.LBB71_317:
	v_mov_b32_e32 v44, 0
.LBB71_318:
	v_pk_add_f32 v[46:47], v[24:25], v[36:37]
	s_nop 0
	v_min3_f32 v45, v46, v47, v97
	v_pk_add_f32 v[46:47], v[26:27], v[38:39]
	s_nop 0
	v_min_f32_e32 v46, v46, v47
	v_min3_f32 v46, v44, v46, v45
	v_lshl_add_u64 v[44:45], v[68:69], 2, v[40:41]
	global_store_dword v[44:45], v46, off
	s_or_b64 exec, exec, s[26:27]
	s_and_b64 s[30:31], s[8:9], s[18:19]
	s_and_saveexec_b64 s[26:27], s[30:31]
	s_cbranch_execz .LBB71_303
.LBB71_319:
	s_and_b64 vcc, exec, s[0:1]
	s_cbranch_vccnz .LBB71_321
; %bb.320:
	v_lshl_add_u64 v[44:45], v[70:71], 2, v[42:43]
	global_load_dword v44, v[44:45], off
	s_waitcnt vmcnt(0)
	v_mul_f32_e32 v44, s33, v44
	s_branch .LBB71_322
.LBB71_321:
	v_mov_b32_e32 v44, 0
.LBB71_322:
	v_pk_add_f32 v[46:47], v[20:21], v[36:37]
	s_nop 0
	v_min3_f32 v45, v46, v47, v96
	v_pk_add_f32 v[46:47], v[22:23], v[38:39]
	s_nop 0
	v_min_f32_e32 v46, v46, v47
	v_min3_f32 v46, v44, v46, v45
	v_lshl_add_u64 v[44:45], v[70:71], 2, v[40:41]
	global_store_dword v[44:45], v46, off
	s_or_b64 exec, exec, s[26:27]
	s_and_b64 s[30:31], s[10:11], s[18:19]
	s_and_saveexec_b64 s[26:27], s[30:31]
	s_cbranch_execz .LBB71_304
.LBB71_323:
	s_and_b64 vcc, exec, s[0:1]
	s_cbranch_vccnz .LBB71_325
; %bb.324:
	v_lshl_add_u64 v[44:45], v[72:73], 2, v[42:43]
	global_load_dword v44, v[44:45], off
	s_waitcnt vmcnt(0)
	v_mul_f32_e32 v44, s33, v44
	s_branch .LBB71_326
.LBB71_325:
	v_mov_b32_e32 v44, 0
.LBB71_326:
	v_pk_add_f32 v[46:47], v[16:17], v[36:37]
	s_nop 0
	v_min3_f32 v45, v46, v47, v95
	v_pk_add_f32 v[46:47], v[18:19], v[38:39]
	s_nop 0
	v_min_f32_e32 v46, v46, v47
	v_min3_f32 v46, v44, v46, v45
	v_lshl_add_u64 v[44:45], v[72:73], 2, v[40:41]
	global_store_dword v[44:45], v46, off
	s_or_b64 exec, exec, s[26:27]
	s_and_b64 s[30:31], s[12:13], s[18:19]
	s_and_saveexec_b64 s[26:27], s[30:31]
	s_cbranch_execz .LBB71_305
.LBB71_327:
	s_and_b64 vcc, exec, s[0:1]
	s_cbranch_vccnz .LBB71_329
; %bb.328:
	v_lshl_add_u64 v[44:45], v[74:75], 2, v[42:43]
	global_load_dword v44, v[44:45], off
	s_waitcnt vmcnt(0)
	v_mul_f32_e32 v44, s33, v44
	s_branch .LBB71_330
.LBB71_329:
	v_mov_b32_e32 v44, 0
.LBB71_330:
	v_pk_add_f32 v[46:47], v[12:13], v[36:37]
	s_nop 0
	v_min3_f32 v45, v46, v47, v94
	v_pk_add_f32 v[46:47], v[14:15], v[38:39]
	s_nop 0
	v_min_f32_e32 v46, v46, v47
	v_min3_f32 v46, v44, v46, v45
	v_lshl_add_u64 v[44:45], v[74:75], 2, v[40:41]
	global_store_dword v[44:45], v46, off
	s_or_b64 exec, exec, s[26:27]
	s_and_b64 s[30:31], s[14:15], s[18:19]
	s_and_saveexec_b64 s[26:27], s[30:31]
	s_cbranch_execz .LBB71_306
.LBB71_331:
	s_and_b64 vcc, exec, s[0:1]
	s_cbranch_vccnz .LBB71_333
; %bb.332:
	v_lshl_add_u64 v[44:45], v[76:77], 2, v[42:43]
	global_load_dword v44, v[44:45], off
	s_waitcnt vmcnt(0)
	v_mul_f32_e32 v44, s33, v44
	s_branch .LBB71_334
.LBB71_333:
	v_mov_b32_e32 v44, 0
.LBB71_334:
	v_pk_add_f32 v[46:47], v[8:9], v[36:37]
	s_nop 0
	v_min3_f32 v45, v46, v47, v93
	v_pk_add_f32 v[46:47], v[10:11], v[38:39]
	s_nop 0
	v_min_f32_e32 v46, v46, v47
	v_min3_f32 v46, v44, v46, v45
	v_lshl_add_u64 v[44:45], v[76:77], 2, v[40:41]
	global_store_dword v[44:45], v46, off
	s_or_b64 exec, exec, s[26:27]
	s_and_b64 s[26:27], s[16:17], s[18:19]
	s_and_saveexec_b64 s[18:19], s[26:27]
	s_cbranch_execz .LBB71_339
.LBB71_335:
	s_and_b64 vcc, exec, s[0:1]
	s_cbranch_vccnz .LBB71_337
; %bb.336:
	v_lshl_add_u64 v[42:43], v[78:79], 2, v[42:43]
	global_load_dword v42, v[42:43], off
	s_waitcnt vmcnt(0)
	v_mul_f32_e32 v42, s33, v42
	s_branch .LBB71_338
.LBB71_337:
	v_mov_b32_e32 v42, 0
.LBB71_338:
	v_pk_add_f32 v[36:37], v[0:1], v[36:37]
	s_nop 0
	v_min3_f32 v43, v36, v37, v92
	v_pk_add_f32 v[36:37], v[2:3], v[38:39]
	s_nop 0
	v_min_f32_e32 v36, v36, v37
	v_min3_f32 v38, v42, v36, v43
	v_lshl_add_u64 v[36:37], v[78:79], 2, v[40:41]
	global_store_dword v[36:37], v38, off
.LBB71_339:
	s_or_b64 exec, exec, s[18:19]
	v_add_u32_e32 v40, 0xe0, v124
	v_cmp_gt_i32_e64 s[18:19], s21, v40
	v_mad_i64_i32 v[36:37], s[20:21], v40, s29, 0
	v_lshl_add_u64 v[38:39], v[36:37], 2, s[24:25]
	v_mad_i64_i32 v[36:37], s[20:21], v40, s28, 0
	v_lshl_add_u64 v[36:37], v[36:37], 2, s[22:23]
	s_and_b64 s[20:21], s[2:3], s[18:19]
	s_and_saveexec_b64 s[2:3], s[20:21]
	s_cbranch_execnz .LBB71_348
; %bb.340:
	s_or_b64 exec, exec, s[2:3]
	s_and_b64 s[4:5], s[4:5], s[18:19]
	s_and_saveexec_b64 s[2:3], s[4:5]
	s_cbranch_execnz .LBB71_352
.LBB71_341:
	s_or_b64 exec, exec, s[2:3]
	s_and_b64 s[4:5], s[6:7], s[18:19]
	s_and_saveexec_b64 s[2:3], s[4:5]
	s_cbranch_execnz .LBB71_356
.LBB71_342:
	s_or_b64 exec, exec, s[2:3]
	s_and_b64 s[4:5], s[8:9], s[18:19]
	s_and_saveexec_b64 s[2:3], s[4:5]
	s_cbranch_execnz .LBB71_360
.LBB71_343:
	s_or_b64 exec, exec, s[2:3]
	s_and_b64 s[4:5], s[10:11], s[18:19]
	s_and_saveexec_b64 s[2:3], s[4:5]
	s_cbranch_execnz .LBB71_364
.LBB71_344:
	s_or_b64 exec, exec, s[2:3]
	s_and_b64 s[4:5], s[12:13], s[18:19]
	s_and_saveexec_b64 s[2:3], s[4:5]
	s_cbranch_execnz .LBB71_368
.LBB71_345:
	s_or_b64 exec, exec, s[2:3]
	s_and_b64 s[4:5], s[14:15], s[18:19]
	s_and_saveexec_b64 s[2:3], s[4:5]
	s_cbranch_execnz .LBB71_372
.LBB71_346:
	s_or_b64 exec, exec, s[2:3]
	s_and_b64 s[2:3], s[16:17], s[18:19]
	s_and_saveexec_b64 s[4:5], s[2:3]
	s_cbranch_execnz .LBB71_376
.LBB71_347:
	s_endpgm
.LBB71_348:
	s_and_b64 vcc, exec, s[0:1]
	s_cbranch_vccnz .LBB71_350
; %bb.349:
	v_lshl_add_u64 v[40:41], v[64:65], 2, v[38:39]
	global_load_dword v40, v[40:41], off
	s_waitcnt vmcnt(0)
	v_mul_f32_e32 v40, s33, v40
	s_branch .LBB71_351
.LBB71_350:
	v_mov_b32_e32 v40, 0
.LBB71_351:
	v_pk_add_f32 v[32:33], v[32:33], v[4:5]
	s_nop 0
	v_min3_f32 v41, v32, v33, v91
	v_pk_add_f32 v[32:33], v[34:35], v[6:7]
	s_nop 0
	v_min_f32_e32 v32, v32, v33
	v_min3_f32 v34, v40, v32, v41
	v_lshl_add_u64 v[32:33], v[64:65], 2, v[36:37]
	global_store_dword v[32:33], v34, off
	s_or_b64 exec, exec, s[2:3]
	s_and_b64 s[4:5], s[4:5], s[18:19]
	s_and_saveexec_b64 s[2:3], s[4:5]
	s_cbranch_execz .LBB71_341
.LBB71_352:
	s_and_b64 vcc, exec, s[0:1]
	s_cbranch_vccnz .LBB71_354
; %bb.353:
	v_lshl_add_u64 v[32:33], v[66:67], 2, v[38:39]
	global_load_dword v32, v[32:33], off
	s_waitcnt vmcnt(0)
	v_mul_f32_e32 v32, s33, v32
	s_branch .LBB71_355
.LBB71_354:
	v_mov_b32_e32 v32, 0
.LBB71_355:
	v_pk_add_f32 v[28:29], v[28:29], v[4:5]
	s_nop 0
	v_min3_f32 v33, v28, v29, v90
	v_pk_add_f32 v[28:29], v[30:31], v[6:7]
	s_nop 0
	v_min_f32_e32 v28, v28, v29
	v_min3_f32 v30, v32, v28, v33
	v_lshl_add_u64 v[28:29], v[66:67], 2, v[36:37]
	global_store_dword v[28:29], v30, off
	s_or_b64 exec, exec, s[2:3]
	s_and_b64 s[4:5], s[6:7], s[18:19]
	s_and_saveexec_b64 s[2:3], s[4:5]
	s_cbranch_execz .LBB71_342
.LBB71_356:
	s_and_b64 vcc, exec, s[0:1]
	s_cbranch_vccnz .LBB71_358
; %bb.357:
	v_lshl_add_u64 v[28:29], v[68:69], 2, v[38:39]
	global_load_dword v28, v[28:29], off
	s_waitcnt vmcnt(0)
	v_mul_f32_e32 v28, s33, v28
	s_branch .LBB71_359
.LBB71_358:
	v_mov_b32_e32 v28, 0
.LBB71_359:
	v_pk_add_f32 v[24:25], v[24:25], v[4:5]
	s_nop 0
	v_min3_f32 v29, v24, v25, v89
	v_pk_add_f32 v[24:25], v[26:27], v[6:7]
	s_nop 0
	v_min_f32_e32 v24, v24, v25
	v_min3_f32 v26, v28, v24, v29
	v_lshl_add_u64 v[24:25], v[68:69], 2, v[36:37]
	global_store_dword v[24:25], v26, off
	s_or_b64 exec, exec, s[2:3]
	s_and_b64 s[4:5], s[8:9], s[18:19]
	s_and_saveexec_b64 s[2:3], s[4:5]
	s_cbranch_execz .LBB71_343
.LBB71_360:
	s_and_b64 vcc, exec, s[0:1]
	s_cbranch_vccnz .LBB71_362
; %bb.361:
	v_lshl_add_u64 v[24:25], v[70:71], 2, v[38:39]
	global_load_dword v24, v[24:25], off
	s_waitcnt vmcnt(0)
	v_mul_f32_e32 v24, s33, v24
	s_branch .LBB71_363
.LBB71_362:
	v_mov_b32_e32 v24, 0
.LBB71_363:
	v_pk_add_f32 v[20:21], v[20:21], v[4:5]
	s_nop 0
	v_min3_f32 v25, v20, v21, v87
	v_pk_add_f32 v[20:21], v[22:23], v[6:7]
	s_nop 0
	v_min_f32_e32 v20, v20, v21
	v_min3_f32 v22, v24, v20, v25
	v_lshl_add_u64 v[20:21], v[70:71], 2, v[36:37]
	global_store_dword v[20:21], v22, off
	s_or_b64 exec, exec, s[2:3]
	s_and_b64 s[4:5], s[10:11], s[18:19]
	s_and_saveexec_b64 s[2:3], s[4:5]
	s_cbranch_execz .LBB71_344
.LBB71_364:
	s_and_b64 vcc, exec, s[0:1]
	s_cbranch_vccnz .LBB71_366
; %bb.365:
	v_lshl_add_u64 v[20:21], v[72:73], 2, v[38:39]
	global_load_dword v20, v[20:21], off
	s_waitcnt vmcnt(0)
	v_mul_f32_e32 v20, s33, v20
	s_branch .LBB71_367
.LBB71_366:
	v_mov_b32_e32 v20, 0
.LBB71_367:
	v_pk_add_f32 v[16:17], v[16:17], v[4:5]
	s_nop 0
	v_min3_f32 v21, v16, v17, v86
	v_pk_add_f32 v[16:17], v[18:19], v[6:7]
	s_nop 0
	v_min_f32_e32 v16, v16, v17
	v_min3_f32 v18, v20, v16, v21
	v_lshl_add_u64 v[16:17], v[72:73], 2, v[36:37]
	global_store_dword v[16:17], v18, off
	s_or_b64 exec, exec, s[2:3]
	s_and_b64 s[4:5], s[12:13], s[18:19]
	s_and_saveexec_b64 s[2:3], s[4:5]
	s_cbranch_execz .LBB71_345
.LBB71_368:
	s_and_b64 vcc, exec, s[0:1]
	s_cbranch_vccnz .LBB71_370
; %bb.369:
	v_lshl_add_u64 v[16:17], v[74:75], 2, v[38:39]
	global_load_dword v16, v[16:17], off
	s_waitcnt vmcnt(0)
	v_mul_f32_e32 v16, s33, v16
	s_branch .LBB71_371
.LBB71_370:
	v_mov_b32_e32 v16, 0
.LBB71_371:
	v_pk_add_f32 v[12:13], v[12:13], v[4:5]
	s_nop 0
	v_min3_f32 v17, v12, v13, v85
	v_pk_add_f32 v[12:13], v[14:15], v[6:7]
	s_nop 0
	v_min_f32_e32 v12, v12, v13
	v_min3_f32 v14, v16, v12, v17
	v_lshl_add_u64 v[12:13], v[74:75], 2, v[36:37]
	global_store_dword v[12:13], v14, off
	s_or_b64 exec, exec, s[2:3]
	s_and_b64 s[4:5], s[14:15], s[18:19]
	s_and_saveexec_b64 s[2:3], s[4:5]
	s_cbranch_execz .LBB71_346
.LBB71_372:
	s_and_b64 vcc, exec, s[0:1]
	s_cbranch_vccnz .LBB71_374
; %bb.373:
	v_lshl_add_u64 v[12:13], v[76:77], 2, v[38:39]
	global_load_dword v12, v[12:13], off
	s_waitcnt vmcnt(0)
	v_mul_f32_e32 v12, s33, v12
	s_branch .LBB71_375
.LBB71_374:
	v_mov_b32_e32 v12, 0
.LBB71_375:
	v_pk_add_f32 v[8:9], v[8:9], v[4:5]
	s_nop 0
	v_min3_f32 v13, v8, v9, v84
	v_pk_add_f32 v[8:9], v[10:11], v[6:7]
	s_nop 0
	v_min_f32_e32 v8, v8, v9
	v_min3_f32 v10, v12, v8, v13
	v_lshl_add_u64 v[8:9], v[76:77], 2, v[36:37]
	global_store_dword v[8:9], v10, off
	s_or_b64 exec, exec, s[2:3]
	s_and_b64 s[2:3], s[16:17], s[18:19]
	s_and_saveexec_b64 s[4:5], s[2:3]
	s_cbranch_execz .LBB71_347
.LBB71_376:
	s_and_b64 vcc, exec, s[0:1]
	s_cbranch_vccnz .LBB71_378
; %bb.377:
	v_lshl_add_u64 v[8:9], v[78:79], 2, v[38:39]
	global_load_dword v8, v[8:9], off
	s_waitcnt vmcnt(0)
	v_mul_f32_e32 v8, s33, v8
	s_branch .LBB71_379
.LBB71_378:
	v_mov_b32_e32 v8, 0
.LBB71_379:
	v_pk_add_f32 v[0:1], v[0:1], v[4:5]
	s_nop 0
	v_min3_f32 v4, v0, v1, v88
	v_pk_add_f32 v[0:1], v[2:3], v[6:7]
	s_nop 0
	v_min_f32_e32 v0, v0, v1
	v_min3_f32 v2, v8, v0, v4
	v_lshl_add_u64 v[0:1], v[78:79], 2, v[36:37]
	global_store_dword v[0:1], v2, off
	s_endpgm
	.section	.rodata,"a",@progbits
	.p2align	6, 0x0
	.amdhsa_kernel _ZN12_GLOBAL__N_120geam_min_plus_kernelIf15HIP_vector_typeIfLj2EEfLi8ELi32ELi64ELi256ELi4ELi64ELi4ELi64ELi4ELc78ELc84ELb0ELb1ELb1EfKffEEviiiT16_PT17_ilS6_ilS4_S6_ilPT18_ili26rocblas_geam_ex_operation_
		.amdhsa_group_segment_fixed_size 10240
		.amdhsa_private_segment_fixed_size 0
		.amdhsa_kernarg_size 128
		.amdhsa_user_sgpr_count 2
		.amdhsa_user_sgpr_dispatch_ptr 0
		.amdhsa_user_sgpr_queue_ptr 0
		.amdhsa_user_sgpr_kernarg_segment_ptr 1
		.amdhsa_user_sgpr_dispatch_id 0
		.amdhsa_user_sgpr_kernarg_preload_length 0
		.amdhsa_user_sgpr_kernarg_preload_offset 0
		.amdhsa_user_sgpr_private_segment_size 0
		.amdhsa_uses_dynamic_stack 0
		.amdhsa_enable_private_segment 0
		.amdhsa_system_sgpr_workgroup_id_x 1
		.amdhsa_system_sgpr_workgroup_id_y 0
		.amdhsa_system_sgpr_workgroup_id_z 1
		.amdhsa_system_sgpr_workgroup_info 0
		.amdhsa_system_vgpr_workitem_id 1
		.amdhsa_next_free_vgpr 161
		.amdhsa_next_free_sgpr 44
		.amdhsa_accum_offset 164
		.amdhsa_reserve_vcc 1
		.amdhsa_float_round_mode_32 0
		.amdhsa_float_round_mode_16_64 0
		.amdhsa_float_denorm_mode_32 3
		.amdhsa_float_denorm_mode_16_64 3
		.amdhsa_dx10_clamp 1
		.amdhsa_ieee_mode 1
		.amdhsa_fp16_overflow 0
		.amdhsa_tg_split 0
		.amdhsa_exception_fp_ieee_invalid_op 0
		.amdhsa_exception_fp_denorm_src 0
		.amdhsa_exception_fp_ieee_div_zero 0
		.amdhsa_exception_fp_ieee_overflow 0
		.amdhsa_exception_fp_ieee_underflow 0
		.amdhsa_exception_fp_ieee_inexact 0
		.amdhsa_exception_int_div_zero 0
	.end_amdhsa_kernel
	.section	.text._ZN12_GLOBAL__N_120geam_min_plus_kernelIf15HIP_vector_typeIfLj2EEfLi8ELi32ELi64ELi256ELi4ELi64ELi4ELi64ELi4ELc78ELc84ELb0ELb1ELb1EfKffEEviiiT16_PT17_ilS6_ilS4_S6_ilPT18_ili26rocblas_geam_ex_operation_,"axG",@progbits,_ZN12_GLOBAL__N_120geam_min_plus_kernelIf15HIP_vector_typeIfLj2EEfLi8ELi32ELi64ELi256ELi4ELi64ELi4ELi64ELi4ELc78ELc84ELb0ELb1ELb1EfKffEEviiiT16_PT17_ilS6_ilS4_S6_ilPT18_ili26rocblas_geam_ex_operation_,comdat
.Lfunc_end71:
	.size	_ZN12_GLOBAL__N_120geam_min_plus_kernelIf15HIP_vector_typeIfLj2EEfLi8ELi32ELi64ELi256ELi4ELi64ELi4ELi64ELi4ELc78ELc84ELb0ELb1ELb1EfKffEEviiiT16_PT17_ilS6_ilS4_S6_ilPT18_ili26rocblas_geam_ex_operation_, .Lfunc_end71-_ZN12_GLOBAL__N_120geam_min_plus_kernelIf15HIP_vector_typeIfLj2EEfLi8ELi32ELi64ELi256ELi4ELi64ELi4ELi64ELi4ELc78ELc84ELb0ELb1ELb1EfKffEEviiiT16_PT17_ilS6_ilS4_S6_ilPT18_ili26rocblas_geam_ex_operation_
                                        ; -- End function
	.set _ZN12_GLOBAL__N_120geam_min_plus_kernelIf15HIP_vector_typeIfLj2EEfLi8ELi32ELi64ELi256ELi4ELi64ELi4ELi64ELi4ELc78ELc84ELb0ELb1ELb1EfKffEEviiiT16_PT17_ilS6_ilS4_S6_ilPT18_ili26rocblas_geam_ex_operation_.num_vgpr, 161
	.set _ZN12_GLOBAL__N_120geam_min_plus_kernelIf15HIP_vector_typeIfLj2EEfLi8ELi32ELi64ELi256ELi4ELi64ELi4ELi64ELi4ELc78ELc84ELb0ELb1ELb1EfKffEEviiiT16_PT17_ilS6_ilS4_S6_ilPT18_ili26rocblas_geam_ex_operation_.num_agpr, 0
	.set _ZN12_GLOBAL__N_120geam_min_plus_kernelIf15HIP_vector_typeIfLj2EEfLi8ELi32ELi64ELi256ELi4ELi64ELi4ELi64ELi4ELc78ELc84ELb0ELb1ELb1EfKffEEviiiT16_PT17_ilS6_ilS4_S6_ilPT18_ili26rocblas_geam_ex_operation_.numbered_sgpr, 44
	.set _ZN12_GLOBAL__N_120geam_min_plus_kernelIf15HIP_vector_typeIfLj2EEfLi8ELi32ELi64ELi256ELi4ELi64ELi4ELi64ELi4ELc78ELc84ELb0ELb1ELb1EfKffEEviiiT16_PT17_ilS6_ilS4_S6_ilPT18_ili26rocblas_geam_ex_operation_.num_named_barrier, 0
	.set _ZN12_GLOBAL__N_120geam_min_plus_kernelIf15HIP_vector_typeIfLj2EEfLi8ELi32ELi64ELi256ELi4ELi64ELi4ELi64ELi4ELc78ELc84ELb0ELb1ELb1EfKffEEviiiT16_PT17_ilS6_ilS4_S6_ilPT18_ili26rocblas_geam_ex_operation_.private_seg_size, 0
	.set _ZN12_GLOBAL__N_120geam_min_plus_kernelIf15HIP_vector_typeIfLj2EEfLi8ELi32ELi64ELi256ELi4ELi64ELi4ELi64ELi4ELc78ELc84ELb0ELb1ELb1EfKffEEviiiT16_PT17_ilS6_ilS4_S6_ilPT18_ili26rocblas_geam_ex_operation_.uses_vcc, 1
	.set _ZN12_GLOBAL__N_120geam_min_plus_kernelIf15HIP_vector_typeIfLj2EEfLi8ELi32ELi64ELi256ELi4ELi64ELi4ELi64ELi4ELc78ELc84ELb0ELb1ELb1EfKffEEviiiT16_PT17_ilS6_ilS4_S6_ilPT18_ili26rocblas_geam_ex_operation_.uses_flat_scratch, 0
	.set _ZN12_GLOBAL__N_120geam_min_plus_kernelIf15HIP_vector_typeIfLj2EEfLi8ELi32ELi64ELi256ELi4ELi64ELi4ELi64ELi4ELc78ELc84ELb0ELb1ELb1EfKffEEviiiT16_PT17_ilS6_ilS4_S6_ilPT18_ili26rocblas_geam_ex_operation_.has_dyn_sized_stack, 0
	.set _ZN12_GLOBAL__N_120geam_min_plus_kernelIf15HIP_vector_typeIfLj2EEfLi8ELi32ELi64ELi256ELi4ELi64ELi4ELi64ELi4ELc78ELc84ELb0ELb1ELb1EfKffEEviiiT16_PT17_ilS6_ilS4_S6_ilPT18_ili26rocblas_geam_ex_operation_.has_recursion, 0
	.set _ZN12_GLOBAL__N_120geam_min_plus_kernelIf15HIP_vector_typeIfLj2EEfLi8ELi32ELi64ELi256ELi4ELi64ELi4ELi64ELi4ELc78ELc84ELb0ELb1ELb1EfKffEEviiiT16_PT17_ilS6_ilS4_S6_ilPT18_ili26rocblas_geam_ex_operation_.has_indirect_call, 0
	.section	.AMDGPU.csdata,"",@progbits
; Kernel info:
; codeLenInByte = 18648
; TotalNumSgprs: 50
; NumVgprs: 161
; NumAgprs: 0
; TotalNumVgprs: 161
; ScratchSize: 0
; MemoryBound: 0
; FloatMode: 240
; IeeeMode: 1
; LDSByteSize: 10240 bytes/workgroup (compile time only)
; SGPRBlocks: 6
; VGPRBlocks: 20
; NumSGPRsForWavesPerEU: 50
; NumVGPRsForWavesPerEU: 161
; AccumOffset: 164
; Occupancy: 3
; WaveLimiterHint : 0
; COMPUTE_PGM_RSRC2:SCRATCH_EN: 0
; COMPUTE_PGM_RSRC2:USER_SGPR: 2
; COMPUTE_PGM_RSRC2:TRAP_HANDLER: 0
; COMPUTE_PGM_RSRC2:TGID_X_EN: 1
; COMPUTE_PGM_RSRC2:TGID_Y_EN: 0
; COMPUTE_PGM_RSRC2:TGID_Z_EN: 1
; COMPUTE_PGM_RSRC2:TIDIG_COMP_CNT: 1
; COMPUTE_PGM_RSRC3_GFX90A:ACCUM_OFFSET: 40
; COMPUTE_PGM_RSRC3_GFX90A:TG_SPLIT: 0
	.section	.text._ZN12_GLOBAL__N_120geam_min_plus_kernelIf15HIP_vector_typeIfLj2EEfLi8ELi32ELi64ELi256ELi4ELi4ELi64ELi64ELi4ELc84ELc84ELb0ELb0ELb1EPKfS3_fEEviiiT16_PT17_ilS7_ilS5_S7_ilPT18_ili26rocblas_geam_ex_operation_,"axG",@progbits,_ZN12_GLOBAL__N_120geam_min_plus_kernelIf15HIP_vector_typeIfLj2EEfLi8ELi32ELi64ELi256ELi4ELi4ELi64ELi64ELi4ELc84ELc84ELb0ELb0ELb1EPKfS3_fEEviiiT16_PT17_ilS7_ilS5_S7_ilPT18_ili26rocblas_geam_ex_operation_,comdat
	.globl	_ZN12_GLOBAL__N_120geam_min_plus_kernelIf15HIP_vector_typeIfLj2EEfLi8ELi32ELi64ELi256ELi4ELi4ELi64ELi64ELi4ELc84ELc84ELb0ELb0ELb1EPKfS3_fEEviiiT16_PT17_ilS7_ilS5_S7_ilPT18_ili26rocblas_geam_ex_operation_ ; -- Begin function _ZN12_GLOBAL__N_120geam_min_plus_kernelIf15HIP_vector_typeIfLj2EEfLi8ELi32ELi64ELi256ELi4ELi4ELi64ELi64ELi4ELc84ELc84ELb0ELb0ELb1EPKfS3_fEEviiiT16_PT17_ilS7_ilS5_S7_ilPT18_ili26rocblas_geam_ex_operation_
	.p2align	8
	.type	_ZN12_GLOBAL__N_120geam_min_plus_kernelIf15HIP_vector_typeIfLj2EEfLi8ELi32ELi64ELi256ELi4ELi4ELi64ELi64ELi4ELc84ELc84ELb0ELb0ELb1EPKfS3_fEEviiiT16_PT17_ilS7_ilS5_S7_ilPT18_ili26rocblas_geam_ex_operation_,@function
_ZN12_GLOBAL__N_120geam_min_plus_kernelIf15HIP_vector_typeIfLj2EEfLi8ELi32ELi64ELi256ELi4ELi4ELi64ELi64ELi4ELc84ELc84ELb0ELb0ELb1EPKfS3_fEEviiiT16_PT17_ilS7_ilS5_S7_ilPT18_ili26rocblas_geam_ex_operation_: ; @_ZN12_GLOBAL__N_120geam_min_plus_kernelIf15HIP_vector_typeIfLj2EEfLi8ELi32ELi64ELi256ELi4ELi4ELi64ELi64ELi4ELc84ELc84ELb0ELb0ELb1EPKfS3_fEEviiiT16_PT17_ilS7_ilS5_S7_ilPT18_ili26rocblas_geam_ex_operation_
; %bb.0:
	s_load_dwordx4 s[4:7], s[0:1], 0x10
	s_load_dwordx4 s[8:11], s[0:1], 0x28
	;; [unrolled: 1-line block ×3, first 2 shown]
	s_mov_b32 s16, s3
	s_mov_b32 s17, 0
	s_lshl_b64 s[18:19], s[16:17], 2
	s_waitcnt lgkmcnt(0)
	s_add_u32 s4, s4, s18
	s_addc_u32 s5, s5, s19
	s_load_dword s26, s[4:5], 0x0
	s_load_dwordx2 s[22:23], s[0:1], 0x50
	s_add_u32 s14, s14, s18
	s_addc_u32 s15, s15, s19
	s_mov_b64 s[18:19], 0
	s_waitcnt lgkmcnt(0)
	v_cmp_eq_f32_e64 s[4:5], s26, 0
	s_and_b64 s[4:5], exec, s[4:5]
	v_cmp_neq_f32_e64 s[24:25], s26, 0
	s_mov_b64 s[20:21], 0
	s_mov_b64 vcc, s[4:5]
	s_cbranch_vccnz .LBB72_2
; %bb.1:
	s_mul_i32 s3, s9, s16
	s_mul_hi_u32 s9, s8, s16
	s_add_i32 s9, s9, s3
	s_mul_i32 s8, s8, s16
	s_lshl_b64 s[8:9], s[8:9], 2
	s_add_u32 s20, s6, s8
	s_addc_u32 s21, s7, s9
.LBB72_2:
	s_load_dword s17, s[14:15], 0x0
	v_cndmask_b32_e64 v1, 0, 1, s[24:25]
	v_cmp_ne_u32_e64 s[6:7], 1, v1
	s_andn2_b64 vcc, exec, s[24:25]
	s_cbranch_vccnz .LBB72_4
; %bb.3:
	s_mul_i32 s3, s13, s16
	s_mul_hi_u32 s8, s12, s16
	s_add_i32 s9, s8, s3
	s_mul_i32 s8, s12, s16
	s_lshl_b64 s[8:9], s[8:9], 2
	s_add_u32 s18, s10, s8
	s_addc_u32 s19, s11, s9
.LBB72_4:
	s_load_dwordx4 s[12:15], s[0:1], 0x60
	s_waitcnt lgkmcnt(0)
	v_cmp_eq_f32_e64 s[8:9], s17, 0
	s_and_b64 s[8:9], exec, s[8:9]
	s_mov_b64 vcc, s[8:9]
	s_cbranch_vccnz .LBB72_6
; %bb.5:
	s_mul_i32 s3, s13, s16
	s_mul_hi_u32 s10, s12, s16
	s_add_i32 s11, s10, s3
	s_mul_i32 s10, s12, s16
	s_lshl_b64 s[10:11], s[10:11], 2
	s_add_u32 s10, s22, s10
	s_addc_u32 s11, s23, s11
	s_branch .LBB72_7
.LBB72_6:
	s_mov_b64 s[10:11], 0
.LBB72_7:
	s_load_dword s12, s[0:1], 0x0
	s_load_dword s3, s[0:1], 0x20
	v_and_b32_e32 v78, 0x3ff, v0
	v_bfe_u32 v79, v0, 10, 10
	v_and_b32_e32 v2, 3, v0
	s_waitcnt lgkmcnt(0)
	s_add_i32 s12, s12, -1
	s_ashr_i32 s13, s12, 31
	s_lshr_b32 s13, s13, 26
	s_add_i32 s12, s12, s13
	s_ashr_i32 s12, s12, 6
	s_add_i32 s22, s12, 1
	v_cvt_f32_u32_e32 v1, s22
	s_not_b32 s12, s12
	v_lshl_add_u32 v0, v79, 3, v78
	v_lshrrev_b32_e32 v44, 2, v0
	v_rcp_iflag_f32_e32 v1, v1
	v_mov_b32_e32 v3, 0
	v_lshlrev_b32_e32 v8, 2, v2
	v_mov_b32_e32 v5, 0
	v_mul_f32_e32 v1, 0x4f7ffffe, v1
	v_cvt_u32_f32_e32 v1, v1
	s_nop 0
	v_readfirstlane_b32 s13, v1
	s_mul_i32 s12, s12, s13
	s_mul_hi_u32 s12, s13, s12
	s_add_i32 s13, s13, s12
	s_mul_hi_u32 s12, s2, s13
	s_mul_i32 s13, s12, s22
	s_sub_i32 s13, s2, s13
	s_add_i32 s23, s12, 1
	s_sub_i32 s24, s13, s22
	s_cmp_ge_u32 s13, s22
	s_cselect_b32 s12, s23, s12
	s_cselect_b32 s13, s24, s13
	s_add_i32 s23, s12, 1
	s_cmp_ge_u32 s13, s22
	s_cselect_b32 s13, s23, s12
	s_mul_i32 s27, s13, s22
	s_sub_i32 s12, s2, s27
	s_lshl_b32 s24, s12, 6
	s_and_b64 vcc, exec, s[6:7]
	v_add_u32_e32 v2, s24, v44
	s_cbranch_vccnz .LBB72_9
; %bb.8:
	v_mad_i64_i32 v[4:5], s[22:23], v2, s3, 0
	v_lshl_add_u64 v[4:5], v[4:5], 2, s[20:21]
	v_mov_b32_e32 v9, 0
	v_lshl_add_u64 v[4:5], v[4:5], 0, v[8:9]
	global_load_dword v1, v[4:5], off
	s_waitcnt vmcnt(0)
	v_mul_f32_e32 v5, s26, v1
.LBB72_9:
	s_load_dword s12, s[0:1], 0x38
	v_and_b32_e32 v46, 63, v0
	v_lshrrev_b32_e32 v45, 6, v0
	s_lshl_b32 s25, s13, 8
	v_or_b32_e32 v10, s25, v46
	s_waitcnt lgkmcnt(0)
	v_mad_i64_i32 v[0:1], s[22:23], s12, v45, 0
	v_lshl_add_u64 v[0:1], v[0:1], 2, s[18:19]
	s_and_b64 vcc, exec, s[6:7]
	v_ashrrev_i32_e32 v11, 31, v10
	v_mov_b32_e32 v4, 0
	s_cbranch_vccnz .LBB72_11
; %bb.10:
	v_lshl_add_u64 v[6:7], v[10:11], 2, v[0:1]
	global_load_dword v3, v[6:7], off
	global_load_dword v9, v[6:7], off offset:256
	s_waitcnt vmcnt(1)
	v_mul_f32_e32 v4, s26, v3
	s_waitcnt vmcnt(0)
	v_mul_f32_e32 v3, s26, v9
.LBB72_11:
	s_ashr_i32 s13, s12, 31
	v_mov_b32_e32 v7, 0
	s_mov_b64 vcc, s[4:5]
	s_cbranch_vccz .LBB72_13
; %bb.12:
	s_mov_b32 s22, 0
	v_mov_b32_e32 v6, s22
	s_cbranch_execz .LBB72_14
	s_branch .LBB72_15
.LBB72_13:
                                        ; implicit-def: $vgpr6
.LBB72_14:
	v_lshl_add_u64 v[0:1], v[10:11], 2, v[0:1]
	global_load_dword v6, v[0:1], off offset:512
	global_load_dword v7, v[0:1], off offset:768
	s_waitcnt vmcnt(1)
	v_mul_f32_e32 v6, s26, v6
	s_waitcnt vmcnt(0)
	v_mul_f32_e32 v7, s26, v7
.LBB72_15:
	v_mov_b32_e32 v1, 0
	s_and_b64 vcc, exec, s[6:7]
	v_mov_b32_e32 v49, 0
	s_cbranch_vccnz .LBB72_17
; %bb.16:
	v_mad_i64_i32 v[12:13], s[22:23], v2, s3, 0
	v_lshl_add_u64 v[12:13], v[12:13], 2, s[20:21]
	v_mov_b32_e32 v9, 0
	v_lshl_add_u64 v[12:13], v[12:13], 0, v[8:9]
	global_load_dword v0, v[12:13], off offset:16
	s_waitcnt vmcnt(0)
	v_mul_f32_e32 v49, s26, v0
.LBB72_17:
	v_add_u32_e32 v0, 4, v45
	v_mad_i64_i32 v[12:13], s[22:23], s12, v0, 0
	v_lshl_add_u64 v[12:13], v[12:13], 2, s[18:19]
	s_and_b64 vcc, exec, s[6:7]
	v_mov_b32_e32 v0, 0
	s_cbranch_vccnz .LBB72_19
; %bb.18:
	v_lshl_add_u64 v[0:1], v[10:11], 2, v[12:13]
	global_load_dword v2, v[0:1], off
	global_load_dword v9, v[0:1], off offset:256
	s_waitcnt vmcnt(1)
	v_mul_f32_e32 v0, s26, v2
	s_waitcnt vmcnt(0)
	v_mul_f32_e32 v1, s26, v9
.LBB72_19:
	v_mov_b32_e32 v48, 0
	s_mov_b64 vcc, s[4:5]
	s_cbranch_vccz .LBB72_21
; %bb.20:
	s_mov_b32 s22, 0
	v_mov_b32_e32 v2, s22
	s_cbranch_execz .LBB72_22
	s_branch .LBB72_23
.LBB72_21:
                                        ; implicit-def: $vgpr2
.LBB72_22:
	v_lshl_add_u64 v[10:11], v[10:11], 2, v[12:13]
	global_load_dword v2, v[10:11], off offset:512
	global_load_dword v9, v[10:11], off offset:768
	s_waitcnt vmcnt(1)
	v_mul_f32_e32 v2, s26, v2
	s_waitcnt vmcnt(0)
	v_mul_f32_e32 v48, s26, v9
.LBB72_23:
	v_lshl_or_b32 v47, v44, 4, v8
	ds_write_b32 v47, v5 offset:8192
	v_lshlrev_b32_e32 v5, 4, v46
	v_lshl_add_u32 v82, v45, 2, v5
	v_lshlrev_b32_e32 v81, 4, v78
	ds_write2st64_b32 v82, v4, v3 offset1:4
	ds_write2st64_b32 v82, v6, v7 offset0:8 offset1:12
	s_waitcnt lgkmcnt(0)
	s_barrier
	v_lshlrev_b32_e32 v80, 4, v79
	ds_read_b128 v[32:35], v81 offset:8192
	ds_read_b128 v[28:31], v81 offset:8320
	;; [unrolled: 1-line block ×8, first 2 shown]
	ds_read_b128 v[50:53], v80
	ds_read_b128 v[54:57], v80 offset:512
	ds_read_b128 v[58:61], v80 offset:1024
	;; [unrolled: 1-line block ×4, first 2 shown]
	s_waitcnt lgkmcnt(4)
	v_pk_add_f32 v[62:63], v[32:33], v[50:51]
	s_mov_b32 s22, 0x7f7fffff
	v_min3_f32 v3, v62, v63, s22
	v_pk_add_f32 v[62:63], v[28:29], v[50:51]
	s_nop 0
	v_min3_f32 v66, v62, v63, s22
	v_pk_add_f32 v[62:63], v[24:25], v[50:51]
	s_nop 0
	;; [unrolled: 3-line block ×5, first 2 shown]
	v_min3_f32 v70, v62, v63, s22
	v_pk_add_f32 v[62:63], v[8:9], v[50:51]
	v_pk_add_f32 v[50:51], v[4:5], v[50:51]
	v_min3_f32 v71, v62, v63, s22
	v_min3_f32 v72, v50, v51, s22
	s_waitcnt lgkmcnt(3)
	v_pk_add_f32 v[50:51], v[32:33], v[54:55]
	ds_read_b128 v[62:65], v80 offset:2560
	v_min3_f32 v73, v50, v51, s22
	v_pk_add_f32 v[50:51], v[28:29], v[54:55]
	s_nop 0
	v_min3_f32 v74, v50, v51, s22
	v_pk_add_f32 v[50:51], v[24:25], v[54:55]
	s_nop 0
	;; [unrolled: 3-line block ×7, first 2 shown]
	v_min3_f32 v54, v50, v51, s22
	s_waitcnt lgkmcnt(3)
	v_pk_add_f32 v[50:51], v[32:33], v[58:59]
	s_nop 0
	v_min3_f32 v55, v50, v51, s22
	v_pk_add_f32 v[50:51], v[28:29], v[58:59]
	s_nop 0
	v_min3_f32 v91, v50, v51, s22
	;; [unrolled: 3-line block ×8, first 2 shown]
	s_waitcnt lgkmcnt(2)
	v_pk_add_f32 v[50:51], v[32:33], v[40:41]
	s_nop 0
	v_min3_f32 v59, v50, v51, s22
	v_pk_add_f32 v[50:51], v[28:29], v[40:41]
	s_nop 0
	v_min3_f32 v97, v50, v51, s22
	;; [unrolled: 3-line block ×6, first 2 shown]
	v_pk_add_f32 v[50:51], v[8:9], v[40:41]
	v_pk_add_f32 v[40:41], v[4:5], v[40:41]
	v_min3_f32 v50, v50, v51, s22
	v_min3_f32 v51, v40, v41, s22
	s_waitcnt lgkmcnt(1)
	v_pk_add_f32 v[40:41], v[32:33], v[36:37]
	s_nop 0
	v_min3_f32 v102, v40, v41, s22
	v_pk_add_f32 v[40:41], v[28:29], v[36:37]
	s_nop 0
	v_min3_f32 v103, v40, v41, s22
	;; [unrolled: 3-line block ×6, first 2 shown]
	v_pk_add_f32 v[40:41], v[8:9], v[36:37]
	v_pk_add_f32 v[36:37], v[4:5], v[36:37]
	v_min3_f32 v108, v40, v41, s22
	v_min3_f32 v109, v36, v37, s22
	v_pk_add_f32 v[36:37], v[34:35], v[52:53]
	s_waitcnt lgkmcnt(0)
	v_pk_add_f32 v[40:41], v[24:25], v[62:63]
	v_min3_f32 v88, v36, v37, v3
	v_pk_add_f32 v[36:37], v[30:31], v[52:53]
	s_nop 0
	v_min3_f32 v149, v36, v37, v66
	v_pk_add_f32 v[36:37], v[26:27], v[52:53]
	s_nop 0
	;; [unrolled: 3-line block ×16, first 2 shown]
	v_min3_f32 v66, v36, v37, s22
	v_pk_add_f32 v[36:37], v[6:7], v[56:57]
	v_min3_f32 v56, v40, v41, s22
	v_min3_f32 v140, v36, v37, v54
	v_pk_add_f32 v[36:37], v[34:35], v[60:61]
	v_pk_add_f32 v[40:41], v[20:21], v[62:63]
	v_min3_f32 v139, v36, v37, v55
	v_pk_add_f32 v[36:37], v[30:31], v[60:61]
	v_min3_f32 v57, v40, v41, s22
	v_min3_f32 v138, v36, v37, v91
	v_pk_add_f32 v[36:37], v[26:27], v[60:61]
	v_pk_add_f32 v[40:41], v[8:9], v[62:63]
	v_min3_f32 v137, v36, v37, v92
	v_pk_add_f32 v[36:37], v[22:23], v[60:61]
	s_nop 0
	v_min3_f32 v136, v36, v37, v93
	v_pk_add_f32 v[36:37], v[18:19], v[60:61]
	s_nop 0
	v_min3_f32 v135, v36, v37, v94
	v_pk_add_f32 v[36:37], v[14:15], v[60:61]
	s_nop 0
	v_min3_f32 v134, v36, v37, v95
	v_pk_add_f32 v[36:37], v[10:11], v[60:61]
	s_nop 0
	v_min3_f32 v133, v36, v37, v96
	v_pk_add_f32 v[36:37], v[16:17], v[62:63]
	s_nop 0
	v_min3_f32 v54, v36, v37, s22
	v_pk_add_f32 v[36:37], v[12:13], v[62:63]
	s_nop 0
	v_min3_f32 v55, v36, v37, s22
	v_pk_add_f32 v[36:37], v[6:7], v[60:61]
	v_min3_f32 v60, v40, v41, s22
	v_min3_f32 v132, v36, v37, v58
	v_pk_add_f32 v[36:37], v[34:35], v[42:43]
	v_pk_add_f32 v[40:41], v[4:5], v[62:63]
	v_min3_f32 v131, v36, v37, v59
	v_pk_add_f32 v[36:37], v[30:31], v[42:43]
	v_min3_f32 v61, v40, v41, s22
	v_min3_f32 v130, v36, v37, v97
	v_pk_add_f32 v[36:37], v[26:27], v[42:43]
	s_nop 0
	v_min3_f32 v129, v36, v37, v98
	v_pk_add_f32 v[36:37], v[22:23], v[42:43]
	s_nop 0
	;; [unrolled: 3-line block ×5, first 2 shown]
	v_min3_f32 v125, v36, v37, v50
	v_pk_add_f32 v[36:37], v[6:7], v[42:43]
	ds_read_b128 v[40:43], v80 offset:3072
	v_min3_f32 v124, v36, v37, v51
	v_pk_add_f32 v[36:37], v[34:35], v[38:39]
	ds_read_b128 v[50:53], v80 offset:3584
	v_min3_f32 v123, v36, v37, v102
	v_pk_add_f32 v[36:37], v[30:31], v[38:39]
	ds_write_b32 v47, v49 offset:9216
	ds_write2st64_b32 v82, v0, v1 offset0:16 offset1:20
	ds_write2st64_b32 v82, v2, v48 offset0:24 offset1:28
	v_min3_f32 v122, v36, v37, v103
	v_pk_add_f32 v[36:37], v[26:27], v[38:39]
	s_waitcnt lgkmcnt(0)
	v_min3_f32 v121, v36, v37, v104
	v_pk_add_f32 v[36:37], v[22:23], v[38:39]
	s_barrier
	v_min3_f32 v120, v36, v37, v105
	v_pk_add_f32 v[36:37], v[18:19], v[38:39]
	s_nop 0
	v_min3_f32 v119, v36, v37, v106
	v_pk_add_f32 v[36:37], v[14:15], v[38:39]
	s_nop 0
	;; [unrolled: 3-line block ×3, first 2 shown]
	v_min3_f32 v115, v36, v37, v108
	v_pk_add_f32 v[36:37], v[32:33], v[40:41]
	v_pk_add_f32 v[32:33], v[32:33], v[50:51]
	v_min3_f32 v58, v36, v37, s22
	v_pk_add_f32 v[36:37], v[28:29], v[40:41]
	v_pk_add_f32 v[28:29], v[28:29], v[50:51]
	;; [unrolled: 3-line block ×3, first 2 shown]
	v_min3_f32 v118, v36, v37, v109
	v_pk_add_f32 v[36:37], v[34:35], v[64:65]
	v_min3_f32 v62, v38, v39, s22
	v_min3_f32 v117, v36, v37, v3
	v_pk_add_f32 v[36:37], v[30:31], v[64:65]
	v_pk_add_f32 v[38:39], v[20:21], v[40:41]
	v_min3_f32 v114, v36, v37, v66
	v_pk_add_f32 v[36:37], v[26:27], v[64:65]
	v_min3_f32 v63, v38, v39, s22
	v_min3_f32 v113, v36, v37, v56
	v_pk_add_f32 v[36:37], v[22:23], v[64:65]
	v_pk_add_f32 v[38:39], v[8:9], v[40:41]
	v_min3_f32 v112, v36, v37, v57
	v_pk_add_f32 v[36:37], v[18:19], v[64:65]
	v_pk_add_f32 v[24:25], v[24:25], v[50:51]
	;; [unrolled: 3-line block ×3, first 2 shown]
	v_min3_f32 v110, v36, v37, v55
	v_pk_add_f32 v[36:37], v[10:11], v[64:65]
	v_min3_f32 v55, v38, v39, s22
	v_min3_f32 v109, v36, v37, v60
	v_pk_add_f32 v[36:37], v[16:17], v[40:41]
	v_pk_add_f32 v[38:39], v[4:5], v[40:41]
	v_min3_f32 v3, v36, v37, s22
	v_pk_add_f32 v[36:37], v[12:13], v[40:41]
	v_pk_add_f32 v[4:5], v[4:5], v[50:51]
	v_min3_f32 v54, v36, v37, s22
	v_pk_add_f32 v[36:37], v[6:7], v[64:65]
	v_min3_f32 v24, v24, v25, s22
	v_min3_f32 v108, v36, v37, v61
	v_pk_add_f32 v[36:37], v[34:35], v[42:43]
	v_pk_add_f32 v[20:21], v[20:21], v[50:51]
	v_min3_f32 v107, v36, v37, v58
	v_pk_add_f32 v[36:37], v[30:31], v[42:43]
	v_pk_add_f32 v[16:17], v[16:17], v[50:51]
	;; [unrolled: 3-line block ×3, first 2 shown]
	v_min3_f32 v105, v36, v37, v62
	v_pk_add_f32 v[36:37], v[22:23], v[42:43]
	v_min3_f32 v8, v8, v9, s22
	v_min3_f32 v104, v36, v37, v63
	v_pk_add_f32 v[36:37], v[18:19], v[42:43]
	v_min3_f32 v9, v4, v5, s22
	v_min3_f32 v103, v36, v37, v3
	v_min3_f32 v3, v32, v33, s22
	v_min3_f32 v32, v28, v29, s22
	v_pk_add_f32 v[28:29], v[34:35], v[52:53]
	v_pk_add_f32 v[4:5], v[26:27], v[52:53]
	v_min3_f32 v38, v38, v39, s22
	v_min3_f32 v20, v20, v21, s22
	;; [unrolled: 1-line block ×5, first 2 shown]
	s_load_dword s22, s[0:1], 0x8
	v_min3_f32 v97, v4, v5, v24
	v_pk_add_f32 v[4:5], v[22:23], v[52:53]
	v_pk_add_f32 v[36:37], v[14:15], v[42:43]
	v_min3_f32 v96, v4, v5, v20
	v_pk_add_f32 v[4:5], v[18:19], v[52:53]
	v_min3_f32 v102, v36, v37, v54
	v_min3_f32 v95, v4, v5, v3
	v_pk_add_f32 v[4:5], v[14:15], v[52:53]
	v_pk_add_f32 v[36:37], v[10:11], v[42:43]
	v_min3_f32 v94, v4, v5, v16
	v_pk_add_f32 v[4:5], v[10:11], v[52:53]
	v_min3_f32 v101, v36, v37, v55
	v_pk_add_f32 v[36:37], v[6:7], v[42:43]
	v_pk_add_f32 v[12:13], v[30:31], v[52:53]
	v_min3_f32 v93, v4, v5, v8
	v_pk_add_f32 v[4:5], v[6:7], v[52:53]
	v_min3_f32 v99, v36, v37, v38
	v_min3_f32 v98, v12, v13, v32
	;; [unrolled: 1-line block ×3, first 2 shown]
	s_waitcnt lgkmcnt(0)
	s_cmp_lt_i32 s22, 9
	s_cbranch_scc1 .LBB72_46
; %bb.24:
	v_mov_b32_e32 v0, 0x2400
	v_lshl_add_u32 v151, v78, 4, v0
	v_mov_b32_e32 v0, 0x1000
	v_lshl_add_u32 v152, v79, 4, v0
	v_lshl_add_u32 v0, s2, 6, v44
	s_lshl_b32 s2, s27, 6
	v_subrev_u32_e32 v0, s2, v0
	v_and_b32_e32 v2, 3, v78
	v_mad_i64_i32 v[0:1], s[2:3], s3, v0, 0
	v_lshlrev_b32_e32 v2, 2, v2
	v_mov_b32_e32 v3, 0
	v_lshl_add_u64 v[0:1], v[0:1], 2, v[2:3]
	v_lshl_add_u64 v[0:1], s[20:21], 0, v[0:1]
	;; [unrolled: 1-line block ×3, first 2 shown]
	v_add_u32_e32 v0, s25, v46
	v_ashrrev_i32_e32 v1, 31, v0
	v_lshlrev_b64 v[70:71], 2, v[0:1]
	v_add_u32_e32 v0, 8, v45
	v_mad_i64_i32 v[0:1], s[2:3], v0, s12, 0
	v_lshl_add_u64 v[72:73], v[0:1], 2, s[18:19]
	v_add_u32_e32 v0, 12, v45
	s_lshl_b64 s[2:3], s[12:13], 5
	v_mad_i64_i32 v[0:1], s[12:13], v0, s12, 0
	v_add_u32_e32 v89, 0x2000, v47
	v_add_u32_e32 v90, 0x2000, v81
	;; [unrolled: 1-line block ×3, first 2 shown]
	v_or_b32_e32 v150, 0x1000, v82
	s_add_i32 s22, s22, -8
	v_lshl_add_u64 v[74:75], v[0:1], 2, s[18:19]
	s_mov_b32 s18, 0
	s_mov_b32 s19, 0
	s_branch .LBB72_26
.LBB72_25:                              ;   in Loop: Header=BB72_26 Depth=1
	v_pk_add_f32 v[76:77], v[32:33], v[64:65]
	s_add_i32 s19, s19, 8
	v_min3_f32 v88, v76, v77, v88
	v_pk_add_f32 v[76:77], v[28:29], v[64:65]
	v_lshl_add_u64 v[68:69], v[68:69], 0, 32
	v_min3_f32 v149, v76, v77, v149
	v_pk_add_f32 v[76:77], v[24:25], v[64:65]
	v_lshl_add_u64 v[72:73], v[72:73], 0, s[2:3]
	v_min3_f32 v87, v76, v77, v87
	v_pk_add_f32 v[76:77], v[20:21], v[64:65]
	s_cmp_ge_i32 s19, s22
	v_min3_f32 v86, v76, v77, v86
	v_pk_add_f32 v[76:77], v[16:17], v[64:65]
	v_lshl_add_u64 v[74:75], v[74:75], 0, s[2:3]
	v_min3_f32 v83, v76, v77, v83
	v_pk_add_f32 v[76:77], v[12:13], v[64:65]
	s_nop 0
	v_min3_f32 v85, v76, v77, v85
	v_pk_add_f32 v[76:77], v[8:9], v[64:65]
	v_pk_add_f32 v[64:65], v[4:5], v[64:65]
	v_min3_f32 v76, v76, v77, v84
	v_min3_f32 v77, v64, v65, v148
	v_pk_add_f32 v[64:65], v[32:33], v[60:61]
	s_nop 0
	v_min3_f32 v84, v64, v65, v147
	v_pk_add_f32 v[64:65], v[28:29], v[60:61]
	s_nop 0
	v_min3_f32 v146, v64, v65, v146
	v_pk_add_f32 v[64:65], v[24:25], v[60:61]
	s_nop 0
	v_min3_f32 v145, v64, v65, v145
	v_pk_add_f32 v[64:65], v[20:21], v[60:61]
	s_nop 0
	v_min3_f32 v144, v64, v65, v144
	v_pk_add_f32 v[64:65], v[16:17], v[60:61]
	s_nop 0
	v_min3_f32 v143, v64, v65, v143
	v_pk_add_f32 v[64:65], v[12:13], v[60:61]
	s_nop 0
	v_min3_f32 v142, v64, v65, v142
	v_pk_add_f32 v[64:65], v[8:9], v[60:61]
	v_pk_add_f32 v[60:61], v[4:5], v[60:61]
	v_min3_f32 v64, v64, v65, v141
	v_min3_f32 v65, v60, v61, v140
	v_pk_add_f32 v[60:61], v[32:33], v[56:57]
	s_nop 0
	v_min3_f32 v139, v60, v61, v139
	v_pk_add_f32 v[60:61], v[28:29], v[56:57]
	s_nop 0
	v_min3_f32 v138, v60, v61, v138
	v_pk_add_f32 v[60:61], v[24:25], v[56:57]
	s_nop 0
	v_min3_f32 v137, v60, v61, v137
	v_pk_add_f32 v[60:61], v[20:21], v[56:57]
	s_nop 0
	v_min3_f32 v136, v60, v61, v136
	v_pk_add_f32 v[60:61], v[16:17], v[56:57]
	s_nop 0
	;; [unrolled: 22-line block ×5, first 2 shown]
	v_min3_f32 v111, v48, v49, v111
	v_pk_add_f32 v[48:49], v[12:13], v[44:45]
	s_nop 0
	v_min3_f32 v110, v48, v49, v110
	v_pk_add_f32 v[48:49], v[8:9], v[44:45]
	v_pk_add_f32 v[44:45], v[4:5], v[44:45]
	v_min3_f32 v48, v48, v49, v109
	v_min3_f32 v49, v44, v45, v108
	v_pk_add_f32 v[44:45], v[32:33], v[40:41]
	v_pk_add_f32 v[32:33], v[32:33], v[36:37]
	v_min3_f32 v107, v44, v45, v107
	v_pk_add_f32 v[44:45], v[28:29], v[40:41]
	v_pk_add_f32 v[28:29], v[28:29], v[36:37]
	;; [unrolled: 3-line block ×7, first 2 shown]
	v_pk_add_f32 v[8:9], v[8:9], v[36:37]
	v_pk_add_f32 v[4:5], v[4:5], v[36:37]
	v_min3_f32 v8, v8, v9, v93
	v_min3_f32 v9, v4, v5, v92
	v_pk_add_f32 v[4:5], v[34:35], v[66:67]
	v_min3_f32 v12, v12, v13, v94
	v_min3_f32 v88, v4, v5, v88
	;; [unrolled: 3-line block ×9, first 2 shown]
	v_pk_add_f32 v[4:5], v[34:35], v[62:63]
	s_nop 0
	v_min3_f32 v84, v4, v5, v84
	v_pk_add_f32 v[4:5], v[30:31], v[62:63]
	s_nop 0
	v_min3_f32 v95, v4, v5, v146
	;; [unrolled: 3-line block ×56, first 2 shown]
	ds_read_b128 v[4:7], v90
	ds_read_b128 v[8:11], v90 offset:128
	ds_read_b128 v[12:15], v90 offset:256
	;; [unrolled: 1-line block ×7, first 2 shown]
	ds_read_b128 v[40:43], v80
	ds_read_b128 v[44:47], v80 offset:512
	ds_read_b128 v[48:51], v80 offset:1024
	;; [unrolled: 1-line block ×7, first 2 shown]
	s_waitcnt lgkmcnt(7)
	v_pk_add_f32 v[76:77], v[4:5], v[40:41]
	ds_write_b32 v91, v153
	ds_write2st64_b32 v150, v0, v1 offset1:4
	ds_write2st64_b32 v150, v2, v3 offset0:8 offset1:12
	v_min3_f32 v88, v76, v77, v88
	v_pk_add_f32 v[76:77], v[8:9], v[40:41]
	s_waitcnt lgkmcnt(0)
	v_min3_f32 v92, v76, v77, v92
	v_pk_add_f32 v[76:77], v[12:13], v[40:41]
	s_barrier
	v_min3_f32 v87, v76, v77, v87
	v_pk_add_f32 v[76:77], v[16:17], v[40:41]
	s_nop 0
	v_min3_f32 v86, v76, v77, v86
	v_pk_add_f32 v[76:77], v[20:21], v[40:41]
	s_nop 0
	v_min3_f32 v83, v76, v77, v83
	v_pk_add_f32 v[76:77], v[24:25], v[40:41]
	s_nop 0
	v_min3_f32 v85, v76, v77, v85
	v_pk_add_f32 v[76:77], v[28:29], v[40:41]
	v_pk_add_f32 v[40:41], v[32:33], v[40:41]
	v_min3_f32 v76, v76, v77, v93
	v_min3_f32 v77, v40, v41, v94
	v_pk_add_f32 v[40:41], v[4:5], v[44:45]
	s_nop 0
	v_min3_f32 v93, v40, v41, v84
	v_pk_add_f32 v[40:41], v[8:9], v[44:45]
	s_nop 0
	;; [unrolled: 3-line block ×40, first 2 shown]
	v_min3_f32 v60, v40, v41, v139
	v_pk_add_f32 v[40:41], v[4:5], v[64:65]
	v_pk_add_f32 v[4:5], v[4:5], v[36:37]
	v_min3_f32 v61, v40, v41, v107
	v_pk_add_f32 v[40:41], v[8:9], v[64:65]
	s_nop 0
	v_min3_f32 v106, v40, v41, v106
	v_pk_add_f32 v[40:41], v[12:13], v[64:65]
	s_nop 0
	;; [unrolled: 3-line block ×7, first 2 shown]
	v_min3_f32 v40, v40, v41, v141
	v_min3_f32 v41, v4, v5, v142
	v_pk_add_f32 v[4:5], v[8:9], v[36:37]
	s_nop 0
	v_min3_f32 v8, v4, v5, v143
	v_pk_add_f32 v[4:5], v[12:13], v[36:37]
	s_nop 0
	;; [unrolled: 3-line block ×71, first 2 shown]
	v_min3_f32 v92, v4, v5, v20
	s_cbranch_scc1 .LBB72_46
.LBB72_26:                              ; =>This Inner Loop Header: Depth=1
	s_and_b64 vcc, exec, s[6:7]
	v_mov_b32_e32 v76, 0
	s_cbranch_vccnz .LBB72_28
; %bb.27:                               ;   in Loop: Header=BB72_26 Depth=1
	global_load_dword v0, v[68:69], off
	s_waitcnt vmcnt(0)
	v_mul_f32_e32 v76, s26, v0
.LBB72_28:                              ;   in Loop: Header=BB72_26 Depth=1
	s_mov_b64 s[12:13], -1
	s_mov_b64 vcc, s[4:5]
                                        ; implicit-def: $vgpr0_vgpr1_vgpr2_vgpr3
	s_cbranch_vccnz .LBB72_39
; %bb.29:                               ;   in Loop: Header=BB72_26 Depth=1
	v_mov_b32_e32 v1, 0
	s_andn2_b64 vcc, exec, s[12:13]
	v_lshl_add_u64 v[4:5], v[72:73], 0, v[70:71]
	s_cbranch_vccz .LBB72_40
.LBB72_30:                              ;   in Loop: Header=BB72_26 Depth=1
	s_mov_b64 s[12:13], -1
	s_mov_b64 vcc, s[4:5]
                                        ; implicit-def: $vgpr2
	s_cbranch_vccnz .LBB72_41
.LBB72_31:                              ;   in Loop: Header=BB72_26 Depth=1
	v_mov_b32_e32 v153, 0
	s_andn2_b64 vcc, exec, s[12:13]
	v_mov_b32_e32 v3, 0
	s_cbranch_vccnz .LBB72_33
.LBB72_32:                              ;   in Loop: Header=BB72_26 Depth=1
	global_load_dword v2, v[4:5], off offset:512
	global_load_dword v3, v[4:5], off offset:768
	s_waitcnt vmcnt(1)
	v_mul_f32_e32 v2, s26, v2
	s_waitcnt vmcnt(0)
	v_mul_f32_e32 v3, s26, v3
.LBB72_33:                              ;   in Loop: Header=BB72_26 Depth=1
	ds_read_b128 v[32:35], v151
	ds_read_b128 v[28:31], v151 offset:128
	ds_read_b128 v[24:27], v151 offset:256
	;; [unrolled: 1-line block ×7, first 2 shown]
	ds_read_b128 v[64:67], v152
	ds_read_b128 v[60:63], v152 offset:512
	ds_read_b128 v[56:59], v152 offset:1024
	;; [unrolled: 1-line block ×7, first 2 shown]
	s_and_b64 vcc, exec, s[6:7]
	ds_write_b32 v89, v76
	ds_write2st64_b32 v82, v0, v1 offset1:4
	ds_write2st64_b32 v82, v2, v3 offset0:8 offset1:12
	s_waitcnt lgkmcnt(0)
	s_barrier
	s_cbranch_vccnz .LBB72_35
; %bb.34:                               ;   in Loop: Header=BB72_26 Depth=1
	global_load_dword v0, v[68:69], off offset:16
	s_waitcnt vmcnt(0)
	v_mul_f32_e32 v153, s26, v0
.LBB72_35:                              ;   in Loop: Header=BB72_26 Depth=1
	s_mov_b64 s[12:13], -1
	s_mov_b64 vcc, s[4:5]
                                        ; implicit-def: $vgpr0_vgpr1_vgpr2_vgpr3
	s_cbranch_vccnz .LBB72_42
; %bb.36:                               ;   in Loop: Header=BB72_26 Depth=1
	v_mov_b32_e32 v1, 0
	s_andn2_b64 vcc, exec, s[12:13]
	v_lshl_add_u64 v[76:77], v[74:75], 0, v[70:71]
	s_cbranch_vccz .LBB72_43
.LBB72_37:                              ;   in Loop: Header=BB72_26 Depth=1
	s_mov_b64 s[12:13], -1
	s_mov_b64 vcc, s[4:5]
                                        ; implicit-def: $vgpr2
	s_cbranch_vccnz .LBB72_44
.LBB72_38:                              ;   in Loop: Header=BB72_26 Depth=1
	s_andn2_b64 vcc, exec, s[12:13]
	v_mov_b32_e32 v3, 0
	s_cbranch_vccnz .LBB72_25
	s_branch .LBB72_45
.LBB72_39:                              ;   in Loop: Header=BB72_26 Depth=1
	v_mov_b32_e32 v0, s18
	v_mov_b32_e32 v1, 0
	v_lshl_add_u64 v[4:5], v[72:73], 0, v[70:71]
	s_cbranch_execnz .LBB72_30
.LBB72_40:                              ;   in Loop: Header=BB72_26 Depth=1
	global_load_dword v0, v[4:5], off
	global_load_dword v1, v[4:5], off offset:256
	s_waitcnt vmcnt(1)
	v_mul_f32_e32 v0, s26, v0
	s_waitcnt vmcnt(0)
	v_mul_f32_e32 v1, s26, v1
	s_mov_b64 s[12:13], -1
	s_mov_b64 vcc, s[4:5]
                                        ; implicit-def: $vgpr2
	s_cbranch_vccz .LBB72_31
.LBB72_41:                              ;   in Loop: Header=BB72_26 Depth=1
	v_mov_b32_e32 v2, s18
	v_mov_b32_e32 v153, 0
	;; [unrolled: 1-line block ×3, first 2 shown]
	s_cbranch_execz .LBB72_32
	s_branch .LBB72_33
.LBB72_42:                              ;   in Loop: Header=BB72_26 Depth=1
	v_mov_b32_e32 v0, s18
	v_mov_b32_e32 v1, 0
	v_lshl_add_u64 v[76:77], v[74:75], 0, v[70:71]
	s_cbranch_execnz .LBB72_37
.LBB72_43:                              ;   in Loop: Header=BB72_26 Depth=1
	global_load_dword v0, v[76:77], off
	global_load_dword v1, v[76:77], off offset:256
	s_waitcnt vmcnt(1)
	v_mul_f32_e32 v0, s26, v0
	s_waitcnt vmcnt(0)
	v_mul_f32_e32 v1, s26, v1
	s_mov_b64 s[12:13], -1
	s_mov_b64 vcc, s[4:5]
                                        ; implicit-def: $vgpr2
	s_cbranch_vccz .LBB72_38
.LBB72_44:                              ;   in Loop: Header=BB72_26 Depth=1
	v_mov_b32_e32 v2, s18
	v_mov_b32_e32 v3, 0
	s_cbranch_execnz .LBB72_25
.LBB72_45:                              ;   in Loop: Header=BB72_26 Depth=1
	global_load_dword v2, v[76:77], off offset:512
	global_load_dword v3, v[76:77], off offset:768
	s_waitcnt vmcnt(1)
	v_mul_f32_e32 v2, s26, v2
	s_waitcnt vmcnt(0)
	v_mul_f32_e32 v3, s26, v3
	s_branch .LBB72_25
.LBB72_46:
	s_load_dwordx2 s[2:3], s[0:1], 0x78
	s_load_dword s4, s[0:1], 0x58
	s_load_dword s5, s[0:1], 0x70
	ds_read_b128 v[32:35], v81 offset:9216
	ds_read_b128 v[60:63], v80 offset:4096
	s_waitcnt lgkmcnt(0)
	s_mul_i32 s0, s3, s16
	s_mul_hi_u32 s1, s2, s16
	s_add_i32 s1, s1, s0
	s_mul_i32 s0, s2, s16
	s_lshl_b64 s[0:1], s[0:1], 2
	v_pk_add_f32 v[0:1], v[32:33], v[60:61]
	s_add_u32 s0, s14, s0
	v_min3_f32 v2, v0, v1, v88
	v_pk_add_f32 v[0:1], v[34:35], v[62:63]
	v_add_u32_e32 v150, s25, v79
	s_addc_u32 s1, s15, s1
	v_min3_f32 v2, v0, v1, v2
	v_add_u32_e32 v68, s24, v78
	v_mad_i64_i32 v[0:1], s[2:3], v150, s5, 0
	v_add_u32_e32 v64, 8, v68
	v_lshl_add_u64 v[88:89], v[0:1], 2, s[0:1]
	v_mad_i64_i32 v[0:1], s[2:3], v150, s4, 0
	v_ashrrev_i32_e32 v69, 31, v68
	v_ashrrev_i32_e32 v65, 31, v64
	s_mov_b64 s[2:3], -1
	v_max_f32_e32 v2, v2, v2
	s_mov_b64 vcc, s[8:9]
	s_cbranch_vccz .LBB72_48
; %bb.47:
	v_min_f32_e32 v3, 0, v2
	v_lshl_add_u64 v[4:5], v[68:69], 2, v[88:89]
	global_store_dword v[4:5], v3, off
	s_mov_b64 s[2:3], 0
.LBB72_48:
	ds_read_b128 v[28:31], v81 offset:9344
	ds_read_b128 v[24:27], v81 offset:9472
	v_lshl_add_u64 v[90:91], v[0:1], 2, s[10:11]
	v_mov_b32_e32 v70, 0
	s_andn2_b64 vcc, exec, s[2:3]
	v_lshlrev_b64 v[72:73], 2, v[68:69]
	s_cbranch_vccnz .LBB72_50
; %bb.49:
	v_lshl_add_u64 v[0:1], v[90:91], 0, v[72:73]
	global_load_dword v3, v[0:1], off
	v_lshl_add_u64 v[0:1], v[88:89], 0, v[72:73]
	s_waitcnt vmcnt(0)
	v_mul_f32_e32 v3, s17, v3
	v_min_f32_e32 v2, v3, v2
	global_store_dword v[0:1], v2, off
	v_lshl_add_u64 v[0:1], v[64:65], 2, v[90:91]
	global_load_dword v0, v[0:1], off
	s_waitcnt vmcnt(0)
	v_mul_f32_e32 v70, s17, v0
.LBB72_50:
	ds_read_b128 v[16:19], v81 offset:9728
	ds_read_b128 v[12:15], v81 offset:9856
	;; [unrolled: 1-line block ×12, first 2 shown]
	s_waitcnt lgkmcnt(13)
	v_pk_add_f32 v[66:67], v[28:29], v[60:61]
	v_add_u32_e32 v76, 16, v68
	v_min3_f32 v71, v66, v67, v149
	s_waitcnt lgkmcnt(12)
	v_pk_add_f32 v[66:67], v[24:25], v[60:61]
	v_ashrrev_i32_e32 v77, 31, v76
	v_min3_f32 v74, v66, v67, v87
	v_pk_add_f32 v[66:67], v[30:31], v[62:63]
	s_mov_b64 s[2:3], -1
	v_min_f32_e32 v75, v66, v67
	v_pk_add_f32 v[66:67], v[26:27], v[62:63]
	v_min3_f32 v75, v70, v75, v71
	v_min3_f32 v74, v66, v67, v74
	v_add_u32_e32 v66, 24, v68
	v_lshl_add_u64 v[70:71], v[64:65], 2, v[88:89]
	v_ashrrev_i32_e32 v67, 31, v66
	global_store_dword v[70:71], v75, off
	v_max_f32_e32 v70, v74, v74
	s_mov_b64 vcc, s[8:9]
	s_cbranch_vccz .LBB72_52
; %bb.51:
	v_min_f32_e32 v71, 0, v70
	v_lshl_add_u64 v[74:75], v[76:77], 2, v[88:89]
	global_store_dword v[74:75], v71, off
	s_mov_b64 s[2:3], 0
.LBB72_52:
	v_mov_b32_e32 v74, 0
	s_andn2_b64 vcc, exec, s[2:3]
	v_lshlrev_b64 v[80:81], 2, v[76:77]
	s_cbranch_vccnz .LBB72_54
; %bb.53:
	v_lshl_add_u64 v[74:75], v[90:91], 0, v[80:81]
	global_load_dword v71, v[74:75], off
	v_lshl_add_u64 v[74:75], v[88:89], 0, v[80:81]
	s_waitcnt vmcnt(0)
	v_mul_f32_e32 v71, s17, v71
	v_min_f32_e32 v70, v71, v70
	global_store_dword v[74:75], v70, off
	v_lshl_add_u64 v[70:71], v[66:67], 2, v[90:91]
	global_load_dword v70, v[70:71], off
	s_waitcnt vmcnt(0)
	v_mul_f32_e32 v74, s17, v70
.LBB72_54:
	s_waitcnt lgkmcnt(1)
	v_pk_add_f32 v[70:71], v[20:21], v[60:61]
	s_mov_b64 s[2:3], -1
	v_min3_f32 v75, v70, v71, v86
	v_pk_add_f32 v[70:71], v[16:17], v[60:61]
	s_mov_b64 vcc, s[8:9]
	v_min3_f32 v78, v70, v71, v83
	v_pk_add_f32 v[70:71], v[22:23], v[62:63]
	s_nop 0
	v_min_f32_e32 v82, v70, v71
	v_pk_add_f32 v[70:71], v[18:19], v[62:63]
	v_min3_f32 v82, v74, v82, v75
	v_min3_f32 v83, v70, v71, v78
	v_add_u32_e32 v78, 32, v68
	v_add_u32_e32 v70, 40, v68
	v_lshl_add_u64 v[74:75], v[66:67], 2, v[88:89]
	v_ashrrev_i32_e32 v79, 31, v78
	v_ashrrev_i32_e32 v71, 31, v70
	global_store_dword v[74:75], v82, off
	v_max_f32_e32 v74, v83, v83
	s_cbranch_vccz .LBB72_56
; %bb.55:
	v_min_f32_e32 v75, 0, v74
	v_lshl_add_u64 v[82:83], v[78:79], 2, v[88:89]
	global_store_dword v[82:83], v75, off
	s_mov_b64 s[2:3], 0
.LBB72_56:
	v_mov_b32_e32 v86, 0
	s_andn2_b64 vcc, exec, s[2:3]
	v_lshlrev_b64 v[82:83], 2, v[78:79]
	s_cbranch_vccnz .LBB72_58
; %bb.57:
	v_lshl_add_u64 v[86:87], v[90:91], 0, v[82:83]
	global_load_dword v75, v[86:87], off
	v_lshl_add_u64 v[86:87], v[88:89], 0, v[82:83]
	s_waitcnt vmcnt(0)
	v_mul_f32_e32 v75, s17, v75
	v_min_f32_e32 v74, v75, v74
	global_store_dword v[86:87], v74, off
	v_lshl_add_u64 v[74:75], v[70:71], 2, v[90:91]
	global_load_dword v74, v[74:75], off
	s_waitcnt vmcnt(0)
	v_mul_f32_e32 v86, s17, v74
.LBB72_58:
	v_pk_add_f32 v[74:75], v[12:13], v[60:61]
	s_mov_b64 s[2:3], -1
	v_min3_f32 v87, v74, v75, v85
	v_pk_add_f32 v[74:75], v[8:9], v[60:61]
	s_mov_b64 vcc, s[8:9]
	v_min3_f32 v84, v74, v75, v84
	v_pk_add_f32 v[74:75], v[14:15], v[62:63]
	s_nop 0
	v_min_f32_e32 v149, v74, v75
	v_pk_add_f32 v[74:75], v[10:11], v[62:63]
	v_min3_f32 v149, v86, v149, v87
	v_min3_f32 v151, v74, v75, v84
	v_add_u32_e32 v84, 48, v68
	v_add_u32_e32 v74, 56, v68
	v_lshl_add_u64 v[86:87], v[70:71], 2, v[88:89]
	v_ashrrev_i32_e32 v85, 31, v84
	v_ashrrev_i32_e32 v75, 31, v74
	global_store_dword v[86:87], v149, off
	v_max_f32_e32 v149, v151, v151
	s_cbranch_vccz .LBB72_60
; %bb.59:
	v_min_f32_e32 v151, 0, v149
	v_lshl_add_u64 v[86:87], v[84:85], 2, v[88:89]
	global_store_dword v[86:87], v151, off
	s_mov_b64 s[2:3], 0
.LBB72_60:
	v_mov_b32_e32 v151, 0
	s_andn2_b64 vcc, exec, s[2:3]
	v_lshlrev_b64 v[86:87], 2, v[84:85]
	s_cbranch_vccnz .LBB72_62
; %bb.61:
	v_lshl_add_u64 v[152:153], v[90:91], 0, v[86:87]
	global_load_dword v151, v[152:153], off
	v_lshl_add_u64 v[152:153], v[88:89], 0, v[86:87]
	v_lshl_add_u64 v[90:91], v[74:75], 2, v[90:91]
	s_waitcnt vmcnt(0)
	v_mul_f32_e32 v151, s17, v151
	v_min_f32_e32 v149, v151, v149
	global_store_dword v[152:153], v149, off
	global_load_dword v90, v[90:91], off
	s_waitcnt vmcnt(0)
	v_mul_f32_e32 v151, s17, v90
.LBB72_62:
	v_pk_add_f32 v[60:61], v[0:1], v[60:61]
	s_mov_b64 vcc, s[8:9]
	v_min3_f32 v90, v60, v61, v148
	v_pk_add_f32 v[60:61], v[32:33], v[56:57]
	s_nop 0
	v_min3_f32 v91, v60, v61, v147
	v_pk_add_f32 v[60:61], v[2:3], v[62:63]
	s_nop 0
	v_min_f32_e32 v62, v60, v61
	v_pk_add_f32 v[60:61], v[34:35], v[58:59]
	v_min3_f32 v62, v151, v62, v90
	v_min3_f32 v91, v60, v61, v91
	v_lshl_add_u64 v[60:61], v[74:75], 2, v[88:89]
	global_store_dword v[60:61], v62, off
	v_add_u32_e32 v62, 32, v150
	v_mad_i64_i32 v[60:61], s[2:3], v62, s5, 0
	v_mad_i64_i32 v[62:63], s[2:3], v62, s4, 0
	v_lshl_add_u64 v[60:61], v[60:61], 2, s[0:1]
	s_mov_b64 s[2:3], -1
	v_max_f32_e32 v88, v91, v91
	s_cbranch_vccz .LBB72_64
; %bb.63:
	v_min_f32_e32 v89, 0, v88
	v_lshl_add_u64 v[90:91], v[68:69], 2, v[60:61]
	global_store_dword v[90:91], v89, off
	s_mov_b64 s[2:3], 0
.LBB72_64:
	v_lshl_add_u64 v[62:63], v[62:63], 2, s[10:11]
	s_andn2_b64 vcc, exec, s[2:3]
	v_mov_b32_e32 v89, 0
	s_cbranch_vccnz .LBB72_66
; %bb.65:
	v_lshl_add_u64 v[90:91], v[62:63], 0, v[72:73]
	global_load_dword v89, v[90:91], off
	v_lshl_add_u64 v[90:91], v[60:61], 0, v[72:73]
	s_waitcnt vmcnt(0)
	v_mul_f32_e32 v89, s17, v89
	v_min_f32_e32 v88, v89, v88
	global_store_dword v[90:91], v88, off
	v_lshl_add_u64 v[88:89], v[64:65], 2, v[62:63]
	global_load_dword v88, v[88:89], off
	s_waitcnt vmcnt(0)
	v_mul_f32_e32 v89, s17, v88
.LBB72_66:
	v_pk_add_f32 v[90:91], v[28:29], v[56:57]
	s_mov_b64 s[2:3], -1
	v_min3_f32 v88, v90, v91, v146
	v_pk_add_f32 v[90:91], v[24:25], v[56:57]
	s_mov_b64 vcc, s[8:9]
	v_min3_f32 v145, v90, v91, v145
	v_pk_add_f32 v[90:91], v[30:31], v[58:59]
	s_nop 0
	v_min_f32_e32 v146, v90, v91
	v_pk_add_f32 v[90:91], v[26:27], v[58:59]
	s_nop 0
	v_min3_f32 v90, v90, v91, v145
	v_min3_f32 v91, v89, v146, v88
	v_lshl_add_u64 v[88:89], v[64:65], 2, v[60:61]
	global_store_dword v[88:89], v91, off
	v_max_f32_e32 v88, v90, v90
	s_cbranch_vccz .LBB72_68
; %bb.67:
	v_min_f32_e32 v89, 0, v88
	v_lshl_add_u64 v[90:91], v[76:77], 2, v[60:61]
	global_store_dword v[90:91], v89, off
	s_mov_b64 s[2:3], 0
.LBB72_68:
	s_andn2_b64 vcc, exec, s[2:3]
	v_mov_b32_e32 v89, 0
	s_cbranch_vccnz .LBB72_70
; %bb.69:
	v_lshl_add_u64 v[90:91], v[62:63], 0, v[80:81]
	global_load_dword v89, v[90:91], off
	v_lshl_add_u64 v[90:91], v[60:61], 0, v[80:81]
	s_waitcnt vmcnt(0)
	v_mul_f32_e32 v89, s17, v89
	v_min_f32_e32 v88, v89, v88
	global_store_dword v[90:91], v88, off
	v_lshl_add_u64 v[88:89], v[66:67], 2, v[62:63]
	global_load_dword v88, v[88:89], off
	s_waitcnt vmcnt(0)
	v_mul_f32_e32 v89, s17, v88
.LBB72_70:
	v_pk_add_f32 v[90:91], v[20:21], v[56:57]
	s_mov_b64 s[2:3], -1
	v_min3_f32 v88, v90, v91, v144
	v_pk_add_f32 v[90:91], v[16:17], v[56:57]
	s_mov_b64 vcc, s[8:9]
	v_min3_f32 v143, v90, v91, v143
	v_pk_add_f32 v[90:91], v[22:23], v[58:59]
	s_nop 0
	v_min_f32_e32 v144, v90, v91
	v_pk_add_f32 v[90:91], v[18:19], v[58:59]
	s_nop 0
	v_min3_f32 v90, v90, v91, v143
	v_min3_f32 v91, v89, v144, v88
	v_lshl_add_u64 v[88:89], v[66:67], 2, v[60:61]
	global_store_dword v[88:89], v91, off
	v_max_f32_e32 v88, v90, v90
	s_cbranch_vccz .LBB72_72
; %bb.71:
	v_min_f32_e32 v89, 0, v88
	v_lshl_add_u64 v[90:91], v[78:79], 2, v[60:61]
	global_store_dword v[90:91], v89, off
	s_mov_b64 s[2:3], 0
.LBB72_72:
	;; [unrolled: 39-line block ×3, first 2 shown]
	s_andn2_b64 vcc, exec, s[2:3]
	v_mov_b32_e32 v89, 0
	s_cbranch_vccnz .LBB72_78
; %bb.77:
	v_lshl_add_u64 v[90:91], v[62:63], 0, v[86:87]
	global_load_dword v89, v[90:91], off
	v_lshl_add_u64 v[90:91], v[60:61], 0, v[86:87]
	v_lshl_add_u64 v[62:63], v[74:75], 2, v[62:63]
	s_waitcnt vmcnt(0)
	v_mul_f32_e32 v89, s17, v89
	v_min_f32_e32 v88, v89, v88
	global_store_dword v[90:91], v88, off
	global_load_dword v62, v[62:63], off
	s_waitcnt vmcnt(0)
	v_mul_f32_e32 v89, s17, v62
.LBB72_78:
	v_pk_add_f32 v[56:57], v[0:1], v[56:57]
	s_mov_b64 vcc, s[8:9]
	v_min3_f32 v62, v56, v57, v140
	v_pk_add_f32 v[56:57], v[32:33], v[52:53]
	s_nop 0
	v_min3_f32 v63, v56, v57, v139
	v_pk_add_f32 v[56:57], v[2:3], v[58:59]
	s_nop 0
	v_min_f32_e32 v58, v56, v57
	v_pk_add_f32 v[56:57], v[34:35], v[54:55]
	v_min3_f32 v58, v89, v58, v62
	v_min3_f32 v63, v56, v57, v63
	v_lshl_add_u64 v[56:57], v[74:75], 2, v[60:61]
	global_store_dword v[56:57], v58, off
	v_add_u32_e32 v58, 64, v150
	v_mad_i64_i32 v[56:57], s[2:3], v58, s5, 0
	v_mad_i64_i32 v[58:59], s[2:3], v58, s4, 0
	v_lshl_add_u64 v[56:57], v[56:57], 2, s[0:1]
	s_mov_b64 s[2:3], -1
	v_max_f32_e32 v60, v63, v63
	s_cbranch_vccz .LBB72_80
; %bb.79:
	v_min_f32_e32 v61, 0, v60
	v_lshl_add_u64 v[62:63], v[68:69], 2, v[56:57]
	global_store_dword v[62:63], v61, off
	s_mov_b64 s[2:3], 0
.LBB72_80:
	v_lshl_add_u64 v[58:59], v[58:59], 2, s[10:11]
	s_andn2_b64 vcc, exec, s[2:3]
	v_mov_b32_e32 v61, 0
	s_cbranch_vccnz .LBB72_82
; %bb.81:
	v_lshl_add_u64 v[62:63], v[58:59], 0, v[72:73]
	global_load_dword v61, v[62:63], off
	v_lshl_add_u64 v[62:63], v[56:57], 0, v[72:73]
	s_waitcnt vmcnt(0)
	v_mul_f32_e32 v61, s17, v61
	v_min_f32_e32 v60, v61, v60
	global_store_dword v[62:63], v60, off
	v_lshl_add_u64 v[60:61], v[64:65], 2, v[58:59]
	global_load_dword v60, v[60:61], off
	s_waitcnt vmcnt(0)
	v_mul_f32_e32 v61, s17, v60
.LBB72_82:
	v_pk_add_f32 v[62:63], v[28:29], v[52:53]
	s_mov_b64 s[2:3], -1
	v_min3_f32 v60, v62, v63, v138
	v_pk_add_f32 v[62:63], v[24:25], v[52:53]
	s_mov_b64 vcc, s[8:9]
	v_min3_f32 v88, v62, v63, v137
	v_pk_add_f32 v[62:63], v[30:31], v[54:55]
	s_nop 0
	v_min_f32_e32 v89, v62, v63
	v_pk_add_f32 v[62:63], v[26:27], v[54:55]
	s_nop 0
	v_min3_f32 v62, v62, v63, v88
	v_min3_f32 v63, v61, v89, v60
	v_lshl_add_u64 v[60:61], v[64:65], 2, v[56:57]
	global_store_dword v[60:61], v63, off
	v_max_f32_e32 v60, v62, v62
	s_cbranch_vccz .LBB72_84
; %bb.83:
	v_min_f32_e32 v61, 0, v60
	v_lshl_add_u64 v[62:63], v[76:77], 2, v[56:57]
	global_store_dword v[62:63], v61, off
	s_mov_b64 s[2:3], 0
.LBB72_84:
	s_andn2_b64 vcc, exec, s[2:3]
	v_mov_b32_e32 v61, 0
	s_cbranch_vccnz .LBB72_86
; %bb.85:
	v_lshl_add_u64 v[62:63], v[58:59], 0, v[80:81]
	global_load_dword v61, v[62:63], off
	v_lshl_add_u64 v[62:63], v[56:57], 0, v[80:81]
	s_waitcnt vmcnt(0)
	v_mul_f32_e32 v61, s17, v61
	v_min_f32_e32 v60, v61, v60
	global_store_dword v[62:63], v60, off
	v_lshl_add_u64 v[60:61], v[66:67], 2, v[58:59]
	global_load_dword v60, v[60:61], off
	s_waitcnt vmcnt(0)
	v_mul_f32_e32 v61, s17, v60
.LBB72_86:
	v_pk_add_f32 v[62:63], v[20:21], v[52:53]
	s_mov_b64 s[2:3], -1
	v_min3_f32 v60, v62, v63, v136
	v_pk_add_f32 v[62:63], v[16:17], v[52:53]
	s_mov_b64 vcc, s[8:9]
	v_min3_f32 v88, v62, v63, v135
	v_pk_add_f32 v[62:63], v[22:23], v[54:55]
	s_nop 0
	v_min_f32_e32 v89, v62, v63
	v_pk_add_f32 v[62:63], v[18:19], v[54:55]
	s_nop 0
	v_min3_f32 v62, v62, v63, v88
	v_min3_f32 v63, v61, v89, v60
	v_lshl_add_u64 v[60:61], v[66:67], 2, v[56:57]
	global_store_dword v[60:61], v63, off
	v_max_f32_e32 v60, v62, v62
	s_cbranch_vccz .LBB72_88
; %bb.87:
	v_min_f32_e32 v61, 0, v60
	v_lshl_add_u64 v[62:63], v[78:79], 2, v[56:57]
	global_store_dword v[62:63], v61, off
	s_mov_b64 s[2:3], 0
.LBB72_88:
	;; [unrolled: 39-line block ×3, first 2 shown]
	s_andn2_b64 vcc, exec, s[2:3]
	v_mov_b32_e32 v61, 0
	s_cbranch_vccnz .LBB72_94
; %bb.93:
	v_lshl_add_u64 v[62:63], v[58:59], 0, v[86:87]
	global_load_dword v61, v[62:63], off
	v_lshl_add_u64 v[62:63], v[56:57], 0, v[86:87]
	v_lshl_add_u64 v[58:59], v[74:75], 2, v[58:59]
	s_waitcnt vmcnt(0)
	v_mul_f32_e32 v61, s17, v61
	v_min_f32_e32 v60, v61, v60
	global_store_dword v[62:63], v60, off
	global_load_dword v58, v[58:59], off
	s_waitcnt vmcnt(0)
	v_mul_f32_e32 v61, s17, v58
.LBB72_94:
	v_pk_add_f32 v[52:53], v[0:1], v[52:53]
	s_mov_b64 vcc, s[8:9]
	v_min3_f32 v58, v52, v53, v132
	v_pk_add_f32 v[52:53], v[32:33], v[48:49]
	s_nop 0
	v_min3_f32 v59, v52, v53, v131
	v_pk_add_f32 v[52:53], v[2:3], v[54:55]
	s_nop 0
	v_min_f32_e32 v54, v52, v53
	v_pk_add_f32 v[52:53], v[34:35], v[50:51]
	v_min3_f32 v54, v61, v54, v58
	v_min3_f32 v59, v52, v53, v59
	v_lshl_add_u64 v[52:53], v[74:75], 2, v[56:57]
	global_store_dword v[52:53], v54, off
	v_add_u32_e32 v54, 0x60, v150
	v_mad_i64_i32 v[52:53], s[2:3], v54, s5, 0
	v_mad_i64_i32 v[54:55], s[2:3], v54, s4, 0
	v_lshl_add_u64 v[52:53], v[52:53], 2, s[0:1]
	s_mov_b64 s[2:3], -1
	v_max_f32_e32 v56, v59, v59
	s_cbranch_vccz .LBB72_96
; %bb.95:
	v_min_f32_e32 v57, 0, v56
	v_lshl_add_u64 v[58:59], v[68:69], 2, v[52:53]
	global_store_dword v[58:59], v57, off
	s_mov_b64 s[2:3], 0
.LBB72_96:
	v_lshl_add_u64 v[54:55], v[54:55], 2, s[10:11]
	s_andn2_b64 vcc, exec, s[2:3]
	v_mov_b32_e32 v57, 0
	s_cbranch_vccnz .LBB72_98
; %bb.97:
	v_lshl_add_u64 v[58:59], v[54:55], 0, v[72:73]
	global_load_dword v57, v[58:59], off
	v_lshl_add_u64 v[58:59], v[52:53], 0, v[72:73]
	s_waitcnt vmcnt(0)
	v_mul_f32_e32 v57, s17, v57
	v_min_f32_e32 v56, v57, v56
	global_store_dword v[58:59], v56, off
	v_lshl_add_u64 v[56:57], v[64:65], 2, v[54:55]
	global_load_dword v56, v[56:57], off
	s_waitcnt vmcnt(0)
	v_mul_f32_e32 v57, s17, v56
.LBB72_98:
	v_pk_add_f32 v[58:59], v[28:29], v[48:49]
	s_mov_b64 s[2:3], -1
	v_min3_f32 v56, v58, v59, v130
	v_pk_add_f32 v[58:59], v[24:25], v[48:49]
	s_mov_b64 vcc, s[8:9]
	v_min3_f32 v60, v58, v59, v129
	v_pk_add_f32 v[58:59], v[30:31], v[50:51]
	s_nop 0
	v_min_f32_e32 v61, v58, v59
	v_pk_add_f32 v[58:59], v[26:27], v[50:51]
	s_nop 0
	v_min3_f32 v58, v58, v59, v60
	v_min3_f32 v59, v57, v61, v56
	v_lshl_add_u64 v[56:57], v[64:65], 2, v[52:53]
	global_store_dword v[56:57], v59, off
	v_max_f32_e32 v56, v58, v58
	s_cbranch_vccz .LBB72_100
; %bb.99:
	v_min_f32_e32 v57, 0, v56
	v_lshl_add_u64 v[58:59], v[76:77], 2, v[52:53]
	global_store_dword v[58:59], v57, off
	s_mov_b64 s[2:3], 0
.LBB72_100:
	s_andn2_b64 vcc, exec, s[2:3]
	v_mov_b32_e32 v57, 0
	s_cbranch_vccnz .LBB72_102
; %bb.101:
	v_lshl_add_u64 v[58:59], v[54:55], 0, v[80:81]
	global_load_dword v57, v[58:59], off
	v_lshl_add_u64 v[58:59], v[52:53], 0, v[80:81]
	s_waitcnt vmcnt(0)
	v_mul_f32_e32 v57, s17, v57
	v_min_f32_e32 v56, v57, v56
	global_store_dword v[58:59], v56, off
	v_lshl_add_u64 v[56:57], v[66:67], 2, v[54:55]
	global_load_dword v56, v[56:57], off
	s_waitcnt vmcnt(0)
	v_mul_f32_e32 v57, s17, v56
.LBB72_102:
	v_pk_add_f32 v[58:59], v[20:21], v[48:49]
	s_mov_b64 s[2:3], -1
	v_min3_f32 v56, v58, v59, v128
	v_pk_add_f32 v[58:59], v[16:17], v[48:49]
	s_mov_b64 vcc, s[8:9]
	v_min3_f32 v60, v58, v59, v127
	v_pk_add_f32 v[58:59], v[22:23], v[50:51]
	s_nop 0
	v_min_f32_e32 v61, v58, v59
	v_pk_add_f32 v[58:59], v[18:19], v[50:51]
	s_nop 0
	v_min3_f32 v58, v58, v59, v60
	v_min3_f32 v59, v57, v61, v56
	v_lshl_add_u64 v[56:57], v[66:67], 2, v[52:53]
	global_store_dword v[56:57], v59, off
	v_max_f32_e32 v56, v58, v58
	s_cbranch_vccz .LBB72_104
; %bb.103:
	v_min_f32_e32 v57, 0, v56
	v_lshl_add_u64 v[58:59], v[78:79], 2, v[52:53]
	global_store_dword v[58:59], v57, off
	s_mov_b64 s[2:3], 0
.LBB72_104:
	;; [unrolled: 39-line block ×3, first 2 shown]
	s_andn2_b64 vcc, exec, s[2:3]
	v_mov_b32_e32 v57, 0
	s_cbranch_vccnz .LBB72_110
; %bb.109:
	v_lshl_add_u64 v[58:59], v[54:55], 0, v[86:87]
	global_load_dword v57, v[58:59], off
	v_lshl_add_u64 v[58:59], v[52:53], 0, v[86:87]
	v_lshl_add_u64 v[54:55], v[74:75], 2, v[54:55]
	s_waitcnt vmcnt(0)
	v_mul_f32_e32 v57, s17, v57
	v_min_f32_e32 v56, v57, v56
	global_store_dword v[58:59], v56, off
	global_load_dword v54, v[54:55], off
	s_waitcnt vmcnt(0)
	v_mul_f32_e32 v57, s17, v54
.LBB72_110:
	v_pk_add_f32 v[48:49], v[0:1], v[48:49]
	s_mov_b64 vcc, s[8:9]
	v_min3_f32 v54, v48, v49, v124
	v_pk_add_f32 v[48:49], v[32:33], v[44:45]
	s_nop 0
	v_min3_f32 v55, v48, v49, v123
	v_pk_add_f32 v[48:49], v[2:3], v[50:51]
	s_nop 0
	v_min_f32_e32 v50, v48, v49
	v_pk_add_f32 v[48:49], v[34:35], v[46:47]
	v_min3_f32 v50, v57, v50, v54
	v_min3_f32 v55, v48, v49, v55
	v_lshl_add_u64 v[48:49], v[74:75], 2, v[52:53]
	global_store_dword v[48:49], v50, off
	v_add_u32_e32 v50, 0x80, v150
	v_mad_i64_i32 v[48:49], s[2:3], v50, s5, 0
	v_mad_i64_i32 v[50:51], s[2:3], v50, s4, 0
	v_lshl_add_u64 v[48:49], v[48:49], 2, s[0:1]
	s_mov_b64 s[2:3], -1
	v_max_f32_e32 v52, v55, v55
	s_cbranch_vccz .LBB72_112
; %bb.111:
	v_min_f32_e32 v53, 0, v52
	v_lshl_add_u64 v[54:55], v[68:69], 2, v[48:49]
	global_store_dword v[54:55], v53, off
	s_mov_b64 s[2:3], 0
.LBB72_112:
	v_lshl_add_u64 v[50:51], v[50:51], 2, s[10:11]
	s_andn2_b64 vcc, exec, s[2:3]
	v_mov_b32_e32 v53, 0
	s_cbranch_vccnz .LBB72_114
; %bb.113:
	v_lshl_add_u64 v[54:55], v[50:51], 0, v[72:73]
	global_load_dword v53, v[54:55], off
	v_lshl_add_u64 v[54:55], v[48:49], 0, v[72:73]
	s_waitcnt vmcnt(0)
	v_mul_f32_e32 v53, s17, v53
	v_min_f32_e32 v52, v53, v52
	global_store_dword v[54:55], v52, off
	v_lshl_add_u64 v[52:53], v[64:65], 2, v[50:51]
	global_load_dword v52, v[52:53], off
	s_waitcnt vmcnt(0)
	v_mul_f32_e32 v53, s17, v52
.LBB72_114:
	v_pk_add_f32 v[54:55], v[28:29], v[44:45]
	s_mov_b64 s[2:3], -1
	v_min3_f32 v52, v54, v55, v122
	v_pk_add_f32 v[54:55], v[24:25], v[44:45]
	s_mov_b64 vcc, s[8:9]
	v_min3_f32 v56, v54, v55, v121
	v_pk_add_f32 v[54:55], v[30:31], v[46:47]
	s_nop 0
	v_min_f32_e32 v57, v54, v55
	v_pk_add_f32 v[54:55], v[26:27], v[46:47]
	s_nop 0
	v_min3_f32 v54, v54, v55, v56
	v_min3_f32 v55, v53, v57, v52
	v_lshl_add_u64 v[52:53], v[64:65], 2, v[48:49]
	global_store_dword v[52:53], v55, off
	v_max_f32_e32 v52, v54, v54
	s_cbranch_vccz .LBB72_116
; %bb.115:
	v_min_f32_e32 v53, 0, v52
	v_lshl_add_u64 v[54:55], v[76:77], 2, v[48:49]
	global_store_dword v[54:55], v53, off
	s_mov_b64 s[2:3], 0
.LBB72_116:
	s_andn2_b64 vcc, exec, s[2:3]
	v_mov_b32_e32 v53, 0
	s_cbranch_vccnz .LBB72_118
; %bb.117:
	v_lshl_add_u64 v[54:55], v[50:51], 0, v[80:81]
	global_load_dword v53, v[54:55], off
	v_lshl_add_u64 v[54:55], v[48:49], 0, v[80:81]
	s_waitcnt vmcnt(0)
	v_mul_f32_e32 v53, s17, v53
	v_min_f32_e32 v52, v53, v52
	global_store_dword v[54:55], v52, off
	v_lshl_add_u64 v[52:53], v[66:67], 2, v[50:51]
	global_load_dword v52, v[52:53], off
	s_waitcnt vmcnt(0)
	v_mul_f32_e32 v53, s17, v52
.LBB72_118:
	v_pk_add_f32 v[54:55], v[20:21], v[44:45]
	s_mov_b64 s[2:3], -1
	v_min3_f32 v52, v54, v55, v120
	v_pk_add_f32 v[54:55], v[16:17], v[44:45]
	s_mov_b64 vcc, s[8:9]
	v_min3_f32 v56, v54, v55, v119
	v_pk_add_f32 v[54:55], v[22:23], v[46:47]
	s_nop 0
	v_min_f32_e32 v57, v54, v55
	v_pk_add_f32 v[54:55], v[18:19], v[46:47]
	s_nop 0
	v_min3_f32 v54, v54, v55, v56
	v_min3_f32 v55, v53, v57, v52
	v_lshl_add_u64 v[52:53], v[66:67], 2, v[48:49]
	global_store_dword v[52:53], v55, off
	v_max_f32_e32 v52, v54, v54
	s_cbranch_vccz .LBB72_120
; %bb.119:
	v_min_f32_e32 v53, 0, v52
	v_lshl_add_u64 v[54:55], v[78:79], 2, v[48:49]
	global_store_dword v[54:55], v53, off
	s_mov_b64 s[2:3], 0
.LBB72_120:
	;; [unrolled: 39-line block ×3, first 2 shown]
	s_andn2_b64 vcc, exec, s[2:3]
	v_mov_b32_e32 v53, 0
	s_cbranch_vccnz .LBB72_126
; %bb.125:
	v_lshl_add_u64 v[54:55], v[50:51], 0, v[86:87]
	global_load_dword v53, v[54:55], off
	v_lshl_add_u64 v[54:55], v[48:49], 0, v[86:87]
	v_lshl_add_u64 v[50:51], v[74:75], 2, v[50:51]
	s_waitcnt vmcnt(0)
	v_mul_f32_e32 v53, s17, v53
	v_min_f32_e32 v52, v53, v52
	global_store_dword v[54:55], v52, off
	global_load_dword v50, v[50:51], off
	s_waitcnt vmcnt(0)
	v_mul_f32_e32 v53, s17, v50
.LBB72_126:
	v_pk_add_f32 v[44:45], v[0:1], v[44:45]
	s_mov_b64 vcc, s[8:9]
	v_min3_f32 v50, v44, v45, v118
	v_pk_add_f32 v[44:45], v[32:33], v[40:41]
	s_nop 0
	v_min3_f32 v51, v44, v45, v117
	v_pk_add_f32 v[44:45], v[2:3], v[46:47]
	s_nop 0
	v_min_f32_e32 v46, v44, v45
	v_pk_add_f32 v[44:45], v[34:35], v[42:43]
	v_min3_f32 v46, v53, v46, v50
	v_min3_f32 v51, v44, v45, v51
	v_lshl_add_u64 v[44:45], v[74:75], 2, v[48:49]
	global_store_dword v[44:45], v46, off
	v_add_u32_e32 v46, 0xa0, v150
	v_mad_i64_i32 v[44:45], s[2:3], v46, s5, 0
	v_mad_i64_i32 v[46:47], s[2:3], v46, s4, 0
	v_lshl_add_u64 v[44:45], v[44:45], 2, s[0:1]
	s_mov_b64 s[2:3], -1
	v_max_f32_e32 v48, v51, v51
	s_cbranch_vccz .LBB72_128
; %bb.127:
	v_min_f32_e32 v49, 0, v48
	v_lshl_add_u64 v[50:51], v[68:69], 2, v[44:45]
	global_store_dword v[50:51], v49, off
	s_mov_b64 s[2:3], 0
.LBB72_128:
	v_lshl_add_u64 v[46:47], v[46:47], 2, s[10:11]
	s_andn2_b64 vcc, exec, s[2:3]
	v_mov_b32_e32 v49, 0
	s_cbranch_vccnz .LBB72_130
; %bb.129:
	v_lshl_add_u64 v[50:51], v[46:47], 0, v[72:73]
	global_load_dword v49, v[50:51], off
	v_lshl_add_u64 v[50:51], v[44:45], 0, v[72:73]
	s_waitcnt vmcnt(0)
	v_mul_f32_e32 v49, s17, v49
	v_min_f32_e32 v48, v49, v48
	global_store_dword v[50:51], v48, off
	v_lshl_add_u64 v[48:49], v[64:65], 2, v[46:47]
	global_load_dword v48, v[48:49], off
	s_waitcnt vmcnt(0)
	v_mul_f32_e32 v49, s17, v48
.LBB72_130:
	v_pk_add_f32 v[50:51], v[28:29], v[40:41]
	s_mov_b64 s[2:3], -1
	v_min3_f32 v48, v50, v51, v114
	v_pk_add_f32 v[50:51], v[24:25], v[40:41]
	s_mov_b64 vcc, s[8:9]
	v_min3_f32 v52, v50, v51, v113
	v_pk_add_f32 v[50:51], v[30:31], v[42:43]
	s_nop 0
	v_min_f32_e32 v53, v50, v51
	v_pk_add_f32 v[50:51], v[26:27], v[42:43]
	s_nop 0
	v_min3_f32 v50, v50, v51, v52
	v_min3_f32 v51, v49, v53, v48
	v_lshl_add_u64 v[48:49], v[64:65], 2, v[44:45]
	global_store_dword v[48:49], v51, off
	v_max_f32_e32 v48, v50, v50
	s_cbranch_vccz .LBB72_132
; %bb.131:
	v_min_f32_e32 v49, 0, v48
	v_lshl_add_u64 v[50:51], v[76:77], 2, v[44:45]
	global_store_dword v[50:51], v49, off
	s_mov_b64 s[2:3], 0
.LBB72_132:
	s_andn2_b64 vcc, exec, s[2:3]
	v_mov_b32_e32 v49, 0
	s_cbranch_vccnz .LBB72_134
; %bb.133:
	v_lshl_add_u64 v[50:51], v[46:47], 0, v[80:81]
	global_load_dword v49, v[50:51], off
	v_lshl_add_u64 v[50:51], v[44:45], 0, v[80:81]
	s_waitcnt vmcnt(0)
	v_mul_f32_e32 v49, s17, v49
	v_min_f32_e32 v48, v49, v48
	global_store_dword v[50:51], v48, off
	v_lshl_add_u64 v[48:49], v[66:67], 2, v[46:47]
	global_load_dword v48, v[48:49], off
	s_waitcnt vmcnt(0)
	v_mul_f32_e32 v49, s17, v48
.LBB72_134:
	v_pk_add_f32 v[50:51], v[20:21], v[40:41]
	s_mov_b64 s[2:3], -1
	v_min3_f32 v48, v50, v51, v112
	v_pk_add_f32 v[50:51], v[16:17], v[40:41]
	s_mov_b64 vcc, s[8:9]
	v_min3_f32 v52, v50, v51, v111
	v_pk_add_f32 v[50:51], v[22:23], v[42:43]
	s_nop 0
	v_min_f32_e32 v53, v50, v51
	v_pk_add_f32 v[50:51], v[18:19], v[42:43]
	s_nop 0
	v_min3_f32 v50, v50, v51, v52
	v_min3_f32 v51, v49, v53, v48
	v_lshl_add_u64 v[48:49], v[66:67], 2, v[44:45]
	global_store_dword v[48:49], v51, off
	v_max_f32_e32 v48, v50, v50
	s_cbranch_vccz .LBB72_136
; %bb.135:
	v_min_f32_e32 v49, 0, v48
	v_lshl_add_u64 v[50:51], v[78:79], 2, v[44:45]
	global_store_dword v[50:51], v49, off
	s_mov_b64 s[2:3], 0
.LBB72_136:
	;; [unrolled: 39-line block ×3, first 2 shown]
	s_andn2_b64 vcc, exec, s[2:3]
	v_mov_b32_e32 v49, 0
	s_cbranch_vccnz .LBB72_142
; %bb.141:
	v_lshl_add_u64 v[50:51], v[46:47], 0, v[86:87]
	global_load_dword v49, v[50:51], off
	v_lshl_add_u64 v[50:51], v[44:45], 0, v[86:87]
	v_lshl_add_u64 v[46:47], v[74:75], 2, v[46:47]
	s_waitcnt vmcnt(0)
	v_mul_f32_e32 v49, s17, v49
	v_min_f32_e32 v48, v49, v48
	global_store_dword v[50:51], v48, off
	global_load_dword v46, v[46:47], off
	s_waitcnt vmcnt(0)
	v_mul_f32_e32 v49, s17, v46
.LBB72_142:
	v_pk_add_f32 v[40:41], v[0:1], v[40:41]
	s_mov_b64 vcc, s[8:9]
	v_min3_f32 v46, v40, v41, v108
	v_pk_add_f32 v[40:41], v[32:33], v[36:37]
	s_nop 0
	v_min3_f32 v47, v40, v41, v107
	v_pk_add_f32 v[40:41], v[2:3], v[42:43]
	s_nop 0
	v_min_f32_e32 v42, v40, v41
	v_pk_add_f32 v[40:41], v[34:35], v[38:39]
	v_min3_f32 v42, v49, v42, v46
	v_min3_f32 v47, v40, v41, v47
	v_lshl_add_u64 v[40:41], v[74:75], 2, v[44:45]
	global_store_dword v[40:41], v42, off
	v_add_u32_e32 v42, 0xc0, v150
	v_mad_i64_i32 v[40:41], s[2:3], v42, s5, 0
	v_mad_i64_i32 v[42:43], s[2:3], v42, s4, 0
	v_lshl_add_u64 v[40:41], v[40:41], 2, s[0:1]
	s_mov_b64 s[2:3], -1
	v_max_f32_e32 v44, v47, v47
	s_cbranch_vccz .LBB72_144
; %bb.143:
	v_min_f32_e32 v45, 0, v44
	v_lshl_add_u64 v[46:47], v[68:69], 2, v[40:41]
	global_store_dword v[46:47], v45, off
	s_mov_b64 s[2:3], 0
.LBB72_144:
	v_lshl_add_u64 v[42:43], v[42:43], 2, s[10:11]
	s_andn2_b64 vcc, exec, s[2:3]
	v_mov_b32_e32 v45, 0
	s_cbranch_vccnz .LBB72_146
; %bb.145:
	v_lshl_add_u64 v[46:47], v[42:43], 0, v[72:73]
	global_load_dword v45, v[46:47], off
	v_lshl_add_u64 v[46:47], v[40:41], 0, v[72:73]
	s_waitcnt vmcnt(0)
	v_mul_f32_e32 v45, s17, v45
	v_min_f32_e32 v44, v45, v44
	global_store_dword v[46:47], v44, off
	v_lshl_add_u64 v[44:45], v[64:65], 2, v[42:43]
	global_load_dword v44, v[44:45], off
	s_waitcnt vmcnt(0)
	v_mul_f32_e32 v45, s17, v44
.LBB72_146:
	v_pk_add_f32 v[46:47], v[28:29], v[36:37]
	s_mov_b64 s[2:3], -1
	v_min3_f32 v44, v46, v47, v106
	v_pk_add_f32 v[46:47], v[24:25], v[36:37]
	s_mov_b64 vcc, s[8:9]
	v_min3_f32 v48, v46, v47, v105
	v_pk_add_f32 v[46:47], v[30:31], v[38:39]
	s_nop 0
	v_min_f32_e32 v49, v46, v47
	v_pk_add_f32 v[46:47], v[26:27], v[38:39]
	s_nop 0
	v_min3_f32 v46, v46, v47, v48
	v_min3_f32 v47, v45, v49, v44
	v_lshl_add_u64 v[44:45], v[64:65], 2, v[40:41]
	global_store_dword v[44:45], v47, off
	v_max_f32_e32 v44, v46, v46
	s_cbranch_vccz .LBB72_148
; %bb.147:
	v_min_f32_e32 v45, 0, v44
	v_lshl_add_u64 v[46:47], v[76:77], 2, v[40:41]
	global_store_dword v[46:47], v45, off
	s_mov_b64 s[2:3], 0
.LBB72_148:
	s_andn2_b64 vcc, exec, s[2:3]
	v_mov_b32_e32 v45, 0
	s_cbranch_vccnz .LBB72_150
; %bb.149:
	v_lshl_add_u64 v[46:47], v[42:43], 0, v[80:81]
	global_load_dword v45, v[46:47], off
	v_lshl_add_u64 v[46:47], v[40:41], 0, v[80:81]
	s_waitcnt vmcnt(0)
	v_mul_f32_e32 v45, s17, v45
	v_min_f32_e32 v44, v45, v44
	global_store_dword v[46:47], v44, off
	v_lshl_add_u64 v[44:45], v[66:67], 2, v[42:43]
	global_load_dword v44, v[44:45], off
	s_waitcnt vmcnt(0)
	v_mul_f32_e32 v45, s17, v44
.LBB72_150:
	v_pk_add_f32 v[46:47], v[20:21], v[36:37]
	s_mov_b64 s[2:3], -1
	v_min3_f32 v44, v46, v47, v104
	v_pk_add_f32 v[46:47], v[16:17], v[36:37]
	s_mov_b64 vcc, s[8:9]
	v_min3_f32 v48, v46, v47, v103
	v_pk_add_f32 v[46:47], v[22:23], v[38:39]
	s_nop 0
	v_min_f32_e32 v49, v46, v47
	v_pk_add_f32 v[46:47], v[18:19], v[38:39]
	s_nop 0
	v_min3_f32 v46, v46, v47, v48
	v_min3_f32 v47, v45, v49, v44
	v_lshl_add_u64 v[44:45], v[66:67], 2, v[40:41]
	global_store_dword v[44:45], v47, off
	v_max_f32_e32 v44, v46, v46
	s_cbranch_vccz .LBB72_152
; %bb.151:
	v_min_f32_e32 v45, 0, v44
	v_lshl_add_u64 v[46:47], v[78:79], 2, v[40:41]
	global_store_dword v[46:47], v45, off
	s_mov_b64 s[2:3], 0
.LBB72_152:
	;; [unrolled: 39-line block ×3, first 2 shown]
	s_andn2_b64 vcc, exec, s[2:3]
	v_mov_b32_e32 v45, 0
	s_cbranch_vccnz .LBB72_158
; %bb.157:
	v_lshl_add_u64 v[46:47], v[42:43], 0, v[86:87]
	global_load_dword v45, v[46:47], off
	v_lshl_add_u64 v[46:47], v[40:41], 0, v[86:87]
	v_lshl_add_u64 v[42:43], v[74:75], 2, v[42:43]
	s_waitcnt vmcnt(0)
	v_mul_f32_e32 v45, s17, v45
	v_min_f32_e32 v44, v45, v44
	global_store_dword v[46:47], v44, off
	global_load_dword v42, v[42:43], off
	s_waitcnt vmcnt(0)
	v_mul_f32_e32 v45, s17, v42
.LBB72_158:
	v_pk_add_f32 v[36:37], v[0:1], v[36:37]
	s_waitcnt lgkmcnt(0)
	v_pk_add_f32 v[32:33], v[32:33], v[4:5]
	v_min3_f32 v36, v36, v37, v99
	v_min3_f32 v37, v32, v33, v100
	v_pk_add_f32 v[32:33], v[2:3], v[38:39]
	s_mov_b64 vcc, s[8:9]
	v_min_f32_e32 v38, v32, v33
	v_pk_add_f32 v[32:33], v[34:35], v[6:7]
	v_min3_f32 v34, v45, v38, v36
	v_min3_f32 v37, v32, v33, v37
	v_lshl_add_u64 v[32:33], v[74:75], 2, v[40:41]
	global_store_dword v[32:33], v34, off
	v_add_u32_e32 v34, 0xe0, v150
	v_mad_i64_i32 v[32:33], s[2:3], v34, s5, 0
	v_lshl_add_u64 v[32:33], v[32:33], 2, s[0:1]
	v_mad_i64_i32 v[34:35], s[0:1], v34, s4, 0
	s_mov_b64 s[0:1], -1
	v_max_f32_e32 v36, v37, v37
	s_cbranch_vccz .LBB72_160
; %bb.159:
	v_min_f32_e32 v37, 0, v36
	v_lshl_add_u64 v[38:39], v[68:69], 2, v[32:33]
	global_store_dword v[38:39], v37, off
	s_mov_b64 s[0:1], 0
.LBB72_160:
	v_lshl_add_u64 v[34:35], v[34:35], 2, s[10:11]
	s_andn2_b64 vcc, exec, s[0:1]
	v_mov_b32_e32 v37, 0
	s_cbranch_vccnz .LBB72_162
; %bb.161:
	v_lshl_add_u64 v[38:39], v[34:35], 0, v[72:73]
	global_load_dword v37, v[38:39], off
	v_lshl_add_u64 v[38:39], v[32:33], 0, v[72:73]
	s_waitcnt vmcnt(0)
	v_mul_f32_e32 v37, s17, v37
	v_min_f32_e32 v36, v37, v36
	global_store_dword v[38:39], v36, off
	v_lshl_add_u64 v[36:37], v[64:65], 2, v[34:35]
	global_load_dword v36, v[36:37], off
	s_waitcnt vmcnt(0)
	v_mul_f32_e32 v37, s17, v36
.LBB72_162:
	v_pk_add_f32 v[28:29], v[28:29], v[4:5]
	v_pk_add_f32 v[24:25], v[24:25], v[4:5]
	v_min3_f32 v28, v28, v29, v98
	v_min3_f32 v29, v24, v25, v97
	v_pk_add_f32 v[24:25], v[30:31], v[6:7]
	s_mov_b64 s[0:1], -1
	v_min_f32_e32 v30, v24, v25
	v_pk_add_f32 v[24:25], v[26:27], v[6:7]
	v_min3_f32 v27, v37, v30, v28
	v_min3_f32 v26, v24, v25, v29
	v_lshl_add_u64 v[24:25], v[64:65], 2, v[32:33]
	global_store_dword v[24:25], v27, off
	v_max_f32_e32 v24, v26, v26
	s_mov_b64 vcc, s[8:9]
	s_cbranch_vccz .LBB72_164
; %bb.163:
	v_min_f32_e32 v25, 0, v24
	v_lshl_add_u64 v[26:27], v[76:77], 2, v[32:33]
	global_store_dword v[26:27], v25, off
	s_mov_b64 s[0:1], 0
.LBB72_164:
	s_andn2_b64 vcc, exec, s[0:1]
	v_mov_b32_e32 v25, 0
	s_cbranch_vccnz .LBB72_166
; %bb.165:
	v_lshl_add_u64 v[26:27], v[34:35], 0, v[80:81]
	global_load_dword v25, v[26:27], off
	v_lshl_add_u64 v[26:27], v[32:33], 0, v[80:81]
	s_waitcnt vmcnt(0)
	v_mul_f32_e32 v25, s17, v25
	v_min_f32_e32 v24, v25, v24
	global_store_dword v[26:27], v24, off
	v_lshl_add_u64 v[24:25], v[66:67], 2, v[34:35]
	global_load_dword v24, v[24:25], off
	s_waitcnt vmcnt(0)
	v_mul_f32_e32 v25, s17, v24
.LBB72_166:
	v_pk_add_f32 v[20:21], v[20:21], v[4:5]
	v_pk_add_f32 v[16:17], v[16:17], v[4:5]
	v_min3_f32 v20, v20, v21, v96
	v_min3_f32 v21, v16, v17, v95
	v_pk_add_f32 v[16:17], v[22:23], v[6:7]
	s_mov_b64 s[0:1], -1
	v_min_f32_e32 v22, v16, v17
	v_pk_add_f32 v[16:17], v[18:19], v[6:7]
	v_min3_f32 v19, v25, v22, v20
	v_min3_f32 v18, v16, v17, v21
	v_lshl_add_u64 v[16:17], v[66:67], 2, v[32:33]
	global_store_dword v[16:17], v19, off
	v_max_f32_e32 v16, v18, v18
	s_mov_b64 vcc, s[8:9]
	s_cbranch_vccz .LBB72_168
; %bb.167:
	v_min_f32_e32 v17, 0, v16
	v_lshl_add_u64 v[18:19], v[78:79], 2, v[32:33]
	global_store_dword v[18:19], v17, off
	s_mov_b64 s[0:1], 0
.LBB72_168:
	;; [unrolled: 37-line block ×3, first 2 shown]
	s_andn2_b64 vcc, exec, s[0:1]
	v_mov_b32_e32 v9, 0
	s_cbranch_vccnz .LBB72_174
; %bb.173:
	v_lshl_add_u64 v[10:11], v[34:35], 0, v[86:87]
	global_load_dword v9, v[10:11], off
	v_lshl_add_u64 v[10:11], v[32:33], 0, v[86:87]
	s_waitcnt vmcnt(0)
	v_mul_f32_e32 v9, s17, v9
	v_min_f32_e32 v8, v9, v8
	global_store_dword v[10:11], v8, off
	v_lshl_add_u64 v[8:9], v[74:75], 2, v[34:35]
	global_load_dword v8, v[8:9], off
	s_waitcnt vmcnt(0)
	v_mul_f32_e32 v9, s17, v8
.LBB72_174:
	v_pk_add_f32 v[2:3], v[2:3], v[6:7]
	v_pk_add_f32 v[0:1], v[0:1], v[4:5]
	v_min_f32_e32 v2, v2, v3
	v_min3_f32 v0, v0, v1, v92
	v_min3_f32 v2, v9, v2, v0
	v_lshl_add_u64 v[0:1], v[74:75], 2, v[32:33]
	global_store_dword v[0:1], v2, off
	s_endpgm
	.section	.rodata,"a",@progbits
	.p2align	6, 0x0
	.amdhsa_kernel _ZN12_GLOBAL__N_120geam_min_plus_kernelIf15HIP_vector_typeIfLj2EEfLi8ELi32ELi64ELi256ELi4ELi4ELi64ELi64ELi4ELc84ELc84ELb0ELb0ELb1EPKfS3_fEEviiiT16_PT17_ilS7_ilS5_S7_ilPT18_ili26rocblas_geam_ex_operation_
		.amdhsa_group_segment_fixed_size 10240
		.amdhsa_private_segment_fixed_size 0
		.amdhsa_kernarg_size 136
		.amdhsa_user_sgpr_count 2
		.amdhsa_user_sgpr_dispatch_ptr 0
		.amdhsa_user_sgpr_queue_ptr 0
		.amdhsa_user_sgpr_kernarg_segment_ptr 1
		.amdhsa_user_sgpr_dispatch_id 0
		.amdhsa_user_sgpr_kernarg_preload_length 0
		.amdhsa_user_sgpr_kernarg_preload_offset 0
		.amdhsa_user_sgpr_private_segment_size 0
		.amdhsa_uses_dynamic_stack 0
		.amdhsa_enable_private_segment 0
		.amdhsa_system_sgpr_workgroup_id_x 1
		.amdhsa_system_sgpr_workgroup_id_y 0
		.amdhsa_system_sgpr_workgroup_id_z 1
		.amdhsa_system_sgpr_workgroup_info 0
		.amdhsa_system_vgpr_workitem_id 1
		.amdhsa_next_free_vgpr 158
		.amdhsa_next_free_sgpr 28
		.amdhsa_accum_offset 160
		.amdhsa_reserve_vcc 1
		.amdhsa_float_round_mode_32 0
		.amdhsa_float_round_mode_16_64 0
		.amdhsa_float_denorm_mode_32 3
		.amdhsa_float_denorm_mode_16_64 3
		.amdhsa_dx10_clamp 1
		.amdhsa_ieee_mode 1
		.amdhsa_fp16_overflow 0
		.amdhsa_tg_split 0
		.amdhsa_exception_fp_ieee_invalid_op 0
		.amdhsa_exception_fp_denorm_src 0
		.amdhsa_exception_fp_ieee_div_zero 0
		.amdhsa_exception_fp_ieee_overflow 0
		.amdhsa_exception_fp_ieee_underflow 0
		.amdhsa_exception_fp_ieee_inexact 0
		.amdhsa_exception_int_div_zero 0
	.end_amdhsa_kernel
	.section	.text._ZN12_GLOBAL__N_120geam_min_plus_kernelIf15HIP_vector_typeIfLj2EEfLi8ELi32ELi64ELi256ELi4ELi4ELi64ELi64ELi4ELc84ELc84ELb0ELb0ELb1EPKfS3_fEEviiiT16_PT17_ilS7_ilS5_S7_ilPT18_ili26rocblas_geam_ex_operation_,"axG",@progbits,_ZN12_GLOBAL__N_120geam_min_plus_kernelIf15HIP_vector_typeIfLj2EEfLi8ELi32ELi64ELi256ELi4ELi4ELi64ELi64ELi4ELc84ELc84ELb0ELb0ELb1EPKfS3_fEEviiiT16_PT17_ilS7_ilS5_S7_ilPT18_ili26rocblas_geam_ex_operation_,comdat
.Lfunc_end72:
	.size	_ZN12_GLOBAL__N_120geam_min_plus_kernelIf15HIP_vector_typeIfLj2EEfLi8ELi32ELi64ELi256ELi4ELi4ELi64ELi64ELi4ELc84ELc84ELb0ELb0ELb1EPKfS3_fEEviiiT16_PT17_ilS7_ilS5_S7_ilPT18_ili26rocblas_geam_ex_operation_, .Lfunc_end72-_ZN12_GLOBAL__N_120geam_min_plus_kernelIf15HIP_vector_typeIfLj2EEfLi8ELi32ELi64ELi256ELi4ELi4ELi64ELi64ELi4ELc84ELc84ELb0ELb0ELb1EPKfS3_fEEviiiT16_PT17_ilS7_ilS5_S7_ilPT18_ili26rocblas_geam_ex_operation_
                                        ; -- End function
	.set _ZN12_GLOBAL__N_120geam_min_plus_kernelIf15HIP_vector_typeIfLj2EEfLi8ELi32ELi64ELi256ELi4ELi4ELi64ELi64ELi4ELc84ELc84ELb0ELb0ELb1EPKfS3_fEEviiiT16_PT17_ilS7_ilS5_S7_ilPT18_ili26rocblas_geam_ex_operation_.num_vgpr, 158
	.set _ZN12_GLOBAL__N_120geam_min_plus_kernelIf15HIP_vector_typeIfLj2EEfLi8ELi32ELi64ELi256ELi4ELi4ELi64ELi64ELi4ELc84ELc84ELb0ELb0ELb1EPKfS3_fEEviiiT16_PT17_ilS7_ilS5_S7_ilPT18_ili26rocblas_geam_ex_operation_.num_agpr, 0
	.set _ZN12_GLOBAL__N_120geam_min_plus_kernelIf15HIP_vector_typeIfLj2EEfLi8ELi32ELi64ELi256ELi4ELi4ELi64ELi64ELi4ELc84ELc84ELb0ELb0ELb1EPKfS3_fEEviiiT16_PT17_ilS7_ilS5_S7_ilPT18_ili26rocblas_geam_ex_operation_.numbered_sgpr, 28
	.set _ZN12_GLOBAL__N_120geam_min_plus_kernelIf15HIP_vector_typeIfLj2EEfLi8ELi32ELi64ELi256ELi4ELi4ELi64ELi64ELi4ELc84ELc84ELb0ELb0ELb1EPKfS3_fEEviiiT16_PT17_ilS7_ilS5_S7_ilPT18_ili26rocblas_geam_ex_operation_.num_named_barrier, 0
	.set _ZN12_GLOBAL__N_120geam_min_plus_kernelIf15HIP_vector_typeIfLj2EEfLi8ELi32ELi64ELi256ELi4ELi4ELi64ELi64ELi4ELc84ELc84ELb0ELb0ELb1EPKfS3_fEEviiiT16_PT17_ilS7_ilS5_S7_ilPT18_ili26rocblas_geam_ex_operation_.private_seg_size, 0
	.set _ZN12_GLOBAL__N_120geam_min_plus_kernelIf15HIP_vector_typeIfLj2EEfLi8ELi32ELi64ELi256ELi4ELi4ELi64ELi64ELi4ELc84ELc84ELb0ELb0ELb1EPKfS3_fEEviiiT16_PT17_ilS7_ilS5_S7_ilPT18_ili26rocblas_geam_ex_operation_.uses_vcc, 1
	.set _ZN12_GLOBAL__N_120geam_min_plus_kernelIf15HIP_vector_typeIfLj2EEfLi8ELi32ELi64ELi256ELi4ELi4ELi64ELi64ELi4ELc84ELc84ELb0ELb0ELb1EPKfS3_fEEviiiT16_PT17_ilS7_ilS5_S7_ilPT18_ili26rocblas_geam_ex_operation_.uses_flat_scratch, 0
	.set _ZN12_GLOBAL__N_120geam_min_plus_kernelIf15HIP_vector_typeIfLj2EEfLi8ELi32ELi64ELi256ELi4ELi4ELi64ELi64ELi4ELc84ELc84ELb0ELb0ELb1EPKfS3_fEEviiiT16_PT17_ilS7_ilS5_S7_ilPT18_ili26rocblas_geam_ex_operation_.has_dyn_sized_stack, 0
	.set _ZN12_GLOBAL__N_120geam_min_plus_kernelIf15HIP_vector_typeIfLj2EEfLi8ELi32ELi64ELi256ELi4ELi4ELi64ELi64ELi4ELc84ELc84ELb0ELb0ELb1EPKfS3_fEEviiiT16_PT17_ilS7_ilS5_S7_ilPT18_ili26rocblas_geam_ex_operation_.has_recursion, 0
	.set _ZN12_GLOBAL__N_120geam_min_plus_kernelIf15HIP_vector_typeIfLj2EEfLi8ELi32ELi64ELi256ELi4ELi4ELi64ELi64ELi4ELc84ELc84ELb0ELb0ELb1EPKfS3_fEEviiiT16_PT17_ilS7_ilS5_S7_ilPT18_ili26rocblas_geam_ex_operation_.has_indirect_call, 0
	.section	.AMDGPU.csdata,"",@progbits
; Kernel info:
; codeLenInByte = 16676
; TotalNumSgprs: 34
; NumVgprs: 158
; NumAgprs: 0
; TotalNumVgprs: 158
; ScratchSize: 0
; MemoryBound: 0
; FloatMode: 240
; IeeeMode: 1
; LDSByteSize: 10240 bytes/workgroup (compile time only)
; SGPRBlocks: 4
; VGPRBlocks: 19
; NumSGPRsForWavesPerEU: 34
; NumVGPRsForWavesPerEU: 158
; AccumOffset: 160
; Occupancy: 3
; WaveLimiterHint : 1
; COMPUTE_PGM_RSRC2:SCRATCH_EN: 0
; COMPUTE_PGM_RSRC2:USER_SGPR: 2
; COMPUTE_PGM_RSRC2:TRAP_HANDLER: 0
; COMPUTE_PGM_RSRC2:TGID_X_EN: 1
; COMPUTE_PGM_RSRC2:TGID_Y_EN: 0
; COMPUTE_PGM_RSRC2:TGID_Z_EN: 1
; COMPUTE_PGM_RSRC2:TIDIG_COMP_CNT: 1
; COMPUTE_PGM_RSRC3_GFX90A:ACCUM_OFFSET: 39
; COMPUTE_PGM_RSRC3_GFX90A:TG_SPLIT: 0
	.section	.text._ZN12_GLOBAL__N_120geam_min_plus_kernelIf15HIP_vector_typeIfLj2EEfLi8ELi32ELi64ELi256ELi4ELi4ELi64ELi64ELi4ELc84ELc84ELb1ELb0ELb1EfKffEEviiiT16_PT17_ilS6_ilS4_S6_ilPT18_ili26rocblas_geam_ex_operation_,"axG",@progbits,_ZN12_GLOBAL__N_120geam_min_plus_kernelIf15HIP_vector_typeIfLj2EEfLi8ELi32ELi64ELi256ELi4ELi4ELi64ELi64ELi4ELc84ELc84ELb1ELb0ELb1EfKffEEviiiT16_PT17_ilS6_ilS4_S6_ilPT18_ili26rocblas_geam_ex_operation_,comdat
	.globl	_ZN12_GLOBAL__N_120geam_min_plus_kernelIf15HIP_vector_typeIfLj2EEfLi8ELi32ELi64ELi256ELi4ELi4ELi64ELi64ELi4ELc84ELc84ELb1ELb0ELb1EfKffEEviiiT16_PT17_ilS6_ilS4_S6_ilPT18_ili26rocblas_geam_ex_operation_ ; -- Begin function _ZN12_GLOBAL__N_120geam_min_plus_kernelIf15HIP_vector_typeIfLj2EEfLi8ELi32ELi64ELi256ELi4ELi4ELi64ELi64ELi4ELc84ELc84ELb1ELb0ELb1EfKffEEviiiT16_PT17_ilS6_ilS4_S6_ilPT18_ili26rocblas_geam_ex_operation_
	.p2align	8
	.type	_ZN12_GLOBAL__N_120geam_min_plus_kernelIf15HIP_vector_typeIfLj2EEfLi8ELi32ELi64ELi256ELi4ELi4ELi64ELi64ELi4ELc84ELc84ELb1ELb0ELb1EfKffEEviiiT16_PT17_ilS6_ilS4_S6_ilPT18_ili26rocblas_geam_ex_operation_,@function
_ZN12_GLOBAL__N_120geam_min_plus_kernelIf15HIP_vector_typeIfLj2EEfLi8ELi32ELi64ELi256ELi4ELi4ELi64ELi64ELi4ELc84ELc84ELb1ELb0ELb1EfKffEEviiiT16_PT17_ilS6_ilS4_S6_ilPT18_ili26rocblas_geam_ex_operation_: ; @_ZN12_GLOBAL__N_120geam_min_plus_kernelIf15HIP_vector_typeIfLj2EEfLi8ELi32ELi64ELi256ELi4ELi4ELi64ELi64ELi4ELc84ELc84ELb1ELb0ELb1EfKffEEviiiT16_PT17_ilS6_ilS4_S6_ilPT18_ili26rocblas_geam_ex_operation_
; %bb.0:
	s_load_dwordx2 s[14:15], s[0:1], 0x8
	s_load_dwordx4 s[4:7], s[0:1], 0x20
	s_waitcnt lgkmcnt(0)
	v_cmp_eq_f32_e64 s[8:9], s15, 0
	s_and_b64 vcc, exec, s[8:9]
	s_cbranch_vccnz .LBB73_139
; %bb.1:
	s_load_dwordx2 s[10:11], s[0:1], 0x10
	s_mul_i32 s5, s5, s3
	s_mul_hi_u32 s12, s4, s3
	s_add_i32 s5, s12, s5
	s_mul_i32 s4, s4, s3
	s_lshl_b64 s[4:5], s[4:5], 2
	s_waitcnt lgkmcnt(0)
	s_add_u32 s16, s10, s4
	s_addc_u32 s17, s11, s5
	s_andn2_b64 vcc, exec, s[8:9]
	s_mov_b64 s[4:5], -1
	s_cbranch_vccnz .LBB73_3
.LBB73_2:
	s_mov_b64 s[4:5], 0
.LBB73_3:
	s_mov_b64 s[12:13], 0
	s_andn2_b64 vcc, exec, s[4:5]
	s_mov_b64 s[18:19], 0
	s_cbranch_vccnz .LBB73_5
; %bb.4:
	s_load_dwordx2 s[4:5], s[0:1], 0x38
	s_waitcnt lgkmcnt(0)
	s_mul_i32 s5, s5, s3
	s_mul_hi_u32 s8, s4, s3
	s_add_i32 s5, s8, s5
	s_mul_i32 s4, s4, s3
	s_lshl_b64 s[4:5], s[4:5], 2
	s_add_u32 s18, s6, s4
	s_addc_u32 s19, s7, s5
.LBB73_5:
	s_load_dword s15, s[0:1], 0x40
	s_load_dwordx4 s[8:11], s[0:1], 0x58
	s_waitcnt lgkmcnt(0)
	v_cmp_eq_f32_e64 s[4:5], s15, 0
	s_and_b64 s[4:5], exec, s[4:5]
	s_mov_b64 vcc, s[4:5]
	s_cbranch_vccnz .LBB73_7
; %bb.6:
	s_load_dwordx2 s[6:7], s[0:1], 0x48
	s_mul_i32 s9, s9, s3
	s_mul_hi_u32 s12, s8, s3
	s_add_i32 s9, s12, s9
	s_mul_i32 s8, s8, s3
	s_lshl_b64 s[8:9], s[8:9], 2
	s_waitcnt lgkmcnt(0)
	s_add_u32 s12, s6, s8
	s_addc_u32 s13, s7, s9
.LBB73_7:
	s_load_dword s6, s[0:1], 0x0
	s_load_dword s7, s[0:1], 0x18
	;; [unrolled: 1-line block ×3, first 2 shown]
	v_and_b32_e32 v72, 0x3ff, v0
	v_bfe_u32 v73, v0, 10, 10
	s_waitcnt lgkmcnt(0)
	s_add_i32 s6, s6, -1
	s_ashr_i32 s9, s6, 31
	s_lshr_b32 s9, s9, 26
	s_add_i32 s6, s6, s9
	s_ashr_i32 s6, s6, 6
	s_add_i32 s9, s6, 1
	v_cvt_f32_u32_e32 v1, s9
	s_not_b32 s6, s6
	v_lshl_add_u32 v2, v73, 3, v72
	v_lshrrev_b32_e32 v6, 2, v2
	v_rcp_iflag_f32_e32 v1, v1
	v_lshlrev_b32_e32 v0, 2, v0
	v_and_b32_e32 v7, 63, v2
	v_lshrrev_b32_e32 v60, 6, v2
	v_mul_f32_e32 v1, 0x4f7ffffe, v1
	v_cvt_u32_f32_e32 v1, v1
	v_and_b32_e32 v58, 12, v0
	v_mov_b32_e32 v59, 0
	v_lshlrev_b32_e32 v75, 4, v72
	v_readfirstlane_b32 s20, v1
	s_mul_i32 s6, s6, s20
	s_mul_hi_u32 s6, s20, s6
	s_add_i32 s20, s20, s6
	s_mul_hi_u32 s6, s2, s20
	s_mul_i32 s20, s6, s9
	s_sub_i32 s20, s2, s20
	s_add_i32 s21, s6, 1
	s_sub_i32 s22, s20, s9
	s_cmp_ge_u32 s20, s9
	s_cselect_b32 s6, s21, s6
	s_cselect_b32 s20, s22, s20
	s_add_i32 s21, s6, 1
	s_cmp_ge_u32 s20, s9
	s_cselect_b32 s6, s21, s6
	s_mul_i32 s9, s6, s9
	s_sub_i32 s2, s2, s9
	s_lshl_b32 s2, s2, 6
	v_add_u32_e32 v1, s2, v6
	s_lshl_b32 s20, s6, 8
	v_mad_i64_i32 v[56:57], s[6:7], v1, s7, 0
	v_lshl_add_u64 v[2:3], v[56:57], 2, s[16:17]
	v_lshl_add_u64 v[0:1], v[2:3], 0, v[58:59]
	v_or_b32_e32 v2, s20, v7
	v_mad_i64_i32 v[4:5], s[6:7], s8, v60, 0
	v_ashrrev_i32_e32 v3, 31, v2
	v_lshl_add_u64 v[4:5], v[4:5], 2, s[18:19]
	v_lshlrev_b64 v[64:65], 2, v[2:3]
	v_lshl_add_u64 v[2:3], v[4:5], 0, v[64:65]
	global_load_dword v4, v[2:3], off
	global_load_dword v5, v[2:3], off offset:256
	global_load_dword v8, v[2:3], off offset:512
	;; [unrolled: 1-line block ×3, first 2 shown]
	global_load_dword v10, v[0:1], off
	v_add_u32_e32 v2, 4, v60
	v_lshlrev_b32_e32 v3, 4, v7
	v_lshl_add_u32 v76, v60, 2, v3
	v_mad_i64_i32 v[2:3], s[22:23], s8, v2, 0
	v_lshl_add_u64 v[2:3], v[2:3], 2, s[18:19]
	v_lshl_add_u64 v[2:3], v[2:3], 0, v[64:65]
	v_lshlrev_b32_e32 v74, 4, v73
	v_lshl_or_b32 v58, v6, 4, v58
	global_load_dword v61, v[2:3], off
	global_load_dword v62, v[2:3], off offset:256
	global_load_dword v63, v[2:3], off offset:512
	;; [unrolled: 1-line block ×4, first 2 shown]
	s_mov_b32 s6, 0x7f7fffff
	s_cmp_lt_i32 s14, 9
	s_waitcnt vmcnt(8)
	ds_write2st64_b32 v76, v4, v5 offset1:4
	s_waitcnt vmcnt(6)
	ds_write2st64_b32 v76, v8, v9 offset0:8 offset1:12
	s_waitcnt vmcnt(5)
	ds_write_b32 v58, v10 offset:8192
	s_waitcnt lgkmcnt(0)
	s_barrier
	ds_read_b128 v[28:31], v75 offset:8192
	ds_read_b128 v[24:27], v75 offset:8320
	;; [unrolled: 1-line block ×8, first 2 shown]
	ds_read_b128 v[52:55], v74
	ds_read_b128 v[48:51], v74 offset:512
	ds_read_b128 v[44:47], v74 offset:1024
	;; [unrolled: 1-line block ×5, first 2 shown]
	s_waitcnt lgkmcnt(5)
	v_pk_add_f32 v[68:69], v[28:29], v[52:53]
	v_pk_add_f32 v[70:71], v[24:25], v[52:53]
	;; [unrolled: 1-line block ×3, first 2 shown]
	s_waitcnt lgkmcnt(4)
	v_pk_add_f32 v[88:89], v[28:29], v[48:49]
	v_pk_add_f32 v[90:91], v[24:25], v[48:49]
	v_pk_add_f32 v[92:93], v[20:21], v[48:49]
	v_pk_add_f32 v[94:95], v[16:17], v[48:49]
	v_pk_add_f32 v[96:97], v[12:13], v[48:49]
	v_pk_add_f32 v[98:99], v[8:9], v[48:49]
	v_pk_add_f32 v[100:101], v[4:5], v[48:49]
	v_pk_add_f32 v[48:49], v[0:1], v[48:49]
	v_pk_add_f32 v[82:83], v[12:13], v[52:53]
	v_min3_f32 v68, v68, v69, s6
	v_min3_f32 v69, v70, v71, s6
	;; [unrolled: 1-line block ×5, first 2 shown]
	s_waitcnt lgkmcnt(3)
	v_pk_add_f32 v[48:49], v[20:21], v[44:45]
	v_pk_add_f32 v[78:79], v[20:21], v[52:53]
	;; [unrolled: 1-line block ×5, first 2 shown]
	v_min3_f32 v77, v82, v83, s6
	v_min3_f32 v82, v94, v95, s6
	v_min3_f32 v95, v48, v49, s6
	v_pk_add_f32 v[48:49], v[16:17], v[44:45]
	v_min3_f32 v52, v52, v53, s6
	v_min3_f32 v53, v88, v89, s6
	;; [unrolled: 1-line block ×4, first 2 shown]
	v_pk_add_f32 v[48:49], v[12:13], v[44:45]
	v_pk_add_f32 v[102:103], v[28:29], v[44:45]
	v_min3_f32 v97, v48, v49, s6
	v_pk_add_f32 v[48:49], v[8:9], v[44:45]
	v_pk_add_f32 v[104:105], v[24:25], v[44:45]
	v_min3_f32 v80, v90, v91, s6
	v_min3_f32 v90, v98, v99, s6
	;; [unrolled: 1-line block ×3, first 2 shown]
	v_pk_add_f32 v[48:49], v[4:5], v[44:45]
	v_pk_add_f32 v[44:45], v[0:1], v[44:45]
	v_min3_f32 v91, v100, v101, s6
	v_min3_f32 v99, v44, v45, s6
	s_waitcnt lgkmcnt(2)
	v_pk_add_f32 v[44:45], v[28:29], v[40:41]
	v_min3_f32 v93, v102, v103, s6
	v_min3_f32 v100, v44, v45, s6
	v_pk_add_f32 v[44:45], v[24:25], v[40:41]
	v_min3_f32 v94, v104, v105, s6
	v_min3_f32 v101, v44, v45, s6
	;; [unrolled: 3-line block ×6, first 2 shown]
	v_pk_add_f32 v[44:45], v[4:5], v[40:41]
	v_pk_add_f32 v[40:41], v[0:1], v[40:41]
	v_min3_f32 v106, v44, v45, s6
	v_min3_f32 v107, v40, v41, s6
	s_waitcnt lgkmcnt(1)
	v_pk_add_f32 v[40:41], v[28:29], v[36:37]
	s_nop 0
	v_min3_f32 v108, v40, v41, s6
	v_pk_add_f32 v[40:41], v[24:25], v[36:37]
	s_nop 0
	v_min3_f32 v109, v40, v41, s6
	;; [unrolled: 3-line block ×6, first 2 shown]
	v_pk_add_f32 v[40:41], v[4:5], v[36:37]
	v_pk_add_f32 v[36:37], v[0:1], v[36:37]
	v_min3_f32 v114, v40, v41, s6
	v_min3_f32 v115, v36, v37, s6
	s_waitcnt lgkmcnt(0)
	v_pk_add_f32 v[36:37], v[28:29], v[32:33]
	v_pk_add_f32 v[40:41], v[16:17], v[32:33]
	v_min3_f32 v116, v36, v37, s6
	v_pk_add_f32 v[36:37], v[30:31], v[54:55]
	s_nop 0
	v_min3_f32 v88, v36, v37, v68
	v_pk_add_f32 v[36:37], v[26:27], v[54:55]
	s_nop 0
	v_min3_f32 v87, v36, v37, v69
	v_pk_add_f32 v[36:37], v[22:23], v[54:55]
	s_nop 0
	v_min3_f32 v149, v36, v37, v70
	v_pk_add_f32 v[36:37], v[18:19], v[54:55]
	s_nop 0
	v_min3_f32 v83, v36, v37, v71
	v_pk_add_f32 v[36:37], v[14:15], v[54:55]
	s_nop 0
	v_min3_f32 v86, v36, v37, v77
	v_pk_add_f32 v[36:37], v[10:11], v[54:55]
	s_nop 0
	v_min3_f32 v85, v36, v37, v78
	v_pk_add_f32 v[36:37], v[6:7], v[54:55]
	s_nop 0
	v_min3_f32 v84, v36, v37, v79
	v_pk_add_f32 v[36:37], v[24:25], v[32:33]
	s_nop 0
	v_min3_f32 v68, v36, v37, s6
	v_pk_add_f32 v[36:37], v[20:21], v[32:33]
	s_nop 0
	v_min3_f32 v69, v36, v37, s6
	v_pk_add_f32 v[36:37], v[2:3], v[54:55]
	v_min3_f32 v54, v40, v41, s6
	v_min3_f32 v147, v36, v37, v52
	v_pk_add_f32 v[36:37], v[30:31], v[50:51]
	v_pk_add_f32 v[40:41], v[12:13], v[32:33]
	v_min3_f32 v148, v36, v37, v53
	v_pk_add_f32 v[36:37], v[26:27], v[50:51]
	v_min3_f32 v40, v40, v41, s6
	v_min3_f32 v145, v36, v37, v80
	v_pk_add_f32 v[36:37], v[22:23], v[50:51]
	s_nop 0
	v_min3_f32 v146, v36, v37, v81
	v_pk_add_f32 v[36:37], v[18:19], v[50:51]
	s_nop 0
	;; [unrolled: 3-line block ×6, first 2 shown]
	v_min3_f32 v41, v36, v37, s6
	v_pk_add_f32 v[36:37], v[4:5], v[32:33]
	v_pk_add_f32 v[32:33], v[0:1], v[32:33]
	v_min3_f32 v52, v36, v37, s6
	v_pk_add_f32 v[36:37], v[2:3], v[50:51]
	v_min3_f32 v53, v32, v33, s6
	v_min3_f32 v138, v36, v37, v92
	v_pk_add_f32 v[36:37], v[30:31], v[46:47]
	s_nop 0
	v_min3_f32 v141, v36, v37, v93
	v_pk_add_f32 v[36:37], v[26:27], v[46:47]
	s_nop 0
	;; [unrolled: 3-line block ×7, first 2 shown]
	v_min3_f32 v128, v36, v37, v48
	ds_read_b128 v[48:51], v74 offset:3072
	v_pk_add_f32 v[36:37], v[2:3], v[46:47]
	ds_read_b128 v[44:47], v74 offset:3584
	v_min3_f32 v135, v36, v37, v99
	s_waitcnt vmcnt(0)
	ds_write_b32 v58, v67 offset:9216
	ds_write2st64_b32 v76, v61, v62 offset0:16 offset1:20
	ds_write2st64_b32 v76, v63, v66 offset0:24 offset1:28
	s_waitcnt lgkmcnt(4)
	v_pk_add_f32 v[32:33], v[28:29], v[48:49]
	v_pk_add_f32 v[36:37], v[16:17], v[48:49]
	v_min3_f32 v55, v32, v33, s6
	v_pk_add_f32 v[32:33], v[30:31], v[42:43]
	s_waitcnt lgkmcnt(3)
	v_pk_add_f32 v[28:29], v[28:29], v[44:45]
	v_min3_f32 v139, v32, v33, v100
	v_pk_add_f32 v[32:33], v[26:27], v[42:43]
	v_pk_add_f32 v[16:17], v[16:17], v[44:45]
	v_min3_f32 v133, v32, v33, v101
	v_pk_add_f32 v[32:33], v[22:23], v[42:43]
	v_min3_f32 v16, v16, v17, s6
	v_min3_f32 v134, v32, v33, v102
	v_pk_add_f32 v[32:33], v[18:19], v[42:43]
	s_waitcnt lgkmcnt(0)
	v_min3_f32 v129, v32, v33, v103
	v_pk_add_f32 v[32:33], v[14:15], v[42:43]
	s_barrier
	v_min3_f32 v130, v32, v33, v104
	v_pk_add_f32 v[32:33], v[10:11], v[42:43]
	s_nop 0
	v_min3_f32 v125, v32, v33, v105
	v_pk_add_f32 v[32:33], v[6:7], v[42:43]
	s_nop 0
	v_min3_f32 v126, v32, v33, v106
	v_pk_add_f32 v[32:33], v[24:25], v[48:49]
	v_pk_add_f32 v[24:25], v[24:25], v[44:45]
	v_min3_f32 v70, v32, v33, s6
	v_pk_add_f32 v[32:33], v[20:21], v[48:49]
	v_min3_f32 v24, v24, v25, s6
	v_min3_f32 v71, v32, v33, s6
	v_pk_add_f32 v[32:33], v[2:3], v[42:43]
	v_min3_f32 v42, v36, v37, s6
	v_min3_f32 v123, v32, v33, v107
	v_pk_add_f32 v[32:33], v[30:31], v[38:39]
	v_pk_add_f32 v[36:37], v[12:13], v[48:49]
	v_min3_f32 v124, v32, v33, v108
	v_pk_add_f32 v[32:33], v[26:27], v[38:39]
	v_min3_f32 v36, v36, v37, s6
	v_min3_f32 v121, v32, v33, v109
	v_pk_add_f32 v[32:33], v[22:23], v[38:39]
	v_pk_add_f32 v[12:13], v[12:13], v[44:45]
	v_min3_f32 v122, v32, v33, v110
	v_pk_add_f32 v[32:33], v[18:19], v[38:39]
	v_pk_add_f32 v[20:21], v[20:21], v[44:45]
	v_min3_f32 v119, v32, v33, v111
	v_pk_add_f32 v[32:33], v[14:15], v[38:39]
	v_min3_f32 v12, v12, v13, s6
	v_min3_f32 v120, v32, v33, v112
	v_pk_add_f32 v[32:33], v[10:11], v[38:39]
	v_min3_f32 v25, v20, v21, s6
	v_min3_f32 v117, v32, v33, v113
	v_pk_add_f32 v[32:33], v[6:7], v[38:39]
	v_pk_add_f32 v[20:21], v[2:3], v[50:51]
	v_min3_f32 v118, v32, v33, v114
	v_pk_add_f32 v[32:33], v[8:9], v[48:49]
	v_pk_add_f32 v[8:9], v[8:9], v[44:45]
	v_min3_f32 v37, v32, v33, s6
	v_pk_add_f32 v[32:33], v[4:5], v[48:49]
	v_min3_f32 v8, v8, v9, s6
	v_min3_f32 v43, v32, v33, s6
	v_pk_add_f32 v[32:33], v[2:3], v[38:39]
	v_pk_add_f32 v[4:5], v[4:5], v[44:45]
	v_min3_f32 v115, v32, v33, v115
	v_pk_add_f32 v[32:33], v[30:31], v[34:35]
	v_min3_f32 v9, v4, v5, s6
	v_min3_f32 v116, v32, v33, v116
	v_pk_add_f32 v[32:33], v[26:27], v[34:35]
	v_pk_add_f32 v[4:5], v[30:31], v[46:47]
	v_min3_f32 v113, v32, v33, v68
	v_pk_add_f32 v[32:33], v[22:23], v[34:35]
	s_nop 0
	v_min3_f32 v114, v32, v33, v69
	v_pk_add_f32 v[32:33], v[18:19], v[34:35]
	s_nop 0
	v_min3_f32 v111, v32, v33, v54
	v_pk_add_f32 v[32:33], v[14:15], v[34:35]
	s_nop 0
	v_min3_f32 v112, v32, v33, v40
	v_pk_add_f32 v[32:33], v[10:11], v[34:35]
	s_nop 0
	v_min3_f32 v108, v32, v33, v41
	v_pk_add_f32 v[32:33], v[6:7], v[34:35]
	s_nop 0
	v_min3_f32 v109, v32, v33, v52
	v_pk_add_f32 v[32:33], v[2:3], v[34:35]
	v_pk_add_f32 v[34:35], v[0:1], v[48:49]
	;; [unrolled: 1-line block ×3, first 2 shown]
	v_min3_f32 v34, v34, v35, s6
	v_min3_f32 v35, v28, v29, s6
	v_pk_add_f32 v[28:29], v[30:31], v[50:51]
	v_min3_f32 v13, v0, v1, s6
	v_pk_add_f32 v[0:1], v[26:27], v[46:47]
	;; [unrolled: 2-line block ×14, first 2 shown]
	v_min3_f32 v107, v32, v33, v53
	v_min3_f32 v102, v28, v29, v43
	;; [unrolled: 1-line block ×5, first 2 shown]
	s_cbranch_scc1 .LBB73_10
; %bb.8:
	v_mov_b32_e32 v0, 0x2400
	v_lshl_add_u32 v81, v72, 4, v0
	v_mov_b32_e32 v0, 0x1000
	v_lshl_add_u32 v82, v73, 4, v0
	v_and_b32_e32 v0, 3, v72
	v_add_u32_e32 v77, 0x2000, v58
	v_add_u32_e32 v79, 0x2400, v58
	v_lshlrev_b32_e32 v58, 2, v0
	v_lshl_add_u64 v[0:1], v[56:57], 2, v[58:59]
	v_lshl_add_u64 v[0:1], s[16:17], 0, v[0:1]
	;; [unrolled: 1-line block ×3, first 2 shown]
	v_add_u32_e32 v0, 12, v60
	v_mad_i64_i32 v[0:1], s[6:7], v0, s8, 0
	s_ashr_i32 s9, s8, 31
	v_lshl_add_u64 v[68:69], v[0:1], 2, s[18:19]
	v_add_u32_e32 v0, 8, v60
	s_lshl_b64 s[6:7], s[8:9], 5
	v_mad_i64_i32 v[0:1], s[8:9], v0, s8, 0
	v_add_u32_e32 v78, 0x2000, v75
	v_or_b32_e32 v80, 0x1000, v76
	s_add_i32 s14, s14, -8
	v_lshl_add_u64 v[70:71], v[0:1], 2, s[18:19]
	s_mov_b32 s8, 0
.LBB73_9:                               ; =>This Inner Loop Header: Depth=1
	v_lshl_add_u64 v[0:1], v[70:71], 0, v[64:65]
	global_load_dword v151, v[66:67], off
	global_load_dword v90, v[0:1], off
	global_load_dword v150, v[0:1], off offset:256
	global_load_dword v89, v[0:1], off offset:512
	global_load_dword v91, v[0:1], off offset:768
	ds_read_b128 v[32:35], v81
	ds_read_b128 v[24:27], v81 offset:128
	ds_read_b128 v[20:23], v81 offset:256
	;; [unrolled: 1-line block ×7, first 2 shown]
	ds_read_b128 v[60:63], v82
	ds_read_b128 v[56:59], v82 offset:512
	ds_read_b128 v[52:55], v82 offset:1024
	;; [unrolled: 1-line block ×7, first 2 shown]
	s_waitcnt lgkmcnt(7)
	v_pk_add_f32 v[152:153], v[32:33], v[60:61]
	s_add_i32 s8, s8, 8
	v_min3_f32 v88, v152, v153, v88
	v_pk_add_f32 v[152:153], v[24:25], v[60:61]
	v_lshl_add_u64 v[70:71], v[70:71], 0, s[6:7]
	v_min3_f32 v154, v152, v153, v87
	v_pk_add_f32 v[152:153], v[20:21], v[60:61]
	s_cmp_ge_i32 s8, s14
	v_min3_f32 v149, v152, v153, v149
	v_pk_add_f32 v[152:153], v[16:17], v[60:61]
	s_waitcnt vmcnt(4)
	ds_write_b32 v77, v151
	s_waitcnt vmcnt(2)
	ds_write2st64_b32 v76, v90, v150 offset1:4
	s_waitcnt vmcnt(0)
	ds_write2st64_b32 v76, v89, v91 offset0:8 offset1:12
	v_min3_f32 v155, v152, v153, v83
	v_pk_add_f32 v[152:153], v[12:13], v[60:61]
	s_waitcnt lgkmcnt(0)
	v_min3_f32 v152, v152, v153, v86
	v_pk_add_f32 v[86:87], v[8:9], v[60:61]
	s_barrier
	v_min3_f32 v153, v86, v87, v85
	v_pk_add_f32 v[86:87], v[4:5], v[60:61]
	v_pk_add_f32 v[60:61], v[0:1], v[60:61]
	v_min3_f32 v156, v86, v87, v84
	v_min3_f32 v147, v60, v61, v147
	v_pk_add_f32 v[60:61], v[32:33], v[56:57]
	s_nop 0
	v_min3_f32 v148, v60, v61, v148
	v_pk_add_f32 v[60:61], v[24:25], v[56:57]
	global_load_dword v89, v[66:67], off offset:16
	v_min3_f32 v157, v60, v61, v145
	v_pk_add_f32 v[60:61], v[20:21], v[56:57]
	v_lshl_add_u64 v[66:67], v[66:67], 0, 32
	v_min3_f32 v158, v60, v61, v146
	v_pk_add_f32 v[60:61], v[16:17], v[56:57]
	s_nop 0
	v_min3_f32 v159, v60, v61, v143
	v_pk_add_f32 v[60:61], v[12:13], v[56:57]
	s_nop 0
	v_min3_f32 v160, v60, v61, v144
	v_pk_add_f32 v[60:61], v[8:9], v[56:57]
	s_nop 0
	v_min3_f32 v161, v60, v61, v140
	v_pk_add_f32 v[60:61], v[4:5], v[56:57]
	v_pk_add_f32 v[56:57], v[0:1], v[56:57]
	v_min3_f32 v146, v60, v61, v142
	v_min3_f32 v145, v56, v57, v138
	v_pk_add_f32 v[56:57], v[32:33], v[52:53]
	s_nop 0
	v_min3_f32 v144, v56, v57, v141
	v_pk_add_f32 v[56:57], v[24:25], v[52:53]
	s_nop 0
	v_min3_f32 v143, v56, v57, v136
	v_pk_add_f32 v[56:57], v[20:21], v[52:53]
	s_nop 0
	v_min3_f32 v142, v56, v57, v137
	v_pk_add_f32 v[56:57], v[16:17], v[52:53]
	s_nop 0
	v_min3_f32 v141, v56, v57, v131
	v_pk_add_f32 v[56:57], v[12:13], v[52:53]
	s_nop 0
	v_min3_f32 v140, v56, v57, v132
	v_pk_add_f32 v[56:57], v[8:9], v[52:53]
	s_nop 0
	v_min3_f32 v138, v56, v57, v127
	v_pk_add_f32 v[56:57], v[4:5], v[52:53]
	v_pk_add_f32 v[52:53], v[0:1], v[52:53]
	v_min3_f32 v137, v56, v57, v128
	v_min3_f32 v136, v52, v53, v135
	v_pk_add_f32 v[52:53], v[32:33], v[48:49]
	s_nop 0
	v_min3_f32 v135, v52, v53, v139
	v_pk_add_f32 v[52:53], v[24:25], v[48:49]
	s_nop 0
	v_min3_f32 v132, v52, v53, v133
	v_pk_add_f32 v[52:53], v[20:21], v[48:49]
	s_nop 0
	;; [unrolled: 22-line block ×4, first 2 shown]
	v_min3_f32 v83, v44, v45, v114
	v_pk_add_f32 v[44:45], v[16:17], v[40:41]
	s_nop 0
	v_min3_f32 v61, v44, v45, v111
	v_pk_add_f32 v[44:45], v[12:13], v[40:41]
	s_nop 0
	;; [unrolled: 3-line block ×3, first 2 shown]
	v_min3_f32 v57, v44, v45, v108
	v_pk_add_f32 v[44:45], v[4:5], v[40:41]
	v_pk_add_f32 v[40:41], v[0:1], v[40:41]
	v_min3_f32 v56, v44, v45, v109
	v_min3_f32 v53, v40, v41, v107
	v_pk_add_f32 v[40:41], v[32:33], v[36:37]
	v_pk_add_f32 v[32:33], v[32:33], v[28:29]
	v_min3_f32 v52, v40, v41, v110
	v_pk_add_f32 v[40:41], v[24:25], v[36:37]
	v_pk_add_f32 v[24:25], v[24:25], v[28:29]
	;; [unrolled: 3-line block ×6, first 2 shown]
	v_pk_add_f32 v[36:37], v[0:1], v[36:37]
	v_pk_add_f32 v[8:9], v[8:9], v[28:29]
	;; [unrolled: 1-line block ×5, first 2 shown]
	v_min3_f32 v0, v0, v1, v98
	v_min3_f32 v98, v28, v29, v88
	v_pk_add_f32 v[28:29], v[26:27], v[62:63]
	v_min3_f32 v20, v20, v21, v97
	v_min3_f32 v97, v28, v29, v154
	v_pk_add_f32 v[28:29], v[22:23], v[62:63]
	;; [unrolled: 3-line block ×11, first 2 shown]
	s_nop 0
	v_min3_f32 v102, v28, v29, v159
	v_pk_add_f32 v[28:29], v[14:15], v[58:59]
	s_nop 0
	v_min3_f32 v103, v28, v29, v160
	v_pk_add_f32 v[28:29], v[10:11], v[58:59]
	s_nop 0
	v_min3_f32 v104, v28, v29, v161
	v_pk_add_f32 v[28:29], v[6:7], v[58:59]
	s_nop 0
	v_min3_f32 v105, v28, v29, v146
	v_pk_add_f32 v[28:29], v[2:3], v[58:59]
	s_nop 0
	v_min3_f32 v106, v28, v29, v145
	v_pk_add_f32 v[28:29], v[34:35], v[54:55]
	s_nop 0
	v_min3_f32 v107, v28, v29, v144
	v_pk_add_f32 v[28:29], v[26:27], v[54:55]
	s_nop 0
	v_min3_f32 v108, v28, v29, v143
	v_pk_add_f32 v[28:29], v[22:23], v[54:55]
	s_nop 0
	v_min3_f32 v109, v28, v29, v142
	v_pk_add_f32 v[28:29], v[18:19], v[54:55]
	s_nop 0
	v_min3_f32 v110, v28, v29, v141
	v_pk_add_f32 v[28:29], v[14:15], v[54:55]
	s_nop 0
	v_min3_f32 v111, v28, v29, v140
	v_pk_add_f32 v[28:29], v[10:11], v[54:55]
	s_nop 0
	v_min3_f32 v112, v28, v29, v138
	v_pk_add_f32 v[28:29], v[6:7], v[54:55]
	s_nop 0
	v_min3_f32 v116, v28, v29, v137
	v_pk_add_f32 v[28:29], v[2:3], v[54:55]
	s_nop 0
	v_min3_f32 v118, v28, v29, v136
	v_pk_add_f32 v[28:29], v[34:35], v[50:51]
	s_nop 0
	v_min3_f32 v130, v28, v29, v135
	v_pk_add_f32 v[28:29], v[26:27], v[50:51]
	s_nop 0
	v_min3_f32 v132, v28, v29, v132
	v_pk_add_f32 v[28:29], v[22:23], v[50:51]
	s_nop 0
	v_min3_f32 v131, v28, v29, v131
	v_pk_add_f32 v[28:29], v[18:19], v[50:51]
	s_nop 0
	v_min3_f32 v129, v28, v29, v129
	v_pk_add_f32 v[28:29], v[14:15], v[50:51]
	s_nop 0
	v_min3_f32 v128, v28, v29, v128
	v_pk_add_f32 v[28:29], v[10:11], v[50:51]
	s_nop 0
	v_min3_f32 v127, v28, v29, v127
	v_pk_add_f32 v[28:29], v[6:7], v[50:51]
	s_nop 0
	v_min3_f32 v126, v28, v29, v126
	v_pk_add_f32 v[28:29], v[2:3], v[50:51]
	s_nop 0
	v_min3_f32 v133, v28, v29, v125
	v_pk_add_f32 v[28:29], v[34:35], v[46:47]
	s_nop 0
	v_min3_f32 v137, v28, v29, v124
	v_pk_add_f32 v[28:29], v[26:27], v[46:47]
	s_nop 0
	v_min3_f32 v138, v28, v29, v123
	v_pk_add_f32 v[28:29], v[22:23], v[46:47]
	s_nop 0
	v_min3_f32 v139, v28, v29, v122
	v_pk_add_f32 v[28:29], v[18:19], v[46:47]
	s_nop 0
	v_min3_f32 v140, v28, v29, v121
	v_pk_add_f32 v[28:29], v[14:15], v[46:47]
	s_nop 0
	v_min3_f32 v141, v28, v29, v119
	v_pk_add_f32 v[28:29], v[10:11], v[46:47]
	s_nop 0
	v_min3_f32 v142, v28, v29, v117
	v_pk_add_f32 v[28:29], v[6:7], v[46:47]
	s_nop 0
	v_min3_f32 v87, v28, v29, v87
	v_pk_add_f32 v[28:29], v[2:3], v[46:47]
	s_nop 0
	v_min3_f32 v86, v28, v29, v86
	v_pk_add_f32 v[28:29], v[34:35], v[42:43]
	s_nop 0
	v_min3_f32 v143, v28, v29, v85
	v_pk_add_f32 v[28:29], v[26:27], v[42:43]
	s_nop 0
	v_min3_f32 v144, v28, v29, v84
	v_pk_add_f32 v[28:29], v[22:23], v[42:43]
	s_nop 0
	v_min3_f32 v83, v28, v29, v83
	v_pk_add_f32 v[28:29], v[18:19], v[42:43]
	s_nop 0
	v_min3_f32 v145, v28, v29, v61
	v_pk_add_f32 v[28:29], v[14:15], v[42:43]
	s_nop 0
	v_min3_f32 v146, v28, v29, v60
	v_pk_add_f32 v[28:29], v[10:11], v[42:43]
	s_nop 0
	v_min3_f32 v147, v28, v29, v57
	v_pk_add_f32 v[28:29], v[6:7], v[42:43]
	s_nop 0
	v_min3_f32 v148, v28, v29, v56
	v_pk_add_f32 v[28:29], v[2:3], v[42:43]
	s_nop 0
	v_min3_f32 v149, v28, v29, v53
	v_pk_add_f32 v[28:29], v[34:35], v[38:39]
	s_nop 0
	v_min3_f32 v152, v28, v29, v52
	v_pk_add_f32 v[28:29], v[26:27], v[38:39]
	v_pk_add_f32 v[26:27], v[26:27], v[30:31]
	v_min3_f32 v153, v28, v29, v49
	v_pk_add_f32 v[28:29], v[22:23], v[38:39]
	v_pk_add_f32 v[22:23], v[22:23], v[30:31]
	v_min3_f32 v154, v28, v29, v48
	v_pk_add_f32 v[28:29], v[18:19], v[38:39]
	;; [unrolled: 3-line block ×7, first 2 shown]
	v_min3_f32 v167, v2, v3, v0
	v_lshl_add_u64 v[0:1], v[68:69], 0, v[64:65]
	v_min3_f32 v160, v28, v29, v32
	v_min3_f32 v161, v26, v27, v24
	;; [unrolled: 1-line block ×7, first 2 shown]
	global_load_dword v90, v[0:1], off
	global_load_dword v91, v[0:1], off offset:256
	global_load_dword v150, v[0:1], off offset:512
	global_load_dword v151, v[0:1], off offset:768
	ds_read_b128 v[28:31], v78
	ds_read_b128 v[24:27], v78 offset:128
	ds_read_b128 v[20:23], v78 offset:256
	;; [unrolled: 1-line block ×7, first 2 shown]
	ds_read_b128 v[60:63], v74
	ds_read_b128 v[56:59], v74 offset:512
	ds_read_b128 v[52:55], v74 offset:1024
	ds_read_b128 v[48:51], v74 offset:1536
	ds_read_b128 v[44:47], v74 offset:2048
	ds_read_b128 v[40:43], v74 offset:2560
	ds_read_b128 v[36:39], v74 offset:3072
	ds_read_b128 v[32:35], v74 offset:3584
	s_waitcnt lgkmcnt(7)
	v_pk_add_f32 v[84:85], v[28:29], v[60:61]
	v_lshl_add_u64 v[68:69], v[68:69], 0, s[6:7]
	v_min3_f32 v168, v84, v85, v98
	v_pk_add_f32 v[84:85], v[24:25], v[60:61]
	s_waitcnt vmcnt(4)
	ds_write_b32 v79, v89
	s_waitcnt vmcnt(2)
	ds_write2st64_b32 v80, v90, v91 offset1:4
	s_waitcnt vmcnt(0)
	ds_write2st64_b32 v80, v150, v151 offset0:8 offset1:12
	v_min3_f32 v169, v84, v85, v97
	v_pk_add_f32 v[84:85], v[20:21], v[60:61]
	s_waitcnt lgkmcnt(0)
	v_min3_f32 v170, v84, v85, v96
	v_pk_add_f32 v[84:85], v[16:17], v[60:61]
	s_barrier
	v_min3_f32 v171, v84, v85, v95
	v_pk_add_f32 v[84:85], v[12:13], v[60:61]
	s_nop 0
	v_min3_f32 v172, v84, v85, v94
	v_pk_add_f32 v[84:85], v[8:9], v[60:61]
	s_nop 0
	v_min3_f32 v173, v84, v85, v93
	v_pk_add_f32 v[84:85], v[4:5], v[60:61]
	v_pk_add_f32 v[60:61], v[0:1], v[60:61]
	v_min3_f32 v174, v84, v85, v92
	v_min3_f32 v175, v60, v61, v88
	v_pk_add_f32 v[60:61], v[28:29], v[56:57]
	v_pk_add_f32 v[84:85], v[4:5], v[36:37]
	v_min3_f32 v136, v60, v61, v99
	v_pk_add_f32 v[60:61], v[24:25], v[56:57]
	s_nop 0
	v_min3_f32 v135, v60, v61, v100
	v_pk_add_f32 v[60:61], v[20:21], v[56:57]
	s_nop 0
	v_min3_f32 v134, v60, v61, v101
	v_pk_add_f32 v[60:61], v[16:17], v[56:57]
	s_nop 0
	v_min3_f32 v125, v60, v61, v102
	v_pk_add_f32 v[60:61], v[12:13], v[56:57]
	s_nop 0
	v_min3_f32 v124, v60, v61, v103
	v_pk_add_f32 v[60:61], v[8:9], v[56:57]
	s_nop 0
	v_min3_f32 v123, v60, v61, v104
	v_pk_add_f32 v[60:61], v[4:5], v[56:57]
	v_pk_add_f32 v[56:57], v[0:1], v[56:57]
	v_min3_f32 v122, v60, v61, v105
	v_min3_f32 v121, v56, v57, v106
	v_pk_add_f32 v[56:57], v[28:29], v[52:53]
	s_nop 0
	v_min3_f32 v120, v56, v57, v107
	v_pk_add_f32 v[56:57], v[24:25], v[52:53]
	s_nop 0
	v_min3_f32 v119, v56, v57, v108
	v_pk_add_f32 v[56:57], v[20:21], v[52:53]
	s_nop 0
	v_min3_f32 v117, v56, v57, v109
	v_pk_add_f32 v[56:57], v[16:17], v[52:53]
	s_nop 0
	v_min3_f32 v115, v56, v57, v110
	v_pk_add_f32 v[56:57], v[12:13], v[52:53]
	s_nop 0
	v_min3_f32 v114, v56, v57, v111
	v_pk_add_f32 v[56:57], v[8:9], v[52:53]
	s_nop 0
	v_min3_f32 v113, v56, v57, v112
	v_pk_add_f32 v[56:57], v[4:5], v[52:53]
	v_pk_add_f32 v[52:53], v[0:1], v[52:53]
	v_min3_f32 v112, v56, v57, v116
	v_min3_f32 v111, v52, v53, v118
	v_pk_add_f32 v[52:53], v[28:29], v[48:49]
	s_nop 0
	;; [unrolled: 22-line block ×4, first 2 shown]
	v_min3_f32 v94, v44, v45, v143
	v_pk_add_f32 v[44:45], v[24:25], v[40:41]
	s_nop 0
	v_min3_f32 v93, v44, v45, v144
	v_pk_add_f32 v[44:45], v[20:21], v[40:41]
	s_nop 0
	v_min3_f32 v92, v44, v45, v83
	v_pk_add_f32 v[44:45], v[16:17], v[40:41]
	s_nop 0
	v_min3_f32 v61, v44, v45, v145
	v_pk_add_f32 v[44:45], v[12:13], v[40:41]
	s_nop 0
	v_min3_f32 v60, v44, v45, v146
	v_pk_add_f32 v[44:45], v[8:9], v[40:41]
	s_nop 0
	v_min3_f32 v57, v44, v45, v147
	v_pk_add_f32 v[44:45], v[4:5], v[40:41]
	v_pk_add_f32 v[40:41], v[0:1], v[40:41]
	v_min3_f32 v56, v44, v45, v148
	v_min3_f32 v53, v40, v41, v149
	v_pk_add_f32 v[40:41], v[28:29], v[36:37]
	v_pk_add_f32 v[28:29], v[28:29], v[32:33]
	v_min3_f32 v52, v40, v41, v152
	v_pk_add_f32 v[40:41], v[24:25], v[36:37]
	v_pk_add_f32 v[24:25], v[24:25], v[32:33]
	;; [unrolled: 3-line block ×6, first 2 shown]
	v_pk_add_f32 v[8:9], v[8:9], v[32:33]
	v_pk_add_f32 v[4:5], v[4:5], v[32:33]
	;; [unrolled: 1-line block ×4, first 2 shown]
	v_min3_f32 v41, v40, v41, v157
	v_min3_f32 v88, v32, v33, v168
	v_pk_add_f32 v[32:33], v[26:27], v[62:63]
	v_min3_f32 v40, v84, v85, v158
	v_min3_f32 v87, v32, v33, v169
	v_pk_add_f32 v[32:33], v[22:23], v[62:63]
	;; [unrolled: 3-line block ×11, first 2 shown]
	s_nop 0
	v_min3_f32 v143, v32, v33, v125
	v_pk_add_f32 v[32:33], v[14:15], v[58:59]
	s_nop 0
	v_min3_f32 v144, v32, v33, v124
	v_pk_add_f32 v[32:33], v[10:11], v[58:59]
	;; [unrolled: 3-line block ×37, first 2 shown]
	v_pk_add_f32 v[30:31], v[30:31], v[34:35]
	v_min3_f32 v110, v32, v33, v52
	v_pk_add_f32 v[32:33], v[26:27], v[38:39]
	v_pk_add_f32 v[26:27], v[26:27], v[34:35]
	v_min3_f32 v105, v32, v33, v49
	v_pk_add_f32 v[32:33], v[22:23], v[38:39]
	;; [unrolled: 3-line block ×7, first 2 shown]
	v_pk_add_f32 v[2:3], v[2:3], v[34:35]
	v_min3_f32 v99, v32, v33, v36
	v_min3_f32 v100, v30, v31, v28
	;; [unrolled: 1-line block ×9, first 2 shown]
	s_cbranch_scc0 .LBB73_9
.LBB73_10:
	s_load_dwordx2 s[8:9], s[0:1], 0x70
	s_load_dword s6, s[0:1], 0x50
	s_load_dword s7, s[0:1], 0x68
	ds_read_b128 v[32:35], v75 offset:9216
	ds_read_b128 v[60:63], v74 offset:4096
	s_waitcnt lgkmcnt(0)
	s_mul_i32 s0, s9, s3
	s_mul_hi_u32 s1, s8, s3
	s_add_i32 s1, s1, s0
	s_mul_i32 s0, s8, s3
	s_lshl_b64 s[0:1], s[0:1], 2
	v_pk_add_f32 v[0:1], v[32:33], v[60:61]
	s_add_u32 s0, s10, s0
	v_min3_f32 v2, v0, v1, v88
	v_pk_add_f32 v[0:1], v[34:35], v[62:63]
	v_add_u32_e32 v150, s20, v73
	s_addc_u32 s1, s11, s1
	v_min3_f32 v2, v0, v1, v2
	v_add_u32_e32 v68, s2, v72
	v_mad_i64_i32 v[0:1], s[2:3], v150, s7, 0
	v_add_u32_e32 v64, 8, v68
	v_lshl_add_u64 v[88:89], v[0:1], 2, s[0:1]
	v_mad_i64_i32 v[0:1], s[2:3], v150, s6, 0
	v_ashrrev_i32_e32 v69, 31, v68
	v_ashrrev_i32_e32 v65, 31, v64
	s_mov_b64 s[2:3], -1
	v_max_f32_e32 v2, v2, v2
	s_mov_b64 vcc, s[4:5]
	s_cbranch_vccz .LBB73_12
; %bb.11:
	v_min_f32_e32 v3, 0, v2
	v_lshl_add_u64 v[4:5], v[68:69], 2, v[88:89]
	global_store_dword v[4:5], v3, off
	s_mov_b64 s[2:3], 0
.LBB73_12:
	ds_read_b128 v[28:31], v75 offset:9344
	ds_read_b128 v[24:27], v75 offset:9472
	v_lshl_add_u64 v[90:91], v[0:1], 2, s[12:13]
	v_mov_b32_e32 v70, 0
	s_andn2_b64 vcc, exec, s[2:3]
	v_lshlrev_b64 v[72:73], 2, v[68:69]
	s_cbranch_vccnz .LBB73_14
; %bb.13:
	v_lshl_add_u64 v[0:1], v[90:91], 0, v[72:73]
	global_load_dword v3, v[0:1], off
	v_lshl_add_u64 v[0:1], v[88:89], 0, v[72:73]
	s_waitcnt vmcnt(0)
	v_mul_f32_e32 v3, s15, v3
	v_min_f32_e32 v2, v3, v2
	global_store_dword v[0:1], v2, off
	v_lshl_add_u64 v[0:1], v[64:65], 2, v[90:91]
	global_load_dword v0, v[0:1], off
	s_waitcnt vmcnt(0)
	v_mul_f32_e32 v70, s15, v0
.LBB73_14:
	ds_read_b128 v[16:19], v75 offset:9728
	ds_read_b128 v[12:15], v75 offset:9856
	;; [unrolled: 1-line block ×12, first 2 shown]
	s_waitcnt lgkmcnt(13)
	v_pk_add_f32 v[66:67], v[28:29], v[60:61]
	v_add_u32_e32 v76, 16, v68
	v_min3_f32 v71, v66, v67, v87
	s_waitcnt lgkmcnt(12)
	v_pk_add_f32 v[66:67], v[24:25], v[60:61]
	v_ashrrev_i32_e32 v77, 31, v76
	v_min3_f32 v74, v66, v67, v149
	v_pk_add_f32 v[66:67], v[30:31], v[62:63]
	s_mov_b64 s[2:3], -1
	v_min_f32_e32 v75, v66, v67
	v_pk_add_f32 v[66:67], v[26:27], v[62:63]
	v_min3_f32 v75, v70, v75, v71
	v_min3_f32 v74, v66, v67, v74
	v_add_u32_e32 v66, 24, v68
	v_lshl_add_u64 v[70:71], v[64:65], 2, v[88:89]
	v_ashrrev_i32_e32 v67, 31, v66
	global_store_dword v[70:71], v75, off
	v_max_f32_e32 v70, v74, v74
	s_mov_b64 vcc, s[4:5]
	s_cbranch_vccz .LBB73_16
; %bb.15:
	v_min_f32_e32 v71, 0, v70
	v_lshl_add_u64 v[74:75], v[76:77], 2, v[88:89]
	global_store_dword v[74:75], v71, off
	s_mov_b64 s[2:3], 0
.LBB73_16:
	v_mov_b32_e32 v74, 0
	s_andn2_b64 vcc, exec, s[2:3]
	v_lshlrev_b64 v[80:81], 2, v[76:77]
	s_cbranch_vccnz .LBB73_18
; %bb.17:
	v_lshl_add_u64 v[74:75], v[90:91], 0, v[80:81]
	global_load_dword v71, v[74:75], off
	v_lshl_add_u64 v[74:75], v[88:89], 0, v[80:81]
	s_waitcnt vmcnt(0)
	v_mul_f32_e32 v71, s15, v71
	v_min_f32_e32 v70, v71, v70
	global_store_dword v[74:75], v70, off
	v_lshl_add_u64 v[70:71], v[66:67], 2, v[90:91]
	global_load_dword v70, v[70:71], off
	s_waitcnt vmcnt(0)
	v_mul_f32_e32 v74, s15, v70
.LBB73_18:
	s_waitcnt lgkmcnt(1)
	v_pk_add_f32 v[70:71], v[20:21], v[60:61]
	s_mov_b64 s[2:3], -1
	v_min3_f32 v75, v70, v71, v83
	v_pk_add_f32 v[70:71], v[16:17], v[60:61]
	s_mov_b64 vcc, s[4:5]
	v_min3_f32 v78, v70, v71, v86
	v_pk_add_f32 v[70:71], v[22:23], v[62:63]
	s_nop 0
	v_min_f32_e32 v82, v70, v71
	v_pk_add_f32 v[70:71], v[18:19], v[62:63]
	v_min3_f32 v82, v74, v82, v75
	v_min3_f32 v83, v70, v71, v78
	v_add_u32_e32 v78, 32, v68
	v_add_u32_e32 v70, 40, v68
	v_lshl_add_u64 v[74:75], v[66:67], 2, v[88:89]
	v_ashrrev_i32_e32 v79, 31, v78
	v_ashrrev_i32_e32 v71, 31, v70
	global_store_dword v[74:75], v82, off
	v_max_f32_e32 v74, v83, v83
	s_cbranch_vccz .LBB73_20
; %bb.19:
	v_min_f32_e32 v75, 0, v74
	v_lshl_add_u64 v[82:83], v[78:79], 2, v[88:89]
	global_store_dword v[82:83], v75, off
	s_mov_b64 s[2:3], 0
.LBB73_20:
	v_mov_b32_e32 v86, 0
	s_andn2_b64 vcc, exec, s[2:3]
	v_lshlrev_b64 v[82:83], 2, v[78:79]
	s_cbranch_vccnz .LBB73_22
; %bb.21:
	v_lshl_add_u64 v[86:87], v[90:91], 0, v[82:83]
	global_load_dword v75, v[86:87], off
	v_lshl_add_u64 v[86:87], v[88:89], 0, v[82:83]
	s_waitcnt vmcnt(0)
	v_mul_f32_e32 v75, s15, v75
	v_min_f32_e32 v74, v75, v74
	global_store_dword v[86:87], v74, off
	v_lshl_add_u64 v[74:75], v[70:71], 2, v[90:91]
	global_load_dword v74, v[74:75], off
	s_waitcnt vmcnt(0)
	v_mul_f32_e32 v86, s15, v74
.LBB73_22:
	v_pk_add_f32 v[74:75], v[12:13], v[60:61]
	s_mov_b64 s[2:3], -1
	v_min3_f32 v87, v74, v75, v85
	v_pk_add_f32 v[74:75], v[8:9], v[60:61]
	s_mov_b64 vcc, s[4:5]
	v_min3_f32 v84, v74, v75, v84
	v_pk_add_f32 v[74:75], v[14:15], v[62:63]
	s_nop 0
	v_min_f32_e32 v149, v74, v75
	v_pk_add_f32 v[74:75], v[10:11], v[62:63]
	v_min3_f32 v149, v86, v149, v87
	v_min3_f32 v151, v74, v75, v84
	v_add_u32_e32 v84, 48, v68
	v_add_u32_e32 v74, 56, v68
	v_lshl_add_u64 v[86:87], v[70:71], 2, v[88:89]
	v_ashrrev_i32_e32 v85, 31, v84
	v_ashrrev_i32_e32 v75, 31, v74
	global_store_dword v[86:87], v149, off
	v_max_f32_e32 v149, v151, v151
	s_cbranch_vccz .LBB73_24
; %bb.23:
	v_min_f32_e32 v151, 0, v149
	v_lshl_add_u64 v[86:87], v[84:85], 2, v[88:89]
	global_store_dword v[86:87], v151, off
	s_mov_b64 s[2:3], 0
.LBB73_24:
	v_mov_b32_e32 v151, 0
	s_andn2_b64 vcc, exec, s[2:3]
	v_lshlrev_b64 v[86:87], 2, v[84:85]
	s_cbranch_vccnz .LBB73_26
; %bb.25:
	v_lshl_add_u64 v[152:153], v[90:91], 0, v[86:87]
	global_load_dword v151, v[152:153], off
	v_lshl_add_u64 v[152:153], v[88:89], 0, v[86:87]
	v_lshl_add_u64 v[90:91], v[74:75], 2, v[90:91]
	s_waitcnt vmcnt(0)
	v_mul_f32_e32 v151, s15, v151
	v_min_f32_e32 v149, v151, v149
	global_store_dword v[152:153], v149, off
	global_load_dword v90, v[90:91], off
	s_waitcnt vmcnt(0)
	v_mul_f32_e32 v151, s15, v90
.LBB73_26:
	v_pk_add_f32 v[60:61], v[0:1], v[60:61]
	s_mov_b64 vcc, s[4:5]
	v_min3_f32 v90, v60, v61, v147
	v_pk_add_f32 v[60:61], v[32:33], v[56:57]
	s_nop 0
	v_min3_f32 v91, v60, v61, v148
	v_pk_add_f32 v[60:61], v[2:3], v[62:63]
	s_nop 0
	v_min_f32_e32 v62, v60, v61
	v_pk_add_f32 v[60:61], v[34:35], v[58:59]
	v_min3_f32 v62, v151, v62, v90
	v_min3_f32 v91, v60, v61, v91
	v_lshl_add_u64 v[60:61], v[74:75], 2, v[88:89]
	global_store_dword v[60:61], v62, off
	v_add_u32_e32 v62, 32, v150
	v_mad_i64_i32 v[60:61], s[2:3], v62, s7, 0
	v_mad_i64_i32 v[62:63], s[2:3], v62, s6, 0
	v_lshl_add_u64 v[60:61], v[60:61], 2, s[0:1]
	s_mov_b64 s[2:3], -1
	v_max_f32_e32 v88, v91, v91
	s_cbranch_vccz .LBB73_28
; %bb.27:
	v_min_f32_e32 v89, 0, v88
	v_lshl_add_u64 v[90:91], v[68:69], 2, v[60:61]
	global_store_dword v[90:91], v89, off
	s_mov_b64 s[2:3], 0
.LBB73_28:
	v_lshl_add_u64 v[62:63], v[62:63], 2, s[12:13]
	s_andn2_b64 vcc, exec, s[2:3]
	v_mov_b32_e32 v89, 0
	s_cbranch_vccnz .LBB73_30
; %bb.29:
	v_lshl_add_u64 v[90:91], v[62:63], 0, v[72:73]
	global_load_dword v89, v[90:91], off
	v_lshl_add_u64 v[90:91], v[60:61], 0, v[72:73]
	s_waitcnt vmcnt(0)
	v_mul_f32_e32 v89, s15, v89
	v_min_f32_e32 v88, v89, v88
	global_store_dword v[90:91], v88, off
	v_lshl_add_u64 v[88:89], v[64:65], 2, v[62:63]
	global_load_dword v88, v[88:89], off
	s_waitcnt vmcnt(0)
	v_mul_f32_e32 v89, s15, v88
.LBB73_30:
	v_pk_add_f32 v[90:91], v[28:29], v[56:57]
	s_mov_b64 s[2:3], -1
	v_min3_f32 v88, v90, v91, v145
	v_pk_add_f32 v[90:91], v[24:25], v[56:57]
	s_mov_b64 vcc, s[4:5]
	v_min3_f32 v145, v90, v91, v146
	v_pk_add_f32 v[90:91], v[30:31], v[58:59]
	s_nop 0
	v_min_f32_e32 v146, v90, v91
	v_pk_add_f32 v[90:91], v[26:27], v[58:59]
	s_nop 0
	v_min3_f32 v90, v90, v91, v145
	v_min3_f32 v91, v89, v146, v88
	v_lshl_add_u64 v[88:89], v[64:65], 2, v[60:61]
	global_store_dword v[88:89], v91, off
	v_max_f32_e32 v88, v90, v90
	s_cbranch_vccz .LBB73_32
; %bb.31:
	v_min_f32_e32 v89, 0, v88
	v_lshl_add_u64 v[90:91], v[76:77], 2, v[60:61]
	global_store_dword v[90:91], v89, off
	s_mov_b64 s[2:3], 0
.LBB73_32:
	s_andn2_b64 vcc, exec, s[2:3]
	v_mov_b32_e32 v89, 0
	s_cbranch_vccnz .LBB73_34
; %bb.33:
	v_lshl_add_u64 v[90:91], v[62:63], 0, v[80:81]
	global_load_dword v89, v[90:91], off
	v_lshl_add_u64 v[90:91], v[60:61], 0, v[80:81]
	s_waitcnt vmcnt(0)
	v_mul_f32_e32 v89, s15, v89
	v_min_f32_e32 v88, v89, v88
	global_store_dword v[90:91], v88, off
	v_lshl_add_u64 v[88:89], v[66:67], 2, v[62:63]
	global_load_dword v88, v[88:89], off
	s_waitcnt vmcnt(0)
	v_mul_f32_e32 v89, s15, v88
.LBB73_34:
	v_pk_add_f32 v[90:91], v[20:21], v[56:57]
	s_mov_b64 s[2:3], -1
	v_min3_f32 v88, v90, v91, v143
	v_pk_add_f32 v[90:91], v[16:17], v[56:57]
	s_mov_b64 vcc, s[4:5]
	v_min3_f32 v143, v90, v91, v144
	v_pk_add_f32 v[90:91], v[22:23], v[58:59]
	s_nop 0
	v_min_f32_e32 v144, v90, v91
	v_pk_add_f32 v[90:91], v[18:19], v[58:59]
	s_nop 0
	v_min3_f32 v90, v90, v91, v143
	v_min3_f32 v91, v89, v144, v88
	v_lshl_add_u64 v[88:89], v[66:67], 2, v[60:61]
	global_store_dword v[88:89], v91, off
	v_max_f32_e32 v88, v90, v90
	s_cbranch_vccz .LBB73_36
; %bb.35:
	v_min_f32_e32 v89, 0, v88
	v_lshl_add_u64 v[90:91], v[78:79], 2, v[60:61]
	global_store_dword v[90:91], v89, off
	s_mov_b64 s[2:3], 0
.LBB73_36:
	;; [unrolled: 39-line block ×3, first 2 shown]
	s_andn2_b64 vcc, exec, s[2:3]
	v_mov_b32_e32 v89, 0
	s_cbranch_vccnz .LBB73_42
; %bb.41:
	v_lshl_add_u64 v[90:91], v[62:63], 0, v[86:87]
	global_load_dword v89, v[90:91], off
	v_lshl_add_u64 v[90:91], v[60:61], 0, v[86:87]
	v_lshl_add_u64 v[62:63], v[74:75], 2, v[62:63]
	s_waitcnt vmcnt(0)
	v_mul_f32_e32 v89, s15, v89
	v_min_f32_e32 v88, v89, v88
	global_store_dword v[90:91], v88, off
	global_load_dword v62, v[62:63], off
	s_waitcnt vmcnt(0)
	v_mul_f32_e32 v89, s15, v62
.LBB73_42:
	v_pk_add_f32 v[56:57], v[0:1], v[56:57]
	s_mov_b64 vcc, s[4:5]
	v_min3_f32 v62, v56, v57, v138
	v_pk_add_f32 v[56:57], v[32:33], v[52:53]
	s_nop 0
	v_min3_f32 v63, v56, v57, v141
	v_pk_add_f32 v[56:57], v[2:3], v[58:59]
	s_nop 0
	v_min_f32_e32 v58, v56, v57
	v_pk_add_f32 v[56:57], v[34:35], v[54:55]
	v_min3_f32 v58, v89, v58, v62
	v_min3_f32 v63, v56, v57, v63
	v_lshl_add_u64 v[56:57], v[74:75], 2, v[60:61]
	global_store_dword v[56:57], v58, off
	v_add_u32_e32 v58, 64, v150
	v_mad_i64_i32 v[56:57], s[2:3], v58, s7, 0
	v_mad_i64_i32 v[58:59], s[2:3], v58, s6, 0
	v_lshl_add_u64 v[56:57], v[56:57], 2, s[0:1]
	s_mov_b64 s[2:3], -1
	v_max_f32_e32 v60, v63, v63
	s_cbranch_vccz .LBB73_44
; %bb.43:
	v_min_f32_e32 v61, 0, v60
	v_lshl_add_u64 v[62:63], v[68:69], 2, v[56:57]
	global_store_dword v[62:63], v61, off
	s_mov_b64 s[2:3], 0
.LBB73_44:
	v_lshl_add_u64 v[58:59], v[58:59], 2, s[12:13]
	s_andn2_b64 vcc, exec, s[2:3]
	v_mov_b32_e32 v61, 0
	s_cbranch_vccnz .LBB73_46
; %bb.45:
	v_lshl_add_u64 v[62:63], v[58:59], 0, v[72:73]
	global_load_dword v61, v[62:63], off
	v_lshl_add_u64 v[62:63], v[56:57], 0, v[72:73]
	s_waitcnt vmcnt(0)
	v_mul_f32_e32 v61, s15, v61
	v_min_f32_e32 v60, v61, v60
	global_store_dword v[62:63], v60, off
	v_lshl_add_u64 v[60:61], v[64:65], 2, v[58:59]
	global_load_dword v60, v[60:61], off
	s_waitcnt vmcnt(0)
	v_mul_f32_e32 v61, s15, v60
.LBB73_46:
	v_pk_add_f32 v[62:63], v[28:29], v[52:53]
	s_mov_b64 s[2:3], -1
	v_min3_f32 v60, v62, v63, v136
	v_pk_add_f32 v[62:63], v[24:25], v[52:53]
	s_mov_b64 vcc, s[4:5]
	v_min3_f32 v88, v62, v63, v137
	v_pk_add_f32 v[62:63], v[30:31], v[54:55]
	s_nop 0
	v_min_f32_e32 v89, v62, v63
	v_pk_add_f32 v[62:63], v[26:27], v[54:55]
	s_nop 0
	v_min3_f32 v62, v62, v63, v88
	v_min3_f32 v63, v61, v89, v60
	v_lshl_add_u64 v[60:61], v[64:65], 2, v[56:57]
	global_store_dword v[60:61], v63, off
	v_max_f32_e32 v60, v62, v62
	s_cbranch_vccz .LBB73_48
; %bb.47:
	v_min_f32_e32 v61, 0, v60
	v_lshl_add_u64 v[62:63], v[76:77], 2, v[56:57]
	global_store_dword v[62:63], v61, off
	s_mov_b64 s[2:3], 0
.LBB73_48:
	s_andn2_b64 vcc, exec, s[2:3]
	v_mov_b32_e32 v61, 0
	s_cbranch_vccnz .LBB73_50
; %bb.49:
	v_lshl_add_u64 v[62:63], v[58:59], 0, v[80:81]
	global_load_dword v61, v[62:63], off
	v_lshl_add_u64 v[62:63], v[56:57], 0, v[80:81]
	s_waitcnt vmcnt(0)
	v_mul_f32_e32 v61, s15, v61
	v_min_f32_e32 v60, v61, v60
	global_store_dword v[62:63], v60, off
	v_lshl_add_u64 v[60:61], v[66:67], 2, v[58:59]
	global_load_dword v60, v[60:61], off
	s_waitcnt vmcnt(0)
	v_mul_f32_e32 v61, s15, v60
.LBB73_50:
	v_pk_add_f32 v[62:63], v[20:21], v[52:53]
	s_mov_b64 s[2:3], -1
	v_min3_f32 v60, v62, v63, v131
	v_pk_add_f32 v[62:63], v[16:17], v[52:53]
	s_mov_b64 vcc, s[4:5]
	v_min3_f32 v88, v62, v63, v132
	v_pk_add_f32 v[62:63], v[22:23], v[54:55]
	s_nop 0
	v_min_f32_e32 v89, v62, v63
	v_pk_add_f32 v[62:63], v[18:19], v[54:55]
	s_nop 0
	v_min3_f32 v62, v62, v63, v88
	v_min3_f32 v63, v61, v89, v60
	v_lshl_add_u64 v[60:61], v[66:67], 2, v[56:57]
	global_store_dword v[60:61], v63, off
	v_max_f32_e32 v60, v62, v62
	s_cbranch_vccz .LBB73_52
; %bb.51:
	v_min_f32_e32 v61, 0, v60
	v_lshl_add_u64 v[62:63], v[78:79], 2, v[56:57]
	global_store_dword v[62:63], v61, off
	s_mov_b64 s[2:3], 0
.LBB73_52:
	;; [unrolled: 39-line block ×3, first 2 shown]
	s_andn2_b64 vcc, exec, s[2:3]
	v_mov_b32_e32 v61, 0
	s_cbranch_vccnz .LBB73_58
; %bb.57:
	v_lshl_add_u64 v[62:63], v[58:59], 0, v[86:87]
	global_load_dword v61, v[62:63], off
	v_lshl_add_u64 v[62:63], v[56:57], 0, v[86:87]
	v_lshl_add_u64 v[58:59], v[74:75], 2, v[58:59]
	s_waitcnt vmcnt(0)
	v_mul_f32_e32 v61, s15, v61
	v_min_f32_e32 v60, v61, v60
	global_store_dword v[62:63], v60, off
	global_load_dword v58, v[58:59], off
	s_waitcnt vmcnt(0)
	v_mul_f32_e32 v61, s15, v58
.LBB73_58:
	v_pk_add_f32 v[52:53], v[0:1], v[52:53]
	s_mov_b64 vcc, s[4:5]
	v_min3_f32 v58, v52, v53, v135
	v_pk_add_f32 v[52:53], v[32:33], v[48:49]
	s_nop 0
	v_min3_f32 v59, v52, v53, v139
	v_pk_add_f32 v[52:53], v[2:3], v[54:55]
	s_nop 0
	v_min_f32_e32 v54, v52, v53
	v_pk_add_f32 v[52:53], v[34:35], v[50:51]
	v_min3_f32 v54, v61, v54, v58
	v_min3_f32 v59, v52, v53, v59
	v_lshl_add_u64 v[52:53], v[74:75], 2, v[56:57]
	global_store_dword v[52:53], v54, off
	v_add_u32_e32 v54, 0x60, v150
	v_mad_i64_i32 v[52:53], s[2:3], v54, s7, 0
	v_mad_i64_i32 v[54:55], s[2:3], v54, s6, 0
	v_lshl_add_u64 v[52:53], v[52:53], 2, s[0:1]
	s_mov_b64 s[2:3], -1
	v_max_f32_e32 v56, v59, v59
	s_cbranch_vccz .LBB73_60
; %bb.59:
	v_min_f32_e32 v57, 0, v56
	v_lshl_add_u64 v[58:59], v[68:69], 2, v[52:53]
	global_store_dword v[58:59], v57, off
	s_mov_b64 s[2:3], 0
.LBB73_60:
	v_lshl_add_u64 v[54:55], v[54:55], 2, s[12:13]
	s_andn2_b64 vcc, exec, s[2:3]
	v_mov_b32_e32 v57, 0
	s_cbranch_vccnz .LBB73_62
; %bb.61:
	v_lshl_add_u64 v[58:59], v[54:55], 0, v[72:73]
	global_load_dword v57, v[58:59], off
	v_lshl_add_u64 v[58:59], v[52:53], 0, v[72:73]
	s_waitcnt vmcnt(0)
	v_mul_f32_e32 v57, s15, v57
	v_min_f32_e32 v56, v57, v56
	global_store_dword v[58:59], v56, off
	v_lshl_add_u64 v[56:57], v[64:65], 2, v[54:55]
	global_load_dword v56, v[56:57], off
	s_waitcnt vmcnt(0)
	v_mul_f32_e32 v57, s15, v56
.LBB73_62:
	v_pk_add_f32 v[58:59], v[28:29], v[48:49]
	s_mov_b64 s[2:3], -1
	v_min3_f32 v56, v58, v59, v133
	v_pk_add_f32 v[58:59], v[24:25], v[48:49]
	s_mov_b64 vcc, s[4:5]
	v_min3_f32 v60, v58, v59, v134
	v_pk_add_f32 v[58:59], v[30:31], v[50:51]
	s_nop 0
	v_min_f32_e32 v61, v58, v59
	v_pk_add_f32 v[58:59], v[26:27], v[50:51]
	s_nop 0
	v_min3_f32 v58, v58, v59, v60
	v_min3_f32 v59, v57, v61, v56
	v_lshl_add_u64 v[56:57], v[64:65], 2, v[52:53]
	global_store_dword v[56:57], v59, off
	v_max_f32_e32 v56, v58, v58
	s_cbranch_vccz .LBB73_64
; %bb.63:
	v_min_f32_e32 v57, 0, v56
	v_lshl_add_u64 v[58:59], v[76:77], 2, v[52:53]
	global_store_dword v[58:59], v57, off
	s_mov_b64 s[2:3], 0
.LBB73_64:
	s_andn2_b64 vcc, exec, s[2:3]
	v_mov_b32_e32 v57, 0
	s_cbranch_vccnz .LBB73_66
; %bb.65:
	v_lshl_add_u64 v[58:59], v[54:55], 0, v[80:81]
	global_load_dword v57, v[58:59], off
	v_lshl_add_u64 v[58:59], v[52:53], 0, v[80:81]
	s_waitcnt vmcnt(0)
	v_mul_f32_e32 v57, s15, v57
	v_min_f32_e32 v56, v57, v56
	global_store_dword v[58:59], v56, off
	v_lshl_add_u64 v[56:57], v[66:67], 2, v[54:55]
	global_load_dword v56, v[56:57], off
	s_waitcnt vmcnt(0)
	v_mul_f32_e32 v57, s15, v56
.LBB73_66:
	v_pk_add_f32 v[58:59], v[20:21], v[48:49]
	s_mov_b64 s[2:3], -1
	v_min3_f32 v56, v58, v59, v129
	v_pk_add_f32 v[58:59], v[16:17], v[48:49]
	s_mov_b64 vcc, s[4:5]
	v_min3_f32 v60, v58, v59, v130
	v_pk_add_f32 v[58:59], v[22:23], v[50:51]
	s_nop 0
	v_min_f32_e32 v61, v58, v59
	v_pk_add_f32 v[58:59], v[18:19], v[50:51]
	s_nop 0
	v_min3_f32 v58, v58, v59, v60
	v_min3_f32 v59, v57, v61, v56
	v_lshl_add_u64 v[56:57], v[66:67], 2, v[52:53]
	global_store_dword v[56:57], v59, off
	v_max_f32_e32 v56, v58, v58
	s_cbranch_vccz .LBB73_68
; %bb.67:
	v_min_f32_e32 v57, 0, v56
	v_lshl_add_u64 v[58:59], v[78:79], 2, v[52:53]
	global_store_dword v[58:59], v57, off
	s_mov_b64 s[2:3], 0
.LBB73_68:
	;; [unrolled: 39-line block ×3, first 2 shown]
	s_andn2_b64 vcc, exec, s[2:3]
	v_mov_b32_e32 v57, 0
	s_cbranch_vccnz .LBB73_74
; %bb.73:
	v_lshl_add_u64 v[58:59], v[54:55], 0, v[86:87]
	global_load_dword v57, v[58:59], off
	v_lshl_add_u64 v[58:59], v[52:53], 0, v[86:87]
	v_lshl_add_u64 v[54:55], v[74:75], 2, v[54:55]
	s_waitcnt vmcnt(0)
	v_mul_f32_e32 v57, s15, v57
	v_min_f32_e32 v56, v57, v56
	global_store_dword v[58:59], v56, off
	global_load_dword v54, v[54:55], off
	s_waitcnt vmcnt(0)
	v_mul_f32_e32 v57, s15, v54
.LBB73_74:
	v_pk_add_f32 v[48:49], v[0:1], v[48:49]
	s_mov_b64 vcc, s[4:5]
	v_min3_f32 v54, v48, v49, v123
	v_pk_add_f32 v[48:49], v[32:33], v[44:45]
	s_nop 0
	v_min3_f32 v55, v48, v49, v124
	v_pk_add_f32 v[48:49], v[2:3], v[50:51]
	s_nop 0
	v_min_f32_e32 v50, v48, v49
	v_pk_add_f32 v[48:49], v[34:35], v[46:47]
	v_min3_f32 v50, v57, v50, v54
	v_min3_f32 v55, v48, v49, v55
	v_lshl_add_u64 v[48:49], v[74:75], 2, v[52:53]
	global_store_dword v[48:49], v50, off
	v_add_u32_e32 v50, 0x80, v150
	v_mad_i64_i32 v[48:49], s[2:3], v50, s7, 0
	v_mad_i64_i32 v[50:51], s[2:3], v50, s6, 0
	v_lshl_add_u64 v[48:49], v[48:49], 2, s[0:1]
	s_mov_b64 s[2:3], -1
	v_max_f32_e32 v52, v55, v55
	s_cbranch_vccz .LBB73_76
; %bb.75:
	v_min_f32_e32 v53, 0, v52
	v_lshl_add_u64 v[54:55], v[68:69], 2, v[48:49]
	global_store_dword v[54:55], v53, off
	s_mov_b64 s[2:3], 0
.LBB73_76:
	v_lshl_add_u64 v[50:51], v[50:51], 2, s[12:13]
	s_andn2_b64 vcc, exec, s[2:3]
	v_mov_b32_e32 v53, 0
	s_cbranch_vccnz .LBB73_78
; %bb.77:
	v_lshl_add_u64 v[54:55], v[50:51], 0, v[72:73]
	global_load_dword v53, v[54:55], off
	v_lshl_add_u64 v[54:55], v[48:49], 0, v[72:73]
	s_waitcnt vmcnt(0)
	v_mul_f32_e32 v53, s15, v53
	v_min_f32_e32 v52, v53, v52
	global_store_dword v[54:55], v52, off
	v_lshl_add_u64 v[52:53], v[64:65], 2, v[50:51]
	global_load_dword v52, v[52:53], off
	s_waitcnt vmcnt(0)
	v_mul_f32_e32 v53, s15, v52
.LBB73_78:
	v_pk_add_f32 v[54:55], v[28:29], v[44:45]
	s_mov_b64 s[2:3], -1
	v_min3_f32 v52, v54, v55, v121
	v_pk_add_f32 v[54:55], v[24:25], v[44:45]
	s_mov_b64 vcc, s[4:5]
	v_min3_f32 v56, v54, v55, v122
	v_pk_add_f32 v[54:55], v[30:31], v[46:47]
	s_nop 0
	v_min_f32_e32 v57, v54, v55
	v_pk_add_f32 v[54:55], v[26:27], v[46:47]
	s_nop 0
	v_min3_f32 v54, v54, v55, v56
	v_min3_f32 v55, v53, v57, v52
	v_lshl_add_u64 v[52:53], v[64:65], 2, v[48:49]
	global_store_dword v[52:53], v55, off
	v_max_f32_e32 v52, v54, v54
	s_cbranch_vccz .LBB73_80
; %bb.79:
	v_min_f32_e32 v53, 0, v52
	v_lshl_add_u64 v[54:55], v[76:77], 2, v[48:49]
	global_store_dword v[54:55], v53, off
	s_mov_b64 s[2:3], 0
.LBB73_80:
	s_andn2_b64 vcc, exec, s[2:3]
	v_mov_b32_e32 v53, 0
	s_cbranch_vccnz .LBB73_82
; %bb.81:
	v_lshl_add_u64 v[54:55], v[50:51], 0, v[80:81]
	global_load_dword v53, v[54:55], off
	v_lshl_add_u64 v[54:55], v[48:49], 0, v[80:81]
	s_waitcnt vmcnt(0)
	v_mul_f32_e32 v53, s15, v53
	v_min_f32_e32 v52, v53, v52
	global_store_dword v[54:55], v52, off
	v_lshl_add_u64 v[52:53], v[66:67], 2, v[50:51]
	global_load_dword v52, v[52:53], off
	s_waitcnt vmcnt(0)
	v_mul_f32_e32 v53, s15, v52
.LBB73_82:
	v_pk_add_f32 v[54:55], v[20:21], v[44:45]
	s_mov_b64 s[2:3], -1
	v_min3_f32 v52, v54, v55, v119
	v_pk_add_f32 v[54:55], v[16:17], v[44:45]
	s_mov_b64 vcc, s[4:5]
	v_min3_f32 v56, v54, v55, v120
	v_pk_add_f32 v[54:55], v[22:23], v[46:47]
	s_nop 0
	v_min_f32_e32 v57, v54, v55
	v_pk_add_f32 v[54:55], v[18:19], v[46:47]
	s_nop 0
	v_min3_f32 v54, v54, v55, v56
	v_min3_f32 v55, v53, v57, v52
	v_lshl_add_u64 v[52:53], v[66:67], 2, v[48:49]
	global_store_dword v[52:53], v55, off
	v_max_f32_e32 v52, v54, v54
	s_cbranch_vccz .LBB73_84
; %bb.83:
	v_min_f32_e32 v53, 0, v52
	v_lshl_add_u64 v[54:55], v[78:79], 2, v[48:49]
	global_store_dword v[54:55], v53, off
	s_mov_b64 s[2:3], 0
.LBB73_84:
	;; [unrolled: 39-line block ×3, first 2 shown]
	s_andn2_b64 vcc, exec, s[2:3]
	v_mov_b32_e32 v53, 0
	s_cbranch_vccnz .LBB73_90
; %bb.89:
	v_lshl_add_u64 v[54:55], v[50:51], 0, v[86:87]
	global_load_dword v53, v[54:55], off
	v_lshl_add_u64 v[54:55], v[48:49], 0, v[86:87]
	v_lshl_add_u64 v[50:51], v[74:75], 2, v[50:51]
	s_waitcnt vmcnt(0)
	v_mul_f32_e32 v53, s15, v53
	v_min_f32_e32 v52, v53, v52
	global_store_dword v[54:55], v52, off
	global_load_dword v50, v[50:51], off
	s_waitcnt vmcnt(0)
	v_mul_f32_e32 v53, s15, v50
.LBB73_90:
	v_pk_add_f32 v[44:45], v[0:1], v[44:45]
	s_mov_b64 vcc, s[4:5]
	v_min3_f32 v50, v44, v45, v115
	v_pk_add_f32 v[44:45], v[32:33], v[40:41]
	s_nop 0
	v_min3_f32 v51, v44, v45, v116
	v_pk_add_f32 v[44:45], v[2:3], v[46:47]
	s_nop 0
	v_min_f32_e32 v46, v44, v45
	v_pk_add_f32 v[44:45], v[34:35], v[42:43]
	v_min3_f32 v46, v53, v46, v50
	v_min3_f32 v51, v44, v45, v51
	v_lshl_add_u64 v[44:45], v[74:75], 2, v[48:49]
	global_store_dword v[44:45], v46, off
	v_add_u32_e32 v46, 0xa0, v150
	v_mad_i64_i32 v[44:45], s[2:3], v46, s7, 0
	v_mad_i64_i32 v[46:47], s[2:3], v46, s6, 0
	v_lshl_add_u64 v[44:45], v[44:45], 2, s[0:1]
	s_mov_b64 s[2:3], -1
	v_max_f32_e32 v48, v51, v51
	s_cbranch_vccz .LBB73_92
; %bb.91:
	v_min_f32_e32 v49, 0, v48
	v_lshl_add_u64 v[50:51], v[68:69], 2, v[44:45]
	global_store_dword v[50:51], v49, off
	s_mov_b64 s[2:3], 0
.LBB73_92:
	v_lshl_add_u64 v[46:47], v[46:47], 2, s[12:13]
	s_andn2_b64 vcc, exec, s[2:3]
	v_mov_b32_e32 v49, 0
	s_cbranch_vccnz .LBB73_94
; %bb.93:
	v_lshl_add_u64 v[50:51], v[46:47], 0, v[72:73]
	global_load_dword v49, v[50:51], off
	v_lshl_add_u64 v[50:51], v[44:45], 0, v[72:73]
	s_waitcnt vmcnt(0)
	v_mul_f32_e32 v49, s15, v49
	v_min_f32_e32 v48, v49, v48
	global_store_dword v[50:51], v48, off
	v_lshl_add_u64 v[48:49], v[64:65], 2, v[46:47]
	global_load_dword v48, v[48:49], off
	s_waitcnt vmcnt(0)
	v_mul_f32_e32 v49, s15, v48
.LBB73_94:
	v_pk_add_f32 v[50:51], v[28:29], v[40:41]
	s_mov_b64 s[2:3], -1
	v_min3_f32 v48, v50, v51, v113
	v_pk_add_f32 v[50:51], v[24:25], v[40:41]
	s_mov_b64 vcc, s[4:5]
	v_min3_f32 v52, v50, v51, v114
	v_pk_add_f32 v[50:51], v[30:31], v[42:43]
	s_nop 0
	v_min_f32_e32 v53, v50, v51
	v_pk_add_f32 v[50:51], v[26:27], v[42:43]
	s_nop 0
	v_min3_f32 v50, v50, v51, v52
	v_min3_f32 v51, v49, v53, v48
	v_lshl_add_u64 v[48:49], v[64:65], 2, v[44:45]
	global_store_dword v[48:49], v51, off
	v_max_f32_e32 v48, v50, v50
	s_cbranch_vccz .LBB73_96
; %bb.95:
	v_min_f32_e32 v49, 0, v48
	v_lshl_add_u64 v[50:51], v[76:77], 2, v[44:45]
	global_store_dword v[50:51], v49, off
	s_mov_b64 s[2:3], 0
.LBB73_96:
	s_andn2_b64 vcc, exec, s[2:3]
	v_mov_b32_e32 v49, 0
	s_cbranch_vccnz .LBB73_98
; %bb.97:
	v_lshl_add_u64 v[50:51], v[46:47], 0, v[80:81]
	global_load_dword v49, v[50:51], off
	v_lshl_add_u64 v[50:51], v[44:45], 0, v[80:81]
	s_waitcnt vmcnt(0)
	v_mul_f32_e32 v49, s15, v49
	v_min_f32_e32 v48, v49, v48
	global_store_dword v[50:51], v48, off
	v_lshl_add_u64 v[48:49], v[66:67], 2, v[46:47]
	global_load_dword v48, v[48:49], off
	s_waitcnt vmcnt(0)
	v_mul_f32_e32 v49, s15, v48
.LBB73_98:
	v_pk_add_f32 v[50:51], v[20:21], v[40:41]
	s_mov_b64 s[2:3], -1
	v_min3_f32 v48, v50, v51, v111
	v_pk_add_f32 v[50:51], v[16:17], v[40:41]
	s_mov_b64 vcc, s[4:5]
	v_min3_f32 v52, v50, v51, v112
	v_pk_add_f32 v[50:51], v[22:23], v[42:43]
	s_nop 0
	v_min_f32_e32 v53, v50, v51
	v_pk_add_f32 v[50:51], v[18:19], v[42:43]
	s_nop 0
	v_min3_f32 v50, v50, v51, v52
	v_min3_f32 v51, v49, v53, v48
	v_lshl_add_u64 v[48:49], v[66:67], 2, v[44:45]
	global_store_dword v[48:49], v51, off
	v_max_f32_e32 v48, v50, v50
	s_cbranch_vccz .LBB73_100
; %bb.99:
	v_min_f32_e32 v49, 0, v48
	v_lshl_add_u64 v[50:51], v[78:79], 2, v[44:45]
	global_store_dword v[50:51], v49, off
	s_mov_b64 s[2:3], 0
.LBB73_100:
	;; [unrolled: 39-line block ×3, first 2 shown]
	s_andn2_b64 vcc, exec, s[2:3]
	v_mov_b32_e32 v49, 0
	s_cbranch_vccnz .LBB73_106
; %bb.105:
	v_lshl_add_u64 v[50:51], v[46:47], 0, v[86:87]
	global_load_dword v49, v[50:51], off
	v_lshl_add_u64 v[50:51], v[44:45], 0, v[86:87]
	v_lshl_add_u64 v[46:47], v[74:75], 2, v[46:47]
	s_waitcnt vmcnt(0)
	v_mul_f32_e32 v49, s15, v49
	v_min_f32_e32 v48, v49, v48
	global_store_dword v[50:51], v48, off
	global_load_dword v46, v[46:47], off
	s_waitcnt vmcnt(0)
	v_mul_f32_e32 v49, s15, v46
.LBB73_106:
	v_pk_add_f32 v[40:41], v[0:1], v[40:41]
	s_mov_b64 vcc, s[4:5]
	v_min3_f32 v46, v40, v41, v107
	v_pk_add_f32 v[40:41], v[32:33], v[36:37]
	s_nop 0
	v_min3_f32 v47, v40, v41, v110
	v_pk_add_f32 v[40:41], v[2:3], v[42:43]
	s_nop 0
	v_min_f32_e32 v42, v40, v41
	v_pk_add_f32 v[40:41], v[34:35], v[38:39]
	v_min3_f32 v42, v49, v42, v46
	v_min3_f32 v47, v40, v41, v47
	v_lshl_add_u64 v[40:41], v[74:75], 2, v[44:45]
	global_store_dword v[40:41], v42, off
	v_add_u32_e32 v42, 0xc0, v150
	v_mad_i64_i32 v[40:41], s[2:3], v42, s7, 0
	v_mad_i64_i32 v[42:43], s[2:3], v42, s6, 0
	v_lshl_add_u64 v[40:41], v[40:41], 2, s[0:1]
	s_mov_b64 s[2:3], -1
	v_max_f32_e32 v44, v47, v47
	s_cbranch_vccz .LBB73_108
; %bb.107:
	v_min_f32_e32 v45, 0, v44
	v_lshl_add_u64 v[46:47], v[68:69], 2, v[40:41]
	global_store_dword v[46:47], v45, off
	s_mov_b64 s[2:3], 0
.LBB73_108:
	v_lshl_add_u64 v[42:43], v[42:43], 2, s[12:13]
	s_andn2_b64 vcc, exec, s[2:3]
	v_mov_b32_e32 v45, 0
	s_cbranch_vccnz .LBB73_110
; %bb.109:
	v_lshl_add_u64 v[46:47], v[42:43], 0, v[72:73]
	global_load_dword v45, v[46:47], off
	v_lshl_add_u64 v[46:47], v[40:41], 0, v[72:73]
	s_waitcnt vmcnt(0)
	v_mul_f32_e32 v45, s15, v45
	v_min_f32_e32 v44, v45, v44
	global_store_dword v[46:47], v44, off
	v_lshl_add_u64 v[44:45], v[64:65], 2, v[42:43]
	global_load_dword v44, v[44:45], off
	s_waitcnt vmcnt(0)
	v_mul_f32_e32 v45, s15, v44
.LBB73_110:
	v_pk_add_f32 v[46:47], v[28:29], v[36:37]
	s_mov_b64 s[2:3], -1
	v_min3_f32 v44, v46, v47, v105
	v_pk_add_f32 v[46:47], v[24:25], v[36:37]
	s_mov_b64 vcc, s[4:5]
	v_min3_f32 v48, v46, v47, v106
	v_pk_add_f32 v[46:47], v[30:31], v[38:39]
	s_nop 0
	v_min_f32_e32 v49, v46, v47
	v_pk_add_f32 v[46:47], v[26:27], v[38:39]
	s_nop 0
	v_min3_f32 v46, v46, v47, v48
	v_min3_f32 v47, v45, v49, v44
	v_lshl_add_u64 v[44:45], v[64:65], 2, v[40:41]
	global_store_dword v[44:45], v47, off
	v_max_f32_e32 v44, v46, v46
	s_cbranch_vccz .LBB73_112
; %bb.111:
	v_min_f32_e32 v45, 0, v44
	v_lshl_add_u64 v[46:47], v[76:77], 2, v[40:41]
	global_store_dword v[46:47], v45, off
	s_mov_b64 s[2:3], 0
.LBB73_112:
	s_andn2_b64 vcc, exec, s[2:3]
	v_mov_b32_e32 v45, 0
	s_cbranch_vccnz .LBB73_114
; %bb.113:
	v_lshl_add_u64 v[46:47], v[42:43], 0, v[80:81]
	global_load_dword v45, v[46:47], off
	v_lshl_add_u64 v[46:47], v[40:41], 0, v[80:81]
	s_waitcnt vmcnt(0)
	v_mul_f32_e32 v45, s15, v45
	v_min_f32_e32 v44, v45, v44
	global_store_dword v[46:47], v44, off
	v_lshl_add_u64 v[44:45], v[66:67], 2, v[42:43]
	global_load_dword v44, v[44:45], off
	s_waitcnt vmcnt(0)
	v_mul_f32_e32 v45, s15, v44
.LBB73_114:
	v_pk_add_f32 v[46:47], v[20:21], v[36:37]
	s_mov_b64 s[2:3], -1
	v_min3_f32 v44, v46, v47, v103
	v_pk_add_f32 v[46:47], v[16:17], v[36:37]
	s_mov_b64 vcc, s[4:5]
	v_min3_f32 v48, v46, v47, v104
	v_pk_add_f32 v[46:47], v[22:23], v[38:39]
	s_nop 0
	v_min_f32_e32 v49, v46, v47
	v_pk_add_f32 v[46:47], v[18:19], v[38:39]
	s_nop 0
	v_min3_f32 v46, v46, v47, v48
	v_min3_f32 v47, v45, v49, v44
	v_lshl_add_u64 v[44:45], v[66:67], 2, v[40:41]
	global_store_dword v[44:45], v47, off
	v_max_f32_e32 v44, v46, v46
	s_cbranch_vccz .LBB73_116
; %bb.115:
	v_min_f32_e32 v45, 0, v44
	v_lshl_add_u64 v[46:47], v[78:79], 2, v[40:41]
	global_store_dword v[46:47], v45, off
	s_mov_b64 s[2:3], 0
.LBB73_116:
	;; [unrolled: 39-line block ×3, first 2 shown]
	s_andn2_b64 vcc, exec, s[2:3]
	v_mov_b32_e32 v45, 0
	s_cbranch_vccnz .LBB73_122
; %bb.121:
	v_lshl_add_u64 v[46:47], v[42:43], 0, v[86:87]
	global_load_dword v45, v[46:47], off
	v_lshl_add_u64 v[46:47], v[40:41], 0, v[86:87]
	v_lshl_add_u64 v[42:43], v[74:75], 2, v[42:43]
	s_waitcnt vmcnt(0)
	v_mul_f32_e32 v45, s15, v45
	v_min_f32_e32 v44, v45, v44
	global_store_dword v[46:47], v44, off
	global_load_dword v42, v[42:43], off
	s_waitcnt vmcnt(0)
	v_mul_f32_e32 v45, s15, v42
.LBB73_122:
	v_pk_add_f32 v[36:37], v[0:1], v[36:37]
	s_waitcnt lgkmcnt(0)
	v_pk_add_f32 v[32:33], v[32:33], v[4:5]
	v_min3_f32 v36, v36, v37, v99
	v_min3_f32 v37, v32, v33, v100
	v_pk_add_f32 v[32:33], v[2:3], v[38:39]
	s_mov_b64 vcc, s[4:5]
	v_min_f32_e32 v38, v32, v33
	v_pk_add_f32 v[32:33], v[34:35], v[6:7]
	v_min3_f32 v34, v45, v38, v36
	v_min3_f32 v37, v32, v33, v37
	v_lshl_add_u64 v[32:33], v[74:75], 2, v[40:41]
	global_store_dword v[32:33], v34, off
	v_add_u32_e32 v34, 0xe0, v150
	v_mad_i64_i32 v[32:33], s[2:3], v34, s7, 0
	v_lshl_add_u64 v[32:33], v[32:33], 2, s[0:1]
	v_mad_i64_i32 v[34:35], s[0:1], v34, s6, 0
	s_mov_b64 s[0:1], -1
	v_max_f32_e32 v36, v37, v37
	s_cbranch_vccz .LBB73_124
; %bb.123:
	v_min_f32_e32 v37, 0, v36
	v_lshl_add_u64 v[38:39], v[68:69], 2, v[32:33]
	global_store_dword v[38:39], v37, off
	s_mov_b64 s[0:1], 0
.LBB73_124:
	v_lshl_add_u64 v[34:35], v[34:35], 2, s[12:13]
	s_andn2_b64 vcc, exec, s[0:1]
	v_mov_b32_e32 v37, 0
	s_cbranch_vccnz .LBB73_126
; %bb.125:
	v_lshl_add_u64 v[38:39], v[34:35], 0, v[72:73]
	global_load_dword v37, v[38:39], off
	v_lshl_add_u64 v[38:39], v[32:33], 0, v[72:73]
	s_waitcnt vmcnt(0)
	v_mul_f32_e32 v37, s15, v37
	v_min_f32_e32 v36, v37, v36
	global_store_dword v[38:39], v36, off
	v_lshl_add_u64 v[36:37], v[64:65], 2, v[34:35]
	global_load_dword v36, v[36:37], off
	s_waitcnt vmcnt(0)
	v_mul_f32_e32 v37, s15, v36
.LBB73_126:
	v_pk_add_f32 v[28:29], v[28:29], v[4:5]
	v_pk_add_f32 v[24:25], v[24:25], v[4:5]
	v_min3_f32 v28, v28, v29, v96
	v_min3_f32 v29, v24, v25, v97
	v_pk_add_f32 v[24:25], v[30:31], v[6:7]
	s_mov_b64 s[0:1], -1
	v_min_f32_e32 v30, v24, v25
	v_pk_add_f32 v[24:25], v[26:27], v[6:7]
	v_min3_f32 v27, v37, v30, v28
	v_min3_f32 v26, v24, v25, v29
	v_lshl_add_u64 v[24:25], v[64:65], 2, v[32:33]
	global_store_dword v[24:25], v27, off
	v_max_f32_e32 v24, v26, v26
	s_mov_b64 vcc, s[4:5]
	s_cbranch_vccz .LBB73_128
; %bb.127:
	v_min_f32_e32 v25, 0, v24
	v_lshl_add_u64 v[26:27], v[76:77], 2, v[32:33]
	global_store_dword v[26:27], v25, off
	s_mov_b64 s[0:1], 0
.LBB73_128:
	s_andn2_b64 vcc, exec, s[0:1]
	v_mov_b32_e32 v25, 0
	s_cbranch_vccnz .LBB73_130
; %bb.129:
	v_lshl_add_u64 v[26:27], v[34:35], 0, v[80:81]
	global_load_dword v25, v[26:27], off
	v_lshl_add_u64 v[26:27], v[32:33], 0, v[80:81]
	s_waitcnt vmcnt(0)
	v_mul_f32_e32 v25, s15, v25
	v_min_f32_e32 v24, v25, v24
	global_store_dword v[26:27], v24, off
	v_lshl_add_u64 v[24:25], v[66:67], 2, v[34:35]
	global_load_dword v24, v[24:25], off
	s_waitcnt vmcnt(0)
	v_mul_f32_e32 v25, s15, v24
.LBB73_130:
	v_pk_add_f32 v[20:21], v[20:21], v[4:5]
	v_pk_add_f32 v[16:17], v[16:17], v[4:5]
	v_min3_f32 v20, v20, v21, v94
	v_min3_f32 v21, v16, v17, v95
	v_pk_add_f32 v[16:17], v[22:23], v[6:7]
	s_mov_b64 s[0:1], -1
	v_min_f32_e32 v22, v16, v17
	v_pk_add_f32 v[16:17], v[18:19], v[6:7]
	v_min3_f32 v19, v25, v22, v20
	v_min3_f32 v18, v16, v17, v21
	v_lshl_add_u64 v[16:17], v[66:67], 2, v[32:33]
	global_store_dword v[16:17], v19, off
	v_max_f32_e32 v16, v18, v18
	s_mov_b64 vcc, s[4:5]
	s_cbranch_vccz .LBB73_132
; %bb.131:
	v_min_f32_e32 v17, 0, v16
	v_lshl_add_u64 v[18:19], v[78:79], 2, v[32:33]
	global_store_dword v[18:19], v17, off
	s_mov_b64 s[0:1], 0
.LBB73_132:
	;; [unrolled: 37-line block ×3, first 2 shown]
	s_andn2_b64 vcc, exec, s[0:1]
	v_mov_b32_e32 v9, 0
	s_cbranch_vccnz .LBB73_138
; %bb.137:
	v_lshl_add_u64 v[10:11], v[34:35], 0, v[86:87]
	global_load_dword v9, v[10:11], off
	v_lshl_add_u64 v[10:11], v[32:33], 0, v[86:87]
	s_waitcnt vmcnt(0)
	v_mul_f32_e32 v9, s15, v9
	v_min_f32_e32 v8, v9, v8
	global_store_dword v[10:11], v8, off
	v_lshl_add_u64 v[8:9], v[74:75], 2, v[34:35]
	global_load_dword v8, v[8:9], off
	s_waitcnt vmcnt(0)
	v_mul_f32_e32 v9, s15, v8
.LBB73_138:
	v_pk_add_f32 v[2:3], v[2:3], v[6:7]
	v_pk_add_f32 v[0:1], v[0:1], v[4:5]
	v_min_f32_e32 v2, v2, v3
	v_min3_f32 v0, v0, v1, v98
	v_min3_f32 v2, v9, v2, v0
	v_lshl_add_u64 v[0:1], v[74:75], 2, v[32:33]
	global_store_dword v[0:1], v2, off
	s_endpgm
.LBB73_139:
	s_mov_b64 s[16:17], 0
	s_andn2_b64 vcc, exec, s[8:9]
	s_mov_b64 s[4:5], -1
	s_cbranch_vccz .LBB73_2
	s_branch .LBB73_3
	.section	.rodata,"a",@progbits
	.p2align	6, 0x0
	.amdhsa_kernel _ZN12_GLOBAL__N_120geam_min_plus_kernelIf15HIP_vector_typeIfLj2EEfLi8ELi32ELi64ELi256ELi4ELi4ELi64ELi64ELi4ELc84ELc84ELb1ELb0ELb1EfKffEEviiiT16_PT17_ilS6_ilS4_S6_ilPT18_ili26rocblas_geam_ex_operation_
		.amdhsa_group_segment_fixed_size 10240
		.amdhsa_private_segment_fixed_size 0
		.amdhsa_kernarg_size 128
		.amdhsa_user_sgpr_count 2
		.amdhsa_user_sgpr_dispatch_ptr 0
		.amdhsa_user_sgpr_queue_ptr 0
		.amdhsa_user_sgpr_kernarg_segment_ptr 1
		.amdhsa_user_sgpr_dispatch_id 0
		.amdhsa_user_sgpr_kernarg_preload_length 0
		.amdhsa_user_sgpr_kernarg_preload_offset 0
		.amdhsa_user_sgpr_private_segment_size 0
		.amdhsa_uses_dynamic_stack 0
		.amdhsa_enable_private_segment 0
		.amdhsa_system_sgpr_workgroup_id_x 1
		.amdhsa_system_sgpr_workgroup_id_y 0
		.amdhsa_system_sgpr_workgroup_id_z 1
		.amdhsa_system_sgpr_workgroup_info 0
		.amdhsa_system_vgpr_workitem_id 1
		.amdhsa_next_free_vgpr 176
		.amdhsa_next_free_sgpr 24
		.amdhsa_accum_offset 176
		.amdhsa_reserve_vcc 1
		.amdhsa_float_round_mode_32 0
		.amdhsa_float_round_mode_16_64 0
		.amdhsa_float_denorm_mode_32 3
		.amdhsa_float_denorm_mode_16_64 3
		.amdhsa_dx10_clamp 1
		.amdhsa_ieee_mode 1
		.amdhsa_fp16_overflow 0
		.amdhsa_tg_split 0
		.amdhsa_exception_fp_ieee_invalid_op 0
		.amdhsa_exception_fp_denorm_src 0
		.amdhsa_exception_fp_ieee_div_zero 0
		.amdhsa_exception_fp_ieee_overflow 0
		.amdhsa_exception_fp_ieee_underflow 0
		.amdhsa_exception_fp_ieee_inexact 0
		.amdhsa_exception_int_div_zero 0
	.end_amdhsa_kernel
	.section	.text._ZN12_GLOBAL__N_120geam_min_plus_kernelIf15HIP_vector_typeIfLj2EEfLi8ELi32ELi64ELi256ELi4ELi4ELi64ELi64ELi4ELc84ELc84ELb1ELb0ELb1EfKffEEviiiT16_PT17_ilS6_ilS4_S6_ilPT18_ili26rocblas_geam_ex_operation_,"axG",@progbits,_ZN12_GLOBAL__N_120geam_min_plus_kernelIf15HIP_vector_typeIfLj2EEfLi8ELi32ELi64ELi256ELi4ELi4ELi64ELi64ELi4ELc84ELc84ELb1ELb0ELb1EfKffEEviiiT16_PT17_ilS6_ilS4_S6_ilPT18_ili26rocblas_geam_ex_operation_,comdat
.Lfunc_end73:
	.size	_ZN12_GLOBAL__N_120geam_min_plus_kernelIf15HIP_vector_typeIfLj2EEfLi8ELi32ELi64ELi256ELi4ELi4ELi64ELi64ELi4ELc84ELc84ELb1ELb0ELb1EfKffEEviiiT16_PT17_ilS6_ilS4_S6_ilPT18_ili26rocblas_geam_ex_operation_, .Lfunc_end73-_ZN12_GLOBAL__N_120geam_min_plus_kernelIf15HIP_vector_typeIfLj2EEfLi8ELi32ELi64ELi256ELi4ELi4ELi64ELi64ELi4ELc84ELc84ELb1ELb0ELb1EfKffEEviiiT16_PT17_ilS6_ilS4_S6_ilPT18_ili26rocblas_geam_ex_operation_
                                        ; -- End function
	.set _ZN12_GLOBAL__N_120geam_min_plus_kernelIf15HIP_vector_typeIfLj2EEfLi8ELi32ELi64ELi256ELi4ELi4ELi64ELi64ELi4ELc84ELc84ELb1ELb0ELb1EfKffEEviiiT16_PT17_ilS6_ilS4_S6_ilPT18_ili26rocblas_geam_ex_operation_.num_vgpr, 176
	.set _ZN12_GLOBAL__N_120geam_min_plus_kernelIf15HIP_vector_typeIfLj2EEfLi8ELi32ELi64ELi256ELi4ELi4ELi64ELi64ELi4ELc84ELc84ELb1ELb0ELb1EfKffEEviiiT16_PT17_ilS6_ilS4_S6_ilPT18_ili26rocblas_geam_ex_operation_.num_agpr, 0
	.set _ZN12_GLOBAL__N_120geam_min_plus_kernelIf15HIP_vector_typeIfLj2EEfLi8ELi32ELi64ELi256ELi4ELi4ELi64ELi64ELi4ELc84ELc84ELb1ELb0ELb1EfKffEEviiiT16_PT17_ilS6_ilS4_S6_ilPT18_ili26rocblas_geam_ex_operation_.numbered_sgpr, 24
	.set _ZN12_GLOBAL__N_120geam_min_plus_kernelIf15HIP_vector_typeIfLj2EEfLi8ELi32ELi64ELi256ELi4ELi4ELi64ELi64ELi4ELc84ELc84ELb1ELb0ELb1EfKffEEviiiT16_PT17_ilS6_ilS4_S6_ilPT18_ili26rocblas_geam_ex_operation_.num_named_barrier, 0
	.set _ZN12_GLOBAL__N_120geam_min_plus_kernelIf15HIP_vector_typeIfLj2EEfLi8ELi32ELi64ELi256ELi4ELi4ELi64ELi64ELi4ELc84ELc84ELb1ELb0ELb1EfKffEEviiiT16_PT17_ilS6_ilS4_S6_ilPT18_ili26rocblas_geam_ex_operation_.private_seg_size, 0
	.set _ZN12_GLOBAL__N_120geam_min_plus_kernelIf15HIP_vector_typeIfLj2EEfLi8ELi32ELi64ELi256ELi4ELi4ELi64ELi64ELi4ELc84ELc84ELb1ELb0ELb1EfKffEEviiiT16_PT17_ilS6_ilS4_S6_ilPT18_ili26rocblas_geam_ex_operation_.uses_vcc, 1
	.set _ZN12_GLOBAL__N_120geam_min_plus_kernelIf15HIP_vector_typeIfLj2EEfLi8ELi32ELi64ELi256ELi4ELi4ELi64ELi64ELi4ELc84ELc84ELb1ELb0ELb1EfKffEEviiiT16_PT17_ilS6_ilS4_S6_ilPT18_ili26rocblas_geam_ex_operation_.uses_flat_scratch, 0
	.set _ZN12_GLOBAL__N_120geam_min_plus_kernelIf15HIP_vector_typeIfLj2EEfLi8ELi32ELi64ELi256ELi4ELi4ELi64ELi64ELi4ELc84ELc84ELb1ELb0ELb1EfKffEEviiiT16_PT17_ilS6_ilS4_S6_ilPT18_ili26rocblas_geam_ex_operation_.has_dyn_sized_stack, 0
	.set _ZN12_GLOBAL__N_120geam_min_plus_kernelIf15HIP_vector_typeIfLj2EEfLi8ELi32ELi64ELi256ELi4ELi4ELi64ELi64ELi4ELc84ELc84ELb1ELb0ELb1EfKffEEviiiT16_PT17_ilS6_ilS4_S6_ilPT18_ili26rocblas_geam_ex_operation_.has_recursion, 0
	.set _ZN12_GLOBAL__N_120geam_min_plus_kernelIf15HIP_vector_typeIfLj2EEfLi8ELi32ELi64ELi256ELi4ELi4ELi64ELi64ELi4ELc84ELc84ELb1ELb0ELb1EfKffEEviiiT16_PT17_ilS6_ilS4_S6_ilPT18_ili26rocblas_geam_ex_operation_.has_indirect_call, 0
	.section	.AMDGPU.csdata,"",@progbits
; Kernel info:
; codeLenInByte = 15700
; TotalNumSgprs: 30
; NumVgprs: 176
; NumAgprs: 0
; TotalNumVgprs: 176
; ScratchSize: 0
; MemoryBound: 0
; FloatMode: 240
; IeeeMode: 1
; LDSByteSize: 10240 bytes/workgroup (compile time only)
; SGPRBlocks: 3
; VGPRBlocks: 21
; NumSGPRsForWavesPerEU: 30
; NumVGPRsForWavesPerEU: 176
; AccumOffset: 176
; Occupancy: 2
; WaveLimiterHint : 1
; COMPUTE_PGM_RSRC2:SCRATCH_EN: 0
; COMPUTE_PGM_RSRC2:USER_SGPR: 2
; COMPUTE_PGM_RSRC2:TRAP_HANDLER: 0
; COMPUTE_PGM_RSRC2:TGID_X_EN: 1
; COMPUTE_PGM_RSRC2:TGID_Y_EN: 0
; COMPUTE_PGM_RSRC2:TGID_Z_EN: 1
; COMPUTE_PGM_RSRC2:TIDIG_COMP_CNT: 1
; COMPUTE_PGM_RSRC3_GFX90A:ACCUM_OFFSET: 43
; COMPUTE_PGM_RSRC3_GFX90A:TG_SPLIT: 0
	.section	.text._ZN12_GLOBAL__N_120geam_min_plus_kernelIf15HIP_vector_typeIfLj2EEfLi8ELi32ELi64ELi256ELi4ELi4ELi64ELi64ELi4ELc84ELc84ELb0ELb0ELb1EfKffEEviiiT16_PT17_ilS6_ilS4_S6_ilPT18_ili26rocblas_geam_ex_operation_,"axG",@progbits,_ZN12_GLOBAL__N_120geam_min_plus_kernelIf15HIP_vector_typeIfLj2EEfLi8ELi32ELi64ELi256ELi4ELi4ELi64ELi64ELi4ELc84ELc84ELb0ELb0ELb1EfKffEEviiiT16_PT17_ilS6_ilS4_S6_ilPT18_ili26rocblas_geam_ex_operation_,comdat
	.globl	_ZN12_GLOBAL__N_120geam_min_plus_kernelIf15HIP_vector_typeIfLj2EEfLi8ELi32ELi64ELi256ELi4ELi4ELi64ELi64ELi4ELc84ELc84ELb0ELb0ELb1EfKffEEviiiT16_PT17_ilS6_ilS4_S6_ilPT18_ili26rocblas_geam_ex_operation_ ; -- Begin function _ZN12_GLOBAL__N_120geam_min_plus_kernelIf15HIP_vector_typeIfLj2EEfLi8ELi32ELi64ELi256ELi4ELi4ELi64ELi64ELi4ELc84ELc84ELb0ELb0ELb1EfKffEEviiiT16_PT17_ilS6_ilS4_S6_ilPT18_ili26rocblas_geam_ex_operation_
	.p2align	8
	.type	_ZN12_GLOBAL__N_120geam_min_plus_kernelIf15HIP_vector_typeIfLj2EEfLi8ELi32ELi64ELi256ELi4ELi4ELi64ELi64ELi4ELc84ELc84ELb0ELb0ELb1EfKffEEviiiT16_PT17_ilS6_ilS4_S6_ilPT18_ili26rocblas_geam_ex_operation_,@function
_ZN12_GLOBAL__N_120geam_min_plus_kernelIf15HIP_vector_typeIfLj2EEfLi8ELi32ELi64ELi256ELi4ELi4ELi64ELi64ELi4ELc84ELc84ELb0ELb0ELb1EfKffEEviiiT16_PT17_ilS6_ilS4_S6_ilPT18_ili26rocblas_geam_ex_operation_: ; @_ZN12_GLOBAL__N_120geam_min_plus_kernelIf15HIP_vector_typeIfLj2EEfLi8ELi32ELi64ELi256ELi4ELi4ELi64ELi64ELi4ELc84ELc84ELb0ELb0ELb1EfKffEEviiiT16_PT17_ilS6_ilS4_S6_ilPT18_ili26rocblas_geam_ex_operation_
; %bb.0:
	s_load_dwordx2 s[18:19], s[0:1], 0x8
	s_load_dwordx4 s[8:11], s[0:1], 0x20
	s_waitcnt lgkmcnt(0)
	v_cmp_eq_f32_e64 s[6:7], s19, 0
	s_and_b64 s[4:5], exec, s[6:7]
	s_mov_b64 vcc, s[4:5]
	s_cbranch_vccnz .LBB74_175
; %bb.1:
	s_load_dwordx2 s[12:13], s[0:1], 0x10
	s_mul_i32 s9, s9, s3
	s_mul_hi_u32 s14, s8, s3
	s_add_i32 s9, s14, s9
	s_mul_i32 s8, s8, s3
	s_lshl_b64 s[8:9], s[8:9], 2
	s_waitcnt lgkmcnt(0)
	s_add_u32 s20, s12, s8
	s_addc_u32 s21, s13, s9
	s_andn2_b64 vcc, exec, s[6:7]
	s_mov_b64 s[6:7], -1
	s_cbranch_vccnz .LBB74_3
.LBB74_2:
	s_mov_b64 s[6:7], 0
.LBB74_3:
	s_mov_b64 s[16:17], 0
	s_andn2_b64 vcc, exec, s[6:7]
	s_mov_b64 s[22:23], 0
	s_cbranch_vccnz .LBB74_5
; %bb.4:
	s_load_dwordx2 s[6:7], s[0:1], 0x38
	s_waitcnt lgkmcnt(0)
	s_mul_i32 s7, s7, s3
	s_mul_hi_u32 s8, s6, s3
	s_add_i32 s7, s8, s7
	s_mul_i32 s6, s6, s3
	s_lshl_b64 s[6:7], s[6:7], 2
	s_add_u32 s22, s10, s6
	s_addc_u32 s23, s11, s7
.LBB74_5:
	s_load_dword s24, s[0:1], 0x40
	s_load_dwordx4 s[12:15], s[0:1], 0x58
	v_cmp_neq_f32_e64 s[10:11], s19, 0
	s_waitcnt lgkmcnt(0)
	v_cmp_eq_f32_e64 s[6:7], s24, 0
	s_and_b64 s[8:9], exec, s[6:7]
	s_mov_b64 vcc, s[8:9]
	s_cbranch_vccnz .LBB74_7
; %bb.6:
	s_load_dwordx2 s[6:7], s[0:1], 0x48
	s_mul_i32 s13, s13, s3
	s_mul_hi_u32 s16, s12, s3
	s_add_i32 s13, s16, s13
	s_mul_i32 s12, s12, s3
	s_lshl_b64 s[12:13], s[12:13], 2
	s_waitcnt lgkmcnt(0)
	s_add_u32 s16, s6, s12
	s_addc_u32 s17, s7, s13
.LBB74_7:
	s_load_dword s6, s[0:1], 0x0
	s_load_dword s27, s[0:1], 0x18
	v_and_b32_e32 v78, 0x3ff, v0
	v_bfe_u32 v79, v0, 10, 10
	v_and_b32_e32 v4, 3, v0
	s_waitcnt lgkmcnt(0)
	s_add_i32 s6, s6, -1
	s_ashr_i32 s7, s6, 31
	s_lshr_b32 s7, s7, 26
	s_add_i32 s6, s6, s7
	s_ashr_i32 s12, s6, 6
	s_add_i32 s13, s12, 1
	v_cvt_f32_u32_e32 v1, s13
	s_not_b32 s12, s12
	v_cndmask_b32_e64 v2, 0, 1, s[10:11]
	v_lshl_add_u32 v0, v79, 3, v78
	v_rcp_iflag_f32_e32 v1, v1
	v_lshrrev_b32_e32 v44, 2, v0
	v_mov_b32_e32 v3, 0
	v_cmp_ne_u32_e64 s[6:7], 1, v2
	v_mul_f32_e32 v1, 0x4f7ffffe, v1
	v_cvt_u32_f32_e32 v1, v1
	v_lshlrev_b32_e32 v8, 2, v4
	v_mov_b32_e32 v5, 0
	v_readfirstlane_b32 s25, v1
	s_mul_i32 s12, s12, s25
	s_mul_hi_u32 s12, s25, s12
	s_add_i32 s25, s25, s12
	s_mul_hi_u32 s12, s2, s25
	s_mul_i32 s25, s12, s13
	s_sub_i32 s25, s2, s25
	s_add_i32 s26, s12, 1
	s_sub_i32 s28, s25, s13
	s_cmp_ge_u32 s25, s13
	s_cselect_b32 s12, s26, s12
	s_cselect_b32 s25, s28, s25
	s_add_i32 s26, s12, 1
	s_cmp_ge_u32 s25, s13
	s_cselect_b32 s12, s26, s12
	s_mul_i32 s28, s12, s13
	s_andn2_b64 vcc, exec, s[10:11]
	s_sub_i32 s10, s2, s28
	s_lshl_b32 s25, s10, 6
	v_add_u32_e32 v2, s25, v44
	s_cbranch_vccnz .LBB74_9
; %bb.8:
	v_mad_i64_i32 v[4:5], s[10:11], v2, s27, 0
	v_lshl_add_u64 v[4:5], v[4:5], 2, s[20:21]
	v_mov_b32_e32 v9, 0
	v_lshl_add_u64 v[4:5], v[4:5], 0, v[8:9]
	global_load_dword v1, v[4:5], off
	s_waitcnt vmcnt(0)
	v_mul_f32_e32 v5, s19, v1
.LBB74_9:
	s_load_dword s10, s[0:1], 0x30
	v_and_b32_e32 v46, 63, v0
	v_lshrrev_b32_e32 v45, 6, v0
	s_lshl_b32 s26, s12, 8
	v_or_b32_e32 v10, s26, v46
	s_waitcnt lgkmcnt(0)
	v_mad_i64_i32 v[0:1], s[12:13], s10, v45, 0
	v_lshl_add_u64 v[0:1], v[0:1], 2, s[22:23]
	s_and_b64 vcc, exec, s[6:7]
	v_ashrrev_i32_e32 v11, 31, v10
	v_mov_b32_e32 v4, 0
	s_cbranch_vccnz .LBB74_11
; %bb.10:
	v_lshl_add_u64 v[6:7], v[10:11], 2, v[0:1]
	global_load_dword v3, v[6:7], off
	global_load_dword v9, v[6:7], off offset:256
	s_waitcnt vmcnt(1)
	v_mul_f32_e32 v4, s19, v3
	s_waitcnt vmcnt(0)
	v_mul_f32_e32 v3, s19, v9
.LBB74_11:
	s_ashr_i32 s11, s10, 31
	v_mov_b32_e32 v7, 0
	s_mov_b64 vcc, s[4:5]
	s_cbranch_vccz .LBB74_13
; %bb.12:
	s_mov_b32 s12, 0
	v_mov_b32_e32 v6, s12
	s_cbranch_execz .LBB74_14
	s_branch .LBB74_15
.LBB74_13:
                                        ; implicit-def: $vgpr6
.LBB74_14:
	v_lshl_add_u64 v[0:1], v[10:11], 2, v[0:1]
	global_load_dword v6, v[0:1], off offset:512
	global_load_dword v7, v[0:1], off offset:768
	s_waitcnt vmcnt(1)
	v_mul_f32_e32 v6, s19, v6
	s_waitcnt vmcnt(0)
	v_mul_f32_e32 v7, s19, v7
.LBB74_15:
	v_mov_b32_e32 v1, 0
	s_and_b64 vcc, exec, s[6:7]
	v_mov_b32_e32 v49, 0
	s_cbranch_vccnz .LBB74_17
; %bb.16:
	v_mad_i64_i32 v[12:13], s[12:13], v2, s27, 0
	v_lshl_add_u64 v[12:13], v[12:13], 2, s[20:21]
	v_mov_b32_e32 v9, 0
	v_lshl_add_u64 v[12:13], v[12:13], 0, v[8:9]
	global_load_dword v0, v[12:13], off offset:16
	s_waitcnt vmcnt(0)
	v_mul_f32_e32 v49, s19, v0
.LBB74_17:
	v_add_u32_e32 v0, 4, v45
	v_mad_i64_i32 v[12:13], s[12:13], s10, v0, 0
	v_lshl_add_u64 v[12:13], v[12:13], 2, s[22:23]
	s_and_b64 vcc, exec, s[6:7]
	v_mov_b32_e32 v0, 0
	s_cbranch_vccnz .LBB74_19
; %bb.18:
	v_lshl_add_u64 v[0:1], v[10:11], 2, v[12:13]
	global_load_dword v2, v[0:1], off
	global_load_dword v9, v[0:1], off offset:256
	s_waitcnt vmcnt(1)
	v_mul_f32_e32 v0, s19, v2
	s_waitcnt vmcnt(0)
	v_mul_f32_e32 v1, s19, v9
.LBB74_19:
	v_mov_b32_e32 v48, 0
	s_mov_b64 vcc, s[4:5]
	s_cbranch_vccz .LBB74_21
; %bb.20:
	s_mov_b32 s12, 0
	v_mov_b32_e32 v2, s12
	s_cbranch_execz .LBB74_22
	s_branch .LBB74_23
.LBB74_21:
                                        ; implicit-def: $vgpr2
.LBB74_22:
	v_lshl_add_u64 v[10:11], v[10:11], 2, v[12:13]
	global_load_dword v2, v[10:11], off offset:512
	global_load_dword v9, v[10:11], off offset:768
	s_waitcnt vmcnt(1)
	v_mul_f32_e32 v2, s19, v2
	s_waitcnt vmcnt(0)
	v_mul_f32_e32 v48, s19, v9
.LBB74_23:
	v_lshl_or_b32 v47, v44, 4, v8
	ds_write_b32 v47, v5 offset:8192
	v_lshlrev_b32_e32 v5, 4, v46
	v_lshl_add_u32 v82, v45, 2, v5
	v_lshlrev_b32_e32 v81, 4, v78
	ds_write2st64_b32 v82, v4, v3 offset1:4
	ds_write2st64_b32 v82, v6, v7 offset0:8 offset1:12
	s_waitcnt lgkmcnt(0)
	s_barrier
	v_lshlrev_b32_e32 v80, 4, v79
	ds_read_b128 v[32:35], v81 offset:8192
	ds_read_b128 v[28:31], v81 offset:8320
	;; [unrolled: 1-line block ×8, first 2 shown]
	ds_read_b128 v[50:53], v80
	ds_read_b128 v[54:57], v80 offset:512
	ds_read_b128 v[58:61], v80 offset:1024
	;; [unrolled: 1-line block ×4, first 2 shown]
	s_waitcnt lgkmcnt(4)
	v_pk_add_f32 v[62:63], v[32:33], v[50:51]
	s_mov_b32 s12, 0x7f7fffff
	v_min3_f32 v3, v62, v63, s12
	v_pk_add_f32 v[62:63], v[28:29], v[50:51]
	s_cmp_lt_i32 s18, 9
	v_min3_f32 v66, v62, v63, s12
	v_pk_add_f32 v[62:63], v[24:25], v[50:51]
	s_nop 0
	v_min3_f32 v67, v62, v63, s12
	v_pk_add_f32 v[62:63], v[20:21], v[50:51]
	s_nop 0
	v_min3_f32 v68, v62, v63, s12
	v_pk_add_f32 v[62:63], v[16:17], v[50:51]
	s_nop 0
	v_min3_f32 v69, v62, v63, s12
	v_pk_add_f32 v[62:63], v[12:13], v[50:51]
	s_nop 0
	v_min3_f32 v70, v62, v63, s12
	v_pk_add_f32 v[62:63], v[8:9], v[50:51]
	v_pk_add_f32 v[50:51], v[4:5], v[50:51]
	v_min3_f32 v71, v62, v63, s12
	v_min3_f32 v72, v50, v51, s12
	s_waitcnt lgkmcnt(3)
	v_pk_add_f32 v[50:51], v[32:33], v[54:55]
	ds_read_b128 v[62:65], v80 offset:2560
	v_min3_f32 v73, v50, v51, s12
	v_pk_add_f32 v[50:51], v[28:29], v[54:55]
	s_nop 0
	v_min3_f32 v74, v50, v51, s12
	v_pk_add_f32 v[50:51], v[24:25], v[54:55]
	s_nop 0
	;; [unrolled: 3-line block ×7, first 2 shown]
	v_min3_f32 v54, v50, v51, s12
	s_waitcnt lgkmcnt(3)
	v_pk_add_f32 v[50:51], v[32:33], v[58:59]
	s_nop 0
	v_min3_f32 v55, v50, v51, s12
	v_pk_add_f32 v[50:51], v[28:29], v[58:59]
	s_nop 0
	v_min3_f32 v91, v50, v51, s12
	;; [unrolled: 3-line block ×8, first 2 shown]
	s_waitcnt lgkmcnt(2)
	v_pk_add_f32 v[50:51], v[32:33], v[40:41]
	s_nop 0
	v_min3_f32 v59, v50, v51, s12
	v_pk_add_f32 v[50:51], v[28:29], v[40:41]
	s_nop 0
	v_min3_f32 v97, v50, v51, s12
	;; [unrolled: 3-line block ×6, first 2 shown]
	v_pk_add_f32 v[50:51], v[8:9], v[40:41]
	v_pk_add_f32 v[40:41], v[4:5], v[40:41]
	v_min3_f32 v50, v50, v51, s12
	v_min3_f32 v51, v40, v41, s12
	s_waitcnt lgkmcnt(1)
	v_pk_add_f32 v[40:41], v[32:33], v[36:37]
	s_nop 0
	v_min3_f32 v102, v40, v41, s12
	v_pk_add_f32 v[40:41], v[28:29], v[36:37]
	s_nop 0
	v_min3_f32 v103, v40, v41, s12
	;; [unrolled: 3-line block ×6, first 2 shown]
	v_pk_add_f32 v[40:41], v[8:9], v[36:37]
	v_pk_add_f32 v[36:37], v[4:5], v[36:37]
	v_min3_f32 v108, v40, v41, s12
	v_min3_f32 v109, v36, v37, s12
	v_pk_add_f32 v[36:37], v[34:35], v[52:53]
	s_waitcnt lgkmcnt(0)
	v_pk_add_f32 v[40:41], v[24:25], v[62:63]
	v_min3_f32 v88, v36, v37, v3
	v_pk_add_f32 v[36:37], v[30:31], v[52:53]
	s_nop 0
	v_min3_f32 v149, v36, v37, v66
	v_pk_add_f32 v[36:37], v[26:27], v[52:53]
	s_nop 0
	;; [unrolled: 3-line block ×16, first 2 shown]
	v_min3_f32 v66, v36, v37, s12
	v_pk_add_f32 v[36:37], v[6:7], v[56:57]
	v_min3_f32 v56, v40, v41, s12
	v_min3_f32 v140, v36, v37, v54
	v_pk_add_f32 v[36:37], v[34:35], v[60:61]
	v_pk_add_f32 v[40:41], v[20:21], v[62:63]
	v_min3_f32 v139, v36, v37, v55
	v_pk_add_f32 v[36:37], v[30:31], v[60:61]
	v_min3_f32 v57, v40, v41, s12
	v_min3_f32 v138, v36, v37, v91
	v_pk_add_f32 v[36:37], v[26:27], v[60:61]
	v_pk_add_f32 v[40:41], v[8:9], v[62:63]
	v_min3_f32 v137, v36, v37, v92
	v_pk_add_f32 v[36:37], v[22:23], v[60:61]
	s_nop 0
	v_min3_f32 v136, v36, v37, v93
	v_pk_add_f32 v[36:37], v[18:19], v[60:61]
	s_nop 0
	;; [unrolled: 3-line block ×6, first 2 shown]
	v_min3_f32 v55, v36, v37, s12
	v_pk_add_f32 v[36:37], v[6:7], v[60:61]
	v_min3_f32 v60, v40, v41, s12
	v_min3_f32 v132, v36, v37, v58
	v_pk_add_f32 v[36:37], v[34:35], v[42:43]
	v_pk_add_f32 v[40:41], v[4:5], v[62:63]
	v_min3_f32 v131, v36, v37, v59
	v_pk_add_f32 v[36:37], v[30:31], v[42:43]
	v_min3_f32 v61, v40, v41, s12
	v_min3_f32 v130, v36, v37, v97
	v_pk_add_f32 v[36:37], v[26:27], v[42:43]
	s_nop 0
	v_min3_f32 v129, v36, v37, v98
	v_pk_add_f32 v[36:37], v[22:23], v[42:43]
	s_nop 0
	;; [unrolled: 3-line block ×5, first 2 shown]
	v_min3_f32 v125, v36, v37, v50
	v_pk_add_f32 v[36:37], v[6:7], v[42:43]
	ds_read_b128 v[40:43], v80 offset:3072
	v_min3_f32 v124, v36, v37, v51
	v_pk_add_f32 v[36:37], v[34:35], v[38:39]
	ds_read_b128 v[50:53], v80 offset:3584
	v_min3_f32 v123, v36, v37, v102
	v_pk_add_f32 v[36:37], v[30:31], v[38:39]
	ds_write_b32 v47, v49 offset:9216
	ds_write2st64_b32 v82, v0, v1 offset0:16 offset1:20
	ds_write2st64_b32 v82, v2, v48 offset0:24 offset1:28
	v_min3_f32 v122, v36, v37, v103
	v_pk_add_f32 v[36:37], v[26:27], v[38:39]
	s_waitcnt lgkmcnt(0)
	v_min3_f32 v121, v36, v37, v104
	v_pk_add_f32 v[36:37], v[22:23], v[38:39]
	s_barrier
	v_min3_f32 v120, v36, v37, v105
	v_pk_add_f32 v[36:37], v[18:19], v[38:39]
	s_nop 0
	v_min3_f32 v119, v36, v37, v106
	v_pk_add_f32 v[36:37], v[14:15], v[38:39]
	s_nop 0
	;; [unrolled: 3-line block ×3, first 2 shown]
	v_min3_f32 v115, v36, v37, v108
	v_pk_add_f32 v[36:37], v[32:33], v[40:41]
	v_pk_add_f32 v[32:33], v[32:33], v[50:51]
	v_min3_f32 v58, v36, v37, s12
	v_pk_add_f32 v[36:37], v[28:29], v[40:41]
	v_pk_add_f32 v[28:29], v[28:29], v[50:51]
	;; [unrolled: 3-line block ×3, first 2 shown]
	v_min3_f32 v118, v36, v37, v109
	v_pk_add_f32 v[36:37], v[34:35], v[64:65]
	v_min3_f32 v62, v38, v39, s12
	v_min3_f32 v117, v36, v37, v3
	v_pk_add_f32 v[36:37], v[30:31], v[64:65]
	v_pk_add_f32 v[38:39], v[20:21], v[40:41]
	v_min3_f32 v114, v36, v37, v66
	v_pk_add_f32 v[36:37], v[26:27], v[64:65]
	v_min3_f32 v63, v38, v39, s12
	v_min3_f32 v113, v36, v37, v56
	v_pk_add_f32 v[36:37], v[22:23], v[64:65]
	v_pk_add_f32 v[38:39], v[8:9], v[40:41]
	v_min3_f32 v112, v36, v37, v57
	v_pk_add_f32 v[36:37], v[18:19], v[64:65]
	v_pk_add_f32 v[24:25], v[24:25], v[50:51]
	;; [unrolled: 3-line block ×3, first 2 shown]
	v_min3_f32 v110, v36, v37, v55
	v_pk_add_f32 v[36:37], v[10:11], v[64:65]
	v_min3_f32 v55, v38, v39, s12
	v_min3_f32 v109, v36, v37, v60
	v_pk_add_f32 v[36:37], v[16:17], v[40:41]
	v_pk_add_f32 v[38:39], v[4:5], v[40:41]
	v_min3_f32 v3, v36, v37, s12
	v_pk_add_f32 v[36:37], v[12:13], v[40:41]
	v_pk_add_f32 v[4:5], v[4:5], v[50:51]
	v_min3_f32 v54, v36, v37, s12
	v_pk_add_f32 v[36:37], v[6:7], v[64:65]
	v_min3_f32 v24, v24, v25, s12
	v_min3_f32 v108, v36, v37, v61
	v_pk_add_f32 v[36:37], v[34:35], v[42:43]
	v_pk_add_f32 v[20:21], v[20:21], v[50:51]
	v_min3_f32 v107, v36, v37, v58
	v_pk_add_f32 v[36:37], v[30:31], v[42:43]
	v_min3_f32 v8, v8, v9, s12
	v_min3_f32 v106, v36, v37, v59
	v_pk_add_f32 v[36:37], v[26:27], v[42:43]
	v_min3_f32 v9, v4, v5, s12
	v_min3_f32 v105, v36, v37, v62
	v_pk_add_f32 v[36:37], v[22:23], v[42:43]
	v_pk_add_f32 v[4:5], v[26:27], v[52:53]
	v_min3_f32 v104, v36, v37, v63
	v_pk_add_f32 v[36:37], v[18:19], v[42:43]
	v_min3_f32 v20, v20, v21, s12
	v_min3_f32 v103, v36, v37, v3
	;; [unrolled: 1-line block ×4, first 2 shown]
	v_pk_add_f32 v[28:29], v[34:35], v[52:53]
	v_pk_add_f32 v[16:17], v[16:17], v[50:51]
	v_min3_f32 v97, v4, v5, v24
	v_pk_add_f32 v[4:5], v[22:23], v[52:53]
	v_min3_f32 v100, v28, v29, v3
	v_min3_f32 v3, v16, v17, s12
	v_pk_add_f32 v[12:13], v[12:13], v[50:51]
	v_min3_f32 v96, v4, v5, v20
	v_pk_add_f32 v[4:5], v[18:19], v[52:53]
	v_pk_add_f32 v[36:37], v[14:15], v[42:43]
	v_min3_f32 v16, v12, v13, s12
	v_min3_f32 v95, v4, v5, v3
	v_pk_add_f32 v[4:5], v[14:15], v[52:53]
	v_min3_f32 v102, v36, v37, v54
	v_pk_add_f32 v[36:37], v[10:11], v[42:43]
	;; [unrolled: 2-line block ×3, first 2 shown]
	v_min3_f32 v38, v38, v39, s12
	v_min3_f32 v101, v36, v37, v55
	v_pk_add_f32 v[36:37], v[6:7], v[42:43]
	v_pk_add_f32 v[12:13], v[30:31], v[52:53]
	v_min3_f32 v93, v4, v5, v8
	v_pk_add_f32 v[4:5], v[6:7], v[52:53]
	v_min3_f32 v99, v36, v37, v38
	v_min3_f32 v98, v12, v13, v32
	;; [unrolled: 1-line block ×3, first 2 shown]
	s_cbranch_scc1 .LBB74_46
; %bb.24:
	v_mov_b32_e32 v0, 0x2400
	v_lshl_add_u32 v151, v78, 4, v0
	v_mov_b32_e32 v0, 0x1000
	v_lshl_add_u32 v152, v79, 4, v0
	v_lshl_add_u32 v0, s2, 6, v44
	s_lshl_b32 s2, s28, 6
	v_subrev_u32_e32 v0, s2, v0
	v_and_b32_e32 v2, 3, v78
	v_mad_i64_i32 v[0:1], s[12:13], s27, v0, 0
	v_lshlrev_b32_e32 v2, 2, v2
	v_mov_b32_e32 v3, 0
	v_lshl_add_u64 v[0:1], v[0:1], 2, v[2:3]
	v_lshl_add_u64 v[0:1], s[20:21], 0, v[0:1]
	v_lshl_add_u64 v[68:69], v[0:1], 0, 32
	v_add_u32_e32 v0, s26, v46
	v_ashrrev_i32_e32 v1, 31, v0
	v_lshlrev_b64 v[70:71], 2, v[0:1]
	v_add_u32_e32 v0, 8, v45
	v_mad_i64_i32 v[0:1], s[12:13], v0, s10, 0
	v_lshl_add_u64 v[72:73], v[0:1], 2, s[22:23]
	v_add_u32_e32 v0, 12, v45
	s_lshl_b64 s[12:13], s[10:11], 5
	v_mad_i64_i32 v[0:1], s[10:11], v0, s10, 0
	v_add_u32_e32 v89, 0x2000, v47
	v_add_u32_e32 v90, 0x2000, v81
	;; [unrolled: 1-line block ×3, first 2 shown]
	v_or_b32_e32 v150, 0x1000, v82
	s_add_i32 s18, s18, -8
	v_lshl_add_u64 v[74:75], v[0:1], 2, s[22:23]
	s_mov_b32 s2, 0
	s_mov_b32 s20, 0
	s_branch .LBB74_26
.LBB74_25:                              ;   in Loop: Header=BB74_26 Depth=1
	v_pk_add_f32 v[76:77], v[32:33], v[64:65]
	s_add_i32 s20, s20, 8
	v_min3_f32 v88, v76, v77, v88
	v_pk_add_f32 v[76:77], v[28:29], v[64:65]
	v_lshl_add_u64 v[68:69], v[68:69], 0, 32
	v_min3_f32 v149, v76, v77, v149
	v_pk_add_f32 v[76:77], v[24:25], v[64:65]
	v_lshl_add_u64 v[72:73], v[72:73], 0, s[12:13]
	v_min3_f32 v87, v76, v77, v87
	v_pk_add_f32 v[76:77], v[20:21], v[64:65]
	s_cmp_ge_i32 s20, s18
	v_min3_f32 v86, v76, v77, v86
	v_pk_add_f32 v[76:77], v[16:17], v[64:65]
	v_lshl_add_u64 v[74:75], v[74:75], 0, s[12:13]
	v_min3_f32 v83, v76, v77, v83
	v_pk_add_f32 v[76:77], v[12:13], v[64:65]
	s_nop 0
	v_min3_f32 v85, v76, v77, v85
	v_pk_add_f32 v[76:77], v[8:9], v[64:65]
	v_pk_add_f32 v[64:65], v[4:5], v[64:65]
	v_min3_f32 v76, v76, v77, v84
	v_min3_f32 v77, v64, v65, v148
	v_pk_add_f32 v[64:65], v[32:33], v[60:61]
	s_nop 0
	v_min3_f32 v84, v64, v65, v147
	v_pk_add_f32 v[64:65], v[28:29], v[60:61]
	s_nop 0
	v_min3_f32 v146, v64, v65, v146
	v_pk_add_f32 v[64:65], v[24:25], v[60:61]
	s_nop 0
	v_min3_f32 v145, v64, v65, v145
	v_pk_add_f32 v[64:65], v[20:21], v[60:61]
	s_nop 0
	v_min3_f32 v144, v64, v65, v144
	v_pk_add_f32 v[64:65], v[16:17], v[60:61]
	s_nop 0
	v_min3_f32 v143, v64, v65, v143
	v_pk_add_f32 v[64:65], v[12:13], v[60:61]
	s_nop 0
	v_min3_f32 v142, v64, v65, v142
	v_pk_add_f32 v[64:65], v[8:9], v[60:61]
	v_pk_add_f32 v[60:61], v[4:5], v[60:61]
	v_min3_f32 v64, v64, v65, v141
	v_min3_f32 v65, v60, v61, v140
	v_pk_add_f32 v[60:61], v[32:33], v[56:57]
	s_nop 0
	v_min3_f32 v139, v60, v61, v139
	v_pk_add_f32 v[60:61], v[28:29], v[56:57]
	s_nop 0
	v_min3_f32 v138, v60, v61, v138
	v_pk_add_f32 v[60:61], v[24:25], v[56:57]
	s_nop 0
	v_min3_f32 v137, v60, v61, v137
	v_pk_add_f32 v[60:61], v[20:21], v[56:57]
	s_nop 0
	v_min3_f32 v136, v60, v61, v136
	v_pk_add_f32 v[60:61], v[16:17], v[56:57]
	s_nop 0
	;; [unrolled: 22-line block ×5, first 2 shown]
	v_min3_f32 v111, v48, v49, v111
	v_pk_add_f32 v[48:49], v[12:13], v[44:45]
	s_nop 0
	v_min3_f32 v110, v48, v49, v110
	v_pk_add_f32 v[48:49], v[8:9], v[44:45]
	v_pk_add_f32 v[44:45], v[4:5], v[44:45]
	v_min3_f32 v48, v48, v49, v109
	v_min3_f32 v49, v44, v45, v108
	v_pk_add_f32 v[44:45], v[32:33], v[40:41]
	v_pk_add_f32 v[32:33], v[32:33], v[36:37]
	v_min3_f32 v107, v44, v45, v107
	v_pk_add_f32 v[44:45], v[28:29], v[40:41]
	v_pk_add_f32 v[28:29], v[28:29], v[36:37]
	;; [unrolled: 3-line block ×7, first 2 shown]
	v_pk_add_f32 v[8:9], v[8:9], v[36:37]
	v_pk_add_f32 v[4:5], v[4:5], v[36:37]
	v_min3_f32 v8, v8, v9, v93
	v_min3_f32 v9, v4, v5, v92
	v_pk_add_f32 v[4:5], v[34:35], v[66:67]
	v_min3_f32 v12, v12, v13, v94
	v_min3_f32 v88, v4, v5, v88
	;; [unrolled: 3-line block ×9, first 2 shown]
	v_pk_add_f32 v[4:5], v[34:35], v[62:63]
	s_nop 0
	v_min3_f32 v84, v4, v5, v84
	v_pk_add_f32 v[4:5], v[30:31], v[62:63]
	s_nop 0
	v_min3_f32 v95, v4, v5, v146
	v_pk_add_f32 v[4:5], v[26:27], v[62:63]
	s_nop 0
	v_min3_f32 v96, v4, v5, v145
	v_pk_add_f32 v[4:5], v[22:23], v[62:63]
	s_nop 0
	v_min3_f32 v97, v4, v5, v144
	v_pk_add_f32 v[4:5], v[18:19], v[62:63]
	s_nop 0
	v_min3_f32 v98, v4, v5, v143
	v_pk_add_f32 v[4:5], v[14:15], v[62:63]
	s_nop 0
	v_min3_f32 v99, v4, v5, v142
	v_pk_add_f32 v[4:5], v[10:11], v[62:63]
	s_nop 0
	v_min3_f32 v100, v4, v5, v64
	v_pk_add_f32 v[4:5], v[6:7], v[62:63]
	s_nop 0
	v_min3_f32 v101, v4, v5, v65
	v_pk_add_f32 v[4:5], v[34:35], v[58:59]
	s_nop 0
	v_min3_f32 v108, v4, v5, v139
	v_pk_add_f32 v[4:5], v[30:31], v[58:59]
	s_nop 0
	v_min3_f32 v109, v4, v5, v138
	v_pk_add_f32 v[4:5], v[26:27], v[58:59]
	s_nop 0
	v_min3_f32 v117, v4, v5, v137
	v_pk_add_f32 v[4:5], v[22:23], v[58:59]
	s_nop 0
	v_min3_f32 v118, v4, v5, v136
	v_pk_add_f32 v[4:5], v[18:19], v[58:59]
	s_nop 0
	v_min3_f32 v124, v4, v5, v135
	v_pk_add_f32 v[4:5], v[14:15], v[58:59]
	s_nop 0
	v_min3_f32 v125, v4, v5, v134
	v_pk_add_f32 v[4:5], v[10:11], v[58:59]
	s_nop 0
	v_min3_f32 v132, v4, v5, v60
	v_pk_add_f32 v[4:5], v[6:7], v[58:59]
	s_nop 0
	v_min3_f32 v133, v4, v5, v61
	v_pk_add_f32 v[4:5], v[34:35], v[54:55]
	s_nop 0
	v_min3_f32 v131, v4, v5, v131
	v_pk_add_f32 v[4:5], v[30:31], v[54:55]
	s_nop 0
	v_min3_f32 v130, v4, v5, v130
	v_pk_add_f32 v[4:5], v[26:27], v[54:55]
	s_nop 0
	v_min3_f32 v129, v4, v5, v129
	v_pk_add_f32 v[4:5], v[22:23], v[54:55]
	s_nop 0
	v_min3_f32 v128, v4, v5, v128
	v_pk_add_f32 v[4:5], v[18:19], v[54:55]
	s_nop 0
	v_min3_f32 v127, v4, v5, v127
	v_pk_add_f32 v[4:5], v[14:15], v[54:55]
	s_nop 0
	v_min3_f32 v126, v4, v5, v126
	v_pk_add_f32 v[4:5], v[10:11], v[54:55]
	s_nop 0
	v_min3_f32 v134, v4, v5, v56
	v_pk_add_f32 v[4:5], v[6:7], v[54:55]
	s_nop 0
	v_min3_f32 v135, v4, v5, v57
	v_pk_add_f32 v[4:5], v[34:35], v[50:51]
	s_nop 0
	v_min3_f32 v123, v4, v5, v123
	v_pk_add_f32 v[4:5], v[30:31], v[50:51]
	s_nop 0
	v_min3_f32 v122, v4, v5, v122
	v_pk_add_f32 v[4:5], v[26:27], v[50:51]
	s_nop 0
	v_min3_f32 v121, v4, v5, v121
	v_pk_add_f32 v[4:5], v[22:23], v[50:51]
	s_nop 0
	v_min3_f32 v120, v4, v5, v120
	v_pk_add_f32 v[4:5], v[18:19], v[50:51]
	s_nop 0
	v_min3_f32 v119, v4, v5, v119
	v_pk_add_f32 v[4:5], v[14:15], v[50:51]
	s_nop 0
	v_min3_f32 v116, v4, v5, v116
	v_pk_add_f32 v[4:5], v[10:11], v[50:51]
	s_nop 0
	v_min3_f32 v136, v4, v5, v52
	v_pk_add_f32 v[4:5], v[6:7], v[50:51]
	s_nop 0
	v_min3_f32 v137, v4, v5, v53
	v_pk_add_f32 v[4:5], v[34:35], v[46:47]
	s_nop 0
	v_min3_f32 v115, v4, v5, v115
	v_pk_add_f32 v[4:5], v[30:31], v[46:47]
	s_nop 0
	v_min3_f32 v114, v4, v5, v114
	v_pk_add_f32 v[4:5], v[26:27], v[46:47]
	s_nop 0
	v_min3_f32 v113, v4, v5, v113
	v_pk_add_f32 v[4:5], v[22:23], v[46:47]
	s_nop 0
	v_min3_f32 v112, v4, v5, v112
	v_pk_add_f32 v[4:5], v[18:19], v[46:47]
	s_nop 0
	v_min3_f32 v111, v4, v5, v111
	v_pk_add_f32 v[4:5], v[14:15], v[46:47]
	s_nop 0
	v_min3_f32 v110, v4, v5, v110
	v_pk_add_f32 v[4:5], v[10:11], v[46:47]
	s_nop 0
	v_min3_f32 v138, v4, v5, v48
	v_pk_add_f32 v[4:5], v[6:7], v[46:47]
	s_nop 0
	v_min3_f32 v139, v4, v5, v49
	v_pk_add_f32 v[4:5], v[34:35], v[42:43]
	s_nop 0
	v_min3_f32 v107, v4, v5, v107
	v_pk_add_f32 v[4:5], v[30:31], v[42:43]
	s_nop 0
	v_min3_f32 v106, v4, v5, v106
	v_pk_add_f32 v[4:5], v[26:27], v[42:43]
	s_nop 0
	v_min3_f32 v105, v4, v5, v105
	v_pk_add_f32 v[4:5], v[22:23], v[42:43]
	s_nop 0
	v_min3_f32 v104, v4, v5, v104
	v_pk_add_f32 v[4:5], v[18:19], v[42:43]
	s_nop 0
	v_min3_f32 v103, v4, v5, v103
	v_pk_add_f32 v[4:5], v[14:15], v[42:43]
	s_nop 0
	v_min3_f32 v102, v4, v5, v102
	v_pk_add_f32 v[4:5], v[10:11], v[42:43]
	s_nop 0
	v_min3_f32 v140, v4, v5, v44
	v_pk_add_f32 v[4:5], v[6:7], v[42:43]
	s_nop 0
	v_min3_f32 v141, v4, v5, v40
	v_pk_add_f32 v[4:5], v[34:35], v[38:39]
	s_nop 0
	v_min3_f32 v142, v4, v5, v32
	v_pk_add_f32 v[4:5], v[30:31], v[38:39]
	s_nop 0
	v_min3_f32 v143, v4, v5, v28
	v_pk_add_f32 v[4:5], v[26:27], v[38:39]
	s_nop 0
	v_min3_f32 v144, v4, v5, v24
	v_pk_add_f32 v[4:5], v[22:23], v[38:39]
	s_nop 0
	v_min3_f32 v145, v4, v5, v20
	v_pk_add_f32 v[4:5], v[18:19], v[38:39]
	s_nop 0
	v_min3_f32 v146, v4, v5, v16
	v_pk_add_f32 v[4:5], v[14:15], v[38:39]
	s_nop 0
	v_min3_f32 v147, v4, v5, v12
	v_pk_add_f32 v[4:5], v[10:11], v[38:39]
	s_nop 0
	v_min3_f32 v148, v4, v5, v8
	v_pk_add_f32 v[4:5], v[6:7], v[38:39]
	s_nop 0
	v_min3_f32 v149, v4, v5, v9
	ds_read_b128 v[4:7], v90
	ds_read_b128 v[8:11], v90 offset:128
	ds_read_b128 v[12:15], v90 offset:256
	;; [unrolled: 1-line block ×7, first 2 shown]
	ds_read_b128 v[40:43], v80
	ds_read_b128 v[44:47], v80 offset:512
	ds_read_b128 v[48:51], v80 offset:1024
	;; [unrolled: 1-line block ×7, first 2 shown]
	s_waitcnt lgkmcnt(7)
	v_pk_add_f32 v[76:77], v[4:5], v[40:41]
	ds_write_b32 v91, v153
	ds_write2st64_b32 v150, v0, v1 offset1:4
	ds_write2st64_b32 v150, v2, v3 offset0:8 offset1:12
	v_min3_f32 v88, v76, v77, v88
	v_pk_add_f32 v[76:77], v[8:9], v[40:41]
	s_waitcnt lgkmcnt(0)
	v_min3_f32 v92, v76, v77, v92
	v_pk_add_f32 v[76:77], v[12:13], v[40:41]
	s_barrier
	v_min3_f32 v87, v76, v77, v87
	v_pk_add_f32 v[76:77], v[16:17], v[40:41]
	s_nop 0
	v_min3_f32 v86, v76, v77, v86
	v_pk_add_f32 v[76:77], v[20:21], v[40:41]
	s_nop 0
	;; [unrolled: 3-line block ×3, first 2 shown]
	v_min3_f32 v85, v76, v77, v85
	v_pk_add_f32 v[76:77], v[28:29], v[40:41]
	v_pk_add_f32 v[40:41], v[32:33], v[40:41]
	v_min3_f32 v76, v76, v77, v93
	v_min3_f32 v77, v40, v41, v94
	v_pk_add_f32 v[40:41], v[4:5], v[44:45]
	s_nop 0
	v_min3_f32 v93, v40, v41, v84
	v_pk_add_f32 v[40:41], v[8:9], v[44:45]
	s_nop 0
	;; [unrolled: 3-line block ×40, first 2 shown]
	v_min3_f32 v60, v40, v41, v139
	v_pk_add_f32 v[40:41], v[4:5], v[64:65]
	v_pk_add_f32 v[4:5], v[4:5], v[36:37]
	v_min3_f32 v61, v40, v41, v107
	v_pk_add_f32 v[40:41], v[8:9], v[64:65]
	s_nop 0
	v_min3_f32 v106, v40, v41, v106
	v_pk_add_f32 v[40:41], v[12:13], v[64:65]
	s_nop 0
	;; [unrolled: 3-line block ×7, first 2 shown]
	v_min3_f32 v40, v40, v41, v141
	v_min3_f32 v41, v4, v5, v142
	v_pk_add_f32 v[4:5], v[8:9], v[36:37]
	s_nop 0
	v_min3_f32 v8, v4, v5, v143
	v_pk_add_f32 v[4:5], v[12:13], v[36:37]
	s_nop 0
	;; [unrolled: 3-line block ×71, first 2 shown]
	v_min3_f32 v92, v4, v5, v20
	s_cbranch_scc1 .LBB74_46
.LBB74_26:                              ; =>This Inner Loop Header: Depth=1
	s_and_b64 vcc, exec, s[6:7]
	v_mov_b32_e32 v76, 0
	s_cbranch_vccnz .LBB74_28
; %bb.27:                               ;   in Loop: Header=BB74_26 Depth=1
	global_load_dword v0, v[68:69], off
	s_waitcnt vmcnt(0)
	v_mul_f32_e32 v76, s19, v0
.LBB74_28:                              ;   in Loop: Header=BB74_26 Depth=1
	s_mov_b64 s[10:11], -1
	s_mov_b64 vcc, s[4:5]
                                        ; implicit-def: $vgpr0_vgpr1_vgpr2_vgpr3
	s_cbranch_vccnz .LBB74_39
; %bb.29:                               ;   in Loop: Header=BB74_26 Depth=1
	v_mov_b32_e32 v1, 0
	s_andn2_b64 vcc, exec, s[10:11]
	v_lshl_add_u64 v[4:5], v[72:73], 0, v[70:71]
	s_cbranch_vccz .LBB74_40
.LBB74_30:                              ;   in Loop: Header=BB74_26 Depth=1
	s_mov_b64 s[10:11], -1
	s_mov_b64 vcc, s[4:5]
                                        ; implicit-def: $vgpr2
	s_cbranch_vccnz .LBB74_41
.LBB74_31:                              ;   in Loop: Header=BB74_26 Depth=1
	v_mov_b32_e32 v153, 0
	s_andn2_b64 vcc, exec, s[10:11]
	v_mov_b32_e32 v3, 0
	s_cbranch_vccnz .LBB74_33
.LBB74_32:                              ;   in Loop: Header=BB74_26 Depth=1
	global_load_dword v2, v[4:5], off offset:512
	global_load_dword v3, v[4:5], off offset:768
	s_waitcnt vmcnt(1)
	v_mul_f32_e32 v2, s19, v2
	s_waitcnt vmcnt(0)
	v_mul_f32_e32 v3, s19, v3
.LBB74_33:                              ;   in Loop: Header=BB74_26 Depth=1
	ds_read_b128 v[32:35], v151
	ds_read_b128 v[28:31], v151 offset:128
	ds_read_b128 v[24:27], v151 offset:256
	;; [unrolled: 1-line block ×7, first 2 shown]
	ds_read_b128 v[64:67], v152
	ds_read_b128 v[60:63], v152 offset:512
	ds_read_b128 v[56:59], v152 offset:1024
	;; [unrolled: 1-line block ×7, first 2 shown]
	s_and_b64 vcc, exec, s[6:7]
	ds_write_b32 v89, v76
	ds_write2st64_b32 v82, v0, v1 offset1:4
	ds_write2st64_b32 v82, v2, v3 offset0:8 offset1:12
	s_waitcnt lgkmcnt(0)
	s_barrier
	s_cbranch_vccnz .LBB74_35
; %bb.34:                               ;   in Loop: Header=BB74_26 Depth=1
	global_load_dword v0, v[68:69], off offset:16
	s_waitcnt vmcnt(0)
	v_mul_f32_e32 v153, s19, v0
.LBB74_35:                              ;   in Loop: Header=BB74_26 Depth=1
	s_mov_b64 s[10:11], -1
	s_mov_b64 vcc, s[4:5]
                                        ; implicit-def: $vgpr0_vgpr1_vgpr2_vgpr3
	s_cbranch_vccnz .LBB74_42
; %bb.36:                               ;   in Loop: Header=BB74_26 Depth=1
	v_mov_b32_e32 v1, 0
	s_andn2_b64 vcc, exec, s[10:11]
	v_lshl_add_u64 v[76:77], v[74:75], 0, v[70:71]
	s_cbranch_vccz .LBB74_43
.LBB74_37:                              ;   in Loop: Header=BB74_26 Depth=1
	s_mov_b64 s[10:11], -1
	s_mov_b64 vcc, s[4:5]
                                        ; implicit-def: $vgpr2
	s_cbranch_vccnz .LBB74_44
.LBB74_38:                              ;   in Loop: Header=BB74_26 Depth=1
	s_andn2_b64 vcc, exec, s[10:11]
	v_mov_b32_e32 v3, 0
	s_cbranch_vccnz .LBB74_25
	s_branch .LBB74_45
.LBB74_39:                              ;   in Loop: Header=BB74_26 Depth=1
	v_mov_b32_e32 v0, s2
	v_mov_b32_e32 v1, 0
	v_lshl_add_u64 v[4:5], v[72:73], 0, v[70:71]
	s_cbranch_execnz .LBB74_30
.LBB74_40:                              ;   in Loop: Header=BB74_26 Depth=1
	global_load_dword v0, v[4:5], off
	global_load_dword v1, v[4:5], off offset:256
	s_waitcnt vmcnt(1)
	v_mul_f32_e32 v0, s19, v0
	s_waitcnt vmcnt(0)
	v_mul_f32_e32 v1, s19, v1
	s_mov_b64 s[10:11], -1
	s_mov_b64 vcc, s[4:5]
                                        ; implicit-def: $vgpr2
	s_cbranch_vccz .LBB74_31
.LBB74_41:                              ;   in Loop: Header=BB74_26 Depth=1
	v_mov_b32_e32 v2, s2
	v_mov_b32_e32 v153, 0
	;; [unrolled: 1-line block ×3, first 2 shown]
	s_cbranch_execz .LBB74_32
	s_branch .LBB74_33
.LBB74_42:                              ;   in Loop: Header=BB74_26 Depth=1
	v_mov_b32_e32 v0, s2
	v_mov_b32_e32 v1, 0
	v_lshl_add_u64 v[76:77], v[74:75], 0, v[70:71]
	s_cbranch_execnz .LBB74_37
.LBB74_43:                              ;   in Loop: Header=BB74_26 Depth=1
	global_load_dword v0, v[76:77], off
	global_load_dword v1, v[76:77], off offset:256
	s_waitcnt vmcnt(1)
	v_mul_f32_e32 v0, s19, v0
	s_waitcnt vmcnt(0)
	v_mul_f32_e32 v1, s19, v1
	s_mov_b64 s[10:11], -1
	s_mov_b64 vcc, s[4:5]
                                        ; implicit-def: $vgpr2
	s_cbranch_vccz .LBB74_38
.LBB74_44:                              ;   in Loop: Header=BB74_26 Depth=1
	v_mov_b32_e32 v2, s2
	v_mov_b32_e32 v3, 0
	s_cbranch_execnz .LBB74_25
.LBB74_45:                              ;   in Loop: Header=BB74_26 Depth=1
	global_load_dword v2, v[76:77], off offset:512
	global_load_dword v3, v[76:77], off offset:768
	s_waitcnt vmcnt(1)
	v_mul_f32_e32 v2, s19, v2
	s_waitcnt vmcnt(0)
	v_mul_f32_e32 v3, s19, v3
	s_branch .LBB74_25
.LBB74_46:
	s_load_dwordx2 s[6:7], s[0:1], 0x70
	s_load_dword s4, s[0:1], 0x50
	s_load_dword s5, s[0:1], 0x68
	ds_read_b128 v[32:35], v81 offset:9216
	ds_read_b128 v[60:63], v80 offset:4096
	s_waitcnt lgkmcnt(0)
	s_mul_i32 s0, s7, s3
	s_mul_hi_u32 s1, s6, s3
	s_add_i32 s1, s1, s0
	s_mul_i32 s0, s6, s3
	s_lshl_b64 s[0:1], s[0:1], 2
	v_pk_add_f32 v[0:1], v[32:33], v[60:61]
	s_add_u32 s0, s14, s0
	v_min3_f32 v2, v0, v1, v88
	v_pk_add_f32 v[0:1], v[34:35], v[62:63]
	v_add_u32_e32 v150, s26, v79
	s_addc_u32 s1, s15, s1
	v_min3_f32 v2, v0, v1, v2
	v_add_u32_e32 v68, s25, v78
	v_mad_i64_i32 v[0:1], s[2:3], v150, s5, 0
	v_add_u32_e32 v64, 8, v68
	v_lshl_add_u64 v[88:89], v[0:1], 2, s[0:1]
	v_mad_i64_i32 v[0:1], s[2:3], v150, s4, 0
	v_ashrrev_i32_e32 v69, 31, v68
	v_ashrrev_i32_e32 v65, 31, v64
	s_mov_b64 s[2:3], -1
	v_max_f32_e32 v2, v2, v2
	s_mov_b64 vcc, s[8:9]
	s_cbranch_vccz .LBB74_48
; %bb.47:
	v_min_f32_e32 v3, 0, v2
	v_lshl_add_u64 v[4:5], v[68:69], 2, v[88:89]
	global_store_dword v[4:5], v3, off
	s_mov_b64 s[2:3], 0
.LBB74_48:
	ds_read_b128 v[28:31], v81 offset:9344
	ds_read_b128 v[24:27], v81 offset:9472
	v_lshl_add_u64 v[90:91], v[0:1], 2, s[16:17]
	v_mov_b32_e32 v70, 0
	s_andn2_b64 vcc, exec, s[2:3]
	v_lshlrev_b64 v[72:73], 2, v[68:69]
	s_cbranch_vccnz .LBB74_50
; %bb.49:
	v_lshl_add_u64 v[0:1], v[90:91], 0, v[72:73]
	global_load_dword v3, v[0:1], off
	v_lshl_add_u64 v[0:1], v[88:89], 0, v[72:73]
	s_waitcnt vmcnt(0)
	v_mul_f32_e32 v3, s24, v3
	v_min_f32_e32 v2, v3, v2
	global_store_dword v[0:1], v2, off
	v_lshl_add_u64 v[0:1], v[64:65], 2, v[90:91]
	global_load_dword v0, v[0:1], off
	s_waitcnt vmcnt(0)
	v_mul_f32_e32 v70, s24, v0
.LBB74_50:
	ds_read_b128 v[16:19], v81 offset:9728
	ds_read_b128 v[12:15], v81 offset:9856
	;; [unrolled: 1-line block ×12, first 2 shown]
	s_waitcnt lgkmcnt(13)
	v_pk_add_f32 v[66:67], v[28:29], v[60:61]
	v_add_u32_e32 v76, 16, v68
	v_min3_f32 v71, v66, v67, v149
	s_waitcnt lgkmcnt(12)
	v_pk_add_f32 v[66:67], v[24:25], v[60:61]
	v_ashrrev_i32_e32 v77, 31, v76
	v_min3_f32 v74, v66, v67, v87
	v_pk_add_f32 v[66:67], v[30:31], v[62:63]
	s_mov_b64 s[2:3], -1
	v_min_f32_e32 v75, v66, v67
	v_pk_add_f32 v[66:67], v[26:27], v[62:63]
	v_min3_f32 v75, v70, v75, v71
	v_min3_f32 v74, v66, v67, v74
	v_add_u32_e32 v66, 24, v68
	v_lshl_add_u64 v[70:71], v[64:65], 2, v[88:89]
	v_ashrrev_i32_e32 v67, 31, v66
	global_store_dword v[70:71], v75, off
	v_max_f32_e32 v70, v74, v74
	s_mov_b64 vcc, s[8:9]
	s_cbranch_vccz .LBB74_52
; %bb.51:
	v_min_f32_e32 v71, 0, v70
	v_lshl_add_u64 v[74:75], v[76:77], 2, v[88:89]
	global_store_dword v[74:75], v71, off
	s_mov_b64 s[2:3], 0
.LBB74_52:
	v_mov_b32_e32 v74, 0
	s_andn2_b64 vcc, exec, s[2:3]
	v_lshlrev_b64 v[80:81], 2, v[76:77]
	s_cbranch_vccnz .LBB74_54
; %bb.53:
	v_lshl_add_u64 v[74:75], v[90:91], 0, v[80:81]
	global_load_dword v71, v[74:75], off
	v_lshl_add_u64 v[74:75], v[88:89], 0, v[80:81]
	s_waitcnt vmcnt(0)
	v_mul_f32_e32 v71, s24, v71
	v_min_f32_e32 v70, v71, v70
	global_store_dword v[74:75], v70, off
	v_lshl_add_u64 v[70:71], v[66:67], 2, v[90:91]
	global_load_dword v70, v[70:71], off
	s_waitcnt vmcnt(0)
	v_mul_f32_e32 v74, s24, v70
.LBB74_54:
	s_waitcnt lgkmcnt(1)
	v_pk_add_f32 v[70:71], v[20:21], v[60:61]
	s_mov_b64 s[2:3], -1
	v_min3_f32 v75, v70, v71, v86
	v_pk_add_f32 v[70:71], v[16:17], v[60:61]
	s_mov_b64 vcc, s[8:9]
	v_min3_f32 v78, v70, v71, v83
	v_pk_add_f32 v[70:71], v[22:23], v[62:63]
	s_nop 0
	v_min_f32_e32 v82, v70, v71
	v_pk_add_f32 v[70:71], v[18:19], v[62:63]
	v_min3_f32 v82, v74, v82, v75
	v_min3_f32 v83, v70, v71, v78
	v_add_u32_e32 v78, 32, v68
	v_add_u32_e32 v70, 40, v68
	v_lshl_add_u64 v[74:75], v[66:67], 2, v[88:89]
	v_ashrrev_i32_e32 v79, 31, v78
	v_ashrrev_i32_e32 v71, 31, v70
	global_store_dword v[74:75], v82, off
	v_max_f32_e32 v74, v83, v83
	s_cbranch_vccz .LBB74_56
; %bb.55:
	v_min_f32_e32 v75, 0, v74
	v_lshl_add_u64 v[82:83], v[78:79], 2, v[88:89]
	global_store_dword v[82:83], v75, off
	s_mov_b64 s[2:3], 0
.LBB74_56:
	v_mov_b32_e32 v86, 0
	s_andn2_b64 vcc, exec, s[2:3]
	v_lshlrev_b64 v[82:83], 2, v[78:79]
	s_cbranch_vccnz .LBB74_58
; %bb.57:
	v_lshl_add_u64 v[86:87], v[90:91], 0, v[82:83]
	global_load_dword v75, v[86:87], off
	v_lshl_add_u64 v[86:87], v[88:89], 0, v[82:83]
	s_waitcnt vmcnt(0)
	v_mul_f32_e32 v75, s24, v75
	v_min_f32_e32 v74, v75, v74
	global_store_dword v[86:87], v74, off
	v_lshl_add_u64 v[74:75], v[70:71], 2, v[90:91]
	global_load_dword v74, v[74:75], off
	s_waitcnt vmcnt(0)
	v_mul_f32_e32 v86, s24, v74
.LBB74_58:
	v_pk_add_f32 v[74:75], v[12:13], v[60:61]
	s_mov_b64 s[2:3], -1
	v_min3_f32 v87, v74, v75, v85
	v_pk_add_f32 v[74:75], v[8:9], v[60:61]
	s_mov_b64 vcc, s[8:9]
	v_min3_f32 v84, v74, v75, v84
	v_pk_add_f32 v[74:75], v[14:15], v[62:63]
	s_nop 0
	v_min_f32_e32 v149, v74, v75
	v_pk_add_f32 v[74:75], v[10:11], v[62:63]
	v_min3_f32 v149, v86, v149, v87
	v_min3_f32 v151, v74, v75, v84
	v_add_u32_e32 v84, 48, v68
	v_add_u32_e32 v74, 56, v68
	v_lshl_add_u64 v[86:87], v[70:71], 2, v[88:89]
	v_ashrrev_i32_e32 v85, 31, v84
	v_ashrrev_i32_e32 v75, 31, v74
	global_store_dword v[86:87], v149, off
	v_max_f32_e32 v149, v151, v151
	s_cbranch_vccz .LBB74_60
; %bb.59:
	v_min_f32_e32 v151, 0, v149
	v_lshl_add_u64 v[86:87], v[84:85], 2, v[88:89]
	global_store_dword v[86:87], v151, off
	s_mov_b64 s[2:3], 0
.LBB74_60:
	v_mov_b32_e32 v151, 0
	s_andn2_b64 vcc, exec, s[2:3]
	v_lshlrev_b64 v[86:87], 2, v[84:85]
	s_cbranch_vccnz .LBB74_62
; %bb.61:
	v_lshl_add_u64 v[152:153], v[90:91], 0, v[86:87]
	global_load_dword v151, v[152:153], off
	v_lshl_add_u64 v[152:153], v[88:89], 0, v[86:87]
	v_lshl_add_u64 v[90:91], v[74:75], 2, v[90:91]
	s_waitcnt vmcnt(0)
	v_mul_f32_e32 v151, s24, v151
	v_min_f32_e32 v149, v151, v149
	global_store_dword v[152:153], v149, off
	global_load_dword v90, v[90:91], off
	s_waitcnt vmcnt(0)
	v_mul_f32_e32 v151, s24, v90
.LBB74_62:
	v_pk_add_f32 v[60:61], v[0:1], v[60:61]
	s_mov_b64 vcc, s[8:9]
	v_min3_f32 v90, v60, v61, v148
	v_pk_add_f32 v[60:61], v[32:33], v[56:57]
	s_nop 0
	v_min3_f32 v91, v60, v61, v147
	v_pk_add_f32 v[60:61], v[2:3], v[62:63]
	s_nop 0
	v_min_f32_e32 v62, v60, v61
	v_pk_add_f32 v[60:61], v[34:35], v[58:59]
	v_min3_f32 v62, v151, v62, v90
	v_min3_f32 v91, v60, v61, v91
	v_lshl_add_u64 v[60:61], v[74:75], 2, v[88:89]
	global_store_dword v[60:61], v62, off
	v_add_u32_e32 v62, 32, v150
	v_mad_i64_i32 v[60:61], s[2:3], v62, s5, 0
	v_mad_i64_i32 v[62:63], s[2:3], v62, s4, 0
	v_lshl_add_u64 v[60:61], v[60:61], 2, s[0:1]
	s_mov_b64 s[2:3], -1
	v_max_f32_e32 v88, v91, v91
	s_cbranch_vccz .LBB74_64
; %bb.63:
	v_min_f32_e32 v89, 0, v88
	v_lshl_add_u64 v[90:91], v[68:69], 2, v[60:61]
	global_store_dword v[90:91], v89, off
	s_mov_b64 s[2:3], 0
.LBB74_64:
	v_lshl_add_u64 v[62:63], v[62:63], 2, s[16:17]
	s_andn2_b64 vcc, exec, s[2:3]
	v_mov_b32_e32 v89, 0
	s_cbranch_vccnz .LBB74_66
; %bb.65:
	v_lshl_add_u64 v[90:91], v[62:63], 0, v[72:73]
	global_load_dword v89, v[90:91], off
	v_lshl_add_u64 v[90:91], v[60:61], 0, v[72:73]
	s_waitcnt vmcnt(0)
	v_mul_f32_e32 v89, s24, v89
	v_min_f32_e32 v88, v89, v88
	global_store_dword v[90:91], v88, off
	v_lshl_add_u64 v[88:89], v[64:65], 2, v[62:63]
	global_load_dword v88, v[88:89], off
	s_waitcnt vmcnt(0)
	v_mul_f32_e32 v89, s24, v88
.LBB74_66:
	v_pk_add_f32 v[90:91], v[28:29], v[56:57]
	s_mov_b64 s[2:3], -1
	v_min3_f32 v88, v90, v91, v146
	v_pk_add_f32 v[90:91], v[24:25], v[56:57]
	s_mov_b64 vcc, s[8:9]
	v_min3_f32 v145, v90, v91, v145
	v_pk_add_f32 v[90:91], v[30:31], v[58:59]
	s_nop 0
	v_min_f32_e32 v146, v90, v91
	v_pk_add_f32 v[90:91], v[26:27], v[58:59]
	s_nop 0
	v_min3_f32 v90, v90, v91, v145
	v_min3_f32 v91, v89, v146, v88
	v_lshl_add_u64 v[88:89], v[64:65], 2, v[60:61]
	global_store_dword v[88:89], v91, off
	v_max_f32_e32 v88, v90, v90
	s_cbranch_vccz .LBB74_68
; %bb.67:
	v_min_f32_e32 v89, 0, v88
	v_lshl_add_u64 v[90:91], v[76:77], 2, v[60:61]
	global_store_dword v[90:91], v89, off
	s_mov_b64 s[2:3], 0
.LBB74_68:
	s_andn2_b64 vcc, exec, s[2:3]
	v_mov_b32_e32 v89, 0
	s_cbranch_vccnz .LBB74_70
; %bb.69:
	v_lshl_add_u64 v[90:91], v[62:63], 0, v[80:81]
	global_load_dword v89, v[90:91], off
	v_lshl_add_u64 v[90:91], v[60:61], 0, v[80:81]
	s_waitcnt vmcnt(0)
	v_mul_f32_e32 v89, s24, v89
	v_min_f32_e32 v88, v89, v88
	global_store_dword v[90:91], v88, off
	v_lshl_add_u64 v[88:89], v[66:67], 2, v[62:63]
	global_load_dword v88, v[88:89], off
	s_waitcnt vmcnt(0)
	v_mul_f32_e32 v89, s24, v88
.LBB74_70:
	v_pk_add_f32 v[90:91], v[20:21], v[56:57]
	s_mov_b64 s[2:3], -1
	v_min3_f32 v88, v90, v91, v144
	v_pk_add_f32 v[90:91], v[16:17], v[56:57]
	s_mov_b64 vcc, s[8:9]
	v_min3_f32 v143, v90, v91, v143
	v_pk_add_f32 v[90:91], v[22:23], v[58:59]
	s_nop 0
	v_min_f32_e32 v144, v90, v91
	v_pk_add_f32 v[90:91], v[18:19], v[58:59]
	s_nop 0
	v_min3_f32 v90, v90, v91, v143
	v_min3_f32 v91, v89, v144, v88
	v_lshl_add_u64 v[88:89], v[66:67], 2, v[60:61]
	global_store_dword v[88:89], v91, off
	v_max_f32_e32 v88, v90, v90
	s_cbranch_vccz .LBB74_72
; %bb.71:
	v_min_f32_e32 v89, 0, v88
	v_lshl_add_u64 v[90:91], v[78:79], 2, v[60:61]
	global_store_dword v[90:91], v89, off
	s_mov_b64 s[2:3], 0
.LBB74_72:
	;; [unrolled: 39-line block ×3, first 2 shown]
	s_andn2_b64 vcc, exec, s[2:3]
	v_mov_b32_e32 v89, 0
	s_cbranch_vccnz .LBB74_78
; %bb.77:
	v_lshl_add_u64 v[90:91], v[62:63], 0, v[86:87]
	global_load_dword v89, v[90:91], off
	v_lshl_add_u64 v[90:91], v[60:61], 0, v[86:87]
	v_lshl_add_u64 v[62:63], v[74:75], 2, v[62:63]
	s_waitcnt vmcnt(0)
	v_mul_f32_e32 v89, s24, v89
	v_min_f32_e32 v88, v89, v88
	global_store_dword v[90:91], v88, off
	global_load_dword v62, v[62:63], off
	s_waitcnt vmcnt(0)
	v_mul_f32_e32 v89, s24, v62
.LBB74_78:
	v_pk_add_f32 v[56:57], v[0:1], v[56:57]
	s_mov_b64 vcc, s[8:9]
	v_min3_f32 v62, v56, v57, v140
	v_pk_add_f32 v[56:57], v[32:33], v[52:53]
	s_nop 0
	v_min3_f32 v63, v56, v57, v139
	v_pk_add_f32 v[56:57], v[2:3], v[58:59]
	s_nop 0
	v_min_f32_e32 v58, v56, v57
	v_pk_add_f32 v[56:57], v[34:35], v[54:55]
	v_min3_f32 v58, v89, v58, v62
	v_min3_f32 v63, v56, v57, v63
	v_lshl_add_u64 v[56:57], v[74:75], 2, v[60:61]
	global_store_dword v[56:57], v58, off
	v_add_u32_e32 v58, 64, v150
	v_mad_i64_i32 v[56:57], s[2:3], v58, s5, 0
	v_mad_i64_i32 v[58:59], s[2:3], v58, s4, 0
	v_lshl_add_u64 v[56:57], v[56:57], 2, s[0:1]
	s_mov_b64 s[2:3], -1
	v_max_f32_e32 v60, v63, v63
	s_cbranch_vccz .LBB74_80
; %bb.79:
	v_min_f32_e32 v61, 0, v60
	v_lshl_add_u64 v[62:63], v[68:69], 2, v[56:57]
	global_store_dword v[62:63], v61, off
	s_mov_b64 s[2:3], 0
.LBB74_80:
	v_lshl_add_u64 v[58:59], v[58:59], 2, s[16:17]
	s_andn2_b64 vcc, exec, s[2:3]
	v_mov_b32_e32 v61, 0
	s_cbranch_vccnz .LBB74_82
; %bb.81:
	v_lshl_add_u64 v[62:63], v[58:59], 0, v[72:73]
	global_load_dword v61, v[62:63], off
	v_lshl_add_u64 v[62:63], v[56:57], 0, v[72:73]
	s_waitcnt vmcnt(0)
	v_mul_f32_e32 v61, s24, v61
	v_min_f32_e32 v60, v61, v60
	global_store_dword v[62:63], v60, off
	v_lshl_add_u64 v[60:61], v[64:65], 2, v[58:59]
	global_load_dword v60, v[60:61], off
	s_waitcnt vmcnt(0)
	v_mul_f32_e32 v61, s24, v60
.LBB74_82:
	v_pk_add_f32 v[62:63], v[28:29], v[52:53]
	s_mov_b64 s[2:3], -1
	v_min3_f32 v60, v62, v63, v138
	v_pk_add_f32 v[62:63], v[24:25], v[52:53]
	s_mov_b64 vcc, s[8:9]
	v_min3_f32 v88, v62, v63, v137
	v_pk_add_f32 v[62:63], v[30:31], v[54:55]
	s_nop 0
	v_min_f32_e32 v89, v62, v63
	v_pk_add_f32 v[62:63], v[26:27], v[54:55]
	s_nop 0
	v_min3_f32 v62, v62, v63, v88
	v_min3_f32 v63, v61, v89, v60
	v_lshl_add_u64 v[60:61], v[64:65], 2, v[56:57]
	global_store_dword v[60:61], v63, off
	v_max_f32_e32 v60, v62, v62
	s_cbranch_vccz .LBB74_84
; %bb.83:
	v_min_f32_e32 v61, 0, v60
	v_lshl_add_u64 v[62:63], v[76:77], 2, v[56:57]
	global_store_dword v[62:63], v61, off
	s_mov_b64 s[2:3], 0
.LBB74_84:
	s_andn2_b64 vcc, exec, s[2:3]
	v_mov_b32_e32 v61, 0
	s_cbranch_vccnz .LBB74_86
; %bb.85:
	v_lshl_add_u64 v[62:63], v[58:59], 0, v[80:81]
	global_load_dword v61, v[62:63], off
	v_lshl_add_u64 v[62:63], v[56:57], 0, v[80:81]
	s_waitcnt vmcnt(0)
	v_mul_f32_e32 v61, s24, v61
	v_min_f32_e32 v60, v61, v60
	global_store_dword v[62:63], v60, off
	v_lshl_add_u64 v[60:61], v[66:67], 2, v[58:59]
	global_load_dword v60, v[60:61], off
	s_waitcnt vmcnt(0)
	v_mul_f32_e32 v61, s24, v60
.LBB74_86:
	v_pk_add_f32 v[62:63], v[20:21], v[52:53]
	s_mov_b64 s[2:3], -1
	v_min3_f32 v60, v62, v63, v136
	v_pk_add_f32 v[62:63], v[16:17], v[52:53]
	s_mov_b64 vcc, s[8:9]
	v_min3_f32 v88, v62, v63, v135
	v_pk_add_f32 v[62:63], v[22:23], v[54:55]
	s_nop 0
	v_min_f32_e32 v89, v62, v63
	v_pk_add_f32 v[62:63], v[18:19], v[54:55]
	s_nop 0
	v_min3_f32 v62, v62, v63, v88
	v_min3_f32 v63, v61, v89, v60
	v_lshl_add_u64 v[60:61], v[66:67], 2, v[56:57]
	global_store_dword v[60:61], v63, off
	v_max_f32_e32 v60, v62, v62
	s_cbranch_vccz .LBB74_88
; %bb.87:
	v_min_f32_e32 v61, 0, v60
	v_lshl_add_u64 v[62:63], v[78:79], 2, v[56:57]
	global_store_dword v[62:63], v61, off
	s_mov_b64 s[2:3], 0
.LBB74_88:
	;; [unrolled: 39-line block ×3, first 2 shown]
	s_andn2_b64 vcc, exec, s[2:3]
	v_mov_b32_e32 v61, 0
	s_cbranch_vccnz .LBB74_94
; %bb.93:
	v_lshl_add_u64 v[62:63], v[58:59], 0, v[86:87]
	global_load_dword v61, v[62:63], off
	v_lshl_add_u64 v[62:63], v[56:57], 0, v[86:87]
	v_lshl_add_u64 v[58:59], v[74:75], 2, v[58:59]
	s_waitcnt vmcnt(0)
	v_mul_f32_e32 v61, s24, v61
	v_min_f32_e32 v60, v61, v60
	global_store_dword v[62:63], v60, off
	global_load_dword v58, v[58:59], off
	s_waitcnt vmcnt(0)
	v_mul_f32_e32 v61, s24, v58
.LBB74_94:
	v_pk_add_f32 v[52:53], v[0:1], v[52:53]
	s_mov_b64 vcc, s[8:9]
	v_min3_f32 v58, v52, v53, v132
	v_pk_add_f32 v[52:53], v[32:33], v[48:49]
	s_nop 0
	v_min3_f32 v59, v52, v53, v131
	v_pk_add_f32 v[52:53], v[2:3], v[54:55]
	s_nop 0
	v_min_f32_e32 v54, v52, v53
	v_pk_add_f32 v[52:53], v[34:35], v[50:51]
	v_min3_f32 v54, v61, v54, v58
	v_min3_f32 v59, v52, v53, v59
	v_lshl_add_u64 v[52:53], v[74:75], 2, v[56:57]
	global_store_dword v[52:53], v54, off
	v_add_u32_e32 v54, 0x60, v150
	v_mad_i64_i32 v[52:53], s[2:3], v54, s5, 0
	v_mad_i64_i32 v[54:55], s[2:3], v54, s4, 0
	v_lshl_add_u64 v[52:53], v[52:53], 2, s[0:1]
	s_mov_b64 s[2:3], -1
	v_max_f32_e32 v56, v59, v59
	s_cbranch_vccz .LBB74_96
; %bb.95:
	v_min_f32_e32 v57, 0, v56
	v_lshl_add_u64 v[58:59], v[68:69], 2, v[52:53]
	global_store_dword v[58:59], v57, off
	s_mov_b64 s[2:3], 0
.LBB74_96:
	v_lshl_add_u64 v[54:55], v[54:55], 2, s[16:17]
	s_andn2_b64 vcc, exec, s[2:3]
	v_mov_b32_e32 v57, 0
	s_cbranch_vccnz .LBB74_98
; %bb.97:
	v_lshl_add_u64 v[58:59], v[54:55], 0, v[72:73]
	global_load_dword v57, v[58:59], off
	v_lshl_add_u64 v[58:59], v[52:53], 0, v[72:73]
	s_waitcnt vmcnt(0)
	v_mul_f32_e32 v57, s24, v57
	v_min_f32_e32 v56, v57, v56
	global_store_dword v[58:59], v56, off
	v_lshl_add_u64 v[56:57], v[64:65], 2, v[54:55]
	global_load_dword v56, v[56:57], off
	s_waitcnt vmcnt(0)
	v_mul_f32_e32 v57, s24, v56
.LBB74_98:
	v_pk_add_f32 v[58:59], v[28:29], v[48:49]
	s_mov_b64 s[2:3], -1
	v_min3_f32 v56, v58, v59, v130
	v_pk_add_f32 v[58:59], v[24:25], v[48:49]
	s_mov_b64 vcc, s[8:9]
	v_min3_f32 v60, v58, v59, v129
	v_pk_add_f32 v[58:59], v[30:31], v[50:51]
	s_nop 0
	v_min_f32_e32 v61, v58, v59
	v_pk_add_f32 v[58:59], v[26:27], v[50:51]
	s_nop 0
	v_min3_f32 v58, v58, v59, v60
	v_min3_f32 v59, v57, v61, v56
	v_lshl_add_u64 v[56:57], v[64:65], 2, v[52:53]
	global_store_dword v[56:57], v59, off
	v_max_f32_e32 v56, v58, v58
	s_cbranch_vccz .LBB74_100
; %bb.99:
	v_min_f32_e32 v57, 0, v56
	v_lshl_add_u64 v[58:59], v[76:77], 2, v[52:53]
	global_store_dword v[58:59], v57, off
	s_mov_b64 s[2:3], 0
.LBB74_100:
	s_andn2_b64 vcc, exec, s[2:3]
	v_mov_b32_e32 v57, 0
	s_cbranch_vccnz .LBB74_102
; %bb.101:
	v_lshl_add_u64 v[58:59], v[54:55], 0, v[80:81]
	global_load_dword v57, v[58:59], off
	v_lshl_add_u64 v[58:59], v[52:53], 0, v[80:81]
	s_waitcnt vmcnt(0)
	v_mul_f32_e32 v57, s24, v57
	v_min_f32_e32 v56, v57, v56
	global_store_dword v[58:59], v56, off
	v_lshl_add_u64 v[56:57], v[66:67], 2, v[54:55]
	global_load_dword v56, v[56:57], off
	s_waitcnt vmcnt(0)
	v_mul_f32_e32 v57, s24, v56
.LBB74_102:
	v_pk_add_f32 v[58:59], v[20:21], v[48:49]
	s_mov_b64 s[2:3], -1
	v_min3_f32 v56, v58, v59, v128
	v_pk_add_f32 v[58:59], v[16:17], v[48:49]
	s_mov_b64 vcc, s[8:9]
	v_min3_f32 v60, v58, v59, v127
	v_pk_add_f32 v[58:59], v[22:23], v[50:51]
	s_nop 0
	v_min_f32_e32 v61, v58, v59
	v_pk_add_f32 v[58:59], v[18:19], v[50:51]
	s_nop 0
	v_min3_f32 v58, v58, v59, v60
	v_min3_f32 v59, v57, v61, v56
	v_lshl_add_u64 v[56:57], v[66:67], 2, v[52:53]
	global_store_dword v[56:57], v59, off
	v_max_f32_e32 v56, v58, v58
	s_cbranch_vccz .LBB74_104
; %bb.103:
	v_min_f32_e32 v57, 0, v56
	v_lshl_add_u64 v[58:59], v[78:79], 2, v[52:53]
	global_store_dword v[58:59], v57, off
	s_mov_b64 s[2:3], 0
.LBB74_104:
	;; [unrolled: 39-line block ×3, first 2 shown]
	s_andn2_b64 vcc, exec, s[2:3]
	v_mov_b32_e32 v57, 0
	s_cbranch_vccnz .LBB74_110
; %bb.109:
	v_lshl_add_u64 v[58:59], v[54:55], 0, v[86:87]
	global_load_dword v57, v[58:59], off
	v_lshl_add_u64 v[58:59], v[52:53], 0, v[86:87]
	v_lshl_add_u64 v[54:55], v[74:75], 2, v[54:55]
	s_waitcnt vmcnt(0)
	v_mul_f32_e32 v57, s24, v57
	v_min_f32_e32 v56, v57, v56
	global_store_dword v[58:59], v56, off
	global_load_dword v54, v[54:55], off
	s_waitcnt vmcnt(0)
	v_mul_f32_e32 v57, s24, v54
.LBB74_110:
	v_pk_add_f32 v[48:49], v[0:1], v[48:49]
	s_mov_b64 vcc, s[8:9]
	v_min3_f32 v54, v48, v49, v124
	v_pk_add_f32 v[48:49], v[32:33], v[44:45]
	s_nop 0
	v_min3_f32 v55, v48, v49, v123
	v_pk_add_f32 v[48:49], v[2:3], v[50:51]
	s_nop 0
	v_min_f32_e32 v50, v48, v49
	v_pk_add_f32 v[48:49], v[34:35], v[46:47]
	v_min3_f32 v50, v57, v50, v54
	v_min3_f32 v55, v48, v49, v55
	v_lshl_add_u64 v[48:49], v[74:75], 2, v[52:53]
	global_store_dword v[48:49], v50, off
	v_add_u32_e32 v50, 0x80, v150
	v_mad_i64_i32 v[48:49], s[2:3], v50, s5, 0
	v_mad_i64_i32 v[50:51], s[2:3], v50, s4, 0
	v_lshl_add_u64 v[48:49], v[48:49], 2, s[0:1]
	s_mov_b64 s[2:3], -1
	v_max_f32_e32 v52, v55, v55
	s_cbranch_vccz .LBB74_112
; %bb.111:
	v_min_f32_e32 v53, 0, v52
	v_lshl_add_u64 v[54:55], v[68:69], 2, v[48:49]
	global_store_dword v[54:55], v53, off
	s_mov_b64 s[2:3], 0
.LBB74_112:
	v_lshl_add_u64 v[50:51], v[50:51], 2, s[16:17]
	s_andn2_b64 vcc, exec, s[2:3]
	v_mov_b32_e32 v53, 0
	s_cbranch_vccnz .LBB74_114
; %bb.113:
	v_lshl_add_u64 v[54:55], v[50:51], 0, v[72:73]
	global_load_dword v53, v[54:55], off
	v_lshl_add_u64 v[54:55], v[48:49], 0, v[72:73]
	s_waitcnt vmcnt(0)
	v_mul_f32_e32 v53, s24, v53
	v_min_f32_e32 v52, v53, v52
	global_store_dword v[54:55], v52, off
	v_lshl_add_u64 v[52:53], v[64:65], 2, v[50:51]
	global_load_dword v52, v[52:53], off
	s_waitcnt vmcnt(0)
	v_mul_f32_e32 v53, s24, v52
.LBB74_114:
	v_pk_add_f32 v[54:55], v[28:29], v[44:45]
	s_mov_b64 s[2:3], -1
	v_min3_f32 v52, v54, v55, v122
	v_pk_add_f32 v[54:55], v[24:25], v[44:45]
	s_mov_b64 vcc, s[8:9]
	v_min3_f32 v56, v54, v55, v121
	v_pk_add_f32 v[54:55], v[30:31], v[46:47]
	s_nop 0
	v_min_f32_e32 v57, v54, v55
	v_pk_add_f32 v[54:55], v[26:27], v[46:47]
	s_nop 0
	v_min3_f32 v54, v54, v55, v56
	v_min3_f32 v55, v53, v57, v52
	v_lshl_add_u64 v[52:53], v[64:65], 2, v[48:49]
	global_store_dword v[52:53], v55, off
	v_max_f32_e32 v52, v54, v54
	s_cbranch_vccz .LBB74_116
; %bb.115:
	v_min_f32_e32 v53, 0, v52
	v_lshl_add_u64 v[54:55], v[76:77], 2, v[48:49]
	global_store_dword v[54:55], v53, off
	s_mov_b64 s[2:3], 0
.LBB74_116:
	s_andn2_b64 vcc, exec, s[2:3]
	v_mov_b32_e32 v53, 0
	s_cbranch_vccnz .LBB74_118
; %bb.117:
	v_lshl_add_u64 v[54:55], v[50:51], 0, v[80:81]
	global_load_dword v53, v[54:55], off
	v_lshl_add_u64 v[54:55], v[48:49], 0, v[80:81]
	s_waitcnt vmcnt(0)
	v_mul_f32_e32 v53, s24, v53
	v_min_f32_e32 v52, v53, v52
	global_store_dword v[54:55], v52, off
	v_lshl_add_u64 v[52:53], v[66:67], 2, v[50:51]
	global_load_dword v52, v[52:53], off
	s_waitcnt vmcnt(0)
	v_mul_f32_e32 v53, s24, v52
.LBB74_118:
	v_pk_add_f32 v[54:55], v[20:21], v[44:45]
	s_mov_b64 s[2:3], -1
	v_min3_f32 v52, v54, v55, v120
	v_pk_add_f32 v[54:55], v[16:17], v[44:45]
	s_mov_b64 vcc, s[8:9]
	v_min3_f32 v56, v54, v55, v119
	v_pk_add_f32 v[54:55], v[22:23], v[46:47]
	s_nop 0
	v_min_f32_e32 v57, v54, v55
	v_pk_add_f32 v[54:55], v[18:19], v[46:47]
	s_nop 0
	v_min3_f32 v54, v54, v55, v56
	v_min3_f32 v55, v53, v57, v52
	v_lshl_add_u64 v[52:53], v[66:67], 2, v[48:49]
	global_store_dword v[52:53], v55, off
	v_max_f32_e32 v52, v54, v54
	s_cbranch_vccz .LBB74_120
; %bb.119:
	v_min_f32_e32 v53, 0, v52
	v_lshl_add_u64 v[54:55], v[78:79], 2, v[48:49]
	global_store_dword v[54:55], v53, off
	s_mov_b64 s[2:3], 0
.LBB74_120:
	;; [unrolled: 39-line block ×3, first 2 shown]
	s_andn2_b64 vcc, exec, s[2:3]
	v_mov_b32_e32 v53, 0
	s_cbranch_vccnz .LBB74_126
; %bb.125:
	v_lshl_add_u64 v[54:55], v[50:51], 0, v[86:87]
	global_load_dword v53, v[54:55], off
	v_lshl_add_u64 v[54:55], v[48:49], 0, v[86:87]
	v_lshl_add_u64 v[50:51], v[74:75], 2, v[50:51]
	s_waitcnt vmcnt(0)
	v_mul_f32_e32 v53, s24, v53
	v_min_f32_e32 v52, v53, v52
	global_store_dword v[54:55], v52, off
	global_load_dword v50, v[50:51], off
	s_waitcnt vmcnt(0)
	v_mul_f32_e32 v53, s24, v50
.LBB74_126:
	v_pk_add_f32 v[44:45], v[0:1], v[44:45]
	s_mov_b64 vcc, s[8:9]
	v_min3_f32 v50, v44, v45, v118
	v_pk_add_f32 v[44:45], v[32:33], v[40:41]
	s_nop 0
	v_min3_f32 v51, v44, v45, v117
	v_pk_add_f32 v[44:45], v[2:3], v[46:47]
	s_nop 0
	v_min_f32_e32 v46, v44, v45
	v_pk_add_f32 v[44:45], v[34:35], v[42:43]
	v_min3_f32 v46, v53, v46, v50
	v_min3_f32 v51, v44, v45, v51
	v_lshl_add_u64 v[44:45], v[74:75], 2, v[48:49]
	global_store_dword v[44:45], v46, off
	v_add_u32_e32 v46, 0xa0, v150
	v_mad_i64_i32 v[44:45], s[2:3], v46, s5, 0
	v_mad_i64_i32 v[46:47], s[2:3], v46, s4, 0
	v_lshl_add_u64 v[44:45], v[44:45], 2, s[0:1]
	s_mov_b64 s[2:3], -1
	v_max_f32_e32 v48, v51, v51
	s_cbranch_vccz .LBB74_128
; %bb.127:
	v_min_f32_e32 v49, 0, v48
	v_lshl_add_u64 v[50:51], v[68:69], 2, v[44:45]
	global_store_dword v[50:51], v49, off
	s_mov_b64 s[2:3], 0
.LBB74_128:
	v_lshl_add_u64 v[46:47], v[46:47], 2, s[16:17]
	s_andn2_b64 vcc, exec, s[2:3]
	v_mov_b32_e32 v49, 0
	s_cbranch_vccnz .LBB74_130
; %bb.129:
	v_lshl_add_u64 v[50:51], v[46:47], 0, v[72:73]
	global_load_dword v49, v[50:51], off
	v_lshl_add_u64 v[50:51], v[44:45], 0, v[72:73]
	s_waitcnt vmcnt(0)
	v_mul_f32_e32 v49, s24, v49
	v_min_f32_e32 v48, v49, v48
	global_store_dword v[50:51], v48, off
	v_lshl_add_u64 v[48:49], v[64:65], 2, v[46:47]
	global_load_dword v48, v[48:49], off
	s_waitcnt vmcnt(0)
	v_mul_f32_e32 v49, s24, v48
.LBB74_130:
	v_pk_add_f32 v[50:51], v[28:29], v[40:41]
	s_mov_b64 s[2:3], -1
	v_min3_f32 v48, v50, v51, v114
	v_pk_add_f32 v[50:51], v[24:25], v[40:41]
	s_mov_b64 vcc, s[8:9]
	v_min3_f32 v52, v50, v51, v113
	v_pk_add_f32 v[50:51], v[30:31], v[42:43]
	s_nop 0
	v_min_f32_e32 v53, v50, v51
	v_pk_add_f32 v[50:51], v[26:27], v[42:43]
	s_nop 0
	v_min3_f32 v50, v50, v51, v52
	v_min3_f32 v51, v49, v53, v48
	v_lshl_add_u64 v[48:49], v[64:65], 2, v[44:45]
	global_store_dword v[48:49], v51, off
	v_max_f32_e32 v48, v50, v50
	s_cbranch_vccz .LBB74_132
; %bb.131:
	v_min_f32_e32 v49, 0, v48
	v_lshl_add_u64 v[50:51], v[76:77], 2, v[44:45]
	global_store_dword v[50:51], v49, off
	s_mov_b64 s[2:3], 0
.LBB74_132:
	s_andn2_b64 vcc, exec, s[2:3]
	v_mov_b32_e32 v49, 0
	s_cbranch_vccnz .LBB74_134
; %bb.133:
	v_lshl_add_u64 v[50:51], v[46:47], 0, v[80:81]
	global_load_dword v49, v[50:51], off
	v_lshl_add_u64 v[50:51], v[44:45], 0, v[80:81]
	s_waitcnt vmcnt(0)
	v_mul_f32_e32 v49, s24, v49
	v_min_f32_e32 v48, v49, v48
	global_store_dword v[50:51], v48, off
	v_lshl_add_u64 v[48:49], v[66:67], 2, v[46:47]
	global_load_dword v48, v[48:49], off
	s_waitcnt vmcnt(0)
	v_mul_f32_e32 v49, s24, v48
.LBB74_134:
	v_pk_add_f32 v[50:51], v[20:21], v[40:41]
	s_mov_b64 s[2:3], -1
	v_min3_f32 v48, v50, v51, v112
	v_pk_add_f32 v[50:51], v[16:17], v[40:41]
	s_mov_b64 vcc, s[8:9]
	v_min3_f32 v52, v50, v51, v111
	v_pk_add_f32 v[50:51], v[22:23], v[42:43]
	s_nop 0
	v_min_f32_e32 v53, v50, v51
	v_pk_add_f32 v[50:51], v[18:19], v[42:43]
	s_nop 0
	v_min3_f32 v50, v50, v51, v52
	v_min3_f32 v51, v49, v53, v48
	v_lshl_add_u64 v[48:49], v[66:67], 2, v[44:45]
	global_store_dword v[48:49], v51, off
	v_max_f32_e32 v48, v50, v50
	s_cbranch_vccz .LBB74_136
; %bb.135:
	v_min_f32_e32 v49, 0, v48
	v_lshl_add_u64 v[50:51], v[78:79], 2, v[44:45]
	global_store_dword v[50:51], v49, off
	s_mov_b64 s[2:3], 0
.LBB74_136:
	s_andn2_b64 vcc, exec, s[2:3]
	v_mov_b32_e32 v49, 0
	s_cbranch_vccnz .LBB74_138
; %bb.137:
	v_lshl_add_u64 v[50:51], v[46:47], 0, v[82:83]
	global_load_dword v49, v[50:51], off
	v_lshl_add_u64 v[50:51], v[44:45], 0, v[82:83]
	s_waitcnt vmcnt(0)
	v_mul_f32_e32 v49, s24, v49
	v_min_f32_e32 v48, v49, v48
	global_store_dword v[50:51], v48, off
	v_lshl_add_u64 v[48:49], v[70:71], 2, v[46:47]
	global_load_dword v48, v[48:49], off
	s_waitcnt vmcnt(0)
	v_mul_f32_e32 v49, s24, v48
.LBB74_138:
	v_pk_add_f32 v[50:51], v[12:13], v[40:41]
	s_mov_b64 s[2:3], -1
	v_min3_f32 v48, v50, v51, v110
	v_pk_add_f32 v[50:51], v[8:9], v[40:41]
	s_mov_b64 vcc, s[8:9]
	v_min3_f32 v52, v50, v51, v109
	v_pk_add_f32 v[50:51], v[14:15], v[42:43]
	s_nop 0
	v_min_f32_e32 v53, v50, v51
	v_pk_add_f32 v[50:51], v[10:11], v[42:43]
	s_nop 0
	v_min3_f32 v50, v50, v51, v52
	v_min3_f32 v51, v49, v53, v48
	v_lshl_add_u64 v[48:49], v[70:71], 2, v[44:45]
	global_store_dword v[48:49], v51, off
	v_max_f32_e32 v48, v50, v50
	s_cbranch_vccz .LBB74_140
; %bb.139:
	v_min_f32_e32 v49, 0, v48
	v_lshl_add_u64 v[50:51], v[84:85], 2, v[44:45]
	global_store_dword v[50:51], v49, off
	s_mov_b64 s[2:3], 0
.LBB74_140:
	s_andn2_b64 vcc, exec, s[2:3]
	v_mov_b32_e32 v49, 0
	s_cbranch_vccnz .LBB74_142
; %bb.141:
	v_lshl_add_u64 v[50:51], v[46:47], 0, v[86:87]
	global_load_dword v49, v[50:51], off
	v_lshl_add_u64 v[50:51], v[44:45], 0, v[86:87]
	v_lshl_add_u64 v[46:47], v[74:75], 2, v[46:47]
	s_waitcnt vmcnt(0)
	v_mul_f32_e32 v49, s24, v49
	v_min_f32_e32 v48, v49, v48
	global_store_dword v[50:51], v48, off
	global_load_dword v46, v[46:47], off
	s_waitcnt vmcnt(0)
	v_mul_f32_e32 v49, s24, v46
.LBB74_142:
	v_pk_add_f32 v[40:41], v[0:1], v[40:41]
	s_mov_b64 vcc, s[8:9]
	v_min3_f32 v46, v40, v41, v108
	v_pk_add_f32 v[40:41], v[32:33], v[36:37]
	s_nop 0
	v_min3_f32 v47, v40, v41, v107
	v_pk_add_f32 v[40:41], v[2:3], v[42:43]
	s_nop 0
	v_min_f32_e32 v42, v40, v41
	v_pk_add_f32 v[40:41], v[34:35], v[38:39]
	v_min3_f32 v42, v49, v42, v46
	v_min3_f32 v47, v40, v41, v47
	v_lshl_add_u64 v[40:41], v[74:75], 2, v[44:45]
	global_store_dword v[40:41], v42, off
	v_add_u32_e32 v42, 0xc0, v150
	v_mad_i64_i32 v[40:41], s[2:3], v42, s5, 0
	v_mad_i64_i32 v[42:43], s[2:3], v42, s4, 0
	v_lshl_add_u64 v[40:41], v[40:41], 2, s[0:1]
	s_mov_b64 s[2:3], -1
	v_max_f32_e32 v44, v47, v47
	s_cbranch_vccz .LBB74_144
; %bb.143:
	v_min_f32_e32 v45, 0, v44
	v_lshl_add_u64 v[46:47], v[68:69], 2, v[40:41]
	global_store_dword v[46:47], v45, off
	s_mov_b64 s[2:3], 0
.LBB74_144:
	v_lshl_add_u64 v[42:43], v[42:43], 2, s[16:17]
	s_andn2_b64 vcc, exec, s[2:3]
	v_mov_b32_e32 v45, 0
	s_cbranch_vccnz .LBB74_146
; %bb.145:
	v_lshl_add_u64 v[46:47], v[42:43], 0, v[72:73]
	global_load_dword v45, v[46:47], off
	v_lshl_add_u64 v[46:47], v[40:41], 0, v[72:73]
	s_waitcnt vmcnt(0)
	v_mul_f32_e32 v45, s24, v45
	v_min_f32_e32 v44, v45, v44
	global_store_dword v[46:47], v44, off
	v_lshl_add_u64 v[44:45], v[64:65], 2, v[42:43]
	global_load_dword v44, v[44:45], off
	s_waitcnt vmcnt(0)
	v_mul_f32_e32 v45, s24, v44
.LBB74_146:
	v_pk_add_f32 v[46:47], v[28:29], v[36:37]
	s_mov_b64 s[2:3], -1
	v_min3_f32 v44, v46, v47, v106
	v_pk_add_f32 v[46:47], v[24:25], v[36:37]
	s_mov_b64 vcc, s[8:9]
	v_min3_f32 v48, v46, v47, v105
	v_pk_add_f32 v[46:47], v[30:31], v[38:39]
	s_nop 0
	v_min_f32_e32 v49, v46, v47
	v_pk_add_f32 v[46:47], v[26:27], v[38:39]
	s_nop 0
	v_min3_f32 v46, v46, v47, v48
	v_min3_f32 v47, v45, v49, v44
	v_lshl_add_u64 v[44:45], v[64:65], 2, v[40:41]
	global_store_dword v[44:45], v47, off
	v_max_f32_e32 v44, v46, v46
	s_cbranch_vccz .LBB74_148
; %bb.147:
	v_min_f32_e32 v45, 0, v44
	v_lshl_add_u64 v[46:47], v[76:77], 2, v[40:41]
	global_store_dword v[46:47], v45, off
	s_mov_b64 s[2:3], 0
.LBB74_148:
	s_andn2_b64 vcc, exec, s[2:3]
	v_mov_b32_e32 v45, 0
	s_cbranch_vccnz .LBB74_150
; %bb.149:
	v_lshl_add_u64 v[46:47], v[42:43], 0, v[80:81]
	global_load_dword v45, v[46:47], off
	v_lshl_add_u64 v[46:47], v[40:41], 0, v[80:81]
	s_waitcnt vmcnt(0)
	v_mul_f32_e32 v45, s24, v45
	v_min_f32_e32 v44, v45, v44
	global_store_dword v[46:47], v44, off
	v_lshl_add_u64 v[44:45], v[66:67], 2, v[42:43]
	global_load_dword v44, v[44:45], off
	s_waitcnt vmcnt(0)
	v_mul_f32_e32 v45, s24, v44
.LBB74_150:
	v_pk_add_f32 v[46:47], v[20:21], v[36:37]
	s_mov_b64 s[2:3], -1
	v_min3_f32 v44, v46, v47, v104
	v_pk_add_f32 v[46:47], v[16:17], v[36:37]
	s_mov_b64 vcc, s[8:9]
	v_min3_f32 v48, v46, v47, v103
	v_pk_add_f32 v[46:47], v[22:23], v[38:39]
	s_nop 0
	v_min_f32_e32 v49, v46, v47
	v_pk_add_f32 v[46:47], v[18:19], v[38:39]
	s_nop 0
	v_min3_f32 v46, v46, v47, v48
	v_min3_f32 v47, v45, v49, v44
	v_lshl_add_u64 v[44:45], v[66:67], 2, v[40:41]
	global_store_dword v[44:45], v47, off
	v_max_f32_e32 v44, v46, v46
	s_cbranch_vccz .LBB74_152
; %bb.151:
	v_min_f32_e32 v45, 0, v44
	v_lshl_add_u64 v[46:47], v[78:79], 2, v[40:41]
	global_store_dword v[46:47], v45, off
	s_mov_b64 s[2:3], 0
.LBB74_152:
	;; [unrolled: 39-line block ×3, first 2 shown]
	s_andn2_b64 vcc, exec, s[2:3]
	v_mov_b32_e32 v45, 0
	s_cbranch_vccnz .LBB74_158
; %bb.157:
	v_lshl_add_u64 v[46:47], v[42:43], 0, v[86:87]
	global_load_dword v45, v[46:47], off
	v_lshl_add_u64 v[46:47], v[40:41], 0, v[86:87]
	v_lshl_add_u64 v[42:43], v[74:75], 2, v[42:43]
	s_waitcnt vmcnt(0)
	v_mul_f32_e32 v45, s24, v45
	v_min_f32_e32 v44, v45, v44
	global_store_dword v[46:47], v44, off
	global_load_dword v42, v[42:43], off
	s_waitcnt vmcnt(0)
	v_mul_f32_e32 v45, s24, v42
.LBB74_158:
	v_pk_add_f32 v[36:37], v[0:1], v[36:37]
	s_waitcnt lgkmcnt(0)
	v_pk_add_f32 v[32:33], v[32:33], v[4:5]
	v_min3_f32 v36, v36, v37, v99
	v_min3_f32 v37, v32, v33, v100
	v_pk_add_f32 v[32:33], v[2:3], v[38:39]
	s_mov_b64 vcc, s[8:9]
	v_min_f32_e32 v38, v32, v33
	v_pk_add_f32 v[32:33], v[34:35], v[6:7]
	v_min3_f32 v34, v45, v38, v36
	v_min3_f32 v37, v32, v33, v37
	v_lshl_add_u64 v[32:33], v[74:75], 2, v[40:41]
	global_store_dword v[32:33], v34, off
	v_add_u32_e32 v34, 0xe0, v150
	v_mad_i64_i32 v[32:33], s[2:3], v34, s5, 0
	v_lshl_add_u64 v[32:33], v[32:33], 2, s[0:1]
	v_mad_i64_i32 v[34:35], s[0:1], v34, s4, 0
	s_mov_b64 s[0:1], -1
	v_max_f32_e32 v36, v37, v37
	s_cbranch_vccz .LBB74_160
; %bb.159:
	v_min_f32_e32 v37, 0, v36
	v_lshl_add_u64 v[38:39], v[68:69], 2, v[32:33]
	global_store_dword v[38:39], v37, off
	s_mov_b64 s[0:1], 0
.LBB74_160:
	v_lshl_add_u64 v[34:35], v[34:35], 2, s[16:17]
	s_andn2_b64 vcc, exec, s[0:1]
	v_mov_b32_e32 v37, 0
	s_cbranch_vccnz .LBB74_162
; %bb.161:
	v_lshl_add_u64 v[38:39], v[34:35], 0, v[72:73]
	global_load_dword v37, v[38:39], off
	v_lshl_add_u64 v[38:39], v[32:33], 0, v[72:73]
	s_waitcnt vmcnt(0)
	v_mul_f32_e32 v37, s24, v37
	v_min_f32_e32 v36, v37, v36
	global_store_dword v[38:39], v36, off
	v_lshl_add_u64 v[36:37], v[64:65], 2, v[34:35]
	global_load_dword v36, v[36:37], off
	s_waitcnt vmcnt(0)
	v_mul_f32_e32 v37, s24, v36
.LBB74_162:
	v_pk_add_f32 v[28:29], v[28:29], v[4:5]
	v_pk_add_f32 v[24:25], v[24:25], v[4:5]
	v_min3_f32 v28, v28, v29, v98
	v_min3_f32 v29, v24, v25, v97
	v_pk_add_f32 v[24:25], v[30:31], v[6:7]
	s_mov_b64 s[0:1], -1
	v_min_f32_e32 v30, v24, v25
	v_pk_add_f32 v[24:25], v[26:27], v[6:7]
	v_min3_f32 v27, v37, v30, v28
	v_min3_f32 v26, v24, v25, v29
	v_lshl_add_u64 v[24:25], v[64:65], 2, v[32:33]
	global_store_dword v[24:25], v27, off
	v_max_f32_e32 v24, v26, v26
	s_mov_b64 vcc, s[8:9]
	s_cbranch_vccz .LBB74_164
; %bb.163:
	v_min_f32_e32 v25, 0, v24
	v_lshl_add_u64 v[26:27], v[76:77], 2, v[32:33]
	global_store_dword v[26:27], v25, off
	s_mov_b64 s[0:1], 0
.LBB74_164:
	s_andn2_b64 vcc, exec, s[0:1]
	v_mov_b32_e32 v25, 0
	s_cbranch_vccnz .LBB74_166
; %bb.165:
	v_lshl_add_u64 v[26:27], v[34:35], 0, v[80:81]
	global_load_dword v25, v[26:27], off
	v_lshl_add_u64 v[26:27], v[32:33], 0, v[80:81]
	s_waitcnt vmcnt(0)
	v_mul_f32_e32 v25, s24, v25
	v_min_f32_e32 v24, v25, v24
	global_store_dword v[26:27], v24, off
	v_lshl_add_u64 v[24:25], v[66:67], 2, v[34:35]
	global_load_dword v24, v[24:25], off
	s_waitcnt vmcnt(0)
	v_mul_f32_e32 v25, s24, v24
.LBB74_166:
	v_pk_add_f32 v[20:21], v[20:21], v[4:5]
	v_pk_add_f32 v[16:17], v[16:17], v[4:5]
	v_min3_f32 v20, v20, v21, v96
	v_min3_f32 v21, v16, v17, v95
	v_pk_add_f32 v[16:17], v[22:23], v[6:7]
	s_mov_b64 s[0:1], -1
	v_min_f32_e32 v22, v16, v17
	v_pk_add_f32 v[16:17], v[18:19], v[6:7]
	v_min3_f32 v19, v25, v22, v20
	v_min3_f32 v18, v16, v17, v21
	v_lshl_add_u64 v[16:17], v[66:67], 2, v[32:33]
	global_store_dword v[16:17], v19, off
	v_max_f32_e32 v16, v18, v18
	s_mov_b64 vcc, s[8:9]
	s_cbranch_vccz .LBB74_168
; %bb.167:
	v_min_f32_e32 v17, 0, v16
	v_lshl_add_u64 v[18:19], v[78:79], 2, v[32:33]
	global_store_dword v[18:19], v17, off
	s_mov_b64 s[0:1], 0
.LBB74_168:
	;; [unrolled: 37-line block ×3, first 2 shown]
	s_andn2_b64 vcc, exec, s[0:1]
	v_mov_b32_e32 v9, 0
	s_cbranch_vccnz .LBB74_174
; %bb.173:
	v_lshl_add_u64 v[10:11], v[34:35], 0, v[86:87]
	global_load_dword v9, v[10:11], off
	v_lshl_add_u64 v[10:11], v[32:33], 0, v[86:87]
	s_waitcnt vmcnt(0)
	v_mul_f32_e32 v9, s24, v9
	v_min_f32_e32 v8, v9, v8
	global_store_dword v[10:11], v8, off
	v_lshl_add_u64 v[8:9], v[74:75], 2, v[34:35]
	global_load_dword v8, v[8:9], off
	s_waitcnt vmcnt(0)
	v_mul_f32_e32 v9, s24, v8
.LBB74_174:
	v_pk_add_f32 v[2:3], v[2:3], v[6:7]
	v_pk_add_f32 v[0:1], v[0:1], v[4:5]
	v_min_f32_e32 v2, v2, v3
	v_min3_f32 v0, v0, v1, v92
	v_min3_f32 v2, v9, v2, v0
	v_lshl_add_u64 v[0:1], v[74:75], 2, v[32:33]
	global_store_dword v[0:1], v2, off
	s_endpgm
.LBB74_175:
	s_mov_b64 s[20:21], 0
	s_andn2_b64 vcc, exec, s[6:7]
	s_mov_b64 s[6:7], -1
	s_cbranch_vccz .LBB74_2
	s_branch .LBB74_3
	.section	.rodata,"a",@progbits
	.p2align	6, 0x0
	.amdhsa_kernel _ZN12_GLOBAL__N_120geam_min_plus_kernelIf15HIP_vector_typeIfLj2EEfLi8ELi32ELi64ELi256ELi4ELi4ELi64ELi64ELi4ELc84ELc84ELb0ELb0ELb1EfKffEEviiiT16_PT17_ilS6_ilS4_S6_ilPT18_ili26rocblas_geam_ex_operation_
		.amdhsa_group_segment_fixed_size 10240
		.amdhsa_private_segment_fixed_size 0
		.amdhsa_kernarg_size 128
		.amdhsa_user_sgpr_count 2
		.amdhsa_user_sgpr_dispatch_ptr 0
		.amdhsa_user_sgpr_queue_ptr 0
		.amdhsa_user_sgpr_kernarg_segment_ptr 1
		.amdhsa_user_sgpr_dispatch_id 0
		.amdhsa_user_sgpr_kernarg_preload_length 0
		.amdhsa_user_sgpr_kernarg_preload_offset 0
		.amdhsa_user_sgpr_private_segment_size 0
		.amdhsa_uses_dynamic_stack 0
		.amdhsa_enable_private_segment 0
		.amdhsa_system_sgpr_workgroup_id_x 1
		.amdhsa_system_sgpr_workgroup_id_y 0
		.amdhsa_system_sgpr_workgroup_id_z 1
		.amdhsa_system_sgpr_workgroup_info 0
		.amdhsa_system_vgpr_workitem_id 1
		.amdhsa_next_free_vgpr 158
		.amdhsa_next_free_sgpr 29
		.amdhsa_accum_offset 160
		.amdhsa_reserve_vcc 1
		.amdhsa_float_round_mode_32 0
		.amdhsa_float_round_mode_16_64 0
		.amdhsa_float_denorm_mode_32 3
		.amdhsa_float_denorm_mode_16_64 3
		.amdhsa_dx10_clamp 1
		.amdhsa_ieee_mode 1
		.amdhsa_fp16_overflow 0
		.amdhsa_tg_split 0
		.amdhsa_exception_fp_ieee_invalid_op 0
		.amdhsa_exception_fp_denorm_src 0
		.amdhsa_exception_fp_ieee_div_zero 0
		.amdhsa_exception_fp_ieee_overflow 0
		.amdhsa_exception_fp_ieee_underflow 0
		.amdhsa_exception_fp_ieee_inexact 0
		.amdhsa_exception_int_div_zero 0
	.end_amdhsa_kernel
	.section	.text._ZN12_GLOBAL__N_120geam_min_plus_kernelIf15HIP_vector_typeIfLj2EEfLi8ELi32ELi64ELi256ELi4ELi4ELi64ELi64ELi4ELc84ELc84ELb0ELb0ELb1EfKffEEviiiT16_PT17_ilS6_ilS4_S6_ilPT18_ili26rocblas_geam_ex_operation_,"axG",@progbits,_ZN12_GLOBAL__N_120geam_min_plus_kernelIf15HIP_vector_typeIfLj2EEfLi8ELi32ELi64ELi256ELi4ELi4ELi64ELi64ELi4ELc84ELc84ELb0ELb0ELb1EfKffEEviiiT16_PT17_ilS6_ilS4_S6_ilPT18_ili26rocblas_geam_ex_operation_,comdat
.Lfunc_end74:
	.size	_ZN12_GLOBAL__N_120geam_min_plus_kernelIf15HIP_vector_typeIfLj2EEfLi8ELi32ELi64ELi256ELi4ELi4ELi64ELi64ELi4ELc84ELc84ELb0ELb0ELb1EfKffEEviiiT16_PT17_ilS6_ilS4_S6_ilPT18_ili26rocblas_geam_ex_operation_, .Lfunc_end74-_ZN12_GLOBAL__N_120geam_min_plus_kernelIf15HIP_vector_typeIfLj2EEfLi8ELi32ELi64ELi256ELi4ELi4ELi64ELi64ELi4ELc84ELc84ELb0ELb0ELb1EfKffEEviiiT16_PT17_ilS6_ilS4_S6_ilPT18_ili26rocblas_geam_ex_operation_
                                        ; -- End function
	.set _ZN12_GLOBAL__N_120geam_min_plus_kernelIf15HIP_vector_typeIfLj2EEfLi8ELi32ELi64ELi256ELi4ELi4ELi64ELi64ELi4ELc84ELc84ELb0ELb0ELb1EfKffEEviiiT16_PT17_ilS6_ilS4_S6_ilPT18_ili26rocblas_geam_ex_operation_.num_vgpr, 158
	.set _ZN12_GLOBAL__N_120geam_min_plus_kernelIf15HIP_vector_typeIfLj2EEfLi8ELi32ELi64ELi256ELi4ELi4ELi64ELi64ELi4ELc84ELc84ELb0ELb0ELb1EfKffEEviiiT16_PT17_ilS6_ilS4_S6_ilPT18_ili26rocblas_geam_ex_operation_.num_agpr, 0
	.set _ZN12_GLOBAL__N_120geam_min_plus_kernelIf15HIP_vector_typeIfLj2EEfLi8ELi32ELi64ELi256ELi4ELi4ELi64ELi64ELi4ELc84ELc84ELb0ELb0ELb1EfKffEEviiiT16_PT17_ilS6_ilS4_S6_ilPT18_ili26rocblas_geam_ex_operation_.numbered_sgpr, 29
	.set _ZN12_GLOBAL__N_120geam_min_plus_kernelIf15HIP_vector_typeIfLj2EEfLi8ELi32ELi64ELi256ELi4ELi4ELi64ELi64ELi4ELc84ELc84ELb0ELb0ELb1EfKffEEviiiT16_PT17_ilS6_ilS4_S6_ilPT18_ili26rocblas_geam_ex_operation_.num_named_barrier, 0
	.set _ZN12_GLOBAL__N_120geam_min_plus_kernelIf15HIP_vector_typeIfLj2EEfLi8ELi32ELi64ELi256ELi4ELi4ELi64ELi64ELi4ELc84ELc84ELb0ELb0ELb1EfKffEEviiiT16_PT17_ilS6_ilS4_S6_ilPT18_ili26rocblas_geam_ex_operation_.private_seg_size, 0
	.set _ZN12_GLOBAL__N_120geam_min_plus_kernelIf15HIP_vector_typeIfLj2EEfLi8ELi32ELi64ELi256ELi4ELi4ELi64ELi64ELi4ELc84ELc84ELb0ELb0ELb1EfKffEEviiiT16_PT17_ilS6_ilS4_S6_ilPT18_ili26rocblas_geam_ex_operation_.uses_vcc, 1
	.set _ZN12_GLOBAL__N_120geam_min_plus_kernelIf15HIP_vector_typeIfLj2EEfLi8ELi32ELi64ELi256ELi4ELi4ELi64ELi64ELi4ELc84ELc84ELb0ELb0ELb1EfKffEEviiiT16_PT17_ilS6_ilS4_S6_ilPT18_ili26rocblas_geam_ex_operation_.uses_flat_scratch, 0
	.set _ZN12_GLOBAL__N_120geam_min_plus_kernelIf15HIP_vector_typeIfLj2EEfLi8ELi32ELi64ELi256ELi4ELi4ELi64ELi64ELi4ELc84ELc84ELb0ELb0ELb1EfKffEEviiiT16_PT17_ilS6_ilS4_S6_ilPT18_ili26rocblas_geam_ex_operation_.has_dyn_sized_stack, 0
	.set _ZN12_GLOBAL__N_120geam_min_plus_kernelIf15HIP_vector_typeIfLj2EEfLi8ELi32ELi64ELi256ELi4ELi4ELi64ELi64ELi4ELc84ELc84ELb0ELb0ELb1EfKffEEviiiT16_PT17_ilS6_ilS4_S6_ilPT18_ili26rocblas_geam_ex_operation_.has_recursion, 0
	.set _ZN12_GLOBAL__N_120geam_min_plus_kernelIf15HIP_vector_typeIfLj2EEfLi8ELi32ELi64ELi256ELi4ELi4ELi64ELi64ELi4ELc84ELc84ELb0ELb0ELb1EfKffEEviiiT16_PT17_ilS6_ilS4_S6_ilPT18_ili26rocblas_geam_ex_operation_.has_indirect_call, 0
	.section	.AMDGPU.csdata,"",@progbits
; Kernel info:
; codeLenInByte = 16664
; TotalNumSgprs: 35
; NumVgprs: 158
; NumAgprs: 0
; TotalNumVgprs: 158
; ScratchSize: 0
; MemoryBound: 0
; FloatMode: 240
; IeeeMode: 1
; LDSByteSize: 10240 bytes/workgroup (compile time only)
; SGPRBlocks: 4
; VGPRBlocks: 19
; NumSGPRsForWavesPerEU: 35
; NumVGPRsForWavesPerEU: 158
; AccumOffset: 160
; Occupancy: 3
; WaveLimiterHint : 1
; COMPUTE_PGM_RSRC2:SCRATCH_EN: 0
; COMPUTE_PGM_RSRC2:USER_SGPR: 2
; COMPUTE_PGM_RSRC2:TRAP_HANDLER: 0
; COMPUTE_PGM_RSRC2:TGID_X_EN: 1
; COMPUTE_PGM_RSRC2:TGID_Y_EN: 0
; COMPUTE_PGM_RSRC2:TGID_Z_EN: 1
; COMPUTE_PGM_RSRC2:TIDIG_COMP_CNT: 1
; COMPUTE_PGM_RSRC3_GFX90A:ACCUM_OFFSET: 39
; COMPUTE_PGM_RSRC3_GFX90A:TG_SPLIT: 0
	.section	.text._ZN12_GLOBAL__N_120geam_min_plus_kernelIf15HIP_vector_typeIfLj2EEfLi8ELi32ELi64ELi256ELi4ELi4ELi64ELi64ELi4ELc84ELc84ELb0ELb1ELb1EPKfS3_fEEviiiT16_PT17_ilS7_ilS5_S7_ilPT18_ili26rocblas_geam_ex_operation_,"axG",@progbits,_ZN12_GLOBAL__N_120geam_min_plus_kernelIf15HIP_vector_typeIfLj2EEfLi8ELi32ELi64ELi256ELi4ELi4ELi64ELi64ELi4ELc84ELc84ELb0ELb1ELb1EPKfS3_fEEviiiT16_PT17_ilS7_ilS5_S7_ilPT18_ili26rocblas_geam_ex_operation_,comdat
	.globl	_ZN12_GLOBAL__N_120geam_min_plus_kernelIf15HIP_vector_typeIfLj2EEfLi8ELi32ELi64ELi256ELi4ELi4ELi64ELi64ELi4ELc84ELc84ELb0ELb1ELb1EPKfS3_fEEviiiT16_PT17_ilS7_ilS5_S7_ilPT18_ili26rocblas_geam_ex_operation_ ; -- Begin function _ZN12_GLOBAL__N_120geam_min_plus_kernelIf15HIP_vector_typeIfLj2EEfLi8ELi32ELi64ELi256ELi4ELi4ELi64ELi64ELi4ELc84ELc84ELb0ELb1ELb1EPKfS3_fEEviiiT16_PT17_ilS7_ilS5_S7_ilPT18_ili26rocblas_geam_ex_operation_
	.p2align	8
	.type	_ZN12_GLOBAL__N_120geam_min_plus_kernelIf15HIP_vector_typeIfLj2EEfLi8ELi32ELi64ELi256ELi4ELi4ELi64ELi64ELi4ELc84ELc84ELb0ELb1ELb1EPKfS3_fEEviiiT16_PT17_ilS7_ilS5_S7_ilPT18_ili26rocblas_geam_ex_operation_,@function
_ZN12_GLOBAL__N_120geam_min_plus_kernelIf15HIP_vector_typeIfLj2EEfLi8ELi32ELi64ELi256ELi4ELi4ELi64ELi64ELi4ELc84ELc84ELb0ELb1ELb1EPKfS3_fEEviiiT16_PT17_ilS7_ilS5_S7_ilPT18_ili26rocblas_geam_ex_operation_: ; @_ZN12_GLOBAL__N_120geam_min_plus_kernelIf15HIP_vector_typeIfLj2EEfLi8ELi32ELi64ELi256ELi4ELi4ELi64ELi64ELi4ELc84ELc84ELb0ELb1ELb1EPKfS3_fEEviiiT16_PT17_ilS7_ilS5_S7_ilPT18_ili26rocblas_geam_ex_operation_
; %bb.0:
	s_load_dwordx4 s[12:15], s[0:1], 0x10
	s_load_dwordx4 s[4:7], s[0:1], 0x28
	;; [unrolled: 1-line block ×3, first 2 shown]
	s_mov_b32 s16, s3
	s_mov_b32 s17, 0
	s_lshl_b64 s[18:19], s[16:17], 2
	s_waitcnt lgkmcnt(0)
	s_add_u32 s12, s12, s18
	s_addc_u32 s13, s13, s19
	s_load_dword s35, s[12:13], 0x0
	s_load_dwordx2 s[20:21], s[0:1], 0x50
	s_add_u32 s10, s10, s18
	s_addc_u32 s11, s11, s19
	s_mov_b64 s[18:19], 0
	s_waitcnt lgkmcnt(0)
	v_cmp_eq_f32_e64 s[22:23], s35, 0
	v_cmp_neq_f32_e64 s[12:13], s35, 0
	s_and_b64 vcc, exec, s[22:23]
	s_mov_b64 s[30:31], 0
	s_cbranch_vccnz .LBB75_2
; %bb.1:
	s_mul_i32 s3, s5, s16
	s_mul_hi_u32 s5, s4, s16
	s_add_i32 s5, s5, s3
	s_mul_i32 s4, s4, s16
	s_lshl_b64 s[4:5], s[4:5], 2
	s_add_u32 s30, s14, s4
	s_addc_u32 s31, s15, s5
.LBB75_2:
	s_load_dword s33, s[10:11], 0x0
	s_andn2_b64 vcc, exec, s[12:13]
	s_cbranch_vccnz .LBB75_4
; %bb.3:
	s_mul_i32 s3, s9, s16
	s_mul_hi_u32 s4, s8, s16
	s_add_i32 s5, s4, s3
	s_mul_i32 s4, s8, s16
	s_lshl_b64 s[4:5], s[4:5], 2
	s_add_u32 s18, s6, s4
	s_addc_u32 s19, s7, s5
.LBB75_4:
	s_load_dwordx4 s[12:15], s[0:1], 0x60
	s_waitcnt lgkmcnt(0)
	v_cmp_eq_f32_e64 s[4:5], s33, 0
	v_cmp_neq_f32_e64 s[26:27], s33, 0
	s_and_b64 vcc, exec, s[4:5]
	s_cbranch_vccnz .LBB75_6
; %bb.5:
	s_mul_i32 s3, s13, s16
	s_mul_hi_u32 s4, s12, s16
	s_add_i32 s5, s4, s3
	s_mul_i32 s4, s12, s16
	s_lshl_b64 s[4:5], s[4:5], 2
	s_add_u32 s24, s20, s4
	s_addc_u32 s25, s21, s5
	s_branch .LBB75_7
.LBB75_6:
	s_mov_b64 s[24:25], 0
.LBB75_7:
	s_load_dwordx4 s[20:23], s[0:1], 0x0
	s_load_dword s36, s[0:1], 0x20
	v_and_b32_e32 v70, 0x3ff, v0
	v_bfe_u32 v71, v0, 10, 10
	v_and_b32_e32 v72, 3, v0
	s_waitcnt lgkmcnt(0)
	s_add_i32 s3, s20, -1
	s_ashr_i32 s4, s3, 31
	s_lshr_b32 s4, s4, 26
	s_add_i32 s3, s3, s4
	s_ashr_i32 s3, s3, 6
	s_add_i32 s7, s3, 1
	v_cvt_f32_u32_e32 v1, s7
	s_not_b32 s3, s3
	v_lshl_add_u32 v0, v71, 3, v70
	v_lshrrev_b32_e32 v2, 2, v0
	v_rcp_iflag_f32_e32 v1, v1
	v_cmp_le_i32_e64 s[4:5], s22, v72
	v_cmp_eq_f32_e64 s[28:29], s35, 0
                                        ; implicit-def: $vgpr3
	v_mul_f32_e32 v1, 0x4f7ffffe, v1
	v_cvt_u32_f32_e32 v1, v1
	s_nop 0
	v_readfirstlane_b32 s6, v1
	s_mul_i32 s3, s3, s6
	s_mul_hi_u32 s3, s6, s3
	s_add_i32 s6, s6, s3
	s_mul_hi_u32 s3, s2, s6
	s_mul_i32 s6, s3, s7
	s_sub_i32 s6, s2, s6
	s_add_i32 s8, s3, 1
	s_sub_i32 s9, s6, s7
	s_cmp_ge_u32 s6, s7
	s_cselect_b32 s3, s8, s3
	s_cselect_b32 s6, s9, s6
	s_add_i32 s8, s3, 1
	s_cmp_ge_u32 s6, s7
	s_cselect_b32 s6, s8, s3
	s_mul_i32 s3, s6, s7
	s_sub_i32 s2, s2, s3
	s_lshl_b32 s17, s2, 6
	v_add_u32_e32 v56, s17, v2
	v_cmp_le_i32_e32 vcc, s20, v56
	s_or_b64 s[2:3], s[4:5], vcc
	s_nor_b64 s[4:5], s[28:29], s[2:3]
                                        ; implicit-def: $sgpr7
	s_and_saveexec_b64 s[8:9], s[4:5]
	s_xor_b64 s[4:5], exec, s[8:9]
	s_cbranch_execz .LBB75_9
; %bb.8:
	s_add_i32 s7, s22, -1
	v_mad_i64_i32 v[4:5], s[8:9], v56, s36, 0
	v_min_u32_e32 v1, s7, v72
	v_lshl_add_u64 v[4:5], v[4:5], 2, s[30:31]
	v_lshlrev_b32_e32 v6, 2, v1
	v_mov_b32_e32 v7, 0
	v_lshl_add_u64 v[4:5], v[4:5], 0, v[6:7]
	global_load_dword v1, v[4:5], off
	s_waitcnt vmcnt(0)
	v_mul_f32_e32 v3, s35, v1
.LBB75_9:
	s_or_saveexec_b64 s[4:5], s[4:5]
	v_mov_b32_e32 v1, s7
	s_xor_b64 exec, exec, s[4:5]
; %bb.10:
	v_mov_b32_e32 v1, 0x7f7fffff
	v_cndmask_b32_e64 v3, 0, v1, s[2:3]
	s_add_i32 s2, s22, -1
	v_mov_b32_e32 v1, s2
; %bb.11:
	s_or_b64 exec, exec, s[4:5]
	s_load_dword s23, s[0:1], 0x38
	v_lshrrev_b32_e32 v73, 6, v0
	v_and_b32_e32 v4, 63, v0
	s_lshl_b32 s34, s6, 8
	v_min_i32_e32 v0, v73, v1
	v_or_b32_e32 v64, s34, v4
	s_waitcnt lgkmcnt(0)
	v_mad_i64_i32 v[0:1], s[2:3], v0, s23, 0
	v_cmp_le_i32_e64 s[10:11], s22, v73
	v_cmp_le_i32_e64 s[2:3], s21, v64
	v_mov_b32_e32 v6, 0x7f7fffff
	s_or_b64 s[4:5], s[2:3], s[10:11]
	v_lshl_add_u64 v[0:1], v[0:1], 2, s[18:19]
	v_cndmask_b32_e64 v5, 0, v6, s[4:5]
	s_nor_b64 s[6:7], s[28:29], s[4:5]
	v_ashrrev_i32_e32 v65, 31, v64
	s_and_saveexec_b64 s[4:5], s[6:7]
	s_cbranch_execz .LBB75_13
; %bb.12:
	v_lshl_add_u64 v[8:9], v[64:65], 2, v[0:1]
	global_load_dword v5, v[8:9], off
	s_waitcnt vmcnt(0)
	v_mul_f32_e32 v5, s35, v5
.LBB75_13:
	s_or_b64 exec, exec, s[4:5]
	v_or_b32_e32 v7, 64, v64
	v_cmp_le_i32_e64 s[4:5], s21, v7
	s_or_b64 s[6:7], s[4:5], s[10:11]
	v_cndmask_b32_e64 v6, 0, v6, s[6:7]
	s_nor_b64 s[8:9], s[28:29], s[6:7]
	s_and_saveexec_b64 s[6:7], s[8:9]
	s_cbranch_execz .LBB75_15
; %bb.14:
	v_lshl_add_u64 v[6:7], v[64:65], 2, v[0:1]
	global_load_dword v6, v[6:7], off offset:256
	s_waitcnt vmcnt(0)
	v_mul_f32_e32 v6, s35, v6
.LBB75_15:
	s_or_b64 exec, exec, s[6:7]
	v_or_b32_e32 v7, 0x80, v64
	v_cmp_le_i32_e64 s[6:7], s21, v7
	v_mov_b32_e32 v8, 0x7f7fffff
	s_or_b64 s[8:9], s[6:7], s[10:11]
	v_cndmask_b32_e64 v7, 0, v8, s[8:9]
	s_nor_b64 s[12:13], s[28:29], s[8:9]
	s_and_saveexec_b64 s[8:9], s[12:13]
	s_cbranch_execz .LBB75_17
; %bb.16:
	v_lshl_add_u64 v[10:11], v[64:65], 2, v[0:1]
	global_load_dword v7, v[10:11], off offset:512
	s_waitcnt vmcnt(0)
	v_mul_f32_e32 v7, s35, v7
.LBB75_17:
	s_or_b64 exec, exec, s[8:9]
	v_or_b32_e32 v9, 0xc0, v64
	v_cmp_le_i32_e64 s[8:9], s21, v9
	s_or_b64 s[10:11], s[8:9], s[10:11]
	v_cndmask_b32_e64 v8, 0, v8, s[10:11]
	s_nor_b64 s[12:13], s[28:29], s[10:11]
	s_and_saveexec_b64 s[10:11], s[12:13]
	s_cbranch_execz .LBB75_19
; %bb.18:
	v_lshl_add_u64 v[0:1], v[64:65], 2, v[0:1]
	global_load_dword v0, v[0:1], off offset:768
	s_waitcnt vmcnt(0)
	v_mul_f32_e32 v8, s35, v0
.LBB75_19:
	s_or_b64 exec, exec, s[10:11]
	v_or_b32_e32 v0, 4, v72
	v_cmp_le_i32_e64 s[10:11], s22, v0
	s_or_b64 s[10:11], s[10:11], vcc
	s_nor_b64 s[12:13], s[28:29], s[10:11]
                                        ; implicit-def: $vgpr57
                                        ; implicit-def: $sgpr37
	s_and_saveexec_b64 s[38:39], s[12:13]
	s_xor_b64 s[12:13], exec, s[38:39]
	s_cbranch_execz .LBB75_21
; %bb.20:
	s_add_i32 s37, s22, -1
	v_mad_i64_i32 v[10:11], s[38:39], v56, s36, 0
	v_min_u32_e32 v0, s37, v0
	v_lshl_add_u64 v[10:11], v[10:11], 2, s[30:31]
	v_lshlrev_b32_e32 v0, 2, v0
	v_mov_b32_e32 v1, 0
	v_lshl_add_u64 v[0:1], v[10:11], 0, v[0:1]
	global_load_dword v0, v[0:1], off
	s_waitcnt vmcnt(0)
	v_mul_f32_e32 v57, s35, v0
.LBB75_21:
	s_or_saveexec_b64 s[12:13], s[12:13]
	v_mov_b32_e32 v0, s37
	s_xor_b64 exec, exec, s[12:13]
; %bb.22:
	v_mov_b32_e32 v0, 0x7f7fffff
	v_cndmask_b32_e64 v57, 0, v0, s[10:11]
	s_add_i32 s10, s22, -1
	v_mov_b32_e32 v0, s10
; %bb.23:
	s_or_b64 exec, exec, s[12:13]
	v_add_u32_e32 v1, 4, v73
	v_min_i32_e32 v0, v1, v0
	v_cmp_le_i32_e64 s[10:11], s22, v1
	v_mad_i64_i32 v[0:1], s[12:13], v0, s23, 0
	v_mov_b32_e32 v9, 0x7f7fffff
	s_or_b64 s[12:13], s[2:3], s[10:11]
	v_lshl_add_u64 v[0:1], v[0:1], 2, s[18:19]
	v_cndmask_b32_e64 v58, 0, v9, s[12:13]
	s_nor_b64 s[38:39], s[28:29], s[12:13]
	s_and_saveexec_b64 s[12:13], s[38:39]
	s_cbranch_execz .LBB75_25
; %bb.24:
	v_lshl_add_u64 v[10:11], v[64:65], 2, v[0:1]
	global_load_dword v10, v[10:11], off
	s_waitcnt vmcnt(0)
	v_mul_f32_e32 v58, s35, v10
.LBB75_25:
	s_or_b64 exec, exec, s[12:13]
	s_or_b64 s[12:13], s[4:5], s[10:11]
	v_cndmask_b32_e64 v59, 0, v9, s[12:13]
	s_nor_b64 s[38:39], s[28:29], s[12:13]
	s_and_saveexec_b64 s[12:13], s[38:39]
	s_cbranch_execz .LBB75_27
; %bb.26:
	v_lshl_add_u64 v[10:11], v[64:65], 2, v[0:1]
	global_load_dword v9, v[10:11], off offset:256
	s_waitcnt vmcnt(0)
	v_mul_f32_e32 v59, s35, v9
.LBB75_27:
	s_or_b64 exec, exec, s[12:13]
	v_mov_b32_e32 v9, 0x7f7fffff
	s_or_b64 s[12:13], s[6:7], s[10:11]
	v_cndmask_b32_e64 v60, 0, v9, s[12:13]
	s_nor_b64 s[38:39], s[28:29], s[12:13]
	s_and_saveexec_b64 s[12:13], s[38:39]
	s_cbranch_execz .LBB75_29
; %bb.28:
	v_lshl_add_u64 v[10:11], v[64:65], 2, v[0:1]
	global_load_dword v10, v[10:11], off offset:512
	s_waitcnt vmcnt(0)
	v_mul_f32_e32 v60, s35, v10
.LBB75_29:
	s_or_b64 exec, exec, s[12:13]
	s_or_b64 s[10:11], s[8:9], s[10:11]
	v_cndmask_b32_e64 v61, 0, v9, s[10:11]
	s_nor_b64 s[38:39], s[28:29], s[10:11]
	s_mov_b32 s12, 0x7f7fffff
	s_and_saveexec_b64 s[10:11], s[38:39]
	s_cbranch_execz .LBB75_31
; %bb.30:
	v_lshl_add_u64 v[0:1], v[64:65], 2, v[0:1]
	global_load_dword v0, v[0:1], off offset:768
	s_waitcnt vmcnt(0)
	v_mul_f32_e32 v61, s35, v0
.LBB75_31:
	s_or_b64 exec, exec, s[10:11]
	v_lshlrev_b32_e32 v0, 2, v72
	v_lshl_or_b32 v62, v2, 4, v0
	v_lshlrev_b32_e32 v0, 4, v4
	v_lshl_add_u32 v76, v73, 2, v0
	v_lshlrev_b32_e32 v75, 4, v70
	ds_write_b32 v62, v3 offset:8192
	ds_write2st64_b32 v76, v5, v6 offset1:4
	ds_write2st64_b32 v76, v7, v8 offset0:8 offset1:12
	s_waitcnt lgkmcnt(0)
	s_barrier
	v_lshlrev_b32_e32 v74, 4, v71
	ds_read_b128 v[28:31], v75 offset:8192
	ds_read_b128 v[24:27], v75 offset:8320
	;; [unrolled: 1-line block ×8, first 2 shown]
	ds_read_b128 v[52:55], v74
	ds_read_b128 v[48:51], v74 offset:512
	ds_read_b128 v[44:47], v74 offset:1024
	;; [unrolled: 1-line block ×5, first 2 shown]
	s_waitcnt lgkmcnt(5)
	v_pk_add_f32 v[66:67], v[28:29], v[52:53]
	s_cmp_lt_i32 s22, 9
	v_min3_f32 v63, v66, v67, s12
	v_pk_add_f32 v[66:67], v[24:25], v[52:53]
	s_nop 0
	v_min3_f32 v68, v66, v67, s12
	v_pk_add_f32 v[66:67], v[20:21], v[52:53]
	s_nop 0
	v_min3_f32 v69, v66, v67, s12
	v_pk_add_f32 v[66:67], v[16:17], v[52:53]
	s_nop 0
	v_min3_f32 v77, v66, v67, s12
	v_pk_add_f32 v[66:67], v[12:13], v[52:53]
	s_nop 0
	v_min3_f32 v78, v66, v67, s12
	v_pk_add_f32 v[66:67], v[8:9], v[52:53]
	s_nop 0
	v_min3_f32 v80, v66, v67, s12
	v_pk_add_f32 v[66:67], v[4:5], v[52:53]
	v_pk_add_f32 v[52:53], v[0:1], v[52:53]
	v_min3_f32 v66, v66, v67, s12
	v_min3_f32 v67, v52, v53, s12
	s_waitcnt lgkmcnt(4)
	v_pk_add_f32 v[52:53], v[28:29], v[48:49]
	s_nop 0
	v_min3_f32 v81, v52, v53, s12
	v_pk_add_f32 v[52:53], v[24:25], v[48:49]
	s_nop 0
	v_min3_f32 v82, v52, v53, s12
	v_pk_add_f32 v[52:53], v[20:21], v[48:49]
	s_nop 0
	v_min3_f32 v83, v52, v53, s12
	v_pk_add_f32 v[52:53], v[16:17], v[48:49]
	s_nop 0
	v_min3_f32 v84, v52, v53, s12
	v_pk_add_f32 v[52:53], v[12:13], v[48:49]
	s_nop 0
	v_min3_f32 v85, v52, v53, s12
	v_pk_add_f32 v[52:53], v[8:9], v[48:49]
	s_nop 0
	v_min3_f32 v86, v52, v53, s12
	v_pk_add_f32 v[52:53], v[4:5], v[48:49]
	v_pk_add_f32 v[48:49], v[0:1], v[48:49]
	v_min3_f32 v87, v52, v53, s12
	v_min3_f32 v88, v48, v49, s12
	s_waitcnt lgkmcnt(3)
	v_pk_add_f32 v[48:49], v[28:29], v[44:45]
	s_nop 0
	;; [unrolled: 23-line block ×5, first 2 shown]
	v_min3_f32 v124, v36, v37, s12
	v_pk_add_f32 v[36:37], v[24:25], v[32:33]
	s_nop 0
	v_min3_f32 v146, v36, v37, s12
	v_pk_add_f32 v[36:37], v[20:21], v[32:33]
	s_nop 0
	;; [unrolled: 3-line block ×12, first 2 shown]
	v_min3_f32 v78, v36, v37, v66
	v_pk_add_f32 v[36:37], v[4:5], v[32:33]
	v_pk_add_f32 v[32:33], v[0:1], v[32:33]
	v_min3_f32 v63, v36, v37, s12
	v_min3_f32 v66, v32, v33, s12
	v_pk_add_f32 v[32:33], v[2:3], v[54:55]
	ds_read_b128 v[52:55], v74 offset:3072
	v_min3_f32 v141, v32, v33, v67
	v_pk_add_f32 v[32:33], v[30:31], v[50:51]
	s_nop 0
	v_min3_f32 v140, v32, v33, v81
	v_pk_add_f32 v[32:33], v[26:27], v[50:51]
	s_nop 0
	;; [unrolled: 3-line block ×7, first 2 shown]
	v_min3_f32 v131, v32, v33, v87
	v_pk_add_f32 v[32:33], v[2:3], v[50:51]
	ds_read_b128 v[48:51], v74 offset:3584
	v_min3_f32 v136, v32, v33, v88
	v_pk_add_f32 v[32:33], v[30:31], v[46:47]
	s_waitcnt lgkmcnt(1)
	v_pk_add_f32 v[36:37], v[28:29], v[52:53]
	v_min3_f32 v134, v32, v33, v89
	v_pk_add_f32 v[32:33], v[26:27], v[46:47]
	v_min3_f32 v67, v36, v37, s12
	v_min3_f32 v132, v32, v33, v90
	v_pk_add_f32 v[32:33], v[22:23], v[46:47]
	v_pk_add_f32 v[36:37], v[24:25], v[52:53]
	v_min3_f32 v130, v32, v33, v91
	v_pk_add_f32 v[32:33], v[18:19], v[46:47]
	v_min3_f32 v68, v36, v37, s12
	v_min3_f32 v129, v32, v33, v92
	v_pk_add_f32 v[32:33], v[14:15], v[46:47]
	v_pk_add_f32 v[36:37], v[12:13], v[52:53]
	v_min3_f32 v128, v32, v33, v93
	v_pk_add_f32 v[32:33], v[10:11], v[46:47]
	s_waitcnt lgkmcnt(0)
	v_pk_add_f32 v[28:29], v[28:29], v[48:49]
	v_min3_f32 v127, v32, v33, v94
	v_pk_add_f32 v[32:33], v[6:7], v[46:47]
	v_min3_f32 v28, v28, v29, s12
	v_min3_f32 v126, v32, v33, v95
	v_pk_add_f32 v[32:33], v[20:21], v[52:53]
	v_pk_add_f32 v[24:25], v[24:25], v[48:49]
	v_min3_f32 v69, v32, v33, s12
	v_pk_add_f32 v[32:33], v[16:17], v[52:53]
	v_pk_add_f32 v[12:13], v[12:13], v[48:49]
	v_min3_f32 v80, v32, v33, s12
	v_pk_add_f32 v[32:33], v[2:3], v[46:47]
	v_min3_f32 v46, v36, v37, s12
	v_min3_f32 v125, v32, v33, v96
	v_pk_add_f32 v[32:33], v[30:31], v[42:43]
	v_pk_add_f32 v[36:37], v[8:9], v[52:53]
	v_min3_f32 v123, v32, v33, v97
	v_pk_add_f32 v[32:33], v[26:27], v[42:43]
	v_min3_f32 v36, v36, v37, s12
	;; [unrolled: 6-line block ×3, first 2 shown]
	v_min3_f32 v120, v32, v33, v100
	v_pk_add_f32 v[32:33], v[14:15], v[42:43]
	v_pk_add_f32 v[24:25], v[30:31], v[34:35]
	v_min3_f32 v119, v32, v33, v101
	v_pk_add_f32 v[32:33], v[10:11], v[42:43]
	v_pk_add_f32 v[20:21], v[20:21], v[48:49]
	v_min3_f32 v118, v32, v33, v102
	v_pk_add_f32 v[32:33], v[6:7], v[42:43]
	v_min3_f32 v12, v12, v13, s12
	v_min3_f32 v117, v32, v33, v44
	v_pk_add_f32 v[32:33], v[4:5], v[52:53]
	v_pk_add_f32 v[4:5], v[4:5], v[48:49]
	v_min3_f32 v37, v32, v33, s12
	v_pk_add_f32 v[32:33], v[0:1], v[52:53]
	v_pk_add_f32 v[0:1], v[0:1], v[48:49]
	v_min3_f32 v44, v32, v33, s12
	v_pk_add_f32 v[32:33], v[2:3], v[42:43]
	v_min3_f32 v4, v4, v5, s12
	v_min3_f32 v116, v32, v33, v45
	v_pk_add_f32 v[32:33], v[30:31], v[38:39]
	v_min3_f32 v5, v0, v1, s12
	v_min3_f32 v115, v32, v33, v103
	v_pk_add_f32 v[32:33], v[26:27], v[38:39]
	v_pk_add_f32 v[0:1], v[2:3], v[54:55]
	v_min3_f32 v114, v32, v33, v104
	v_pk_add_f32 v[32:33], v[22:23], v[38:39]
	v_min3_f32 v92, v0, v1, v44
	v_min3_f32 v113, v32, v33, v105
	v_pk_add_f32 v[32:33], v[18:19], v[38:39]
	v_pk_add_f32 v[0:1], v[30:31], v[50:51]
	v_min3_f32 v112, v32, v33, v106
	v_pk_add_f32 v[32:33], v[14:15], v[38:39]
	v_min3_f32 v13, v8, v9, s12
	;; [unrolled: 2-line block ×4, first 2 shown]
	v_min3_f32 v107, v24, v25, v124
	v_pk_add_f32 v[24:25], v[26:27], v[34:35]
	v_min3_f32 v20, v20, v21, s12
	v_pk_add_f32 v[16:17], v[16:17], v[48:49]
	;; [unrolled: 2-line block ×5, first 2 shown]
	v_min3_f32 v21, v16, v17, s12
	v_min3_f32 v98, v8, v9, v68
	v_pk_add_f32 v[8:9], v[22:23], v[54:55]
	v_min3_f32 v89, v0, v1, v20
	v_pk_add_f32 v[0:1], v[18:19], v[50:51]
	;; [unrolled: 2-line block ×5, first 2 shown]
	v_pk_add_f32 v[32:33], v[10:11], v[38:39]
	v_min3_f32 v104, v24, v25, v148
	v_pk_add_f32 v[24:25], v[14:15], v[34:35]
	v_min3_f32 v96, v8, v9, v80
	;; [unrolled: 2-line block ×9, first 2 shown]
	v_pk_add_f32 v[24:25], v[6:7], v[34:35]
	v_pk_add_f32 v[16:17], v[2:3], v[34:35]
	v_min3_f32 v94, v8, v9, v36
	v_pk_add_f32 v[8:9], v[6:7], v[54:55]
	v_min3_f32 v84, v0, v1, v4
	v_pk_add_f32 v[0:1], v[2:3], v[50:51]
	v_min3_f32 v108, v32, v33, v41
	v_min3_f32 v101, v24, v25, v63
	v_min3_f32 v100, v16, v17, v66
	;; [unrolled: 1-line block ×4, first 2 shown]
	ds_write_b32 v62, v57 offset:9216
	ds_write2st64_b32 v76, v58, v59 offset0:16 offset1:20
	ds_write2st64_b32 v76, v60, v61 offset0:24 offset1:28
	s_waitcnt lgkmcnt(0)
	s_barrier
	s_cbranch_scc1 .LBB75_58
; %bb.32:
	v_mov_b32_e32 v0, 0x2400
	v_lshl_add_u32 v124, v70, 4, v0
	v_mov_b32_e32 v0, 0x1000
	v_and_b32_e32 v2, 3, v70
	v_lshl_add_u32 v146, v71, 4, v0
	v_mad_i64_i32 v[0:1], s[10:11], s36, v56, 0
	v_lshlrev_b32_e32 v2, 2, v2
	v_mov_b32_e32 v3, 0
	v_lshl_add_u64 v[0:1], v[0:1], 2, v[2:3]
	v_lshl_add_u64 v[0:1], s[30:31], 0, v[0:1]
	v_add_u32_e32 v80, 0x2000, v62
	v_add_u32_e32 v81, 0x2000, v75
	;; [unrolled: 1-line block ×4, first 2 shown]
	s_add_i32 s37, s22, -8
	s_add_i32 s38, s22, -1
	v_lshl_add_u64 v[66:67], v[0:1], 0, 32
	s_mov_b32 s30, 0
	v_mov_b32_e32 v147, 0x7f7fffff
	s_branch .LBB75_34
.LBB75_33:                              ;   in Loop: Header=BB75_34 Depth=1
	s_or_b64 exec, exec, s[10:11]
	v_pk_add_f32 v[68:69], v[28:29], v[60:61]
	s_add_i32 s30, s30, 8
	v_min3_f32 v145, v68, v69, v145
	v_pk_add_f32 v[68:69], v[24:25], v[60:61]
	s_cmp_ge_i32 s30, s37
	v_min3_f32 v144, v68, v69, v144
	v_pk_add_f32 v[68:69], v[20:21], v[60:61]
	v_lshl_add_u64 v[66:67], v[66:67], 0, 32
	v_min3_f32 v143, v68, v69, v143
	v_pk_add_f32 v[68:69], v[16:17], v[60:61]
	s_nop 0
	v_min3_f32 v142, v68, v69, v142
	v_pk_add_f32 v[68:69], v[12:13], v[60:61]
	s_nop 0
	v_min3_f32 v79, v68, v69, v79
	v_pk_add_f32 v[68:69], v[8:9], v[60:61]
	s_nop 0
	v_min3_f32 v77, v68, v69, v77
	v_pk_add_f32 v[68:69], v[4:5], v[60:61]
	v_pk_add_f32 v[60:61], v[0:1], v[60:61]
	v_min3_f32 v68, v68, v69, v78
	v_min3_f32 v69, v60, v61, v141
	v_pk_add_f32 v[60:61], v[28:29], v[56:57]
	s_nop 0
	v_min3_f32 v78, v60, v61, v140
	v_pk_add_f32 v[60:61], v[24:25], v[56:57]
	s_nop 0
	v_min3_f32 v139, v60, v61, v139
	v_pk_add_f32 v[60:61], v[20:21], v[56:57]
	s_nop 0
	v_min3_f32 v138, v60, v61, v138
	v_pk_add_f32 v[60:61], v[16:17], v[56:57]
	s_nop 0
	v_min3_f32 v137, v60, v61, v137
	v_pk_add_f32 v[60:61], v[12:13], v[56:57]
	s_nop 0
	v_min3_f32 v135, v60, v61, v135
	v_pk_add_f32 v[60:61], v[8:9], v[56:57]
	s_nop 0
	v_min3_f32 v133, v60, v61, v133
	v_pk_add_f32 v[60:61], v[4:5], v[56:57]
	v_pk_add_f32 v[56:57], v[0:1], v[56:57]
	v_min3_f32 v60, v60, v61, v131
	v_min3_f32 v61, v56, v57, v136
	v_pk_add_f32 v[56:57], v[28:29], v[52:53]
	s_nop 0
	v_min3_f32 v131, v56, v57, v134
	v_pk_add_f32 v[56:57], v[24:25], v[52:53]
	s_nop 0
	v_min3_f32 v132, v56, v57, v132
	v_pk_add_f32 v[56:57], v[20:21], v[52:53]
	s_nop 0
	;; [unrolled: 22-line block ×5, first 2 shown]
	v_min3_f32 v105, v44, v45, v105
	v_pk_add_f32 v[44:45], v[16:17], v[40:41]
	s_nop 0
	v_min3_f32 v104, v44, v45, v104
	v_pk_add_f32 v[44:45], v[12:13], v[40:41]
	s_nop 0
	;; [unrolled: 3-line block ×3, first 2 shown]
	v_min3_f32 v102, v44, v45, v102
	v_pk_add_f32 v[44:45], v[4:5], v[40:41]
	v_pk_add_f32 v[40:41], v[0:1], v[40:41]
	v_min3_f32 v44, v44, v45, v101
	v_min3_f32 v45, v40, v41, v100
	v_pk_add_f32 v[40:41], v[28:29], v[36:37]
	v_pk_add_f32 v[28:29], v[28:29], v[32:33]
	v_min3_f32 v99, v40, v41, v99
	v_pk_add_f32 v[40:41], v[24:25], v[36:37]
	v_pk_add_f32 v[24:25], v[24:25], v[32:33]
	;; [unrolled: 3-line block ×7, first 2 shown]
	v_pk_add_f32 v[4:5], v[4:5], v[32:33]
	v_pk_add_f32 v[0:1], v[0:1], v[32:33]
	v_min3_f32 v4, v4, v5, v84
	v_min3_f32 v5, v0, v1, v88
	v_pk_add_f32 v[0:1], v[30:31], v[62:63]
	v_min3_f32 v8, v8, v9, v85
	v_min3_f32 v84, v0, v1, v145
	;; [unrolled: 3-line block ×9, first 2 shown]
	v_pk_add_f32 v[0:1], v[30:31], v[58:59]
	s_nop 0
	v_min3_f32 v78, v0, v1, v78
	v_pk_add_f32 v[0:1], v[26:27], v[58:59]
	s_nop 0
	v_min3_f32 v90, v0, v1, v139
	;; [unrolled: 3-line block ×56, first 2 shown]
	ds_read_b128 v[0:3], v81
	ds_read_b128 v[4:7], v81 offset:128
	ds_read_b128 v[8:11], v81 offset:256
	ds_read_b128 v[12:15], v81 offset:384
	ds_read_b128 v[16:19], v81 offset:512
	ds_read_b128 v[20:23], v81 offset:640
	ds_read_b128 v[24:27], v81 offset:768
	ds_read_b128 v[28:31], v81 offset:896
	ds_read_b128 v[36:39], v74
	ds_read_b128 v[40:43], v74 offset:512
	ds_read_b128 v[44:47], v74 offset:1024
	;; [unrolled: 1-line block ×7, first 2 shown]
	s_waitcnt lgkmcnt(7)
	v_pk_add_f32 v[68:69], v[0:1], v[36:37]
	ds_write_b32 v82, v148
	ds_write2st64_b32 v83, v149, v150 offset1:4
	ds_write2st64_b32 v83, v151, v152 offset0:8 offset1:12
	v_min3_f32 v84, v68, v69, v84
	v_pk_add_f32 v[68:69], v[4:5], v[36:37]
	s_waitcnt lgkmcnt(0)
	v_min3_f32 v85, v68, v69, v85
	v_pk_add_f32 v[68:69], v[8:9], v[36:37]
	s_barrier
	v_min3_f32 v86, v68, v69, v86
	v_pk_add_f32 v[68:69], v[12:13], v[36:37]
	s_nop 0
	v_min3_f32 v87, v68, v69, v87
	v_pk_add_f32 v[68:69], v[16:17], v[36:37]
	s_nop 0
	v_min3_f32 v79, v68, v69, v79
	v_pk_add_f32 v[68:69], v[20:21], v[36:37]
	s_nop 0
	v_min3_f32 v77, v68, v69, v77
	v_pk_add_f32 v[68:69], v[24:25], v[36:37]
	v_pk_add_f32 v[36:37], v[28:29], v[36:37]
	v_min3_f32 v68, v68, v69, v88
	v_min3_f32 v69, v36, v37, v89
	v_pk_add_f32 v[36:37], v[0:1], v[40:41]
	s_nop 0
	v_min3_f32 v88, v36, v37, v78
	v_pk_add_f32 v[36:37], v[4:5], v[40:41]
	s_nop 0
	;; [unrolled: 3-line block ×40, first 2 shown]
	v_min3_f32 v56, v36, v37, v135
	v_pk_add_f32 v[36:37], v[0:1], v[60:61]
	v_pk_add_f32 v[0:1], v[0:1], v[32:33]
	v_min3_f32 v57, v36, v37, v99
	v_pk_add_f32 v[36:37], v[4:5], v[60:61]
	s_nop 0
	v_min3_f32 v98, v36, v37, v98
	v_pk_add_f32 v[36:37], v[8:9], v[60:61]
	s_nop 0
	;; [unrolled: 3-line block ×7, first 2 shown]
	v_min3_f32 v36, v36, v37, v137
	v_min3_f32 v37, v0, v1, v138
	v_pk_add_f32 v[0:1], v[4:5], v[32:33]
	s_nop 0
	v_min3_f32 v4, v0, v1, v139
	v_pk_add_f32 v[0:1], v[8:9], v[32:33]
	s_nop 0
	;; [unrolled: 3-line block ×71, first 2 shown]
	v_min3_f32 v88, v0, v1, v16
	s_cbranch_scc1 .LBB75_58
.LBB75_34:                              ; =>This Inner Loop Header: Depth=1
	v_add_u32_e32 v68, s30, v72
	v_add_u32_e32 v0, 8, v68
	v_cmp_le_i32_e64 s[10:11], s22, v0
	s_or_b64 s[10:11], s[10:11], vcc
	s_nor_b64 s[12:13], s[28:29], s[10:11]
                                        ; implicit-def: $vgpr148
	s_and_saveexec_b64 s[40:41], s[12:13]
	s_xor_b64 s[12:13], exec, s[40:41]
	s_cbranch_execz .LBB75_36
; %bb.35:                               ;   in Loop: Header=BB75_34 Depth=1
	global_load_dword v0, v[66:67], off
	s_waitcnt vmcnt(0)
	v_mul_f32_e32 v148, s35, v0
.LBB75_36:                              ;   in Loop: Header=BB75_34 Depth=1
	s_andn2_saveexec_b64 s[12:13], s[12:13]
; %bb.37:                               ;   in Loop: Header=BB75_34 Depth=1
	v_cndmask_b32_e64 v148, 0, v147, s[10:11]
; %bb.38:                               ;   in Loop: Header=BB75_34 Depth=1
	s_or_b64 exec, exec, s[12:13]
	v_add_u32_e32 v69, s30, v73
	v_add_u32_e32 v0, 8, v69
	v_cmp_le_i32_e64 s[10:11], s22, v0
	v_min_i32_e32 v0, s38, v0
	v_mad_i64_i32 v[0:1], s[12:13], v0, s23, 0
	v_lshl_add_u64 v[0:1], v[0:1], 2, s[18:19]
	s_or_b64 s[12:13], s[2:3], s[10:11]
	v_cndmask_b32_e64 v149, 0, v147, s[12:13]
	s_nor_b64 s[40:41], s[28:29], s[12:13]
	v_lshl_add_u64 v[0:1], v[64:65], 2, v[0:1]
	s_and_saveexec_b64 s[12:13], s[40:41]
	s_cbranch_execz .LBB75_40
; %bb.39:                               ;   in Loop: Header=BB75_34 Depth=1
	global_load_dword v2, v[0:1], off
	s_waitcnt vmcnt(0)
	v_mul_f32_e32 v149, s35, v2
.LBB75_40:                              ;   in Loop: Header=BB75_34 Depth=1
	s_or_b64 exec, exec, s[12:13]
	s_or_b64 s[12:13], s[4:5], s[10:11]
	v_cndmask_b32_e64 v150, 0, v147, s[12:13]
	s_nor_b64 s[40:41], s[28:29], s[12:13]
	s_and_saveexec_b64 s[12:13], s[40:41]
	s_cbranch_execz .LBB75_42
; %bb.41:                               ;   in Loop: Header=BB75_34 Depth=1
	global_load_dword v2, v[0:1], off offset:256
	s_waitcnt vmcnt(0)
	v_mul_f32_e32 v150, s35, v2
.LBB75_42:                              ;   in Loop: Header=BB75_34 Depth=1
	s_or_b64 exec, exec, s[12:13]
	s_or_b64 s[12:13], s[6:7], s[10:11]
	v_cndmask_b32_e64 v151, 0, v147, s[12:13]
	s_nor_b64 s[40:41], s[28:29], s[12:13]
	s_and_saveexec_b64 s[12:13], s[40:41]
	s_cbranch_execz .LBB75_44
; %bb.43:                               ;   in Loop: Header=BB75_34 Depth=1
	global_load_dword v2, v[0:1], off offset:512
	s_waitcnt vmcnt(0)
	v_mul_f32_e32 v151, s35, v2
.LBB75_44:                              ;   in Loop: Header=BB75_34 Depth=1
	;; [unrolled: 11-line block ×3, first 2 shown]
	s_or_b64 exec, exec, s[10:11]
	ds_read_b128 v[28:31], v124
	ds_read_b128 v[24:27], v124 offset:128
	ds_read_b128 v[20:23], v124 offset:256
	;; [unrolled: 1-line block ×7, first 2 shown]
	ds_read_b128 v[60:63], v146
	ds_read_b128 v[56:59], v146 offset:512
	ds_read_b128 v[52:55], v146 offset:1024
	;; [unrolled: 1-line block ×7, first 2 shown]
	v_add_u32_e32 v68, 12, v68
	v_cmp_le_i32_e64 s[10:11], s22, v68
	s_or_b64 s[10:11], s[10:11], vcc
	s_nor_b64 s[12:13], s[28:29], s[10:11]
	ds_write_b32 v80, v148
	ds_write2st64_b32 v76, v149, v150 offset1:4
	ds_write2st64_b32 v76, v151, v152 offset0:8 offset1:12
	s_waitcnt lgkmcnt(0)
	s_barrier
                                        ; implicit-def: $vgpr148
	s_and_saveexec_b64 s[40:41], s[12:13]
	s_xor_b64 s[12:13], exec, s[40:41]
	s_cbranch_execz .LBB75_48
; %bb.47:                               ;   in Loop: Header=BB75_34 Depth=1
	global_load_dword v68, v[66:67], off offset:16
	s_waitcnt vmcnt(0)
	v_mul_f32_e32 v148, s35, v68
.LBB75_48:                              ;   in Loop: Header=BB75_34 Depth=1
	s_andn2_saveexec_b64 s[12:13], s[12:13]
; %bb.49:                               ;   in Loop: Header=BB75_34 Depth=1
	v_cndmask_b32_e64 v148, 0, v147, s[10:11]
; %bb.50:                               ;   in Loop: Header=BB75_34 Depth=1
	s_or_b64 exec, exec, s[12:13]
	v_add_u32_e32 v68, 12, v69
	v_cmp_le_i32_e64 s[10:11], s22, v68
	v_min_i32_e32 v68, s38, v68
	v_mad_i64_i32 v[68:69], s[12:13], v68, s23, 0
	v_lshl_add_u64 v[68:69], v[68:69], 2, s[18:19]
	s_or_b64 s[12:13], s[2:3], s[10:11]
	v_cndmask_b32_e64 v149, 0, v147, s[12:13]
	s_nor_b64 s[40:41], s[28:29], s[12:13]
	v_lshl_add_u64 v[68:69], v[64:65], 2, v[68:69]
	s_and_saveexec_b64 s[12:13], s[40:41]
	s_cbranch_execz .LBB75_52
; %bb.51:                               ;   in Loop: Header=BB75_34 Depth=1
	global_load_dword v149, v[68:69], off
	s_waitcnt vmcnt(0)
	v_mul_f32_e32 v149, s35, v149
.LBB75_52:                              ;   in Loop: Header=BB75_34 Depth=1
	s_or_b64 exec, exec, s[12:13]
	s_or_b64 s[12:13], s[4:5], s[10:11]
	v_cndmask_b32_e64 v150, 0, v147, s[12:13]
	s_nor_b64 s[40:41], s[28:29], s[12:13]
	s_and_saveexec_b64 s[12:13], s[40:41]
	s_cbranch_execz .LBB75_54
; %bb.53:                               ;   in Loop: Header=BB75_34 Depth=1
	global_load_dword v150, v[68:69], off offset:256
	s_waitcnt vmcnt(0)
	v_mul_f32_e32 v150, s35, v150
.LBB75_54:                              ;   in Loop: Header=BB75_34 Depth=1
	s_or_b64 exec, exec, s[12:13]
	s_or_b64 s[12:13], s[6:7], s[10:11]
	v_cndmask_b32_e64 v151, 0, v147, s[12:13]
	s_nor_b64 s[40:41], s[28:29], s[12:13]
	s_and_saveexec_b64 s[12:13], s[40:41]
	s_cbranch_execz .LBB75_56
; %bb.55:                               ;   in Loop: Header=BB75_34 Depth=1
	global_load_dword v151, v[68:69], off offset:512
	s_waitcnt vmcnt(0)
	v_mul_f32_e32 v151, s35, v151
.LBB75_56:                              ;   in Loop: Header=BB75_34 Depth=1
	s_or_b64 exec, exec, s[12:13]
	s_or_b64 s[10:11], s[8:9], s[10:11]
	v_cndmask_b32_e64 v152, 0, v147, s[10:11]
	s_nor_b64 s[12:13], s[28:29], s[10:11]
	s_and_saveexec_b64 s[10:11], s[12:13]
	s_cbranch_execz .LBB75_33
; %bb.57:                               ;   in Loop: Header=BB75_34 Depth=1
	global_load_dword v68, v[68:69], off offset:768
	s_waitcnt vmcnt(0)
	v_mul_f32_e32 v152, s35, v68
	s_branch .LBB75_33
.LBB75_58:
	s_load_dwordx2 s[2:3], s[0:1], 0x78
	s_load_dword s29, s[0:1], 0x58
	s_load_dword s28, s[0:1], 0x70
	ds_read_b128 v[32:35], v75 offset:9216
	ds_read_b128 v[28:31], v75 offset:9344
	;; [unrolled: 1-line block ×16, first 2 shown]
	v_add_u32_e32 v124, s34, v71
	s_waitcnt lgkmcnt(0)
	s_mul_i32 s1, s3, s16
	s_mul_hi_u32 s3, s2, s16
	s_mul_i32 s0, s2, s16
	s_add_i32 s1, s3, s1
	s_lshl_b64 s[0:1], s[0:1], 2
	s_add_u32 s22, s14, s0
	s_addc_u32 s23, s15, s1
	v_mad_i64_i32 v[66:67], s[0:1], v124, s29, 0
	v_add_u32_e32 v64, s17, v70
	v_lshl_add_u64 v[82:83], v[66:67], 2, s[24:25]
	v_mad_i64_i32 v[66:67], s[0:1], v124, s28, 0
	v_cmp_gt_i32_e64 s[18:19], s21, v124
	v_lshl_add_u64 v[80:81], v[66:67], 2, s[22:23]
	v_cmp_gt_i32_e64 s[2:3], s20, v64
	v_cndmask_b32_e64 v66, 0, 1, s[26:27]
	s_and_b64 s[6:7], s[2:3], s[18:19]
	v_ashrrev_i32_e32 v65, 31, v64
	v_cmp_ne_u32_e64 s[0:1], 1, v66
	s_and_saveexec_b64 s[4:5], s[6:7]
	s_cbranch_execz .LBB75_63
; %bb.59:
	s_and_b64 vcc, exec, s[0:1]
	s_cbranch_vccnz .LBB75_61
; %bb.60:
	v_lshl_add_u64 v[66:67], v[64:65], 2, v[82:83]
	global_load_dword v66, v[66:67], off
	s_waitcnt vmcnt(0)
	v_mul_f32_e32 v66, s33, v66
	s_branch .LBB75_62
.LBB75_61:
	v_mov_b32_e32 v66, 0
.LBB75_62:
	v_pk_add_f32 v[68:69], v[32:33], v[60:61]
	s_nop 0
	v_min3_f32 v67, v68, v69, v145
	v_pk_add_f32 v[68:69], v[34:35], v[62:63]
	s_nop 0
	v_min_f32_e32 v68, v68, v69
	v_min3_f32 v68, v66, v68, v67
	v_lshl_add_u64 v[66:67], v[64:65], 2, v[80:81]
	global_store_dword v[66:67], v68, off
.LBB75_63:
	s_or_b64 exec, exec, s[4:5]
	v_add_u32_e32 v66, 8, v64
	v_cmp_gt_i32_e64 s[4:5], s20, v66
	s_and_b64 s[8:9], s[4:5], s[18:19]
	v_ashrrev_i32_e32 v67, 31, v66
	s_and_saveexec_b64 s[6:7], s[8:9]
	s_cbranch_execz .LBB75_68
; %bb.64:
	s_and_b64 vcc, exec, s[0:1]
	s_cbranch_vccnz .LBB75_66
; %bb.65:
	v_lshl_add_u64 v[68:69], v[66:67], 2, v[82:83]
	global_load_dword v68, v[68:69], off
	s_waitcnt vmcnt(0)
	v_mul_f32_e32 v68, s33, v68
	s_branch .LBB75_67
.LBB75_66:
	v_mov_b32_e32 v68, 0
.LBB75_67:
	v_pk_add_f32 v[70:71], v[28:29], v[60:61]
	s_nop 0
	v_min3_f32 v69, v70, v71, v144
	v_pk_add_f32 v[70:71], v[30:31], v[62:63]
	s_nop 0
	v_min_f32_e32 v70, v70, v71
	v_min3_f32 v70, v68, v70, v69
	v_lshl_add_u64 v[68:69], v[66:67], 2, v[80:81]
	global_store_dword v[68:69], v70, off
.LBB75_68:
	s_or_b64 exec, exec, s[6:7]
	v_add_u32_e32 v68, 16, v64
	v_cmp_gt_i32_e64 s[6:7], s20, v68
	s_and_b64 s[10:11], s[6:7], s[18:19]
	v_ashrrev_i32_e32 v69, 31, v68
	;; [unrolled: 29-line block ×7, first 2 shown]
	s_and_saveexec_b64 s[18:19], s[26:27]
	s_cbranch_execz .LBB75_98
; %bb.94:
	s_and_b64 vcc, exec, s[0:1]
	s_cbranch_vccnz .LBB75_96
; %bb.95:
	v_lshl_add_u64 v[82:83], v[78:79], 2, v[82:83]
	global_load_dword v82, v[82:83], off
	s_waitcnt vmcnt(0)
	v_mul_f32_e32 v82, s33, v82
	s_branch .LBB75_97
.LBB75_96:
	v_mov_b32_e32 v82, 0
.LBB75_97:
	v_pk_add_f32 v[60:61], v[0:1], v[60:61]
	s_nop 0
	v_min3_f32 v83, v60, v61, v141
	v_pk_add_f32 v[60:61], v[2:3], v[62:63]
	s_nop 0
	v_min_f32_e32 v60, v60, v61
	v_min3_f32 v62, v82, v60, v83
	v_lshl_add_u64 v[60:61], v[78:79], 2, v[80:81]
	global_store_dword v[60:61], v62, off
.LBB75_98:
	s_or_b64 exec, exec, s[18:19]
	v_add_u32_e32 v80, 32, v124
	v_mad_i64_i32 v[60:61], s[26:27], v80, s29, 0
	v_cmp_gt_i32_e64 s[18:19], s21, v80
	v_lshl_add_u64 v[62:63], v[60:61], 2, s[24:25]
	v_mad_i64_i32 v[60:61], s[26:27], v80, s28, 0
	v_lshl_add_u64 v[60:61], v[60:61], 2, s[22:23]
	s_and_b64 s[30:31], s[2:3], s[18:19]
	s_and_saveexec_b64 s[26:27], s[30:31]
	s_cbranch_execnz .LBB75_106
; %bb.99:
	s_or_b64 exec, exec, s[26:27]
	s_and_b64 s[30:31], s[4:5], s[18:19]
	s_and_saveexec_b64 s[26:27], s[30:31]
	s_cbranch_execnz .LBB75_110
.LBB75_100:
	s_or_b64 exec, exec, s[26:27]
	s_and_b64 s[30:31], s[6:7], s[18:19]
	s_and_saveexec_b64 s[26:27], s[30:31]
	s_cbranch_execnz .LBB75_114
.LBB75_101:
	s_or_b64 exec, exec, s[26:27]
	s_and_b64 s[30:31], s[8:9], s[18:19]
	s_and_saveexec_b64 s[26:27], s[30:31]
	s_cbranch_execnz .LBB75_118
.LBB75_102:
	s_or_b64 exec, exec, s[26:27]
	s_and_b64 s[30:31], s[10:11], s[18:19]
	s_and_saveexec_b64 s[26:27], s[30:31]
	s_cbranch_execnz .LBB75_122
.LBB75_103:
	s_or_b64 exec, exec, s[26:27]
	s_and_b64 s[30:31], s[12:13], s[18:19]
	s_and_saveexec_b64 s[26:27], s[30:31]
	s_cbranch_execnz .LBB75_126
.LBB75_104:
	s_or_b64 exec, exec, s[26:27]
	s_and_b64 s[30:31], s[14:15], s[18:19]
	s_and_saveexec_b64 s[26:27], s[30:31]
	s_cbranch_execnz .LBB75_130
.LBB75_105:
	s_or_b64 exec, exec, s[26:27]
	s_and_b64 s[26:27], s[16:17], s[18:19]
	s_and_saveexec_b64 s[18:19], s[26:27]
	s_cbranch_execnz .LBB75_134
	s_branch .LBB75_138
.LBB75_106:
	s_and_b64 vcc, exec, s[0:1]
	s_cbranch_vccnz .LBB75_108
; %bb.107:
	v_lshl_add_u64 v[80:81], v[64:65], 2, v[62:63]
	global_load_dword v80, v[80:81], off
	s_waitcnt vmcnt(0)
	v_mul_f32_e32 v80, s33, v80
	s_branch .LBB75_109
.LBB75_108:
	v_mov_b32_e32 v80, 0
.LBB75_109:
	v_pk_add_f32 v[82:83], v[32:33], v[56:57]
	s_nop 0
	v_min3_f32 v81, v82, v83, v140
	v_pk_add_f32 v[82:83], v[34:35], v[58:59]
	s_nop 0
	v_min_f32_e32 v82, v82, v83
	v_min3_f32 v82, v80, v82, v81
	v_lshl_add_u64 v[80:81], v[64:65], 2, v[60:61]
	global_store_dword v[80:81], v82, off
	s_or_b64 exec, exec, s[26:27]
	s_and_b64 s[30:31], s[4:5], s[18:19]
	s_and_saveexec_b64 s[26:27], s[30:31]
	s_cbranch_execz .LBB75_100
.LBB75_110:
	s_and_b64 vcc, exec, s[0:1]
	s_cbranch_vccnz .LBB75_112
; %bb.111:
	v_lshl_add_u64 v[80:81], v[66:67], 2, v[62:63]
	global_load_dword v80, v[80:81], off
	s_waitcnt vmcnt(0)
	v_mul_f32_e32 v80, s33, v80
	s_branch .LBB75_113
.LBB75_112:
	v_mov_b32_e32 v80, 0
.LBB75_113:
	v_pk_add_f32 v[82:83], v[28:29], v[56:57]
	s_nop 0
	v_min3_f32 v81, v82, v83, v139
	v_pk_add_f32 v[82:83], v[30:31], v[58:59]
	s_nop 0
	v_min_f32_e32 v82, v82, v83
	v_min3_f32 v82, v80, v82, v81
	v_lshl_add_u64 v[80:81], v[66:67], 2, v[60:61]
	global_store_dword v[80:81], v82, off
	s_or_b64 exec, exec, s[26:27]
	s_and_b64 s[30:31], s[6:7], s[18:19]
	s_and_saveexec_b64 s[26:27], s[30:31]
	s_cbranch_execz .LBB75_101
.LBB75_114:
	s_and_b64 vcc, exec, s[0:1]
	s_cbranch_vccnz .LBB75_116
; %bb.115:
	v_lshl_add_u64 v[80:81], v[68:69], 2, v[62:63]
	global_load_dword v80, v[80:81], off
	s_waitcnt vmcnt(0)
	v_mul_f32_e32 v80, s33, v80
	s_branch .LBB75_117
.LBB75_116:
	v_mov_b32_e32 v80, 0
.LBB75_117:
	v_pk_add_f32 v[82:83], v[24:25], v[56:57]
	s_nop 0
	v_min3_f32 v81, v82, v83, v138
	v_pk_add_f32 v[82:83], v[26:27], v[58:59]
	s_nop 0
	v_min_f32_e32 v82, v82, v83
	v_min3_f32 v82, v80, v82, v81
	v_lshl_add_u64 v[80:81], v[68:69], 2, v[60:61]
	global_store_dword v[80:81], v82, off
	s_or_b64 exec, exec, s[26:27]
	s_and_b64 s[30:31], s[8:9], s[18:19]
	s_and_saveexec_b64 s[26:27], s[30:31]
	s_cbranch_execz .LBB75_102
.LBB75_118:
	s_and_b64 vcc, exec, s[0:1]
	s_cbranch_vccnz .LBB75_120
; %bb.119:
	v_lshl_add_u64 v[80:81], v[70:71], 2, v[62:63]
	global_load_dword v80, v[80:81], off
	s_waitcnt vmcnt(0)
	v_mul_f32_e32 v80, s33, v80
	s_branch .LBB75_121
.LBB75_120:
	v_mov_b32_e32 v80, 0
.LBB75_121:
	v_pk_add_f32 v[82:83], v[20:21], v[56:57]
	s_nop 0
	v_min3_f32 v81, v82, v83, v137
	v_pk_add_f32 v[82:83], v[22:23], v[58:59]
	s_nop 0
	v_min_f32_e32 v82, v82, v83
	v_min3_f32 v82, v80, v82, v81
	v_lshl_add_u64 v[80:81], v[70:71], 2, v[60:61]
	global_store_dword v[80:81], v82, off
	s_or_b64 exec, exec, s[26:27]
	s_and_b64 s[30:31], s[10:11], s[18:19]
	s_and_saveexec_b64 s[26:27], s[30:31]
	s_cbranch_execz .LBB75_103
.LBB75_122:
	s_and_b64 vcc, exec, s[0:1]
	s_cbranch_vccnz .LBB75_124
; %bb.123:
	v_lshl_add_u64 v[80:81], v[72:73], 2, v[62:63]
	global_load_dword v80, v[80:81], off
	s_waitcnt vmcnt(0)
	v_mul_f32_e32 v80, s33, v80
	s_branch .LBB75_125
.LBB75_124:
	v_mov_b32_e32 v80, 0
.LBB75_125:
	v_pk_add_f32 v[82:83], v[16:17], v[56:57]
	s_nop 0
	v_min3_f32 v81, v82, v83, v135
	v_pk_add_f32 v[82:83], v[18:19], v[58:59]
	s_nop 0
	v_min_f32_e32 v82, v82, v83
	v_min3_f32 v82, v80, v82, v81
	v_lshl_add_u64 v[80:81], v[72:73], 2, v[60:61]
	global_store_dword v[80:81], v82, off
	s_or_b64 exec, exec, s[26:27]
	s_and_b64 s[30:31], s[12:13], s[18:19]
	s_and_saveexec_b64 s[26:27], s[30:31]
	s_cbranch_execz .LBB75_104
.LBB75_126:
	s_and_b64 vcc, exec, s[0:1]
	s_cbranch_vccnz .LBB75_128
; %bb.127:
	v_lshl_add_u64 v[80:81], v[74:75], 2, v[62:63]
	global_load_dword v80, v[80:81], off
	s_waitcnt vmcnt(0)
	v_mul_f32_e32 v80, s33, v80
	s_branch .LBB75_129
.LBB75_128:
	v_mov_b32_e32 v80, 0
.LBB75_129:
	v_pk_add_f32 v[82:83], v[12:13], v[56:57]
	s_nop 0
	v_min3_f32 v81, v82, v83, v133
	v_pk_add_f32 v[82:83], v[14:15], v[58:59]
	s_nop 0
	v_min_f32_e32 v82, v82, v83
	v_min3_f32 v82, v80, v82, v81
	v_lshl_add_u64 v[80:81], v[74:75], 2, v[60:61]
	global_store_dword v[80:81], v82, off
	s_or_b64 exec, exec, s[26:27]
	s_and_b64 s[30:31], s[14:15], s[18:19]
	s_and_saveexec_b64 s[26:27], s[30:31]
	s_cbranch_execz .LBB75_105
.LBB75_130:
	s_and_b64 vcc, exec, s[0:1]
	s_cbranch_vccnz .LBB75_132
; %bb.131:
	v_lshl_add_u64 v[80:81], v[76:77], 2, v[62:63]
	global_load_dword v80, v[80:81], off
	s_waitcnt vmcnt(0)
	v_mul_f32_e32 v80, s33, v80
	s_branch .LBB75_133
.LBB75_132:
	v_mov_b32_e32 v80, 0
.LBB75_133:
	v_pk_add_f32 v[82:83], v[8:9], v[56:57]
	s_nop 0
	v_min3_f32 v81, v82, v83, v131
	v_pk_add_f32 v[82:83], v[10:11], v[58:59]
	s_nop 0
	v_min_f32_e32 v82, v82, v83
	v_min3_f32 v82, v80, v82, v81
	v_lshl_add_u64 v[80:81], v[76:77], 2, v[60:61]
	global_store_dword v[80:81], v82, off
	s_or_b64 exec, exec, s[26:27]
	s_and_b64 s[26:27], s[16:17], s[18:19]
	s_and_saveexec_b64 s[18:19], s[26:27]
	s_cbranch_execz .LBB75_138
.LBB75_134:
	s_and_b64 vcc, exec, s[0:1]
	s_cbranch_vccnz .LBB75_136
; %bb.135:
	v_lshl_add_u64 v[62:63], v[78:79], 2, v[62:63]
	global_load_dword v62, v[62:63], off
	s_waitcnt vmcnt(0)
	v_mul_f32_e32 v62, s33, v62
	s_branch .LBB75_137
.LBB75_136:
	v_mov_b32_e32 v62, 0
.LBB75_137:
	v_pk_add_f32 v[56:57], v[0:1], v[56:57]
	s_nop 0
	v_min3_f32 v63, v56, v57, v136
	v_pk_add_f32 v[56:57], v[2:3], v[58:59]
	s_nop 0
	v_min_f32_e32 v56, v56, v57
	v_min3_f32 v58, v62, v56, v63
	v_lshl_add_u64 v[56:57], v[78:79], 2, v[60:61]
	global_store_dword v[56:57], v58, off
.LBB75_138:
	s_or_b64 exec, exec, s[18:19]
	v_add_u32_e32 v60, 64, v124
	v_mad_i64_i32 v[56:57], s[26:27], v60, s29, 0
	v_cmp_gt_i32_e64 s[18:19], s21, v60
	v_lshl_add_u64 v[58:59], v[56:57], 2, s[24:25]
	v_mad_i64_i32 v[56:57], s[26:27], v60, s28, 0
	v_lshl_add_u64 v[56:57], v[56:57], 2, s[22:23]
	s_and_b64 s[30:31], s[2:3], s[18:19]
	s_and_saveexec_b64 s[26:27], s[30:31]
	s_cbranch_execnz .LBB75_146
; %bb.139:
	s_or_b64 exec, exec, s[26:27]
	s_and_b64 s[30:31], s[4:5], s[18:19]
	s_and_saveexec_b64 s[26:27], s[30:31]
	s_cbranch_execnz .LBB75_150
.LBB75_140:
	s_or_b64 exec, exec, s[26:27]
	s_and_b64 s[30:31], s[6:7], s[18:19]
	s_and_saveexec_b64 s[26:27], s[30:31]
	s_cbranch_execnz .LBB75_154
.LBB75_141:
	s_or_b64 exec, exec, s[26:27]
	s_and_b64 s[30:31], s[8:9], s[18:19]
	s_and_saveexec_b64 s[26:27], s[30:31]
	s_cbranch_execnz .LBB75_158
.LBB75_142:
	s_or_b64 exec, exec, s[26:27]
	s_and_b64 s[30:31], s[10:11], s[18:19]
	s_and_saveexec_b64 s[26:27], s[30:31]
	s_cbranch_execnz .LBB75_162
.LBB75_143:
	s_or_b64 exec, exec, s[26:27]
	s_and_b64 s[30:31], s[12:13], s[18:19]
	s_and_saveexec_b64 s[26:27], s[30:31]
	s_cbranch_execnz .LBB75_166
.LBB75_144:
	s_or_b64 exec, exec, s[26:27]
	s_and_b64 s[30:31], s[14:15], s[18:19]
	s_and_saveexec_b64 s[26:27], s[30:31]
	s_cbranch_execnz .LBB75_170
.LBB75_145:
	s_or_b64 exec, exec, s[26:27]
	s_and_b64 s[26:27], s[16:17], s[18:19]
	s_and_saveexec_b64 s[18:19], s[26:27]
	s_cbranch_execnz .LBB75_174
	s_branch .LBB75_178
.LBB75_146:
	s_and_b64 vcc, exec, s[0:1]
	s_cbranch_vccnz .LBB75_148
; %bb.147:
	v_lshl_add_u64 v[60:61], v[64:65], 2, v[58:59]
	global_load_dword v60, v[60:61], off
	s_waitcnt vmcnt(0)
	v_mul_f32_e32 v60, s33, v60
	s_branch .LBB75_149
.LBB75_148:
	v_mov_b32_e32 v60, 0
.LBB75_149:
	v_pk_add_f32 v[62:63], v[32:33], v[52:53]
	s_nop 0
	v_min3_f32 v61, v62, v63, v134
	v_pk_add_f32 v[62:63], v[34:35], v[54:55]
	s_nop 0
	v_min_f32_e32 v62, v62, v63
	v_min3_f32 v62, v60, v62, v61
	v_lshl_add_u64 v[60:61], v[64:65], 2, v[56:57]
	global_store_dword v[60:61], v62, off
	s_or_b64 exec, exec, s[26:27]
	s_and_b64 s[30:31], s[4:5], s[18:19]
	s_and_saveexec_b64 s[26:27], s[30:31]
	s_cbranch_execz .LBB75_140
.LBB75_150:
	s_and_b64 vcc, exec, s[0:1]
	s_cbranch_vccnz .LBB75_152
; %bb.151:
	v_lshl_add_u64 v[60:61], v[66:67], 2, v[58:59]
	global_load_dword v60, v[60:61], off
	s_waitcnt vmcnt(0)
	v_mul_f32_e32 v60, s33, v60
	s_branch .LBB75_153
.LBB75_152:
	v_mov_b32_e32 v60, 0
.LBB75_153:
	v_pk_add_f32 v[62:63], v[28:29], v[52:53]
	s_nop 0
	v_min3_f32 v61, v62, v63, v132
	v_pk_add_f32 v[62:63], v[30:31], v[54:55]
	s_nop 0
	v_min_f32_e32 v62, v62, v63
	v_min3_f32 v62, v60, v62, v61
	v_lshl_add_u64 v[60:61], v[66:67], 2, v[56:57]
	global_store_dword v[60:61], v62, off
	s_or_b64 exec, exec, s[26:27]
	s_and_b64 s[30:31], s[6:7], s[18:19]
	s_and_saveexec_b64 s[26:27], s[30:31]
	s_cbranch_execz .LBB75_141
.LBB75_154:
	s_and_b64 vcc, exec, s[0:1]
	s_cbranch_vccnz .LBB75_156
; %bb.155:
	v_lshl_add_u64 v[60:61], v[68:69], 2, v[58:59]
	global_load_dword v60, v[60:61], off
	s_waitcnt vmcnt(0)
	v_mul_f32_e32 v60, s33, v60
	s_branch .LBB75_157
.LBB75_156:
	v_mov_b32_e32 v60, 0
.LBB75_157:
	v_pk_add_f32 v[62:63], v[24:25], v[52:53]
	s_nop 0
	v_min3_f32 v61, v62, v63, v130
	v_pk_add_f32 v[62:63], v[26:27], v[54:55]
	s_nop 0
	v_min_f32_e32 v62, v62, v63
	v_min3_f32 v62, v60, v62, v61
	v_lshl_add_u64 v[60:61], v[68:69], 2, v[56:57]
	global_store_dword v[60:61], v62, off
	s_or_b64 exec, exec, s[26:27]
	s_and_b64 s[30:31], s[8:9], s[18:19]
	s_and_saveexec_b64 s[26:27], s[30:31]
	s_cbranch_execz .LBB75_142
.LBB75_158:
	s_and_b64 vcc, exec, s[0:1]
	s_cbranch_vccnz .LBB75_160
; %bb.159:
	v_lshl_add_u64 v[60:61], v[70:71], 2, v[58:59]
	global_load_dword v60, v[60:61], off
	s_waitcnt vmcnt(0)
	v_mul_f32_e32 v60, s33, v60
	s_branch .LBB75_161
.LBB75_160:
	v_mov_b32_e32 v60, 0
.LBB75_161:
	v_pk_add_f32 v[62:63], v[20:21], v[52:53]
	s_nop 0
	v_min3_f32 v61, v62, v63, v129
	v_pk_add_f32 v[62:63], v[22:23], v[54:55]
	s_nop 0
	v_min_f32_e32 v62, v62, v63
	v_min3_f32 v62, v60, v62, v61
	v_lshl_add_u64 v[60:61], v[70:71], 2, v[56:57]
	global_store_dword v[60:61], v62, off
	s_or_b64 exec, exec, s[26:27]
	s_and_b64 s[30:31], s[10:11], s[18:19]
	s_and_saveexec_b64 s[26:27], s[30:31]
	s_cbranch_execz .LBB75_143
.LBB75_162:
	s_and_b64 vcc, exec, s[0:1]
	s_cbranch_vccnz .LBB75_164
; %bb.163:
	v_lshl_add_u64 v[60:61], v[72:73], 2, v[58:59]
	global_load_dword v60, v[60:61], off
	s_waitcnt vmcnt(0)
	v_mul_f32_e32 v60, s33, v60
	s_branch .LBB75_165
.LBB75_164:
	v_mov_b32_e32 v60, 0
.LBB75_165:
	v_pk_add_f32 v[62:63], v[16:17], v[52:53]
	s_nop 0
	v_min3_f32 v61, v62, v63, v128
	v_pk_add_f32 v[62:63], v[18:19], v[54:55]
	s_nop 0
	v_min_f32_e32 v62, v62, v63
	v_min3_f32 v62, v60, v62, v61
	v_lshl_add_u64 v[60:61], v[72:73], 2, v[56:57]
	global_store_dword v[60:61], v62, off
	s_or_b64 exec, exec, s[26:27]
	s_and_b64 s[30:31], s[12:13], s[18:19]
	s_and_saveexec_b64 s[26:27], s[30:31]
	s_cbranch_execz .LBB75_144
.LBB75_166:
	s_and_b64 vcc, exec, s[0:1]
	s_cbranch_vccnz .LBB75_168
; %bb.167:
	v_lshl_add_u64 v[60:61], v[74:75], 2, v[58:59]
	global_load_dword v60, v[60:61], off
	s_waitcnt vmcnt(0)
	v_mul_f32_e32 v60, s33, v60
	s_branch .LBB75_169
.LBB75_168:
	v_mov_b32_e32 v60, 0
.LBB75_169:
	v_pk_add_f32 v[62:63], v[12:13], v[52:53]
	s_nop 0
	v_min3_f32 v61, v62, v63, v127
	v_pk_add_f32 v[62:63], v[14:15], v[54:55]
	s_nop 0
	v_min_f32_e32 v62, v62, v63
	v_min3_f32 v62, v60, v62, v61
	v_lshl_add_u64 v[60:61], v[74:75], 2, v[56:57]
	global_store_dword v[60:61], v62, off
	s_or_b64 exec, exec, s[26:27]
	s_and_b64 s[30:31], s[14:15], s[18:19]
	s_and_saveexec_b64 s[26:27], s[30:31]
	s_cbranch_execz .LBB75_145
.LBB75_170:
	s_and_b64 vcc, exec, s[0:1]
	s_cbranch_vccnz .LBB75_172
; %bb.171:
	v_lshl_add_u64 v[60:61], v[76:77], 2, v[58:59]
	global_load_dword v60, v[60:61], off
	s_waitcnt vmcnt(0)
	v_mul_f32_e32 v60, s33, v60
	s_branch .LBB75_173
.LBB75_172:
	v_mov_b32_e32 v60, 0
.LBB75_173:
	v_pk_add_f32 v[62:63], v[8:9], v[52:53]
	s_nop 0
	v_min3_f32 v61, v62, v63, v126
	v_pk_add_f32 v[62:63], v[10:11], v[54:55]
	s_nop 0
	v_min_f32_e32 v62, v62, v63
	v_min3_f32 v62, v60, v62, v61
	v_lshl_add_u64 v[60:61], v[76:77], 2, v[56:57]
	global_store_dword v[60:61], v62, off
	s_or_b64 exec, exec, s[26:27]
	s_and_b64 s[26:27], s[16:17], s[18:19]
	s_and_saveexec_b64 s[18:19], s[26:27]
	s_cbranch_execz .LBB75_178
.LBB75_174:
	s_and_b64 vcc, exec, s[0:1]
	s_cbranch_vccnz .LBB75_176
; %bb.175:
	v_lshl_add_u64 v[58:59], v[78:79], 2, v[58:59]
	global_load_dword v58, v[58:59], off
	s_waitcnt vmcnt(0)
	v_mul_f32_e32 v58, s33, v58
	s_branch .LBB75_177
.LBB75_176:
	v_mov_b32_e32 v58, 0
.LBB75_177:
	v_pk_add_f32 v[52:53], v[0:1], v[52:53]
	s_nop 0
	v_min3_f32 v59, v52, v53, v125
	v_pk_add_f32 v[52:53], v[2:3], v[54:55]
	s_nop 0
	v_min_f32_e32 v52, v52, v53
	v_min3_f32 v54, v58, v52, v59
	v_lshl_add_u64 v[52:53], v[78:79], 2, v[56:57]
	global_store_dword v[52:53], v54, off
.LBB75_178:
	s_or_b64 exec, exec, s[18:19]
	v_add_u32_e32 v56, 0x60, v124
	v_mad_i64_i32 v[52:53], s[26:27], v56, s29, 0
	v_cmp_gt_i32_e64 s[18:19], s21, v56
	v_lshl_add_u64 v[54:55], v[52:53], 2, s[24:25]
	v_mad_i64_i32 v[52:53], s[26:27], v56, s28, 0
	v_lshl_add_u64 v[52:53], v[52:53], 2, s[22:23]
	s_and_b64 s[30:31], s[2:3], s[18:19]
	s_and_saveexec_b64 s[26:27], s[30:31]
	s_cbranch_execnz .LBB75_186
; %bb.179:
	s_or_b64 exec, exec, s[26:27]
	s_and_b64 s[30:31], s[4:5], s[18:19]
	s_and_saveexec_b64 s[26:27], s[30:31]
	s_cbranch_execnz .LBB75_190
.LBB75_180:
	s_or_b64 exec, exec, s[26:27]
	s_and_b64 s[30:31], s[6:7], s[18:19]
	s_and_saveexec_b64 s[26:27], s[30:31]
	s_cbranch_execnz .LBB75_194
.LBB75_181:
	s_or_b64 exec, exec, s[26:27]
	s_and_b64 s[30:31], s[8:9], s[18:19]
	s_and_saveexec_b64 s[26:27], s[30:31]
	s_cbranch_execnz .LBB75_198
.LBB75_182:
	s_or_b64 exec, exec, s[26:27]
	s_and_b64 s[30:31], s[10:11], s[18:19]
	s_and_saveexec_b64 s[26:27], s[30:31]
	s_cbranch_execnz .LBB75_202
.LBB75_183:
	s_or_b64 exec, exec, s[26:27]
	s_and_b64 s[30:31], s[12:13], s[18:19]
	s_and_saveexec_b64 s[26:27], s[30:31]
	s_cbranch_execnz .LBB75_206
.LBB75_184:
	s_or_b64 exec, exec, s[26:27]
	s_and_b64 s[30:31], s[14:15], s[18:19]
	s_and_saveexec_b64 s[26:27], s[30:31]
	s_cbranch_execnz .LBB75_210
.LBB75_185:
	s_or_b64 exec, exec, s[26:27]
	s_and_b64 s[26:27], s[16:17], s[18:19]
	s_and_saveexec_b64 s[18:19], s[26:27]
	s_cbranch_execnz .LBB75_214
	s_branch .LBB75_218
.LBB75_186:
	s_and_b64 vcc, exec, s[0:1]
	s_cbranch_vccnz .LBB75_188
; %bb.187:
	v_lshl_add_u64 v[56:57], v[64:65], 2, v[54:55]
	global_load_dword v56, v[56:57], off
	s_waitcnt vmcnt(0)
	v_mul_f32_e32 v56, s33, v56
	s_branch .LBB75_189
.LBB75_188:
	v_mov_b32_e32 v56, 0
.LBB75_189:
	v_pk_add_f32 v[58:59], v[32:33], v[48:49]
	s_nop 0
	v_min3_f32 v57, v58, v59, v123
	v_pk_add_f32 v[58:59], v[34:35], v[50:51]
	s_nop 0
	v_min_f32_e32 v58, v58, v59
	v_min3_f32 v58, v56, v58, v57
	v_lshl_add_u64 v[56:57], v[64:65], 2, v[52:53]
	global_store_dword v[56:57], v58, off
	s_or_b64 exec, exec, s[26:27]
	s_and_b64 s[30:31], s[4:5], s[18:19]
	s_and_saveexec_b64 s[26:27], s[30:31]
	s_cbranch_execz .LBB75_180
.LBB75_190:
	s_and_b64 vcc, exec, s[0:1]
	s_cbranch_vccnz .LBB75_192
; %bb.191:
	v_lshl_add_u64 v[56:57], v[66:67], 2, v[54:55]
	global_load_dword v56, v[56:57], off
	s_waitcnt vmcnt(0)
	v_mul_f32_e32 v56, s33, v56
	s_branch .LBB75_193
.LBB75_192:
	v_mov_b32_e32 v56, 0
.LBB75_193:
	v_pk_add_f32 v[58:59], v[28:29], v[48:49]
	s_nop 0
	v_min3_f32 v57, v58, v59, v122
	v_pk_add_f32 v[58:59], v[30:31], v[50:51]
	s_nop 0
	v_min_f32_e32 v58, v58, v59
	v_min3_f32 v58, v56, v58, v57
	v_lshl_add_u64 v[56:57], v[66:67], 2, v[52:53]
	global_store_dword v[56:57], v58, off
	s_or_b64 exec, exec, s[26:27]
	s_and_b64 s[30:31], s[6:7], s[18:19]
	s_and_saveexec_b64 s[26:27], s[30:31]
	s_cbranch_execz .LBB75_181
.LBB75_194:
	s_and_b64 vcc, exec, s[0:1]
	s_cbranch_vccnz .LBB75_196
; %bb.195:
	v_lshl_add_u64 v[56:57], v[68:69], 2, v[54:55]
	global_load_dword v56, v[56:57], off
	s_waitcnt vmcnt(0)
	v_mul_f32_e32 v56, s33, v56
	s_branch .LBB75_197
.LBB75_196:
	v_mov_b32_e32 v56, 0
.LBB75_197:
	v_pk_add_f32 v[58:59], v[24:25], v[48:49]
	s_nop 0
	v_min3_f32 v57, v58, v59, v121
	v_pk_add_f32 v[58:59], v[26:27], v[50:51]
	s_nop 0
	v_min_f32_e32 v58, v58, v59
	v_min3_f32 v58, v56, v58, v57
	v_lshl_add_u64 v[56:57], v[68:69], 2, v[52:53]
	global_store_dword v[56:57], v58, off
	s_or_b64 exec, exec, s[26:27]
	s_and_b64 s[30:31], s[8:9], s[18:19]
	s_and_saveexec_b64 s[26:27], s[30:31]
	s_cbranch_execz .LBB75_182
.LBB75_198:
	s_and_b64 vcc, exec, s[0:1]
	s_cbranch_vccnz .LBB75_200
; %bb.199:
	v_lshl_add_u64 v[56:57], v[70:71], 2, v[54:55]
	global_load_dword v56, v[56:57], off
	s_waitcnt vmcnt(0)
	v_mul_f32_e32 v56, s33, v56
	s_branch .LBB75_201
.LBB75_200:
	v_mov_b32_e32 v56, 0
.LBB75_201:
	v_pk_add_f32 v[58:59], v[20:21], v[48:49]
	s_nop 0
	v_min3_f32 v57, v58, v59, v120
	v_pk_add_f32 v[58:59], v[22:23], v[50:51]
	s_nop 0
	v_min_f32_e32 v58, v58, v59
	v_min3_f32 v58, v56, v58, v57
	v_lshl_add_u64 v[56:57], v[70:71], 2, v[52:53]
	global_store_dword v[56:57], v58, off
	s_or_b64 exec, exec, s[26:27]
	s_and_b64 s[30:31], s[10:11], s[18:19]
	s_and_saveexec_b64 s[26:27], s[30:31]
	s_cbranch_execz .LBB75_183
.LBB75_202:
	s_and_b64 vcc, exec, s[0:1]
	s_cbranch_vccnz .LBB75_204
; %bb.203:
	v_lshl_add_u64 v[56:57], v[72:73], 2, v[54:55]
	global_load_dword v56, v[56:57], off
	s_waitcnt vmcnt(0)
	v_mul_f32_e32 v56, s33, v56
	s_branch .LBB75_205
.LBB75_204:
	v_mov_b32_e32 v56, 0
.LBB75_205:
	v_pk_add_f32 v[58:59], v[16:17], v[48:49]
	s_nop 0
	v_min3_f32 v57, v58, v59, v119
	v_pk_add_f32 v[58:59], v[18:19], v[50:51]
	s_nop 0
	v_min_f32_e32 v58, v58, v59
	v_min3_f32 v58, v56, v58, v57
	v_lshl_add_u64 v[56:57], v[72:73], 2, v[52:53]
	global_store_dword v[56:57], v58, off
	s_or_b64 exec, exec, s[26:27]
	s_and_b64 s[30:31], s[12:13], s[18:19]
	s_and_saveexec_b64 s[26:27], s[30:31]
	s_cbranch_execz .LBB75_184
.LBB75_206:
	s_and_b64 vcc, exec, s[0:1]
	s_cbranch_vccnz .LBB75_208
; %bb.207:
	v_lshl_add_u64 v[56:57], v[74:75], 2, v[54:55]
	global_load_dword v56, v[56:57], off
	s_waitcnt vmcnt(0)
	v_mul_f32_e32 v56, s33, v56
	s_branch .LBB75_209
.LBB75_208:
	v_mov_b32_e32 v56, 0
.LBB75_209:
	v_pk_add_f32 v[58:59], v[12:13], v[48:49]
	s_nop 0
	v_min3_f32 v57, v58, v59, v118
	v_pk_add_f32 v[58:59], v[14:15], v[50:51]
	s_nop 0
	v_min_f32_e32 v58, v58, v59
	v_min3_f32 v58, v56, v58, v57
	v_lshl_add_u64 v[56:57], v[74:75], 2, v[52:53]
	global_store_dword v[56:57], v58, off
	s_or_b64 exec, exec, s[26:27]
	s_and_b64 s[30:31], s[14:15], s[18:19]
	s_and_saveexec_b64 s[26:27], s[30:31]
	s_cbranch_execz .LBB75_185
.LBB75_210:
	s_and_b64 vcc, exec, s[0:1]
	s_cbranch_vccnz .LBB75_212
; %bb.211:
	v_lshl_add_u64 v[56:57], v[76:77], 2, v[54:55]
	global_load_dword v56, v[56:57], off
	s_waitcnt vmcnt(0)
	v_mul_f32_e32 v56, s33, v56
	s_branch .LBB75_213
.LBB75_212:
	v_mov_b32_e32 v56, 0
.LBB75_213:
	v_pk_add_f32 v[58:59], v[8:9], v[48:49]
	s_nop 0
	v_min3_f32 v57, v58, v59, v117
	v_pk_add_f32 v[58:59], v[10:11], v[50:51]
	s_nop 0
	v_min_f32_e32 v58, v58, v59
	v_min3_f32 v58, v56, v58, v57
	v_lshl_add_u64 v[56:57], v[76:77], 2, v[52:53]
	global_store_dword v[56:57], v58, off
	s_or_b64 exec, exec, s[26:27]
	s_and_b64 s[26:27], s[16:17], s[18:19]
	s_and_saveexec_b64 s[18:19], s[26:27]
	s_cbranch_execz .LBB75_218
.LBB75_214:
	s_and_b64 vcc, exec, s[0:1]
	s_cbranch_vccnz .LBB75_216
; %bb.215:
	v_lshl_add_u64 v[54:55], v[78:79], 2, v[54:55]
	global_load_dword v54, v[54:55], off
	s_waitcnt vmcnt(0)
	v_mul_f32_e32 v54, s33, v54
	s_branch .LBB75_217
.LBB75_216:
	v_mov_b32_e32 v54, 0
.LBB75_217:
	v_pk_add_f32 v[48:49], v[0:1], v[48:49]
	s_nop 0
	v_min3_f32 v55, v48, v49, v116
	v_pk_add_f32 v[48:49], v[2:3], v[50:51]
	s_nop 0
	v_min_f32_e32 v48, v48, v49
	v_min3_f32 v50, v54, v48, v55
	v_lshl_add_u64 v[48:49], v[78:79], 2, v[52:53]
	global_store_dword v[48:49], v50, off
.LBB75_218:
	s_or_b64 exec, exec, s[18:19]
	v_add_u32_e32 v52, 0x80, v124
	v_mad_i64_i32 v[48:49], s[26:27], v52, s29, 0
	v_cmp_gt_i32_e64 s[18:19], s21, v52
	v_lshl_add_u64 v[50:51], v[48:49], 2, s[24:25]
	v_mad_i64_i32 v[48:49], s[26:27], v52, s28, 0
	v_lshl_add_u64 v[48:49], v[48:49], 2, s[22:23]
	s_and_b64 s[30:31], s[2:3], s[18:19]
	s_and_saveexec_b64 s[26:27], s[30:31]
	s_cbranch_execnz .LBB75_226
; %bb.219:
	s_or_b64 exec, exec, s[26:27]
	s_and_b64 s[30:31], s[4:5], s[18:19]
	s_and_saveexec_b64 s[26:27], s[30:31]
	s_cbranch_execnz .LBB75_230
.LBB75_220:
	s_or_b64 exec, exec, s[26:27]
	s_and_b64 s[30:31], s[6:7], s[18:19]
	s_and_saveexec_b64 s[26:27], s[30:31]
	s_cbranch_execnz .LBB75_234
.LBB75_221:
	s_or_b64 exec, exec, s[26:27]
	s_and_b64 s[30:31], s[8:9], s[18:19]
	s_and_saveexec_b64 s[26:27], s[30:31]
	s_cbranch_execnz .LBB75_238
.LBB75_222:
	s_or_b64 exec, exec, s[26:27]
	s_and_b64 s[30:31], s[10:11], s[18:19]
	s_and_saveexec_b64 s[26:27], s[30:31]
	s_cbranch_execnz .LBB75_242
.LBB75_223:
	s_or_b64 exec, exec, s[26:27]
	s_and_b64 s[30:31], s[12:13], s[18:19]
	s_and_saveexec_b64 s[26:27], s[30:31]
	s_cbranch_execnz .LBB75_246
.LBB75_224:
	s_or_b64 exec, exec, s[26:27]
	s_and_b64 s[30:31], s[14:15], s[18:19]
	s_and_saveexec_b64 s[26:27], s[30:31]
	s_cbranch_execnz .LBB75_250
.LBB75_225:
	s_or_b64 exec, exec, s[26:27]
	s_and_b64 s[26:27], s[16:17], s[18:19]
	s_and_saveexec_b64 s[18:19], s[26:27]
	s_cbranch_execnz .LBB75_254
	s_branch .LBB75_258
.LBB75_226:
	s_and_b64 vcc, exec, s[0:1]
	s_cbranch_vccnz .LBB75_228
; %bb.227:
	v_lshl_add_u64 v[52:53], v[64:65], 2, v[50:51]
	global_load_dword v52, v[52:53], off
	s_waitcnt vmcnt(0)
	v_mul_f32_e32 v52, s33, v52
	s_branch .LBB75_229
.LBB75_228:
	v_mov_b32_e32 v52, 0
.LBB75_229:
	v_pk_add_f32 v[54:55], v[32:33], v[44:45]
	s_nop 0
	v_min3_f32 v53, v54, v55, v115
	v_pk_add_f32 v[54:55], v[34:35], v[46:47]
	s_nop 0
	v_min_f32_e32 v54, v54, v55
	v_min3_f32 v54, v52, v54, v53
	v_lshl_add_u64 v[52:53], v[64:65], 2, v[48:49]
	global_store_dword v[52:53], v54, off
	s_or_b64 exec, exec, s[26:27]
	s_and_b64 s[30:31], s[4:5], s[18:19]
	s_and_saveexec_b64 s[26:27], s[30:31]
	s_cbranch_execz .LBB75_220
.LBB75_230:
	s_and_b64 vcc, exec, s[0:1]
	s_cbranch_vccnz .LBB75_232
; %bb.231:
	v_lshl_add_u64 v[52:53], v[66:67], 2, v[50:51]
	global_load_dword v52, v[52:53], off
	s_waitcnt vmcnt(0)
	v_mul_f32_e32 v52, s33, v52
	s_branch .LBB75_233
.LBB75_232:
	v_mov_b32_e32 v52, 0
.LBB75_233:
	v_pk_add_f32 v[54:55], v[28:29], v[44:45]
	s_nop 0
	v_min3_f32 v53, v54, v55, v114
	v_pk_add_f32 v[54:55], v[30:31], v[46:47]
	s_nop 0
	v_min_f32_e32 v54, v54, v55
	v_min3_f32 v54, v52, v54, v53
	v_lshl_add_u64 v[52:53], v[66:67], 2, v[48:49]
	global_store_dword v[52:53], v54, off
	s_or_b64 exec, exec, s[26:27]
	s_and_b64 s[30:31], s[6:7], s[18:19]
	s_and_saveexec_b64 s[26:27], s[30:31]
	s_cbranch_execz .LBB75_221
.LBB75_234:
	s_and_b64 vcc, exec, s[0:1]
	s_cbranch_vccnz .LBB75_236
; %bb.235:
	v_lshl_add_u64 v[52:53], v[68:69], 2, v[50:51]
	global_load_dword v52, v[52:53], off
	s_waitcnt vmcnt(0)
	v_mul_f32_e32 v52, s33, v52
	s_branch .LBB75_237
.LBB75_236:
	v_mov_b32_e32 v52, 0
.LBB75_237:
	v_pk_add_f32 v[54:55], v[24:25], v[44:45]
	s_nop 0
	v_min3_f32 v53, v54, v55, v113
	v_pk_add_f32 v[54:55], v[26:27], v[46:47]
	s_nop 0
	v_min_f32_e32 v54, v54, v55
	v_min3_f32 v54, v52, v54, v53
	v_lshl_add_u64 v[52:53], v[68:69], 2, v[48:49]
	global_store_dword v[52:53], v54, off
	s_or_b64 exec, exec, s[26:27]
	s_and_b64 s[30:31], s[8:9], s[18:19]
	s_and_saveexec_b64 s[26:27], s[30:31]
	s_cbranch_execz .LBB75_222
.LBB75_238:
	s_and_b64 vcc, exec, s[0:1]
	s_cbranch_vccnz .LBB75_240
; %bb.239:
	v_lshl_add_u64 v[52:53], v[70:71], 2, v[50:51]
	global_load_dword v52, v[52:53], off
	s_waitcnt vmcnt(0)
	v_mul_f32_e32 v52, s33, v52
	s_branch .LBB75_241
.LBB75_240:
	v_mov_b32_e32 v52, 0
.LBB75_241:
	v_pk_add_f32 v[54:55], v[20:21], v[44:45]
	s_nop 0
	v_min3_f32 v53, v54, v55, v112
	v_pk_add_f32 v[54:55], v[22:23], v[46:47]
	s_nop 0
	v_min_f32_e32 v54, v54, v55
	v_min3_f32 v54, v52, v54, v53
	v_lshl_add_u64 v[52:53], v[70:71], 2, v[48:49]
	global_store_dword v[52:53], v54, off
	s_or_b64 exec, exec, s[26:27]
	s_and_b64 s[30:31], s[10:11], s[18:19]
	s_and_saveexec_b64 s[26:27], s[30:31]
	s_cbranch_execz .LBB75_223
.LBB75_242:
	s_and_b64 vcc, exec, s[0:1]
	s_cbranch_vccnz .LBB75_244
; %bb.243:
	v_lshl_add_u64 v[52:53], v[72:73], 2, v[50:51]
	global_load_dword v52, v[52:53], off
	s_waitcnt vmcnt(0)
	v_mul_f32_e32 v52, s33, v52
	s_branch .LBB75_245
.LBB75_244:
	v_mov_b32_e32 v52, 0
.LBB75_245:
	v_pk_add_f32 v[54:55], v[16:17], v[44:45]
	s_nop 0
	v_min3_f32 v53, v54, v55, v111
	v_pk_add_f32 v[54:55], v[18:19], v[46:47]
	s_nop 0
	v_min_f32_e32 v54, v54, v55
	v_min3_f32 v54, v52, v54, v53
	v_lshl_add_u64 v[52:53], v[72:73], 2, v[48:49]
	global_store_dword v[52:53], v54, off
	s_or_b64 exec, exec, s[26:27]
	s_and_b64 s[30:31], s[12:13], s[18:19]
	s_and_saveexec_b64 s[26:27], s[30:31]
	s_cbranch_execz .LBB75_224
.LBB75_246:
	s_and_b64 vcc, exec, s[0:1]
	s_cbranch_vccnz .LBB75_248
; %bb.247:
	v_lshl_add_u64 v[52:53], v[74:75], 2, v[50:51]
	global_load_dword v52, v[52:53], off
	s_waitcnt vmcnt(0)
	v_mul_f32_e32 v52, s33, v52
	s_branch .LBB75_249
.LBB75_248:
	v_mov_b32_e32 v52, 0
.LBB75_249:
	v_pk_add_f32 v[54:55], v[12:13], v[44:45]
	s_nop 0
	v_min3_f32 v53, v54, v55, v110
	v_pk_add_f32 v[54:55], v[14:15], v[46:47]
	s_nop 0
	v_min_f32_e32 v54, v54, v55
	v_min3_f32 v54, v52, v54, v53
	v_lshl_add_u64 v[52:53], v[74:75], 2, v[48:49]
	global_store_dword v[52:53], v54, off
	s_or_b64 exec, exec, s[26:27]
	s_and_b64 s[30:31], s[14:15], s[18:19]
	s_and_saveexec_b64 s[26:27], s[30:31]
	s_cbranch_execz .LBB75_225
.LBB75_250:
	s_and_b64 vcc, exec, s[0:1]
	s_cbranch_vccnz .LBB75_252
; %bb.251:
	v_lshl_add_u64 v[52:53], v[76:77], 2, v[50:51]
	global_load_dword v52, v[52:53], off
	s_waitcnt vmcnt(0)
	v_mul_f32_e32 v52, s33, v52
	s_branch .LBB75_253
.LBB75_252:
	v_mov_b32_e32 v52, 0
.LBB75_253:
	v_pk_add_f32 v[54:55], v[8:9], v[44:45]
	s_nop 0
	v_min3_f32 v53, v54, v55, v109
	v_pk_add_f32 v[54:55], v[10:11], v[46:47]
	s_nop 0
	v_min_f32_e32 v54, v54, v55
	v_min3_f32 v54, v52, v54, v53
	v_lshl_add_u64 v[52:53], v[76:77], 2, v[48:49]
	global_store_dword v[52:53], v54, off
	s_or_b64 exec, exec, s[26:27]
	s_and_b64 s[26:27], s[16:17], s[18:19]
	s_and_saveexec_b64 s[18:19], s[26:27]
	s_cbranch_execz .LBB75_258
.LBB75_254:
	s_and_b64 vcc, exec, s[0:1]
	s_cbranch_vccnz .LBB75_256
; %bb.255:
	v_lshl_add_u64 v[50:51], v[78:79], 2, v[50:51]
	global_load_dword v50, v[50:51], off
	s_waitcnt vmcnt(0)
	v_mul_f32_e32 v50, s33, v50
	s_branch .LBB75_257
.LBB75_256:
	v_mov_b32_e32 v50, 0
.LBB75_257:
	v_pk_add_f32 v[44:45], v[0:1], v[44:45]
	s_nop 0
	v_min3_f32 v51, v44, v45, v108
	v_pk_add_f32 v[44:45], v[2:3], v[46:47]
	s_nop 0
	v_min_f32_e32 v44, v44, v45
	v_min3_f32 v46, v50, v44, v51
	v_lshl_add_u64 v[44:45], v[78:79], 2, v[48:49]
	global_store_dword v[44:45], v46, off
.LBB75_258:
	s_or_b64 exec, exec, s[18:19]
	v_add_u32_e32 v48, 0xa0, v124
	v_mad_i64_i32 v[44:45], s[26:27], v48, s29, 0
	v_cmp_gt_i32_e64 s[18:19], s21, v48
	v_lshl_add_u64 v[46:47], v[44:45], 2, s[24:25]
	v_mad_i64_i32 v[44:45], s[26:27], v48, s28, 0
	v_lshl_add_u64 v[44:45], v[44:45], 2, s[22:23]
	s_and_b64 s[30:31], s[2:3], s[18:19]
	s_and_saveexec_b64 s[26:27], s[30:31]
	s_cbranch_execnz .LBB75_266
; %bb.259:
	s_or_b64 exec, exec, s[26:27]
	s_and_b64 s[30:31], s[4:5], s[18:19]
	s_and_saveexec_b64 s[26:27], s[30:31]
	s_cbranch_execnz .LBB75_270
.LBB75_260:
	s_or_b64 exec, exec, s[26:27]
	s_and_b64 s[30:31], s[6:7], s[18:19]
	s_and_saveexec_b64 s[26:27], s[30:31]
	s_cbranch_execnz .LBB75_274
.LBB75_261:
	s_or_b64 exec, exec, s[26:27]
	s_and_b64 s[30:31], s[8:9], s[18:19]
	s_and_saveexec_b64 s[26:27], s[30:31]
	s_cbranch_execnz .LBB75_278
.LBB75_262:
	s_or_b64 exec, exec, s[26:27]
	s_and_b64 s[30:31], s[10:11], s[18:19]
	s_and_saveexec_b64 s[26:27], s[30:31]
	s_cbranch_execnz .LBB75_282
.LBB75_263:
	s_or_b64 exec, exec, s[26:27]
	s_and_b64 s[30:31], s[12:13], s[18:19]
	s_and_saveexec_b64 s[26:27], s[30:31]
	s_cbranch_execnz .LBB75_286
.LBB75_264:
	s_or_b64 exec, exec, s[26:27]
	s_and_b64 s[30:31], s[14:15], s[18:19]
	s_and_saveexec_b64 s[26:27], s[30:31]
	s_cbranch_execnz .LBB75_290
.LBB75_265:
	s_or_b64 exec, exec, s[26:27]
	s_and_b64 s[26:27], s[16:17], s[18:19]
	s_and_saveexec_b64 s[18:19], s[26:27]
	s_cbranch_execnz .LBB75_294
	s_branch .LBB75_298
.LBB75_266:
	s_and_b64 vcc, exec, s[0:1]
	s_cbranch_vccnz .LBB75_268
; %bb.267:
	v_lshl_add_u64 v[48:49], v[64:65], 2, v[46:47]
	global_load_dword v48, v[48:49], off
	s_waitcnt vmcnt(0)
	v_mul_f32_e32 v48, s33, v48
	s_branch .LBB75_269
.LBB75_268:
	v_mov_b32_e32 v48, 0
.LBB75_269:
	v_pk_add_f32 v[50:51], v[32:33], v[40:41]
	s_nop 0
	v_min3_f32 v49, v50, v51, v107
	v_pk_add_f32 v[50:51], v[34:35], v[42:43]
	s_nop 0
	v_min_f32_e32 v50, v50, v51
	v_min3_f32 v50, v48, v50, v49
	v_lshl_add_u64 v[48:49], v[64:65], 2, v[44:45]
	global_store_dword v[48:49], v50, off
	s_or_b64 exec, exec, s[26:27]
	s_and_b64 s[30:31], s[4:5], s[18:19]
	s_and_saveexec_b64 s[26:27], s[30:31]
	s_cbranch_execz .LBB75_260
.LBB75_270:
	s_and_b64 vcc, exec, s[0:1]
	s_cbranch_vccnz .LBB75_272
; %bb.271:
	v_lshl_add_u64 v[48:49], v[66:67], 2, v[46:47]
	global_load_dword v48, v[48:49], off
	s_waitcnt vmcnt(0)
	v_mul_f32_e32 v48, s33, v48
	s_branch .LBB75_273
.LBB75_272:
	v_mov_b32_e32 v48, 0
.LBB75_273:
	v_pk_add_f32 v[50:51], v[28:29], v[40:41]
	s_nop 0
	v_min3_f32 v49, v50, v51, v106
	v_pk_add_f32 v[50:51], v[30:31], v[42:43]
	s_nop 0
	v_min_f32_e32 v50, v50, v51
	v_min3_f32 v50, v48, v50, v49
	v_lshl_add_u64 v[48:49], v[66:67], 2, v[44:45]
	global_store_dword v[48:49], v50, off
	s_or_b64 exec, exec, s[26:27]
	s_and_b64 s[30:31], s[6:7], s[18:19]
	s_and_saveexec_b64 s[26:27], s[30:31]
	s_cbranch_execz .LBB75_261
.LBB75_274:
	s_and_b64 vcc, exec, s[0:1]
	s_cbranch_vccnz .LBB75_276
; %bb.275:
	v_lshl_add_u64 v[48:49], v[68:69], 2, v[46:47]
	global_load_dword v48, v[48:49], off
	s_waitcnt vmcnt(0)
	v_mul_f32_e32 v48, s33, v48
	s_branch .LBB75_277
.LBB75_276:
	v_mov_b32_e32 v48, 0
.LBB75_277:
	v_pk_add_f32 v[50:51], v[24:25], v[40:41]
	s_nop 0
	v_min3_f32 v49, v50, v51, v105
	v_pk_add_f32 v[50:51], v[26:27], v[42:43]
	s_nop 0
	v_min_f32_e32 v50, v50, v51
	v_min3_f32 v50, v48, v50, v49
	v_lshl_add_u64 v[48:49], v[68:69], 2, v[44:45]
	global_store_dword v[48:49], v50, off
	s_or_b64 exec, exec, s[26:27]
	s_and_b64 s[30:31], s[8:9], s[18:19]
	s_and_saveexec_b64 s[26:27], s[30:31]
	s_cbranch_execz .LBB75_262
.LBB75_278:
	s_and_b64 vcc, exec, s[0:1]
	s_cbranch_vccnz .LBB75_280
; %bb.279:
	v_lshl_add_u64 v[48:49], v[70:71], 2, v[46:47]
	global_load_dword v48, v[48:49], off
	s_waitcnt vmcnt(0)
	v_mul_f32_e32 v48, s33, v48
	s_branch .LBB75_281
.LBB75_280:
	v_mov_b32_e32 v48, 0
.LBB75_281:
	v_pk_add_f32 v[50:51], v[20:21], v[40:41]
	s_nop 0
	v_min3_f32 v49, v50, v51, v104
	v_pk_add_f32 v[50:51], v[22:23], v[42:43]
	s_nop 0
	v_min_f32_e32 v50, v50, v51
	v_min3_f32 v50, v48, v50, v49
	v_lshl_add_u64 v[48:49], v[70:71], 2, v[44:45]
	global_store_dword v[48:49], v50, off
	s_or_b64 exec, exec, s[26:27]
	s_and_b64 s[30:31], s[10:11], s[18:19]
	s_and_saveexec_b64 s[26:27], s[30:31]
	s_cbranch_execz .LBB75_263
.LBB75_282:
	s_and_b64 vcc, exec, s[0:1]
	s_cbranch_vccnz .LBB75_284
; %bb.283:
	v_lshl_add_u64 v[48:49], v[72:73], 2, v[46:47]
	global_load_dword v48, v[48:49], off
	s_waitcnt vmcnt(0)
	v_mul_f32_e32 v48, s33, v48
	s_branch .LBB75_285
.LBB75_284:
	v_mov_b32_e32 v48, 0
.LBB75_285:
	v_pk_add_f32 v[50:51], v[16:17], v[40:41]
	s_nop 0
	v_min3_f32 v49, v50, v51, v103
	v_pk_add_f32 v[50:51], v[18:19], v[42:43]
	s_nop 0
	v_min_f32_e32 v50, v50, v51
	v_min3_f32 v50, v48, v50, v49
	v_lshl_add_u64 v[48:49], v[72:73], 2, v[44:45]
	global_store_dword v[48:49], v50, off
	s_or_b64 exec, exec, s[26:27]
	s_and_b64 s[30:31], s[12:13], s[18:19]
	s_and_saveexec_b64 s[26:27], s[30:31]
	s_cbranch_execz .LBB75_264
.LBB75_286:
	s_and_b64 vcc, exec, s[0:1]
	s_cbranch_vccnz .LBB75_288
; %bb.287:
	v_lshl_add_u64 v[48:49], v[74:75], 2, v[46:47]
	global_load_dword v48, v[48:49], off
	s_waitcnt vmcnt(0)
	v_mul_f32_e32 v48, s33, v48
	s_branch .LBB75_289
.LBB75_288:
	v_mov_b32_e32 v48, 0
.LBB75_289:
	v_pk_add_f32 v[50:51], v[12:13], v[40:41]
	s_nop 0
	v_min3_f32 v49, v50, v51, v102
	v_pk_add_f32 v[50:51], v[14:15], v[42:43]
	s_nop 0
	v_min_f32_e32 v50, v50, v51
	v_min3_f32 v50, v48, v50, v49
	v_lshl_add_u64 v[48:49], v[74:75], 2, v[44:45]
	global_store_dword v[48:49], v50, off
	s_or_b64 exec, exec, s[26:27]
	s_and_b64 s[30:31], s[14:15], s[18:19]
	s_and_saveexec_b64 s[26:27], s[30:31]
	s_cbranch_execz .LBB75_265
.LBB75_290:
	s_and_b64 vcc, exec, s[0:1]
	s_cbranch_vccnz .LBB75_292
; %bb.291:
	v_lshl_add_u64 v[48:49], v[76:77], 2, v[46:47]
	global_load_dword v48, v[48:49], off
	s_waitcnt vmcnt(0)
	v_mul_f32_e32 v48, s33, v48
	s_branch .LBB75_293
.LBB75_292:
	v_mov_b32_e32 v48, 0
.LBB75_293:
	v_pk_add_f32 v[50:51], v[8:9], v[40:41]
	s_nop 0
	v_min3_f32 v49, v50, v51, v101
	v_pk_add_f32 v[50:51], v[10:11], v[42:43]
	s_nop 0
	v_min_f32_e32 v50, v50, v51
	v_min3_f32 v50, v48, v50, v49
	v_lshl_add_u64 v[48:49], v[76:77], 2, v[44:45]
	global_store_dword v[48:49], v50, off
	s_or_b64 exec, exec, s[26:27]
	s_and_b64 s[26:27], s[16:17], s[18:19]
	s_and_saveexec_b64 s[18:19], s[26:27]
	s_cbranch_execz .LBB75_298
.LBB75_294:
	s_and_b64 vcc, exec, s[0:1]
	s_cbranch_vccnz .LBB75_296
; %bb.295:
	v_lshl_add_u64 v[46:47], v[78:79], 2, v[46:47]
	global_load_dword v46, v[46:47], off
	s_waitcnt vmcnt(0)
	v_mul_f32_e32 v46, s33, v46
	s_branch .LBB75_297
.LBB75_296:
	v_mov_b32_e32 v46, 0
.LBB75_297:
	v_pk_add_f32 v[40:41], v[0:1], v[40:41]
	s_nop 0
	v_min3_f32 v47, v40, v41, v100
	v_pk_add_f32 v[40:41], v[2:3], v[42:43]
	s_nop 0
	v_min_f32_e32 v40, v40, v41
	v_min3_f32 v42, v46, v40, v47
	v_lshl_add_u64 v[40:41], v[78:79], 2, v[44:45]
	global_store_dword v[40:41], v42, off
.LBB75_298:
	s_or_b64 exec, exec, s[18:19]
	v_add_u32_e32 v44, 0xc0, v124
	v_mad_i64_i32 v[40:41], s[26:27], v44, s29, 0
	v_cmp_gt_i32_e64 s[18:19], s21, v44
	v_lshl_add_u64 v[42:43], v[40:41], 2, s[24:25]
	v_mad_i64_i32 v[40:41], s[26:27], v44, s28, 0
	v_lshl_add_u64 v[40:41], v[40:41], 2, s[22:23]
	s_and_b64 s[30:31], s[2:3], s[18:19]
	s_and_saveexec_b64 s[26:27], s[30:31]
	s_cbranch_execnz .LBB75_306
; %bb.299:
	s_or_b64 exec, exec, s[26:27]
	s_and_b64 s[30:31], s[4:5], s[18:19]
	s_and_saveexec_b64 s[26:27], s[30:31]
	s_cbranch_execnz .LBB75_310
.LBB75_300:
	s_or_b64 exec, exec, s[26:27]
	s_and_b64 s[30:31], s[6:7], s[18:19]
	s_and_saveexec_b64 s[26:27], s[30:31]
	s_cbranch_execnz .LBB75_314
.LBB75_301:
	s_or_b64 exec, exec, s[26:27]
	s_and_b64 s[30:31], s[8:9], s[18:19]
	s_and_saveexec_b64 s[26:27], s[30:31]
	s_cbranch_execnz .LBB75_318
.LBB75_302:
	s_or_b64 exec, exec, s[26:27]
	s_and_b64 s[30:31], s[10:11], s[18:19]
	s_and_saveexec_b64 s[26:27], s[30:31]
	s_cbranch_execnz .LBB75_322
.LBB75_303:
	s_or_b64 exec, exec, s[26:27]
	s_and_b64 s[30:31], s[12:13], s[18:19]
	s_and_saveexec_b64 s[26:27], s[30:31]
	s_cbranch_execnz .LBB75_326
.LBB75_304:
	s_or_b64 exec, exec, s[26:27]
	s_and_b64 s[30:31], s[14:15], s[18:19]
	s_and_saveexec_b64 s[26:27], s[30:31]
	s_cbranch_execnz .LBB75_330
.LBB75_305:
	s_or_b64 exec, exec, s[26:27]
	s_and_b64 s[26:27], s[16:17], s[18:19]
	s_and_saveexec_b64 s[18:19], s[26:27]
	s_cbranch_execnz .LBB75_334
	s_branch .LBB75_338
.LBB75_306:
	s_and_b64 vcc, exec, s[0:1]
	s_cbranch_vccnz .LBB75_308
; %bb.307:
	v_lshl_add_u64 v[44:45], v[64:65], 2, v[42:43]
	global_load_dword v44, v[44:45], off
	s_waitcnt vmcnt(0)
	v_mul_f32_e32 v44, s33, v44
	s_branch .LBB75_309
.LBB75_308:
	v_mov_b32_e32 v44, 0
.LBB75_309:
	v_pk_add_f32 v[46:47], v[32:33], v[36:37]
	s_nop 0
	v_min3_f32 v45, v46, v47, v99
	v_pk_add_f32 v[46:47], v[34:35], v[38:39]
	s_nop 0
	v_min_f32_e32 v46, v46, v47
	v_min3_f32 v46, v44, v46, v45
	v_lshl_add_u64 v[44:45], v[64:65], 2, v[40:41]
	global_store_dword v[44:45], v46, off
	s_or_b64 exec, exec, s[26:27]
	s_and_b64 s[30:31], s[4:5], s[18:19]
	s_and_saveexec_b64 s[26:27], s[30:31]
	s_cbranch_execz .LBB75_300
.LBB75_310:
	s_and_b64 vcc, exec, s[0:1]
	s_cbranch_vccnz .LBB75_312
; %bb.311:
	v_lshl_add_u64 v[44:45], v[66:67], 2, v[42:43]
	global_load_dword v44, v[44:45], off
	s_waitcnt vmcnt(0)
	v_mul_f32_e32 v44, s33, v44
	s_branch .LBB75_313
.LBB75_312:
	v_mov_b32_e32 v44, 0
.LBB75_313:
	v_pk_add_f32 v[46:47], v[28:29], v[36:37]
	s_nop 0
	v_min3_f32 v45, v46, v47, v98
	v_pk_add_f32 v[46:47], v[30:31], v[38:39]
	s_nop 0
	v_min_f32_e32 v46, v46, v47
	v_min3_f32 v46, v44, v46, v45
	v_lshl_add_u64 v[44:45], v[66:67], 2, v[40:41]
	global_store_dword v[44:45], v46, off
	s_or_b64 exec, exec, s[26:27]
	s_and_b64 s[30:31], s[6:7], s[18:19]
	s_and_saveexec_b64 s[26:27], s[30:31]
	s_cbranch_execz .LBB75_301
.LBB75_314:
	s_and_b64 vcc, exec, s[0:1]
	s_cbranch_vccnz .LBB75_316
; %bb.315:
	v_lshl_add_u64 v[44:45], v[68:69], 2, v[42:43]
	global_load_dword v44, v[44:45], off
	s_waitcnt vmcnt(0)
	v_mul_f32_e32 v44, s33, v44
	s_branch .LBB75_317
.LBB75_316:
	v_mov_b32_e32 v44, 0
.LBB75_317:
	v_pk_add_f32 v[46:47], v[24:25], v[36:37]
	s_nop 0
	v_min3_f32 v45, v46, v47, v97
	v_pk_add_f32 v[46:47], v[26:27], v[38:39]
	s_nop 0
	v_min_f32_e32 v46, v46, v47
	v_min3_f32 v46, v44, v46, v45
	v_lshl_add_u64 v[44:45], v[68:69], 2, v[40:41]
	global_store_dword v[44:45], v46, off
	s_or_b64 exec, exec, s[26:27]
	s_and_b64 s[30:31], s[8:9], s[18:19]
	s_and_saveexec_b64 s[26:27], s[30:31]
	s_cbranch_execz .LBB75_302
.LBB75_318:
	s_and_b64 vcc, exec, s[0:1]
	s_cbranch_vccnz .LBB75_320
; %bb.319:
	v_lshl_add_u64 v[44:45], v[70:71], 2, v[42:43]
	global_load_dword v44, v[44:45], off
	s_waitcnt vmcnt(0)
	v_mul_f32_e32 v44, s33, v44
	s_branch .LBB75_321
.LBB75_320:
	v_mov_b32_e32 v44, 0
.LBB75_321:
	v_pk_add_f32 v[46:47], v[20:21], v[36:37]
	s_nop 0
	v_min3_f32 v45, v46, v47, v96
	v_pk_add_f32 v[46:47], v[22:23], v[38:39]
	s_nop 0
	v_min_f32_e32 v46, v46, v47
	v_min3_f32 v46, v44, v46, v45
	v_lshl_add_u64 v[44:45], v[70:71], 2, v[40:41]
	global_store_dword v[44:45], v46, off
	s_or_b64 exec, exec, s[26:27]
	s_and_b64 s[30:31], s[10:11], s[18:19]
	s_and_saveexec_b64 s[26:27], s[30:31]
	s_cbranch_execz .LBB75_303
.LBB75_322:
	s_and_b64 vcc, exec, s[0:1]
	s_cbranch_vccnz .LBB75_324
; %bb.323:
	v_lshl_add_u64 v[44:45], v[72:73], 2, v[42:43]
	global_load_dword v44, v[44:45], off
	s_waitcnt vmcnt(0)
	v_mul_f32_e32 v44, s33, v44
	s_branch .LBB75_325
.LBB75_324:
	v_mov_b32_e32 v44, 0
.LBB75_325:
	v_pk_add_f32 v[46:47], v[16:17], v[36:37]
	s_nop 0
	v_min3_f32 v45, v46, v47, v95
	v_pk_add_f32 v[46:47], v[18:19], v[38:39]
	s_nop 0
	v_min_f32_e32 v46, v46, v47
	v_min3_f32 v46, v44, v46, v45
	v_lshl_add_u64 v[44:45], v[72:73], 2, v[40:41]
	global_store_dword v[44:45], v46, off
	s_or_b64 exec, exec, s[26:27]
	s_and_b64 s[30:31], s[12:13], s[18:19]
	s_and_saveexec_b64 s[26:27], s[30:31]
	s_cbranch_execz .LBB75_304
.LBB75_326:
	s_and_b64 vcc, exec, s[0:1]
	s_cbranch_vccnz .LBB75_328
; %bb.327:
	v_lshl_add_u64 v[44:45], v[74:75], 2, v[42:43]
	global_load_dword v44, v[44:45], off
	s_waitcnt vmcnt(0)
	v_mul_f32_e32 v44, s33, v44
	s_branch .LBB75_329
.LBB75_328:
	v_mov_b32_e32 v44, 0
.LBB75_329:
	v_pk_add_f32 v[46:47], v[12:13], v[36:37]
	s_nop 0
	v_min3_f32 v45, v46, v47, v94
	v_pk_add_f32 v[46:47], v[14:15], v[38:39]
	s_nop 0
	v_min_f32_e32 v46, v46, v47
	v_min3_f32 v46, v44, v46, v45
	v_lshl_add_u64 v[44:45], v[74:75], 2, v[40:41]
	global_store_dword v[44:45], v46, off
	s_or_b64 exec, exec, s[26:27]
	s_and_b64 s[30:31], s[14:15], s[18:19]
	s_and_saveexec_b64 s[26:27], s[30:31]
	s_cbranch_execz .LBB75_305
.LBB75_330:
	s_and_b64 vcc, exec, s[0:1]
	s_cbranch_vccnz .LBB75_332
; %bb.331:
	v_lshl_add_u64 v[44:45], v[76:77], 2, v[42:43]
	global_load_dword v44, v[44:45], off
	s_waitcnt vmcnt(0)
	v_mul_f32_e32 v44, s33, v44
	s_branch .LBB75_333
.LBB75_332:
	v_mov_b32_e32 v44, 0
.LBB75_333:
	v_pk_add_f32 v[46:47], v[8:9], v[36:37]
	s_nop 0
	v_min3_f32 v45, v46, v47, v93
	v_pk_add_f32 v[46:47], v[10:11], v[38:39]
	s_nop 0
	v_min_f32_e32 v46, v46, v47
	v_min3_f32 v46, v44, v46, v45
	v_lshl_add_u64 v[44:45], v[76:77], 2, v[40:41]
	global_store_dword v[44:45], v46, off
	s_or_b64 exec, exec, s[26:27]
	s_and_b64 s[26:27], s[16:17], s[18:19]
	s_and_saveexec_b64 s[18:19], s[26:27]
	s_cbranch_execz .LBB75_338
.LBB75_334:
	s_and_b64 vcc, exec, s[0:1]
	s_cbranch_vccnz .LBB75_336
; %bb.335:
	v_lshl_add_u64 v[42:43], v[78:79], 2, v[42:43]
	global_load_dword v42, v[42:43], off
	s_waitcnt vmcnt(0)
	v_mul_f32_e32 v42, s33, v42
	s_branch .LBB75_337
.LBB75_336:
	v_mov_b32_e32 v42, 0
.LBB75_337:
	v_pk_add_f32 v[36:37], v[0:1], v[36:37]
	s_nop 0
	v_min3_f32 v43, v36, v37, v92
	v_pk_add_f32 v[36:37], v[2:3], v[38:39]
	s_nop 0
	v_min_f32_e32 v36, v36, v37
	v_min3_f32 v38, v42, v36, v43
	v_lshl_add_u64 v[36:37], v[78:79], 2, v[40:41]
	global_store_dword v[36:37], v38, off
.LBB75_338:
	s_or_b64 exec, exec, s[18:19]
	v_add_u32_e32 v40, 0xe0, v124
	v_cmp_gt_i32_e64 s[18:19], s21, v40
	v_mad_i64_i32 v[36:37], s[20:21], v40, s29, 0
	v_lshl_add_u64 v[38:39], v[36:37], 2, s[24:25]
	v_mad_i64_i32 v[36:37], s[20:21], v40, s28, 0
	v_lshl_add_u64 v[36:37], v[36:37], 2, s[22:23]
	s_and_b64 s[20:21], s[2:3], s[18:19]
	s_and_saveexec_b64 s[2:3], s[20:21]
	s_cbranch_execnz .LBB75_347
; %bb.339:
	s_or_b64 exec, exec, s[2:3]
	s_and_b64 s[4:5], s[4:5], s[18:19]
	s_and_saveexec_b64 s[2:3], s[4:5]
	s_cbranch_execnz .LBB75_351
.LBB75_340:
	s_or_b64 exec, exec, s[2:3]
	s_and_b64 s[4:5], s[6:7], s[18:19]
	s_and_saveexec_b64 s[2:3], s[4:5]
	s_cbranch_execnz .LBB75_355
.LBB75_341:
	s_or_b64 exec, exec, s[2:3]
	s_and_b64 s[4:5], s[8:9], s[18:19]
	s_and_saveexec_b64 s[2:3], s[4:5]
	s_cbranch_execnz .LBB75_359
.LBB75_342:
	s_or_b64 exec, exec, s[2:3]
	s_and_b64 s[4:5], s[10:11], s[18:19]
	s_and_saveexec_b64 s[2:3], s[4:5]
	s_cbranch_execnz .LBB75_363
.LBB75_343:
	s_or_b64 exec, exec, s[2:3]
	s_and_b64 s[4:5], s[12:13], s[18:19]
	s_and_saveexec_b64 s[2:3], s[4:5]
	s_cbranch_execnz .LBB75_367
.LBB75_344:
	s_or_b64 exec, exec, s[2:3]
	s_and_b64 s[4:5], s[14:15], s[18:19]
	s_and_saveexec_b64 s[2:3], s[4:5]
	s_cbranch_execnz .LBB75_371
.LBB75_345:
	s_or_b64 exec, exec, s[2:3]
	s_and_b64 s[2:3], s[16:17], s[18:19]
	s_and_saveexec_b64 s[4:5], s[2:3]
	s_cbranch_execnz .LBB75_375
.LBB75_346:
	s_endpgm
.LBB75_347:
	s_and_b64 vcc, exec, s[0:1]
	s_cbranch_vccnz .LBB75_349
; %bb.348:
	v_lshl_add_u64 v[40:41], v[64:65], 2, v[38:39]
	global_load_dword v40, v[40:41], off
	s_waitcnt vmcnt(0)
	v_mul_f32_e32 v40, s33, v40
	s_branch .LBB75_350
.LBB75_349:
	v_mov_b32_e32 v40, 0
.LBB75_350:
	v_pk_add_f32 v[32:33], v[32:33], v[4:5]
	s_nop 0
	v_min3_f32 v41, v32, v33, v91
	v_pk_add_f32 v[32:33], v[34:35], v[6:7]
	s_nop 0
	v_min_f32_e32 v32, v32, v33
	v_min3_f32 v34, v40, v32, v41
	v_lshl_add_u64 v[32:33], v[64:65], 2, v[36:37]
	global_store_dword v[32:33], v34, off
	s_or_b64 exec, exec, s[2:3]
	s_and_b64 s[4:5], s[4:5], s[18:19]
	s_and_saveexec_b64 s[2:3], s[4:5]
	s_cbranch_execz .LBB75_340
.LBB75_351:
	s_and_b64 vcc, exec, s[0:1]
	s_cbranch_vccnz .LBB75_353
; %bb.352:
	v_lshl_add_u64 v[32:33], v[66:67], 2, v[38:39]
	global_load_dword v32, v[32:33], off
	s_waitcnt vmcnt(0)
	v_mul_f32_e32 v32, s33, v32
	s_branch .LBB75_354
.LBB75_353:
	v_mov_b32_e32 v32, 0
.LBB75_354:
	v_pk_add_f32 v[28:29], v[28:29], v[4:5]
	s_nop 0
	v_min3_f32 v33, v28, v29, v90
	v_pk_add_f32 v[28:29], v[30:31], v[6:7]
	s_nop 0
	v_min_f32_e32 v28, v28, v29
	v_min3_f32 v30, v32, v28, v33
	v_lshl_add_u64 v[28:29], v[66:67], 2, v[36:37]
	global_store_dword v[28:29], v30, off
	s_or_b64 exec, exec, s[2:3]
	s_and_b64 s[4:5], s[6:7], s[18:19]
	s_and_saveexec_b64 s[2:3], s[4:5]
	s_cbranch_execz .LBB75_341
.LBB75_355:
	s_and_b64 vcc, exec, s[0:1]
	s_cbranch_vccnz .LBB75_357
; %bb.356:
	v_lshl_add_u64 v[28:29], v[68:69], 2, v[38:39]
	global_load_dword v28, v[28:29], off
	s_waitcnt vmcnt(0)
	v_mul_f32_e32 v28, s33, v28
	s_branch .LBB75_358
.LBB75_357:
	v_mov_b32_e32 v28, 0
.LBB75_358:
	v_pk_add_f32 v[24:25], v[24:25], v[4:5]
	s_nop 0
	v_min3_f32 v29, v24, v25, v89
	v_pk_add_f32 v[24:25], v[26:27], v[6:7]
	s_nop 0
	v_min_f32_e32 v24, v24, v25
	v_min3_f32 v26, v28, v24, v29
	v_lshl_add_u64 v[24:25], v[68:69], 2, v[36:37]
	global_store_dword v[24:25], v26, off
	s_or_b64 exec, exec, s[2:3]
	s_and_b64 s[4:5], s[8:9], s[18:19]
	s_and_saveexec_b64 s[2:3], s[4:5]
	s_cbranch_execz .LBB75_342
.LBB75_359:
	s_and_b64 vcc, exec, s[0:1]
	s_cbranch_vccnz .LBB75_361
; %bb.360:
	v_lshl_add_u64 v[24:25], v[70:71], 2, v[38:39]
	global_load_dword v24, v[24:25], off
	s_waitcnt vmcnt(0)
	v_mul_f32_e32 v24, s33, v24
	s_branch .LBB75_362
.LBB75_361:
	v_mov_b32_e32 v24, 0
.LBB75_362:
	v_pk_add_f32 v[20:21], v[20:21], v[4:5]
	s_nop 0
	v_min3_f32 v25, v20, v21, v87
	v_pk_add_f32 v[20:21], v[22:23], v[6:7]
	s_nop 0
	v_min_f32_e32 v20, v20, v21
	v_min3_f32 v22, v24, v20, v25
	v_lshl_add_u64 v[20:21], v[70:71], 2, v[36:37]
	global_store_dword v[20:21], v22, off
	s_or_b64 exec, exec, s[2:3]
	s_and_b64 s[4:5], s[10:11], s[18:19]
	s_and_saveexec_b64 s[2:3], s[4:5]
	s_cbranch_execz .LBB75_343
.LBB75_363:
	s_and_b64 vcc, exec, s[0:1]
	s_cbranch_vccnz .LBB75_365
; %bb.364:
	v_lshl_add_u64 v[20:21], v[72:73], 2, v[38:39]
	global_load_dword v20, v[20:21], off
	s_waitcnt vmcnt(0)
	v_mul_f32_e32 v20, s33, v20
	s_branch .LBB75_366
.LBB75_365:
	v_mov_b32_e32 v20, 0
.LBB75_366:
	v_pk_add_f32 v[16:17], v[16:17], v[4:5]
	s_nop 0
	v_min3_f32 v21, v16, v17, v86
	v_pk_add_f32 v[16:17], v[18:19], v[6:7]
	s_nop 0
	v_min_f32_e32 v16, v16, v17
	v_min3_f32 v18, v20, v16, v21
	v_lshl_add_u64 v[16:17], v[72:73], 2, v[36:37]
	global_store_dword v[16:17], v18, off
	s_or_b64 exec, exec, s[2:3]
	s_and_b64 s[4:5], s[12:13], s[18:19]
	s_and_saveexec_b64 s[2:3], s[4:5]
	s_cbranch_execz .LBB75_344
.LBB75_367:
	s_and_b64 vcc, exec, s[0:1]
	s_cbranch_vccnz .LBB75_369
; %bb.368:
	v_lshl_add_u64 v[16:17], v[74:75], 2, v[38:39]
	global_load_dword v16, v[16:17], off
	s_waitcnt vmcnt(0)
	v_mul_f32_e32 v16, s33, v16
	s_branch .LBB75_370
.LBB75_369:
	v_mov_b32_e32 v16, 0
.LBB75_370:
	v_pk_add_f32 v[12:13], v[12:13], v[4:5]
	s_nop 0
	v_min3_f32 v17, v12, v13, v85
	v_pk_add_f32 v[12:13], v[14:15], v[6:7]
	s_nop 0
	v_min_f32_e32 v12, v12, v13
	v_min3_f32 v14, v16, v12, v17
	v_lshl_add_u64 v[12:13], v[74:75], 2, v[36:37]
	global_store_dword v[12:13], v14, off
	s_or_b64 exec, exec, s[2:3]
	s_and_b64 s[4:5], s[14:15], s[18:19]
	s_and_saveexec_b64 s[2:3], s[4:5]
	s_cbranch_execz .LBB75_345
.LBB75_371:
	s_and_b64 vcc, exec, s[0:1]
	s_cbranch_vccnz .LBB75_373
; %bb.372:
	v_lshl_add_u64 v[12:13], v[76:77], 2, v[38:39]
	global_load_dword v12, v[12:13], off
	s_waitcnt vmcnt(0)
	v_mul_f32_e32 v12, s33, v12
	s_branch .LBB75_374
.LBB75_373:
	v_mov_b32_e32 v12, 0
.LBB75_374:
	v_pk_add_f32 v[8:9], v[8:9], v[4:5]
	s_nop 0
	v_min3_f32 v13, v8, v9, v84
	v_pk_add_f32 v[8:9], v[10:11], v[6:7]
	s_nop 0
	v_min_f32_e32 v8, v8, v9
	v_min3_f32 v10, v12, v8, v13
	v_lshl_add_u64 v[8:9], v[76:77], 2, v[36:37]
	global_store_dword v[8:9], v10, off
	s_or_b64 exec, exec, s[2:3]
	s_and_b64 s[2:3], s[16:17], s[18:19]
	s_and_saveexec_b64 s[4:5], s[2:3]
	s_cbranch_execz .LBB75_346
.LBB75_375:
	s_and_b64 vcc, exec, s[0:1]
	s_cbranch_vccnz .LBB75_377
; %bb.376:
	v_lshl_add_u64 v[8:9], v[78:79], 2, v[38:39]
	global_load_dword v8, v[8:9], off
	s_waitcnt vmcnt(0)
	v_mul_f32_e32 v8, s33, v8
	s_branch .LBB75_378
.LBB75_377:
	v_mov_b32_e32 v8, 0
.LBB75_378:
	v_pk_add_f32 v[0:1], v[0:1], v[4:5]
	s_nop 0
	v_min3_f32 v4, v0, v1, v88
	v_pk_add_f32 v[0:1], v[2:3], v[6:7]
	s_nop 0
	v_min_f32_e32 v0, v0, v1
	v_min3_f32 v2, v8, v0, v4
	v_lshl_add_u64 v[0:1], v[78:79], 2, v[36:37]
	global_store_dword v[0:1], v2, off
	s_endpgm
	.section	.rodata,"a",@progbits
	.p2align	6, 0x0
	.amdhsa_kernel _ZN12_GLOBAL__N_120geam_min_plus_kernelIf15HIP_vector_typeIfLj2EEfLi8ELi32ELi64ELi256ELi4ELi4ELi64ELi64ELi4ELc84ELc84ELb0ELb1ELb1EPKfS3_fEEviiiT16_PT17_ilS7_ilS5_S7_ilPT18_ili26rocblas_geam_ex_operation_
		.amdhsa_group_segment_fixed_size 10240
		.amdhsa_private_segment_fixed_size 0
		.amdhsa_kernarg_size 136
		.amdhsa_user_sgpr_count 2
		.amdhsa_user_sgpr_dispatch_ptr 0
		.amdhsa_user_sgpr_queue_ptr 0
		.amdhsa_user_sgpr_kernarg_segment_ptr 1
		.amdhsa_user_sgpr_dispatch_id 0
		.amdhsa_user_sgpr_kernarg_preload_length 0
		.amdhsa_user_sgpr_kernarg_preload_offset 0
		.amdhsa_user_sgpr_private_segment_size 0
		.amdhsa_uses_dynamic_stack 0
		.amdhsa_enable_private_segment 0
		.amdhsa_system_sgpr_workgroup_id_x 1
		.amdhsa_system_sgpr_workgroup_id_y 0
		.amdhsa_system_sgpr_workgroup_id_z 1
		.amdhsa_system_sgpr_workgroup_info 0
		.amdhsa_system_vgpr_workitem_id 1
		.amdhsa_next_free_vgpr 157
		.amdhsa_next_free_sgpr 42
		.amdhsa_accum_offset 160
		.amdhsa_reserve_vcc 1
		.amdhsa_float_round_mode_32 0
		.amdhsa_float_round_mode_16_64 0
		.amdhsa_float_denorm_mode_32 3
		.amdhsa_float_denorm_mode_16_64 3
		.amdhsa_dx10_clamp 1
		.amdhsa_ieee_mode 1
		.amdhsa_fp16_overflow 0
		.amdhsa_tg_split 0
		.amdhsa_exception_fp_ieee_invalid_op 0
		.amdhsa_exception_fp_denorm_src 0
		.amdhsa_exception_fp_ieee_div_zero 0
		.amdhsa_exception_fp_ieee_overflow 0
		.amdhsa_exception_fp_ieee_underflow 0
		.amdhsa_exception_fp_ieee_inexact 0
		.amdhsa_exception_int_div_zero 0
	.end_amdhsa_kernel
	.section	.text._ZN12_GLOBAL__N_120geam_min_plus_kernelIf15HIP_vector_typeIfLj2EEfLi8ELi32ELi64ELi256ELi4ELi4ELi64ELi64ELi4ELc84ELc84ELb0ELb1ELb1EPKfS3_fEEviiiT16_PT17_ilS7_ilS5_S7_ilPT18_ili26rocblas_geam_ex_operation_,"axG",@progbits,_ZN12_GLOBAL__N_120geam_min_plus_kernelIf15HIP_vector_typeIfLj2EEfLi8ELi32ELi64ELi256ELi4ELi4ELi64ELi64ELi4ELc84ELc84ELb0ELb1ELb1EPKfS3_fEEviiiT16_PT17_ilS7_ilS5_S7_ilPT18_ili26rocblas_geam_ex_operation_,comdat
.Lfunc_end75:
	.size	_ZN12_GLOBAL__N_120geam_min_plus_kernelIf15HIP_vector_typeIfLj2EEfLi8ELi32ELi64ELi256ELi4ELi4ELi64ELi64ELi4ELc84ELc84ELb0ELb1ELb1EPKfS3_fEEviiiT16_PT17_ilS7_ilS5_S7_ilPT18_ili26rocblas_geam_ex_operation_, .Lfunc_end75-_ZN12_GLOBAL__N_120geam_min_plus_kernelIf15HIP_vector_typeIfLj2EEfLi8ELi32ELi64ELi256ELi4ELi4ELi64ELi64ELi4ELc84ELc84ELb0ELb1ELb1EPKfS3_fEEviiiT16_PT17_ilS7_ilS5_S7_ilPT18_ili26rocblas_geam_ex_operation_
                                        ; -- End function
	.set _ZN12_GLOBAL__N_120geam_min_plus_kernelIf15HIP_vector_typeIfLj2EEfLi8ELi32ELi64ELi256ELi4ELi4ELi64ELi64ELi4ELc84ELc84ELb0ELb1ELb1EPKfS3_fEEviiiT16_PT17_ilS7_ilS5_S7_ilPT18_ili26rocblas_geam_ex_operation_.num_vgpr, 157
	.set _ZN12_GLOBAL__N_120geam_min_plus_kernelIf15HIP_vector_typeIfLj2EEfLi8ELi32ELi64ELi256ELi4ELi4ELi64ELi64ELi4ELc84ELc84ELb0ELb1ELb1EPKfS3_fEEviiiT16_PT17_ilS7_ilS5_S7_ilPT18_ili26rocblas_geam_ex_operation_.num_agpr, 0
	.set _ZN12_GLOBAL__N_120geam_min_plus_kernelIf15HIP_vector_typeIfLj2EEfLi8ELi32ELi64ELi256ELi4ELi4ELi64ELi64ELi4ELc84ELc84ELb0ELb1ELb1EPKfS3_fEEviiiT16_PT17_ilS7_ilS5_S7_ilPT18_ili26rocblas_geam_ex_operation_.numbered_sgpr, 42
	.set _ZN12_GLOBAL__N_120geam_min_plus_kernelIf15HIP_vector_typeIfLj2EEfLi8ELi32ELi64ELi256ELi4ELi4ELi64ELi64ELi4ELc84ELc84ELb0ELb1ELb1EPKfS3_fEEviiiT16_PT17_ilS7_ilS5_S7_ilPT18_ili26rocblas_geam_ex_operation_.num_named_barrier, 0
	.set _ZN12_GLOBAL__N_120geam_min_plus_kernelIf15HIP_vector_typeIfLj2EEfLi8ELi32ELi64ELi256ELi4ELi4ELi64ELi64ELi4ELc84ELc84ELb0ELb1ELb1EPKfS3_fEEviiiT16_PT17_ilS7_ilS5_S7_ilPT18_ili26rocblas_geam_ex_operation_.private_seg_size, 0
	.set _ZN12_GLOBAL__N_120geam_min_plus_kernelIf15HIP_vector_typeIfLj2EEfLi8ELi32ELi64ELi256ELi4ELi4ELi64ELi64ELi4ELc84ELc84ELb0ELb1ELb1EPKfS3_fEEviiiT16_PT17_ilS7_ilS5_S7_ilPT18_ili26rocblas_geam_ex_operation_.uses_vcc, 1
	.set _ZN12_GLOBAL__N_120geam_min_plus_kernelIf15HIP_vector_typeIfLj2EEfLi8ELi32ELi64ELi256ELi4ELi4ELi64ELi64ELi4ELc84ELc84ELb0ELb1ELb1EPKfS3_fEEviiiT16_PT17_ilS7_ilS5_S7_ilPT18_ili26rocblas_geam_ex_operation_.uses_flat_scratch, 0
	.set _ZN12_GLOBAL__N_120geam_min_plus_kernelIf15HIP_vector_typeIfLj2EEfLi8ELi32ELi64ELi256ELi4ELi4ELi64ELi64ELi4ELc84ELc84ELb0ELb1ELb1EPKfS3_fEEviiiT16_PT17_ilS7_ilS5_S7_ilPT18_ili26rocblas_geam_ex_operation_.has_dyn_sized_stack, 0
	.set _ZN12_GLOBAL__N_120geam_min_plus_kernelIf15HIP_vector_typeIfLj2EEfLi8ELi32ELi64ELi256ELi4ELi4ELi64ELi64ELi4ELc84ELc84ELb0ELb1ELb1EPKfS3_fEEviiiT16_PT17_ilS7_ilS5_S7_ilPT18_ili26rocblas_geam_ex_operation_.has_recursion, 0
	.set _ZN12_GLOBAL__N_120geam_min_plus_kernelIf15HIP_vector_typeIfLj2EEfLi8ELi32ELi64ELi256ELi4ELi4ELi64ELi64ELi4ELc84ELc84ELb0ELb1ELb1EPKfS3_fEEviiiT16_PT17_ilS7_ilS5_S7_ilPT18_ili26rocblas_geam_ex_operation_.has_indirect_call, 0
	.section	.AMDGPU.csdata,"",@progbits
; Kernel info:
; codeLenInByte = 18724
; TotalNumSgprs: 48
; NumVgprs: 157
; NumAgprs: 0
; TotalNumVgprs: 157
; ScratchSize: 0
; MemoryBound: 0
; FloatMode: 240
; IeeeMode: 1
; LDSByteSize: 10240 bytes/workgroup (compile time only)
; SGPRBlocks: 5
; VGPRBlocks: 19
; NumSGPRsForWavesPerEU: 48
; NumVGPRsForWavesPerEU: 157
; AccumOffset: 160
; Occupancy: 3
; WaveLimiterHint : 0
; COMPUTE_PGM_RSRC2:SCRATCH_EN: 0
; COMPUTE_PGM_RSRC2:USER_SGPR: 2
; COMPUTE_PGM_RSRC2:TRAP_HANDLER: 0
; COMPUTE_PGM_RSRC2:TGID_X_EN: 1
; COMPUTE_PGM_RSRC2:TGID_Y_EN: 0
; COMPUTE_PGM_RSRC2:TGID_Z_EN: 1
; COMPUTE_PGM_RSRC2:TIDIG_COMP_CNT: 1
; COMPUTE_PGM_RSRC3_GFX90A:ACCUM_OFFSET: 39
; COMPUTE_PGM_RSRC3_GFX90A:TG_SPLIT: 0
	.section	.text._ZN12_GLOBAL__N_120geam_min_plus_kernelIf15HIP_vector_typeIfLj2EEfLi8ELi32ELi64ELi256ELi4ELi4ELi64ELi64ELi4ELc84ELc84ELb1ELb1ELb1EfKffEEviiiT16_PT17_ilS6_ilS4_S6_ilPT18_ili26rocblas_geam_ex_operation_,"axG",@progbits,_ZN12_GLOBAL__N_120geam_min_plus_kernelIf15HIP_vector_typeIfLj2EEfLi8ELi32ELi64ELi256ELi4ELi4ELi64ELi64ELi4ELc84ELc84ELb1ELb1ELb1EfKffEEviiiT16_PT17_ilS6_ilS4_S6_ilPT18_ili26rocblas_geam_ex_operation_,comdat
	.globl	_ZN12_GLOBAL__N_120geam_min_plus_kernelIf15HIP_vector_typeIfLj2EEfLi8ELi32ELi64ELi256ELi4ELi4ELi64ELi64ELi4ELc84ELc84ELb1ELb1ELb1EfKffEEviiiT16_PT17_ilS6_ilS4_S6_ilPT18_ili26rocblas_geam_ex_operation_ ; -- Begin function _ZN12_GLOBAL__N_120geam_min_plus_kernelIf15HIP_vector_typeIfLj2EEfLi8ELi32ELi64ELi256ELi4ELi4ELi64ELi64ELi4ELc84ELc84ELb1ELb1ELb1EfKffEEviiiT16_PT17_ilS6_ilS4_S6_ilPT18_ili26rocblas_geam_ex_operation_
	.p2align	8
	.type	_ZN12_GLOBAL__N_120geam_min_plus_kernelIf15HIP_vector_typeIfLj2EEfLi8ELi32ELi64ELi256ELi4ELi4ELi64ELi64ELi4ELc84ELc84ELb1ELb1ELb1EfKffEEviiiT16_PT17_ilS6_ilS4_S6_ilPT18_ili26rocblas_geam_ex_operation_,@function
_ZN12_GLOBAL__N_120geam_min_plus_kernelIf15HIP_vector_typeIfLj2EEfLi8ELi32ELi64ELi256ELi4ELi4ELi64ELi64ELi4ELc84ELc84ELb1ELb1ELb1EfKffEEviiiT16_PT17_ilS6_ilS4_S6_ilPT18_ili26rocblas_geam_ex_operation_: ; @_ZN12_GLOBAL__N_120geam_min_plus_kernelIf15HIP_vector_typeIfLj2EEfLi8ELi32ELi64ELi256ELi4ELi4ELi64ELi64ELi4ELc84ELc84ELb1ELb1ELb1EfKffEEviiiT16_PT17_ilS6_ilS4_S6_ilPT18_ili26rocblas_geam_ex_operation_
; %bb.0:
	s_load_dwordx4 s[20:23], s[0:1], 0x0
	s_load_dwordx4 s[4:7], s[0:1], 0x20
	s_waitcnt lgkmcnt(0)
	v_cmp_eq_f32_e64 s[8:9], s23, 0
	s_and_b64 vcc, exec, s[8:9]
	s_cbranch_vccnz .LBB76_53
; %bb.1:
	s_load_dwordx2 s[10:11], s[0:1], 0x10
	s_mul_i32 s5, s5, s3
	s_mul_hi_u32 s12, s4, s3
	s_add_i32 s5, s12, s5
	s_mul_i32 s4, s4, s3
	s_lshl_b64 s[4:5], s[4:5], 2
	s_waitcnt lgkmcnt(0)
	s_add_u32 s26, s10, s4
	s_addc_u32 s27, s11, s5
	s_andn2_b64 vcc, exec, s[8:9]
	s_mov_b64 s[4:5], -1
	s_cbranch_vccnz .LBB76_3
.LBB76_2:
	s_mov_b64 s[4:5], 0
.LBB76_3:
	s_mov_b64 s[24:25], 0
	s_andn2_b64 vcc, exec, s[4:5]
	s_mov_b64 s[28:29], 0
	s_cbranch_vccnz .LBB76_5
; %bb.4:
	s_load_dwordx2 s[4:5], s[0:1], 0x38
	s_waitcnt lgkmcnt(0)
	s_mul_i32 s5, s5, s3
	s_mul_hi_u32 s8, s4, s3
	s_add_i32 s5, s8, s5
	s_mul_i32 s4, s4, s3
	s_lshl_b64 s[4:5], s[4:5], 2
	s_add_u32 s28, s6, s4
	s_addc_u32 s29, s7, s5
.LBB76_5:
	s_load_dword s33, s[0:1], 0x40
	s_load_dwordx4 s[12:15], s[0:1], 0x58
	s_waitcnt lgkmcnt(0)
	v_cmp_eq_f32_e64 s[4:5], s33, 0
	v_cmp_neq_f32_e64 s[16:17], s33, 0
	s_and_b64 vcc, exec, s[4:5]
	s_cbranch_vccnz .LBB76_7
; %bb.6:
	s_load_dwordx2 s[4:5], s[0:1], 0x48
	s_mul_i32 s6, s13, s3
	s_mul_hi_u32 s7, s12, s3
	s_add_i32 s7, s7, s6
	s_mul_i32 s6, s12, s3
	s_lshl_b64 s[6:7], s[6:7], 2
	s_waitcnt lgkmcnt(0)
	s_add_u32 s24, s4, s6
	s_addc_u32 s25, s5, s7
.LBB76_7:
	s_add_i32 s4, s20, -1
	s_ashr_i32 s5, s4, 31
	s_lshr_b32 s5, s5, 26
	s_add_i32 s4, s4, s5
	s_ashr_i32 s4, s4, 6
	s_add_i32 s5, s4, 1
	v_cvt_f32_u32_e32 v1, s5
	v_and_b32_e32 v74, 0x3ff, v0
	v_bfe_u32 v75, v0, 10, 10
	v_and_b32_e32 v76, 3, v0
	v_rcp_iflag_f32_e32 v1, v1
	s_not_b32 s4, s4
	s_load_dword s23, s[0:1], 0x18
	v_lshl_add_u32 v2, v75, 3, v74
	v_mul_f32_e32 v0, 0x4f7ffffe, v1
	v_cvt_u32_f32_e32 v0, v0
	v_lshrrev_b32_e32 v58, 2, v2
	v_cmp_gt_i32_e32 vcc, s22, v76
	v_mov_b32_e32 v4, 0x7f7fffff
	v_readfirstlane_b32 s6, v0
	s_mul_i32 s4, s4, s6
	s_mul_hi_u32 s4, s6, s4
	s_add_i32 s6, s6, s4
	s_mul_hi_u32 s4, s2, s6
	s_mul_i32 s6, s4, s5
	s_sub_i32 s6, s2, s6
	s_add_i32 s7, s4, 1
	s_sub_i32 s8, s6, s5
	s_cmp_ge_u32 s6, s5
	s_cselect_b32 s4, s7, s4
	s_cselect_b32 s6, s8, s6
	s_add_i32 s7, s4, 1
	s_cmp_ge_u32 s6, s5
	s_cselect_b32 s6, s7, s4
	s_mul_i32 s36, s6, s5
	s_sub_i32 s4, s2, s36
	s_lshl_b32 s34, s4, 6
	v_add_u32_e32 v9, s34, v58
	v_cmp_gt_i32_e64 s[4:5], s20, v9
	v_cmp_le_i32_e64 s[8:9], s20, v9
	s_and_b64 s[10:11], vcc, s[4:5]
	v_lshlrev_b32_e32 v0, 2, v76
	v_mov_b32_e32 v5, 0x7f7fffff
	s_and_saveexec_b64 s[4:5], s[10:11]
	s_cbranch_execz .LBB76_9
; %bb.8:
	s_waitcnt lgkmcnt(0)
	v_mad_i64_i32 v[6:7], s[10:11], v9, s23, 0
	v_lshl_add_u64 v[6:7], v[6:7], 2, s[26:27]
	v_mov_b32_e32 v1, 0
	v_lshl_add_u64 v[6:7], v[6:7], 0, v[0:1]
	global_load_dword v5, v[6:7], off
.LBB76_9:
	s_or_b64 exec, exec, s[4:5]
	s_load_dword s30, s[0:1], 0x30
	v_and_b32_e32 v6, 63, v2
	s_lshl_b32 s35, s6, 8
	v_lshrrev_b32_e32 v79, 6, v2
	v_or_b32_e32 v56, s35, v6
	v_cmp_le_i32_e64 s[10:11], s22, v79
	s_waitcnt lgkmcnt(0)
	v_mad_i64_i32 v[2:3], s[4:5], s30, v79, 0
	v_cmp_le_i32_e32 vcc, s21, v56
	v_lshl_add_u64 v[2:3], v[2:3], 2, s[28:29]
	s_nor_b64 s[6:7], vcc, s[10:11]
	v_ashrrev_i32_e32 v57, 31, v56
	s_and_saveexec_b64 s[4:5], s[6:7]
	s_cbranch_execz .LBB76_11
; %bb.10:
	v_lshl_add_u64 v[10:11], v[56:57], 2, v[2:3]
	global_load_dword v4, v[10:11], off
.LBB76_11:
	s_or_b64 exec, exec, s[4:5]
	v_or_b32_e32 v1, 64, v56
	v_cmp_le_i32_e64 s[12:13], s21, v1
	s_nor_b64 s[6:7], s[12:13], s[10:11]
	v_mov_b32_e32 v7, 0x7f7fffff
	v_mov_b32_e32 v8, 0x7f7fffff
	s_and_saveexec_b64 s[4:5], s[6:7]
	s_cbranch_execz .LBB76_13
; %bb.12:
	v_lshl_add_u64 v[10:11], v[56:57], 2, v[2:3]
	global_load_dword v8, v[10:11], off offset:256
.LBB76_13:
	s_or_b64 exec, exec, s[4:5]
	v_or_b32_e32 v1, 0x80, v56
	v_cmp_le_i32_e64 s[4:5], s21, v1
	s_ashr_i32 s31, s30, 31
	s_nor_b64 s[18:19], s[4:5], s[10:11]
	s_and_saveexec_b64 s[6:7], s[18:19]
	s_cbranch_execz .LBB76_15
; %bb.14:
	v_lshl_add_u64 v[10:11], v[56:57], 2, v[2:3]
	global_load_dword v7, v[10:11], off offset:512
.LBB76_15:
	s_or_b64 exec, exec, s[6:7]
	v_or_b32_e32 v1, 0xc0, v56
	v_cmp_le_i32_e64 s[6:7], s21, v1
	s_nor_b64 s[18:19], s[6:7], s[10:11]
	v_mov_b32_e32 v59, 0x7f7fffff
	v_mov_b32_e32 v10, 0x7f7fffff
	s_and_saveexec_b64 s[10:11], s[18:19]
	s_cbranch_execz .LBB76_17
; %bb.16:
	v_lshl_add_u64 v[2:3], v[56:57], 2, v[2:3]
	global_load_dword v10, v[2:3], off offset:768
.LBB76_17:
	s_or_b64 exec, exec, s[10:11]
	v_or_b32_e32 v1, 4, v76
	v_cmp_gt_i32_e64 s[10:11], s22, v1
	s_xor_b64 s[18:19], s[8:9], -1
	s_and_b64 s[10:11], s[10:11], s[18:19]
	s_and_saveexec_b64 s[8:9], s[10:11]
	s_cbranch_execz .LBB76_19
; %bb.18:
	v_mad_i64_i32 v[2:3], s[10:11], v9, s23, 0
	v_lshl_add_u64 v[2:3], v[2:3], 2, s[26:27]
	v_mov_b32_e32 v1, 0
	v_lshl_add_u64 v[2:3], v[2:3], 0, v[0:1]
	global_load_dword v59, v[2:3], off offset:16
.LBB76_19:
	s_or_b64 exec, exec, s[8:9]
	v_add_u32_e32 v1, 4, v79
	v_mad_u64_u32 v[2:3], s[10:11], s30, v1, 0
	v_mov_b32_e32 v12, v3
	v_mad_u64_u32 v[12:13], s[10:11], s31, v1, v[12:13]
	v_cmp_le_i32_e64 s[8:9], s22, v1
	v_mov_b32_e32 v3, v12
	v_lshl_add_u64 v[2:3], v[2:3], 2, s[28:29]
	s_nor_b64 s[38:39], vcc, s[8:9]
	v_mov_b32_e32 v60, 0x7f7fffff
	v_mov_b32_e32 v61, 0x7f7fffff
	s_and_saveexec_b64 s[10:11], s[38:39]
	s_cbranch_execz .LBB76_21
; %bb.20:
	v_lshl_add_u64 v[12:13], v[56:57], 2, v[2:3]
	global_load_dword v61, v[12:13], off
.LBB76_21:
	s_or_b64 exec, exec, s[10:11]
	s_nor_b64 s[38:39], s[12:13], s[8:9]
	s_and_saveexec_b64 s[10:11], s[38:39]
	s_cbranch_execz .LBB76_23
; %bb.22:
	v_lshl_add_u64 v[12:13], v[56:57], 2, v[2:3]
	global_load_dword v60, v[12:13], off offset:256
.LBB76_23:
	s_or_b64 exec, exec, s[10:11]
	s_nor_b64 s[38:39], s[4:5], s[8:9]
	v_mov_b32_e32 v62, 0x7f7fffff
	v_mov_b32_e32 v63, 0x7f7fffff
	s_and_saveexec_b64 s[10:11], s[38:39]
	s_cbranch_execz .LBB76_25
; %bb.24:
	v_lshl_add_u64 v[12:13], v[56:57], 2, v[2:3]
	global_load_dword v63, v[12:13], off offset:512
.LBB76_25:
	s_or_b64 exec, exec, s[10:11]
	s_nor_b64 s[10:11], s[6:7], s[8:9]
	s_and_saveexec_b64 s[8:9], s[10:11]
	s_cbranch_execz .LBB76_27
; %bb.26:
	v_lshl_add_u64 v[2:3], v[56:57], 2, v[2:3]
	global_load_dword v62, v[2:3], off offset:768
.LBB76_27:
	s_or_b64 exec, exec, s[8:9]
	v_lshl_or_b32 v64, v58, 4, v0
	v_lshlrev_b32_e32 v0, 4, v6
	v_lshl_add_u32 v80, v79, 2, v0
	v_lshlrev_b32_e32 v78, 4, v74
	s_waitcnt vmcnt(0)
	ds_write_b32 v64, v5 offset:8192
	ds_write2st64_b32 v80, v4, v8 offset1:4
	ds_write2st64_b32 v80, v7, v10 offset0:8 offset1:12
	s_waitcnt lgkmcnt(0)
	s_barrier
	v_lshlrev_b32_e32 v77, 4, v75
	ds_read_b128 v[28:31], v78 offset:8192
	ds_read_b128 v[24:27], v78 offset:8320
	;; [unrolled: 1-line block ×8, first 2 shown]
	ds_read_b128 v[52:55], v77
	ds_read_b128 v[48:51], v77 offset:512
	ds_read_b128 v[44:47], v77 offset:1024
	;; [unrolled: 1-line block ×5, first 2 shown]
	s_waitcnt lgkmcnt(5)
	v_pk_add_f32 v[66:67], v[28:29], v[52:53]
	s_mov_b32 s8, 0x7f7fffff
	v_min3_f32 v65, v66, v67, s8
	v_pk_add_f32 v[66:67], v[24:25], v[52:53]
	s_cmp_lt_i32 s22, 9
	v_min3_f32 v68, v66, v67, s8
	v_pk_add_f32 v[66:67], v[20:21], v[52:53]
	s_nop 0
	v_min3_f32 v69, v66, v67, s8
	v_pk_add_f32 v[66:67], v[16:17], v[52:53]
	s_nop 0
	v_min3_f32 v70, v66, v67, s8
	v_pk_add_f32 v[66:67], v[12:13], v[52:53]
	s_nop 0
	v_min3_f32 v71, v66, v67, s8
	v_pk_add_f32 v[66:67], v[8:9], v[52:53]
	s_nop 0
	v_min3_f32 v72, v66, v67, s8
	v_pk_add_f32 v[66:67], v[4:5], v[52:53]
	v_pk_add_f32 v[52:53], v[0:1], v[52:53]
	v_min3_f32 v66, v66, v67, s8
	v_min3_f32 v67, v52, v53, s8
	s_waitcnt lgkmcnt(4)
	v_pk_add_f32 v[52:53], v[28:29], v[48:49]
	s_nop 0
	v_min3_f32 v73, v52, v53, s8
	v_pk_add_f32 v[52:53], v[24:25], v[48:49]
	s_nop 0
	v_min3_f32 v81, v52, v53, s8
	v_pk_add_f32 v[52:53], v[20:21], v[48:49]
	s_nop 0
	v_min3_f32 v82, v52, v53, s8
	v_pk_add_f32 v[52:53], v[16:17], v[48:49]
	s_nop 0
	v_min3_f32 v83, v52, v53, s8
	v_pk_add_f32 v[52:53], v[12:13], v[48:49]
	s_nop 0
	v_min3_f32 v84, v52, v53, s8
	v_pk_add_f32 v[52:53], v[8:9], v[48:49]
	s_nop 0
	v_min3_f32 v85, v52, v53, s8
	v_pk_add_f32 v[52:53], v[4:5], v[48:49]
	v_pk_add_f32 v[48:49], v[0:1], v[48:49]
	v_min3_f32 v86, v52, v53, s8
	v_min3_f32 v87, v48, v49, s8
	s_waitcnt lgkmcnt(3)
	v_pk_add_f32 v[48:49], v[28:29], v[44:45]
	s_nop 0
	v_min3_f32 v88, v48, v49, s8
	v_pk_add_f32 v[48:49], v[24:25], v[44:45]
	s_nop 0
	;; [unrolled: 23-line block ×5, first 2 shown]
	v_min3_f32 v149, v36, v37, s8
	v_pk_add_f32 v[36:37], v[20:21], v[32:33]
	s_nop 0
	v_min3_f32 v150, v36, v37, s8
	v_pk_add_f32 v[36:37], v[16:17], v[32:33]
	s_nop 0
	;; [unrolled: 3-line block ×11, first 2 shown]
	v_min3_f32 v142, v36, v37, v66
	v_pk_add_f32 v[36:37], v[4:5], v[32:33]
	v_pk_add_f32 v[32:33], v[0:1], v[32:33]
	v_min3_f32 v65, v36, v37, s8
	v_min3_f32 v66, v32, v33, s8
	v_pk_add_f32 v[32:33], v[2:3], v[54:55]
	ds_read_b128 v[52:55], v77 offset:3072
	v_min3_f32 v141, v32, v33, v67
	v_pk_add_f32 v[32:33], v[30:31], v[50:51]
	s_nop 0
	v_min3_f32 v140, v32, v33, v73
	v_pk_add_f32 v[32:33], v[26:27], v[50:51]
	s_nop 0
	;; [unrolled: 3-line block ×7, first 2 shown]
	v_min3_f32 v131, v32, v33, v86
	v_pk_add_f32 v[32:33], v[2:3], v[50:51]
	ds_read_b128 v[48:51], v77 offset:3584
	v_min3_f32 v136, v32, v33, v87
	v_pk_add_f32 v[32:33], v[30:31], v[46:47]
	s_waitcnt lgkmcnt(1)
	v_pk_add_f32 v[36:37], v[28:29], v[52:53]
	v_min3_f32 v134, v32, v33, v88
	v_pk_add_f32 v[32:33], v[26:27], v[46:47]
	v_min3_f32 v67, v36, v37, s8
	v_min3_f32 v132, v32, v33, v89
	v_pk_add_f32 v[32:33], v[22:23], v[46:47]
	v_pk_add_f32 v[36:37], v[24:25], v[52:53]
	v_min3_f32 v130, v32, v33, v90
	v_pk_add_f32 v[32:33], v[18:19], v[46:47]
	v_min3_f32 v68, v36, v37, s8
	v_min3_f32 v129, v32, v33, v91
	v_pk_add_f32 v[32:33], v[14:15], v[46:47]
	v_pk_add_f32 v[36:37], v[12:13], v[52:53]
	v_min3_f32 v128, v32, v33, v92
	v_pk_add_f32 v[32:33], v[10:11], v[46:47]
	s_waitcnt lgkmcnt(0)
	v_pk_add_f32 v[28:29], v[28:29], v[48:49]
	v_min3_f32 v127, v32, v33, v93
	v_pk_add_f32 v[32:33], v[6:7], v[46:47]
	v_min3_f32 v28, v28, v29, s8
	v_min3_f32 v126, v32, v33, v94
	v_pk_add_f32 v[32:33], v[20:21], v[52:53]
	v_pk_add_f32 v[24:25], v[24:25], v[48:49]
	v_min3_f32 v69, v32, v33, s8
	v_pk_add_f32 v[32:33], v[16:17], v[52:53]
	v_pk_add_f32 v[12:13], v[12:13], v[48:49]
	v_min3_f32 v70, v32, v33, s8
	v_pk_add_f32 v[32:33], v[2:3], v[46:47]
	v_min3_f32 v46, v36, v37, s8
	v_min3_f32 v125, v32, v33, v95
	v_pk_add_f32 v[32:33], v[30:31], v[42:43]
	v_pk_add_f32 v[36:37], v[8:9], v[52:53]
	v_min3_f32 v124, v32, v33, v96
	v_pk_add_f32 v[32:33], v[26:27], v[42:43]
	v_min3_f32 v36, v36, v37, s8
	;; [unrolled: 6-line block ×3, first 2 shown]
	v_min3_f32 v120, v32, v33, v99
	v_pk_add_f32 v[32:33], v[14:15], v[42:43]
	v_pk_add_f32 v[24:25], v[30:31], v[34:35]
	v_min3_f32 v119, v32, v33, v100
	v_pk_add_f32 v[32:33], v[10:11], v[42:43]
	v_pk_add_f32 v[20:21], v[20:21], v[48:49]
	v_min3_f32 v118, v32, v33, v101
	v_pk_add_f32 v[32:33], v[6:7], v[42:43]
	v_min3_f32 v12, v12, v13, s8
	v_min3_f32 v117, v32, v33, v44
	v_pk_add_f32 v[32:33], v[4:5], v[52:53]
	v_pk_add_f32 v[4:5], v[4:5], v[48:49]
	v_min3_f32 v37, v32, v33, s8
	v_pk_add_f32 v[32:33], v[0:1], v[52:53]
	v_pk_add_f32 v[0:1], v[0:1], v[48:49]
	v_min3_f32 v44, v32, v33, s8
	v_pk_add_f32 v[32:33], v[2:3], v[42:43]
	v_min3_f32 v4, v4, v5, s8
	v_min3_f32 v116, v32, v33, v45
	v_pk_add_f32 v[32:33], v[30:31], v[38:39]
	v_min3_f32 v5, v0, v1, s8
	v_min3_f32 v115, v32, v33, v102
	v_pk_add_f32 v[32:33], v[26:27], v[38:39]
	v_pk_add_f32 v[0:1], v[2:3], v[54:55]
	v_min3_f32 v114, v32, v33, v103
	v_pk_add_f32 v[32:33], v[22:23], v[38:39]
	v_min3_f32 v92, v0, v1, v44
	v_min3_f32 v113, v32, v33, v104
	v_pk_add_f32 v[32:33], v[18:19], v[38:39]
	v_pk_add_f32 v[0:1], v[30:31], v[50:51]
	;; [unrolled: 6-line block ×3, first 2 shown]
	v_min3_f32 v91, v0, v1, v28
	v_pk_add_f32 v[0:1], v[26:27], v[50:51]
	v_min3_f32 v110, v32, v33, v107
	v_min3_f32 v107, v24, v25, v123
	v_pk_add_f32 v[24:25], v[26:27], v[34:35]
	v_min3_f32 v20, v20, v21, s8
	v_pk_add_f32 v[16:17], v[16:17], v[48:49]
	;; [unrolled: 2-line block ×5, first 2 shown]
	v_min3_f32 v21, v16, v17, s8
	v_min3_f32 v98, v8, v9, v68
	v_pk_add_f32 v[8:9], v[22:23], v[54:55]
	v_min3_f32 v89, v0, v1, v20
	v_pk_add_f32 v[0:1], v[18:19], v[50:51]
	;; [unrolled: 2-line block ×8, first 2 shown]
	v_pk_add_f32 v[32:33], v[6:7], v[38:39]
	v_min3_f32 v103, v24, v25, v152
	v_pk_add_f32 v[24:25], v[10:11], v[34:35]
	v_min3_f32 v95, v8, v9, v46
	v_pk_add_f32 v[8:9], v[10:11], v[54:55]
	v_min3_f32 v85, v0, v1, v13
	v_pk_add_f32 v[0:1], v[6:7], v[50:51]
	v_min3_f32 v109, v32, v33, v40
	v_pk_add_f32 v[32:33], v[2:3], v[38:39]
	v_min3_f32 v102, v24, v25, v153
	v_pk_add_f32 v[24:25], v[6:7], v[34:35]
	v_pk_add_f32 v[16:17], v[2:3], v[34:35]
	v_min3_f32 v94, v8, v9, v36
	v_pk_add_f32 v[8:9], v[6:7], v[54:55]
	v_min3_f32 v84, v0, v1, v4
	;; [unrolled: 2-line block ×3, first 2 shown]
	v_min3_f32 v101, v24, v25, v65
	v_min3_f32 v100, v16, v17, v66
	;; [unrolled: 1-line block ×4, first 2 shown]
	ds_write_b32 v64, v59 offset:9216
	ds_write2st64_b32 v80, v61, v60 offset0:16 offset1:20
	ds_write2st64_b32 v80, v63, v62 offset0:24 offset1:28
	s_waitcnt lgkmcnt(0)
	s_barrier
	s_cbranch_scc1 .LBB76_50
; %bb.28:
	v_mov_b32_e32 v0, 0x2400
	v_lshl_add_u32 v149, v74, 4, v0
	v_mov_b32_e32 v0, 0x1000
	v_lshl_add_u32 v150, v75, 4, v0
	v_lshl_add_u32 v0, s2, 6, v58
	s_lshl_b32 s2, s36, 6
	v_subrev_u32_e32 v0, s2, v0
	v_and_b32_e32 v2, 3, v74
	v_mad_i64_i32 v[0:1], s[8:9], s23, v0, 0
	v_lshlrev_b32_e32 v2, 2, v2
	v_mov_b32_e32 v3, 0
	v_lshl_add_u64 v[0:1], v[0:1], 2, v[2:3]
	v_lshl_add_u64 v[0:1], s[26:27], 0, v[0:1]
	v_add_u32_e32 v81, 0x2000, v64
	v_add_u32_e32 v83, 0x2400, v64
	v_lshl_add_u64 v[64:65], v[0:1], 0, 32
	v_add_u32_e32 v0, 8, v79
	v_mad_i64_i32 v[0:1], s[8:9], v0, s30, 0
	v_lshlrev_b64 v[66:67], 2, v[0:1]
	v_add_u32_e32 v0, 12, v79
	v_mad_i64_i32 v[0:1], s[8:9], v0, s30, 0
	v_add_u32_e32 v82, 0x2000, v78
	v_add_u32_e32 v123, 0x1000, v80
	s_add_i32 s37, s22, -8
	v_lshl_add_u64 v[68:69], v[56:57], 2, s[28:29]
	s_lshl_b64 s[10:11], s[30:31], 5
	v_lshlrev_b64 v[70:71], 2, v[0:1]
	s_mov_b32 s2, 0
	s_branch .LBB76_30
.LBB76_29:                              ;   in Loop: Header=BB76_30 Depth=1
	s_or_b64 exec, exec, s[8:9]
	v_pk_add_f32 v[72:73], v[28:29], v[60:61]
	s_add_i32 s2, s2, 8
	v_min3_f32 v148, v72, v73, v148
	v_pk_add_f32 v[72:73], v[24:25], v[60:61]
	v_lshl_add_u64 v[64:65], v[64:65], 0, 32
	v_min3_f32 v147, v72, v73, v147
	v_pk_add_f32 v[72:73], v[20:21], v[60:61]
	s_cmp_ge_i32 s2, s37
	v_min3_f32 v146, v72, v73, v146
	v_pk_add_f32 v[72:73], v[16:17], v[60:61]
	v_lshl_add_u64 v[68:69], v[68:69], 0, s[10:11]
	v_min3_f32 v145, v72, v73, v145
	v_pk_add_f32 v[72:73], v[12:13], v[60:61]
	s_nop 0
	v_min3_f32 v144, v72, v73, v144
	v_pk_add_f32 v[72:73], v[8:9], v[60:61]
	s_nop 0
	v_min3_f32 v143, v72, v73, v143
	v_pk_add_f32 v[72:73], v[4:5], v[60:61]
	v_pk_add_f32 v[60:61], v[0:1], v[60:61]
	v_min3_f32 v72, v72, v73, v142
	v_min3_f32 v73, v60, v61, v141
	v_pk_add_f32 v[60:61], v[28:29], v[56:57]
	s_nop 0
	v_min3_f32 v140, v60, v61, v140
	v_pk_add_f32 v[60:61], v[24:25], v[56:57]
	s_nop 0
	v_min3_f32 v139, v60, v61, v139
	v_pk_add_f32 v[60:61], v[20:21], v[56:57]
	s_nop 0
	v_min3_f32 v138, v60, v61, v138
	v_pk_add_f32 v[60:61], v[16:17], v[56:57]
	s_nop 0
	v_min3_f32 v137, v60, v61, v137
	v_pk_add_f32 v[60:61], v[12:13], v[56:57]
	s_nop 0
	v_min3_f32 v135, v60, v61, v135
	v_pk_add_f32 v[60:61], v[8:9], v[56:57]
	s_nop 0
	v_min3_f32 v133, v60, v61, v133
	v_pk_add_f32 v[60:61], v[4:5], v[56:57]
	v_pk_add_f32 v[56:57], v[0:1], v[56:57]
	v_min3_f32 v60, v60, v61, v131
	v_min3_f32 v61, v56, v57, v136
	v_pk_add_f32 v[56:57], v[28:29], v[52:53]
	s_nop 0
	v_min3_f32 v131, v56, v57, v134
	v_pk_add_f32 v[56:57], v[24:25], v[52:53]
	s_nop 0
	v_min3_f32 v132, v56, v57, v132
	v_pk_add_f32 v[56:57], v[20:21], v[52:53]
	s_nop 0
	v_min3_f32 v130, v56, v57, v130
	v_pk_add_f32 v[56:57], v[16:17], v[52:53]
	s_nop 0
	;; [unrolled: 22-line block ×5, first 2 shown]
	v_min3_f32 v104, v44, v45, v104
	v_pk_add_f32 v[44:45], v[12:13], v[40:41]
	s_nop 0
	v_min3_f32 v103, v44, v45, v103
	v_pk_add_f32 v[44:45], v[8:9], v[40:41]
	s_nop 0
	v_min3_f32 v102, v44, v45, v102
	v_pk_add_f32 v[44:45], v[4:5], v[40:41]
	v_pk_add_f32 v[40:41], v[0:1], v[40:41]
	v_min3_f32 v44, v44, v45, v101
	v_min3_f32 v45, v40, v41, v100
	v_pk_add_f32 v[40:41], v[28:29], v[36:37]
	v_pk_add_f32 v[28:29], v[28:29], v[32:33]
	v_min3_f32 v99, v40, v41, v99
	v_pk_add_f32 v[40:41], v[24:25], v[36:37]
	v_pk_add_f32 v[24:25], v[24:25], v[32:33]
	;; [unrolled: 3-line block ×7, first 2 shown]
	v_pk_add_f32 v[4:5], v[4:5], v[32:33]
	v_pk_add_f32 v[0:1], v[0:1], v[32:33]
	v_min3_f32 v4, v4, v5, v84
	v_min3_f32 v5, v0, v1, v88
	v_pk_add_f32 v[0:1], v[30:31], v[62:63]
	v_min3_f32 v8, v8, v9, v85
	v_min3_f32 v84, v0, v1, v148
	;; [unrolled: 3-line block ×9, first 2 shown]
	v_pk_add_f32 v[0:1], v[30:31], v[58:59]
	s_nop 0
	v_min3_f32 v92, v0, v1, v140
	v_pk_add_f32 v[0:1], v[26:27], v[58:59]
	s_nop 0
	v_min3_f32 v93, v0, v1, v139
	v_pk_add_f32 v[0:1], v[22:23], v[58:59]
	s_nop 0
	v_min3_f32 v100, v0, v1, v138
	v_pk_add_f32 v[0:1], v[18:19], v[58:59]
	s_nop 0
	v_min3_f32 v101, v0, v1, v137
	v_pk_add_f32 v[0:1], v[14:15], v[58:59]
	s_nop 0
	v_min3_f32 v108, v0, v1, v135
	v_pk_add_f32 v[0:1], v[10:11], v[58:59]
	s_nop 0
	v_min3_f32 v109, v0, v1, v133
	v_pk_add_f32 v[0:1], v[6:7], v[58:59]
	s_nop 0
	v_min3_f32 v116, v0, v1, v60
	v_pk_add_f32 v[0:1], v[2:3], v[58:59]
	s_nop 0
	v_min3_f32 v117, v0, v1, v61
	v_pk_add_f32 v[0:1], v[30:31], v[54:55]
	s_nop 0
	v_min3_f32 v125, v0, v1, v131
	v_pk_add_f32 v[0:1], v[26:27], v[54:55]
	s_nop 0
	v_min3_f32 v126, v0, v1, v132
	v_pk_add_f32 v[0:1], v[22:23], v[54:55]
	s_nop 0
	v_min3_f32 v130, v0, v1, v130
	v_pk_add_f32 v[0:1], v[18:19], v[54:55]
	s_nop 0
	v_min3_f32 v129, v0, v1, v129
	v_pk_add_f32 v[0:1], v[14:15], v[54:55]
	s_nop 0
	v_min3_f32 v128, v0, v1, v128
	v_pk_add_f32 v[0:1], v[10:11], v[54:55]
	s_nop 0
	v_min3_f32 v127, v0, v1, v127
	v_pk_add_f32 v[0:1], v[6:7], v[54:55]
	s_nop 0
	v_min3_f32 v131, v0, v1, v56
	v_pk_add_f32 v[0:1], v[2:3], v[54:55]
	s_nop 0
	v_min3_f32 v132, v0, v1, v57
	v_pk_add_f32 v[0:1], v[30:31], v[50:51]
	s_nop 0
	v_min3_f32 v124, v0, v1, v124
	v_pk_add_f32 v[0:1], v[26:27], v[50:51]
	s_nop 0
	v_min3_f32 v122, v0, v1, v122
	v_pk_add_f32 v[0:1], v[22:23], v[50:51]
	s_nop 0
	v_min3_f32 v121, v0, v1, v121
	v_pk_add_f32 v[0:1], v[18:19], v[50:51]
	s_nop 0
	v_min3_f32 v120, v0, v1, v120
	v_pk_add_f32 v[0:1], v[14:15], v[50:51]
	s_nop 0
	v_min3_f32 v119, v0, v1, v119
	v_pk_add_f32 v[0:1], v[10:11], v[50:51]
	s_nop 0
	v_min3_f32 v118, v0, v1, v118
	v_pk_add_f32 v[0:1], v[6:7], v[50:51]
	s_nop 0
	v_min3_f32 v133, v0, v1, v52
	v_pk_add_f32 v[0:1], v[2:3], v[50:51]
	s_nop 0
	v_min3_f32 v134, v0, v1, v53
	v_pk_add_f32 v[0:1], v[30:31], v[46:47]
	s_nop 0
	v_min3_f32 v115, v0, v1, v115
	v_pk_add_f32 v[0:1], v[26:27], v[46:47]
	s_nop 0
	v_min3_f32 v114, v0, v1, v114
	v_pk_add_f32 v[0:1], v[22:23], v[46:47]
	s_nop 0
	v_min3_f32 v113, v0, v1, v113
	v_pk_add_f32 v[0:1], v[18:19], v[46:47]
	s_nop 0
	v_min3_f32 v112, v0, v1, v112
	v_pk_add_f32 v[0:1], v[14:15], v[46:47]
	s_nop 0
	v_min3_f32 v111, v0, v1, v111
	v_pk_add_f32 v[0:1], v[10:11], v[46:47]
	s_nop 0
	v_min3_f32 v110, v0, v1, v110
	v_pk_add_f32 v[0:1], v[6:7], v[46:47]
	s_nop 0
	v_min3_f32 v135, v0, v1, v48
	v_pk_add_f32 v[0:1], v[2:3], v[46:47]
	s_nop 0
	v_min3_f32 v136, v0, v1, v49
	v_pk_add_f32 v[0:1], v[30:31], v[42:43]
	s_nop 0
	v_min3_f32 v107, v0, v1, v107
	v_pk_add_f32 v[0:1], v[26:27], v[42:43]
	s_nop 0
	v_min3_f32 v106, v0, v1, v106
	v_pk_add_f32 v[0:1], v[22:23], v[42:43]
	s_nop 0
	v_min3_f32 v105, v0, v1, v105
	v_pk_add_f32 v[0:1], v[18:19], v[42:43]
	s_nop 0
	v_min3_f32 v104, v0, v1, v104
	v_pk_add_f32 v[0:1], v[14:15], v[42:43]
	s_nop 0
	v_min3_f32 v103, v0, v1, v103
	v_pk_add_f32 v[0:1], v[10:11], v[42:43]
	s_nop 0
	v_min3_f32 v102, v0, v1, v102
	v_pk_add_f32 v[0:1], v[6:7], v[42:43]
	s_nop 0
	v_min3_f32 v137, v0, v1, v44
	v_pk_add_f32 v[0:1], v[2:3], v[42:43]
	s_nop 0
	v_min3_f32 v138, v0, v1, v45
	v_pk_add_f32 v[0:1], v[30:31], v[38:39]
	s_nop 0
	v_min3_f32 v99, v0, v1, v99
	v_pk_add_f32 v[0:1], v[26:27], v[38:39]
	s_nop 0
	v_min3_f32 v98, v0, v1, v98
	v_pk_add_f32 v[0:1], v[22:23], v[38:39]
	s_nop 0
	v_min3_f32 v97, v0, v1, v97
	v_pk_add_f32 v[0:1], v[18:19], v[38:39]
	s_nop 0
	v_min3_f32 v96, v0, v1, v96
	v_pk_add_f32 v[0:1], v[14:15], v[38:39]
	s_nop 0
	v_min3_f32 v95, v0, v1, v95
	v_pk_add_f32 v[0:1], v[10:11], v[38:39]
	s_nop 0
	v_min3_f32 v94, v0, v1, v94
	v_pk_add_f32 v[0:1], v[6:7], v[38:39]
	s_nop 0
	v_min3_f32 v139, v0, v1, v40
	v_pk_add_f32 v[0:1], v[2:3], v[38:39]
	s_nop 0
	v_min3_f32 v140, v0, v1, v36
	v_pk_add_f32 v[0:1], v[30:31], v[34:35]
	s_nop 0
	v_min3_f32 v141, v0, v1, v28
	v_pk_add_f32 v[0:1], v[26:27], v[34:35]
	s_nop 0
	v_min3_f32 v142, v0, v1, v24
	v_pk_add_f32 v[0:1], v[22:23], v[34:35]
	s_nop 0
	v_min3_f32 v143, v0, v1, v20
	v_pk_add_f32 v[0:1], v[18:19], v[34:35]
	s_nop 0
	v_min3_f32 v144, v0, v1, v16
	v_pk_add_f32 v[0:1], v[14:15], v[34:35]
	s_nop 0
	v_min3_f32 v145, v0, v1, v12
	v_pk_add_f32 v[0:1], v[10:11], v[34:35]
	s_nop 0
	v_min3_f32 v146, v0, v1, v8
	v_pk_add_f32 v[0:1], v[6:7], v[34:35]
	s_nop 0
	v_min3_f32 v147, v0, v1, v4
	v_pk_add_f32 v[0:1], v[2:3], v[34:35]
	s_nop 0
	v_min3_f32 v148, v0, v1, v5
	ds_read_b128 v[0:3], v82
	ds_read_b128 v[4:7], v82 offset:128
	ds_read_b128 v[8:11], v82 offset:256
	ds_read_b128 v[12:15], v82 offset:384
	ds_read_b128 v[16:19], v82 offset:512
	ds_read_b128 v[20:23], v82 offset:640
	ds_read_b128 v[24:27], v82 offset:768
	ds_read_b128 v[28:31], v82 offset:896
	ds_read_b128 v[36:39], v77
	ds_read_b128 v[40:43], v77 offset:512
	ds_read_b128 v[44:47], v77 offset:1024
	;; [unrolled: 1-line block ×7, first 2 shown]
	s_waitcnt lgkmcnt(7)
	v_pk_add_f32 v[72:73], v[0:1], v[36:37]
	s_waitcnt vmcnt(0)
	ds_write_b32 v83, v151
	ds_write2st64_b32 v123, v153, v152 offset1:4
	ds_write2st64_b32 v123, v155, v154 offset0:8 offset1:12
	v_min3_f32 v84, v72, v73, v84
	v_pk_add_f32 v[72:73], v[4:5], v[36:37]
	s_waitcnt lgkmcnt(0)
	v_min3_f32 v85, v72, v73, v85
	v_pk_add_f32 v[72:73], v[8:9], v[36:37]
	s_barrier
	v_min3_f32 v86, v72, v73, v86
	v_pk_add_f32 v[72:73], v[12:13], v[36:37]
	s_nop 0
	v_min3_f32 v87, v72, v73, v87
	v_pk_add_f32 v[72:73], v[16:17], v[36:37]
	s_nop 0
	;; [unrolled: 3-line block ×3, first 2 shown]
	v_min3_f32 v89, v72, v73, v89
	v_pk_add_f32 v[72:73], v[24:25], v[36:37]
	v_pk_add_f32 v[36:37], v[28:29], v[36:37]
	v_min3_f32 v72, v72, v73, v90
	v_min3_f32 v73, v36, v37, v91
	v_pk_add_f32 v[36:37], v[0:1], v[40:41]
	s_nop 0
	v_min3_f32 v90, v36, v37, v92
	v_pk_add_f32 v[36:37], v[4:5], v[40:41]
	s_nop 0
	v_min3_f32 v91, v36, v37, v93
	v_pk_add_f32 v[36:37], v[8:9], v[40:41]
	s_nop 0
	v_min3_f32 v92, v36, v37, v100
	v_pk_add_f32 v[36:37], v[12:13], v[40:41]
	s_nop 0
	v_min3_f32 v93, v36, v37, v101
	v_pk_add_f32 v[36:37], v[16:17], v[40:41]
	s_nop 0
	v_min3_f32 v100, v36, v37, v108
	v_pk_add_f32 v[36:37], v[20:21], v[40:41]
	s_nop 0
	v_min3_f32 v101, v36, v37, v109
	v_pk_add_f32 v[36:37], v[24:25], v[40:41]
	s_nop 0
	v_min3_f32 v108, v36, v37, v116
	v_pk_add_f32 v[36:37], v[28:29], v[40:41]
	s_nop 0
	v_min3_f32 v40, v36, v37, v117
	v_pk_add_f32 v[36:37], v[0:1], v[44:45]
	s_nop 0
	v_min3_f32 v41, v36, v37, v125
	v_pk_add_f32 v[36:37], v[4:5], v[44:45]
	s_nop 0
	v_min3_f32 v109, v36, v37, v126
	v_pk_add_f32 v[36:37], v[8:9], v[44:45]
	s_nop 0
	v_min3_f32 v116, v36, v37, v130
	v_pk_add_f32 v[36:37], v[12:13], v[44:45]
	s_nop 0
	v_min3_f32 v117, v36, v37, v129
	v_pk_add_f32 v[36:37], v[16:17], v[44:45]
	s_nop 0
	v_min3_f32 v125, v36, v37, v128
	v_pk_add_f32 v[36:37], v[20:21], v[44:45]
	s_nop 0
	v_min3_f32 v126, v36, v37, v127
	v_pk_add_f32 v[36:37], v[24:25], v[44:45]
	s_nop 0
	v_min3_f32 v156, v36, v37, v131
	v_pk_add_f32 v[36:37], v[28:29], v[44:45]
	s_nop 0
	v_min3_f32 v44, v36, v37, v132
	v_pk_add_f32 v[36:37], v[0:1], v[48:49]
	s_nop 0
	v_min3_f32 v45, v36, v37, v124
	v_pk_add_f32 v[36:37], v[4:5], v[48:49]
	s_nop 0
	v_min3_f32 v122, v36, v37, v122
	v_pk_add_f32 v[36:37], v[8:9], v[48:49]
	s_nop 0
	v_min3_f32 v121, v36, v37, v121
	v_pk_add_f32 v[36:37], v[12:13], v[48:49]
	s_nop 0
	v_min3_f32 v120, v36, v37, v120
	v_pk_add_f32 v[36:37], v[16:17], v[48:49]
	s_nop 0
	v_min3_f32 v119, v36, v37, v119
	v_pk_add_f32 v[36:37], v[20:21], v[48:49]
	s_nop 0
	v_min3_f32 v118, v36, v37, v118
	v_pk_add_f32 v[36:37], v[24:25], v[48:49]
	s_nop 0
	v_min3_f32 v157, v36, v37, v133
	v_pk_add_f32 v[36:37], v[28:29], v[48:49]
	s_nop 0
	v_min3_f32 v48, v36, v37, v134
	v_pk_add_f32 v[36:37], v[0:1], v[52:53]
	s_nop 0
	v_min3_f32 v49, v36, v37, v115
	v_pk_add_f32 v[36:37], v[4:5], v[52:53]
	s_nop 0
	v_min3_f32 v114, v36, v37, v114
	v_pk_add_f32 v[36:37], v[8:9], v[52:53]
	s_nop 0
	v_min3_f32 v113, v36, v37, v113
	v_pk_add_f32 v[36:37], v[12:13], v[52:53]
	s_nop 0
	v_min3_f32 v112, v36, v37, v112
	v_pk_add_f32 v[36:37], v[16:17], v[52:53]
	s_nop 0
	v_min3_f32 v111, v36, v37, v111
	v_pk_add_f32 v[36:37], v[20:21], v[52:53]
	s_nop 0
	v_min3_f32 v110, v36, v37, v110
	v_pk_add_f32 v[36:37], v[24:25], v[52:53]
	s_nop 0
	v_min3_f32 v158, v36, v37, v135
	v_pk_add_f32 v[36:37], v[28:29], v[52:53]
	s_nop 0
	v_min3_f32 v52, v36, v37, v136
	v_pk_add_f32 v[36:37], v[0:1], v[56:57]
	s_nop 0
	v_min3_f32 v53, v36, v37, v107
	v_pk_add_f32 v[36:37], v[4:5], v[56:57]
	s_nop 0
	v_min3_f32 v106, v36, v37, v106
	v_pk_add_f32 v[36:37], v[8:9], v[56:57]
	s_nop 0
	v_min3_f32 v105, v36, v37, v105
	v_pk_add_f32 v[36:37], v[12:13], v[56:57]
	s_nop 0
	v_min3_f32 v104, v36, v37, v104
	v_pk_add_f32 v[36:37], v[16:17], v[56:57]
	s_nop 0
	v_min3_f32 v103, v36, v37, v103
	v_pk_add_f32 v[36:37], v[20:21], v[56:57]
	s_nop 0
	v_min3_f32 v102, v36, v37, v102
	v_pk_add_f32 v[36:37], v[24:25], v[56:57]
	s_nop 0
	v_min3_f32 v159, v36, v37, v137
	v_pk_add_f32 v[36:37], v[28:29], v[56:57]
	s_nop 0
	v_min3_f32 v56, v36, v37, v138
	v_pk_add_f32 v[36:37], v[0:1], v[60:61]
	v_pk_add_f32 v[0:1], v[0:1], v[32:33]
	v_min3_f32 v57, v36, v37, v99
	v_pk_add_f32 v[36:37], v[4:5], v[60:61]
	s_nop 0
	v_min3_f32 v98, v36, v37, v98
	v_pk_add_f32 v[36:37], v[8:9], v[60:61]
	s_nop 0
	;; [unrolled: 3-line block ×7, first 2 shown]
	v_min3_f32 v36, v36, v37, v140
	v_min3_f32 v37, v0, v1, v141
	v_pk_add_f32 v[0:1], v[4:5], v[32:33]
	s_nop 0
	v_min3_f32 v4, v0, v1, v142
	v_pk_add_f32 v[0:1], v[8:9], v[32:33]
	s_nop 0
	;; [unrolled: 3-line block ×71, first 2 shown]
	v_min3_f32 v88, v0, v1, v16
	s_cbranch_scc1 .LBB76_50
.LBB76_30:                              ; =>This Inner Loop Header: Depth=1
	v_add_u32_e32 v72, s2, v76
	v_add_u32_e32 v0, 8, v72
	v_cmp_gt_i32_e64 s[8:9], s22, v0
	s_and_b64 s[26:27], s[8:9], s[18:19]
	v_mov_b32_e32 v152, 0x7f7fffff
	v_mov_b32_e32 v153, 0x7f7fffff
	s_and_saveexec_b64 s[8:9], s[26:27]
	s_cbranch_execz .LBB76_32
; %bb.31:                               ;   in Loop: Header=BB76_30 Depth=1
	global_load_dword v153, v[64:65], off
.LBB76_32:                              ;   in Loop: Header=BB76_30 Depth=1
	s_or_b64 exec, exec, s[8:9]
	v_add_u32_e32 v73, s2, v79
	v_add_u32_e32 v0, 8, v73
	v_cmp_le_i32_e64 s[8:9], s22, v0
	s_nor_b64 s[28:29], vcc, s[8:9]
	v_lshl_add_u64 v[0:1], v[68:69], 0, v[66:67]
	s_and_saveexec_b64 s[26:27], s[28:29]
	s_cbranch_execz .LBB76_34
; %bb.33:                               ;   in Loop: Header=BB76_30 Depth=1
	global_load_dword v152, v[0:1], off
.LBB76_34:                              ;   in Loop: Header=BB76_30 Depth=1
	s_or_b64 exec, exec, s[26:27]
	s_nor_b64 s[28:29], s[12:13], s[8:9]
	v_mov_b32_e32 v154, 0x7f7fffff
	v_mov_b32_e32 v155, 0x7f7fffff
	s_and_saveexec_b64 s[26:27], s[28:29]
	s_cbranch_execz .LBB76_36
; %bb.35:                               ;   in Loop: Header=BB76_30 Depth=1
	global_load_dword v155, v[0:1], off offset:256
.LBB76_36:                              ;   in Loop: Header=BB76_30 Depth=1
	s_or_b64 exec, exec, s[26:27]
	s_nor_b64 s[28:29], s[4:5], s[8:9]
	s_and_saveexec_b64 s[26:27], s[28:29]
	s_cbranch_execz .LBB76_38
; %bb.37:                               ;   in Loop: Header=BB76_30 Depth=1
	global_load_dword v154, v[0:1], off offset:512
.LBB76_38:                              ;   in Loop: Header=BB76_30 Depth=1
	s_or_b64 exec, exec, s[26:27]
	s_nor_b64 s[26:27], s[6:7], s[8:9]
	v_mov_b32_e32 v151, 0x7f7fffff
	v_mov_b32_e32 v156, 0x7f7fffff
	s_and_saveexec_b64 s[8:9], s[26:27]
	s_cbranch_execz .LBB76_40
; %bb.39:                               ;   in Loop: Header=BB76_30 Depth=1
	global_load_dword v156, v[0:1], off offset:768
.LBB76_40:                              ;   in Loop: Header=BB76_30 Depth=1
	s_or_b64 exec, exec, s[8:9]
	ds_read_b128 v[28:31], v149
	ds_read_b128 v[24:27], v149 offset:128
	ds_read_b128 v[20:23], v149 offset:256
	;; [unrolled: 1-line block ×7, first 2 shown]
	ds_read_b128 v[60:63], v150
	ds_read_b128 v[56:59], v150 offset:512
	ds_read_b128 v[52:55], v150 offset:1024
	;; [unrolled: 1-line block ×7, first 2 shown]
	v_add_u32_e32 v72, 12, v72
	v_cmp_gt_i32_e64 s[8:9], s22, v72
	s_and_b64 s[26:27], s[8:9], s[18:19]
	s_waitcnt vmcnt(0)
	ds_write_b32 v81, v153
	ds_write2st64_b32 v80, v152, v155 offset1:4
	ds_write2st64_b32 v80, v154, v156 offset0:8 offset1:12
	s_waitcnt lgkmcnt(0)
	s_barrier
	s_and_saveexec_b64 s[8:9], s[26:27]
	s_cbranch_execz .LBB76_42
; %bb.41:                               ;   in Loop: Header=BB76_30 Depth=1
	global_load_dword v151, v[64:65], off offset:16
.LBB76_42:                              ;   in Loop: Header=BB76_30 Depth=1
	s_or_b64 exec, exec, s[8:9]
	v_add_u32_e32 v72, 12, v73
	v_cmp_le_i32_e64 s[8:9], s22, v72
	s_nor_b64 s[28:29], vcc, s[8:9]
	v_mov_b32_e32 v152, 0x7f7fffff
	v_lshl_add_u64 v[72:73], v[68:69], 0, v[70:71]
	v_mov_b32_e32 v153, 0x7f7fffff
	s_and_saveexec_b64 s[26:27], s[28:29]
	s_cbranch_execz .LBB76_44
; %bb.43:                               ;   in Loop: Header=BB76_30 Depth=1
	global_load_dword v153, v[72:73], off
.LBB76_44:                              ;   in Loop: Header=BB76_30 Depth=1
	s_or_b64 exec, exec, s[26:27]
	s_nor_b64 s[28:29], s[12:13], s[8:9]
	s_and_saveexec_b64 s[26:27], s[28:29]
	s_cbranch_execz .LBB76_46
; %bb.45:                               ;   in Loop: Header=BB76_30 Depth=1
	global_load_dword v152, v[72:73], off offset:256
.LBB76_46:                              ;   in Loop: Header=BB76_30 Depth=1
	s_or_b64 exec, exec, s[26:27]
	s_nor_b64 s[28:29], s[4:5], s[8:9]
	v_mov_b32_e32 v154, 0x7f7fffff
	v_mov_b32_e32 v155, 0x7f7fffff
	s_and_saveexec_b64 s[26:27], s[28:29]
	s_cbranch_execz .LBB76_48
; %bb.47:                               ;   in Loop: Header=BB76_30 Depth=1
	global_load_dword v155, v[72:73], off offset:512
.LBB76_48:                              ;   in Loop: Header=BB76_30 Depth=1
	s_or_b64 exec, exec, s[26:27]
	s_nor_b64 s[26:27], s[6:7], s[8:9]
	s_and_saveexec_b64 s[8:9], s[26:27]
	s_cbranch_execz .LBB76_29
; %bb.49:                               ;   in Loop: Header=BB76_30 Depth=1
	global_load_dword v154, v[72:73], off offset:768
	s_branch .LBB76_29
.LBB76_50:
	s_load_dwordx2 s[4:5], s[0:1], 0x70
	s_load_dword s29, s[0:1], 0x50
	s_load_dword s28, s[0:1], 0x68
	ds_read_b128 v[32:35], v78 offset:9216
	ds_read_b128 v[28:31], v78 offset:9344
	;; [unrolled: 1-line block ×16, first 2 shown]
	v_add_u32_e32 v123, s35, v75
	s_waitcnt lgkmcnt(0)
	s_mul_i32 s1, s5, s3
	s_mul_hi_u32 s2, s4, s3
	s_mul_i32 s0, s4, s3
	s_add_i32 s1, s2, s1
	s_lshl_b64 s[0:1], s[0:1], 2
	s_add_u32 s22, s14, s0
	s_addc_u32 s23, s15, s1
	v_mad_i64_i32 v[66:67], s[0:1], v123, s29, 0
	v_add_u32_e32 v64, s34, v74
	v_lshl_add_u64 v[82:83], v[66:67], 2, s[24:25]
	v_mad_i64_i32 v[66:67], s[0:1], v123, s28, 0
	v_cmp_gt_i32_e64 s[18:19], s21, v123
	v_lshl_add_u64 v[80:81], v[66:67], 2, s[22:23]
	v_cmp_gt_i32_e64 s[2:3], s20, v64
	v_cndmask_b32_e64 v66, 0, 1, s[16:17]
	s_and_b64 s[6:7], s[2:3], s[18:19]
	v_ashrrev_i32_e32 v65, 31, v64
	v_cmp_ne_u32_e64 s[0:1], 1, v66
	s_and_saveexec_b64 s[4:5], s[6:7]
	s_cbranch_execz .LBB76_56
; %bb.51:
	s_and_b64 vcc, exec, s[0:1]
	s_cbranch_vccnz .LBB76_54
; %bb.52:
	v_lshl_add_u64 v[66:67], v[64:65], 2, v[82:83]
	global_load_dword v66, v[66:67], off
	s_waitcnt vmcnt(0)
	v_mul_f32_e32 v66, s33, v66
	s_branch .LBB76_55
.LBB76_53:
	s_mov_b64 s[26:27], 0
	s_andn2_b64 vcc, exec, s[8:9]
	s_mov_b64 s[4:5], -1
	s_cbranch_vccz .LBB76_2
	s_branch .LBB76_3
.LBB76_54:
	v_mov_b32_e32 v66, 0
.LBB76_55:
	v_pk_add_f32 v[68:69], v[32:33], v[60:61]
	s_nop 0
	v_min3_f32 v67, v68, v69, v148
	v_pk_add_f32 v[68:69], v[34:35], v[62:63]
	s_nop 0
	v_min_f32_e32 v68, v68, v69
	v_min3_f32 v68, v66, v68, v67
	v_lshl_add_u64 v[66:67], v[64:65], 2, v[80:81]
	global_store_dword v[66:67], v68, off
.LBB76_56:
	s_or_b64 exec, exec, s[4:5]
	v_add_u32_e32 v66, 8, v64
	v_cmp_gt_i32_e64 s[4:5], s20, v66
	s_and_b64 s[8:9], s[4:5], s[18:19]
	v_ashrrev_i32_e32 v67, 31, v66
	s_and_saveexec_b64 s[6:7], s[8:9]
	s_cbranch_execz .LBB76_61
; %bb.57:
	s_and_b64 vcc, exec, s[0:1]
	s_cbranch_vccnz .LBB76_59
; %bb.58:
	v_lshl_add_u64 v[68:69], v[66:67], 2, v[82:83]
	global_load_dword v68, v[68:69], off
	s_waitcnt vmcnt(0)
	v_mul_f32_e32 v68, s33, v68
	s_branch .LBB76_60
.LBB76_59:
	v_mov_b32_e32 v68, 0
.LBB76_60:
	v_pk_add_f32 v[70:71], v[28:29], v[60:61]
	s_nop 0
	v_min3_f32 v69, v70, v71, v147
	v_pk_add_f32 v[70:71], v[30:31], v[62:63]
	s_nop 0
	v_min_f32_e32 v70, v70, v71
	v_min3_f32 v70, v68, v70, v69
	v_lshl_add_u64 v[68:69], v[66:67], 2, v[80:81]
	global_store_dword v[68:69], v70, off
.LBB76_61:
	s_or_b64 exec, exec, s[6:7]
	v_add_u32_e32 v68, 16, v64
	v_cmp_gt_i32_e64 s[6:7], s20, v68
	s_and_b64 s[10:11], s[6:7], s[18:19]
	v_ashrrev_i32_e32 v69, 31, v68
	s_and_saveexec_b64 s[8:9], s[10:11]
	s_cbranch_execz .LBB76_66
; %bb.62:
	s_and_b64 vcc, exec, s[0:1]
	s_cbranch_vccnz .LBB76_64
; %bb.63:
	v_lshl_add_u64 v[70:71], v[68:69], 2, v[82:83]
	global_load_dword v70, v[70:71], off
	s_waitcnt vmcnt(0)
	v_mul_f32_e32 v70, s33, v70
	s_branch .LBB76_65
.LBB76_64:
	v_mov_b32_e32 v70, 0
.LBB76_65:
	v_pk_add_f32 v[72:73], v[24:25], v[60:61]
	s_nop 0
	v_min3_f32 v71, v72, v73, v146
	v_pk_add_f32 v[72:73], v[26:27], v[62:63]
	s_nop 0
	v_min_f32_e32 v72, v72, v73
	v_min3_f32 v72, v70, v72, v71
	v_lshl_add_u64 v[70:71], v[68:69], 2, v[80:81]
	global_store_dword v[70:71], v72, off
.LBB76_66:
	;; [unrolled: 29-line block ×7, first 2 shown]
	s_or_b64 exec, exec, s[18:19]
	v_add_u32_e32 v80, 32, v123
	v_mad_i64_i32 v[60:61], s[26:27], v80, s29, 0
	v_cmp_gt_i32_e64 s[18:19], s21, v80
	v_lshl_add_u64 v[62:63], v[60:61], 2, s[24:25]
	v_mad_i64_i32 v[60:61], s[26:27], v80, s28, 0
	v_lshl_add_u64 v[60:61], v[60:61], 2, s[22:23]
	s_and_b64 s[30:31], s[2:3], s[18:19]
	s_and_saveexec_b64 s[26:27], s[30:31]
	s_cbranch_execnz .LBB76_99
; %bb.92:
	s_or_b64 exec, exec, s[26:27]
	s_and_b64 s[30:31], s[4:5], s[18:19]
	s_and_saveexec_b64 s[26:27], s[30:31]
	s_cbranch_execnz .LBB76_103
.LBB76_93:
	s_or_b64 exec, exec, s[26:27]
	s_and_b64 s[30:31], s[6:7], s[18:19]
	s_and_saveexec_b64 s[26:27], s[30:31]
	s_cbranch_execnz .LBB76_107
.LBB76_94:
	s_or_b64 exec, exec, s[26:27]
	s_and_b64 s[30:31], s[8:9], s[18:19]
	s_and_saveexec_b64 s[26:27], s[30:31]
	s_cbranch_execnz .LBB76_111
.LBB76_95:
	s_or_b64 exec, exec, s[26:27]
	s_and_b64 s[30:31], s[10:11], s[18:19]
	s_and_saveexec_b64 s[26:27], s[30:31]
	s_cbranch_execnz .LBB76_115
.LBB76_96:
	s_or_b64 exec, exec, s[26:27]
	s_and_b64 s[30:31], s[12:13], s[18:19]
	s_and_saveexec_b64 s[26:27], s[30:31]
	s_cbranch_execnz .LBB76_119
.LBB76_97:
	s_or_b64 exec, exec, s[26:27]
	s_and_b64 s[30:31], s[14:15], s[18:19]
	s_and_saveexec_b64 s[26:27], s[30:31]
	s_cbranch_execnz .LBB76_123
.LBB76_98:
	s_or_b64 exec, exec, s[26:27]
	s_and_b64 s[26:27], s[16:17], s[18:19]
	s_and_saveexec_b64 s[18:19], s[26:27]
	s_cbranch_execnz .LBB76_127
	s_branch .LBB76_131
.LBB76_99:
	s_and_b64 vcc, exec, s[0:1]
	s_cbranch_vccnz .LBB76_101
; %bb.100:
	v_lshl_add_u64 v[80:81], v[64:65], 2, v[62:63]
	global_load_dword v80, v[80:81], off
	s_waitcnt vmcnt(0)
	v_mul_f32_e32 v80, s33, v80
	s_branch .LBB76_102
.LBB76_101:
	v_mov_b32_e32 v80, 0
.LBB76_102:
	v_pk_add_f32 v[82:83], v[32:33], v[56:57]
	s_nop 0
	v_min3_f32 v81, v82, v83, v140
	v_pk_add_f32 v[82:83], v[34:35], v[58:59]
	s_nop 0
	v_min_f32_e32 v82, v82, v83
	v_min3_f32 v82, v80, v82, v81
	v_lshl_add_u64 v[80:81], v[64:65], 2, v[60:61]
	global_store_dword v[80:81], v82, off
	s_or_b64 exec, exec, s[26:27]
	s_and_b64 s[30:31], s[4:5], s[18:19]
	s_and_saveexec_b64 s[26:27], s[30:31]
	s_cbranch_execz .LBB76_93
.LBB76_103:
	s_and_b64 vcc, exec, s[0:1]
	s_cbranch_vccnz .LBB76_105
; %bb.104:
	v_lshl_add_u64 v[80:81], v[66:67], 2, v[62:63]
	global_load_dword v80, v[80:81], off
	s_waitcnt vmcnt(0)
	v_mul_f32_e32 v80, s33, v80
	s_branch .LBB76_106
.LBB76_105:
	v_mov_b32_e32 v80, 0
.LBB76_106:
	v_pk_add_f32 v[82:83], v[28:29], v[56:57]
	s_nop 0
	v_min3_f32 v81, v82, v83, v139
	v_pk_add_f32 v[82:83], v[30:31], v[58:59]
	s_nop 0
	v_min_f32_e32 v82, v82, v83
	v_min3_f32 v82, v80, v82, v81
	v_lshl_add_u64 v[80:81], v[66:67], 2, v[60:61]
	global_store_dword v[80:81], v82, off
	s_or_b64 exec, exec, s[26:27]
	s_and_b64 s[30:31], s[6:7], s[18:19]
	s_and_saveexec_b64 s[26:27], s[30:31]
	s_cbranch_execz .LBB76_94
.LBB76_107:
	s_and_b64 vcc, exec, s[0:1]
	s_cbranch_vccnz .LBB76_109
; %bb.108:
	v_lshl_add_u64 v[80:81], v[68:69], 2, v[62:63]
	global_load_dword v80, v[80:81], off
	s_waitcnt vmcnt(0)
	v_mul_f32_e32 v80, s33, v80
	s_branch .LBB76_110
.LBB76_109:
	v_mov_b32_e32 v80, 0
.LBB76_110:
	v_pk_add_f32 v[82:83], v[24:25], v[56:57]
	s_nop 0
	v_min3_f32 v81, v82, v83, v138
	v_pk_add_f32 v[82:83], v[26:27], v[58:59]
	s_nop 0
	v_min_f32_e32 v82, v82, v83
	v_min3_f32 v82, v80, v82, v81
	v_lshl_add_u64 v[80:81], v[68:69], 2, v[60:61]
	global_store_dword v[80:81], v82, off
	s_or_b64 exec, exec, s[26:27]
	s_and_b64 s[30:31], s[8:9], s[18:19]
	s_and_saveexec_b64 s[26:27], s[30:31]
	s_cbranch_execz .LBB76_95
.LBB76_111:
	s_and_b64 vcc, exec, s[0:1]
	s_cbranch_vccnz .LBB76_113
; %bb.112:
	v_lshl_add_u64 v[80:81], v[70:71], 2, v[62:63]
	global_load_dword v80, v[80:81], off
	s_waitcnt vmcnt(0)
	v_mul_f32_e32 v80, s33, v80
	s_branch .LBB76_114
.LBB76_113:
	v_mov_b32_e32 v80, 0
.LBB76_114:
	v_pk_add_f32 v[82:83], v[20:21], v[56:57]
	s_nop 0
	v_min3_f32 v81, v82, v83, v137
	v_pk_add_f32 v[82:83], v[22:23], v[58:59]
	s_nop 0
	v_min_f32_e32 v82, v82, v83
	v_min3_f32 v82, v80, v82, v81
	v_lshl_add_u64 v[80:81], v[70:71], 2, v[60:61]
	global_store_dword v[80:81], v82, off
	s_or_b64 exec, exec, s[26:27]
	s_and_b64 s[30:31], s[10:11], s[18:19]
	s_and_saveexec_b64 s[26:27], s[30:31]
	s_cbranch_execz .LBB76_96
.LBB76_115:
	s_and_b64 vcc, exec, s[0:1]
	s_cbranch_vccnz .LBB76_117
; %bb.116:
	v_lshl_add_u64 v[80:81], v[72:73], 2, v[62:63]
	global_load_dword v80, v[80:81], off
	s_waitcnt vmcnt(0)
	v_mul_f32_e32 v80, s33, v80
	s_branch .LBB76_118
.LBB76_117:
	v_mov_b32_e32 v80, 0
.LBB76_118:
	v_pk_add_f32 v[82:83], v[16:17], v[56:57]
	s_nop 0
	v_min3_f32 v81, v82, v83, v135
	v_pk_add_f32 v[82:83], v[18:19], v[58:59]
	s_nop 0
	v_min_f32_e32 v82, v82, v83
	v_min3_f32 v82, v80, v82, v81
	v_lshl_add_u64 v[80:81], v[72:73], 2, v[60:61]
	global_store_dword v[80:81], v82, off
	s_or_b64 exec, exec, s[26:27]
	s_and_b64 s[30:31], s[12:13], s[18:19]
	s_and_saveexec_b64 s[26:27], s[30:31]
	s_cbranch_execz .LBB76_97
.LBB76_119:
	s_and_b64 vcc, exec, s[0:1]
	s_cbranch_vccnz .LBB76_121
; %bb.120:
	v_lshl_add_u64 v[80:81], v[74:75], 2, v[62:63]
	global_load_dword v80, v[80:81], off
	s_waitcnt vmcnt(0)
	v_mul_f32_e32 v80, s33, v80
	s_branch .LBB76_122
.LBB76_121:
	v_mov_b32_e32 v80, 0
.LBB76_122:
	v_pk_add_f32 v[82:83], v[12:13], v[56:57]
	s_nop 0
	v_min3_f32 v81, v82, v83, v133
	v_pk_add_f32 v[82:83], v[14:15], v[58:59]
	s_nop 0
	v_min_f32_e32 v82, v82, v83
	v_min3_f32 v82, v80, v82, v81
	v_lshl_add_u64 v[80:81], v[74:75], 2, v[60:61]
	global_store_dword v[80:81], v82, off
	s_or_b64 exec, exec, s[26:27]
	s_and_b64 s[30:31], s[14:15], s[18:19]
	s_and_saveexec_b64 s[26:27], s[30:31]
	s_cbranch_execz .LBB76_98
.LBB76_123:
	s_and_b64 vcc, exec, s[0:1]
	s_cbranch_vccnz .LBB76_125
; %bb.124:
	v_lshl_add_u64 v[80:81], v[76:77], 2, v[62:63]
	global_load_dword v80, v[80:81], off
	s_waitcnt vmcnt(0)
	v_mul_f32_e32 v80, s33, v80
	s_branch .LBB76_126
.LBB76_125:
	v_mov_b32_e32 v80, 0
.LBB76_126:
	v_pk_add_f32 v[82:83], v[8:9], v[56:57]
	s_nop 0
	v_min3_f32 v81, v82, v83, v131
	v_pk_add_f32 v[82:83], v[10:11], v[58:59]
	s_nop 0
	v_min_f32_e32 v82, v82, v83
	v_min3_f32 v82, v80, v82, v81
	v_lshl_add_u64 v[80:81], v[76:77], 2, v[60:61]
	global_store_dword v[80:81], v82, off
	s_or_b64 exec, exec, s[26:27]
	s_and_b64 s[26:27], s[16:17], s[18:19]
	s_and_saveexec_b64 s[18:19], s[26:27]
	s_cbranch_execz .LBB76_131
.LBB76_127:
	s_and_b64 vcc, exec, s[0:1]
	s_cbranch_vccnz .LBB76_129
; %bb.128:
	v_lshl_add_u64 v[62:63], v[78:79], 2, v[62:63]
	global_load_dword v62, v[62:63], off
	s_waitcnt vmcnt(0)
	v_mul_f32_e32 v62, s33, v62
	s_branch .LBB76_130
.LBB76_129:
	v_mov_b32_e32 v62, 0
.LBB76_130:
	v_pk_add_f32 v[56:57], v[0:1], v[56:57]
	s_nop 0
	v_min3_f32 v63, v56, v57, v136
	v_pk_add_f32 v[56:57], v[2:3], v[58:59]
	s_nop 0
	v_min_f32_e32 v56, v56, v57
	v_min3_f32 v58, v62, v56, v63
	v_lshl_add_u64 v[56:57], v[78:79], 2, v[60:61]
	global_store_dword v[56:57], v58, off
.LBB76_131:
	s_or_b64 exec, exec, s[18:19]
	v_add_u32_e32 v60, 64, v123
	v_mad_i64_i32 v[56:57], s[26:27], v60, s29, 0
	v_cmp_gt_i32_e64 s[18:19], s21, v60
	v_lshl_add_u64 v[58:59], v[56:57], 2, s[24:25]
	v_mad_i64_i32 v[56:57], s[26:27], v60, s28, 0
	v_lshl_add_u64 v[56:57], v[56:57], 2, s[22:23]
	s_and_b64 s[30:31], s[2:3], s[18:19]
	s_and_saveexec_b64 s[26:27], s[30:31]
	s_cbranch_execnz .LBB76_139
; %bb.132:
	s_or_b64 exec, exec, s[26:27]
	s_and_b64 s[30:31], s[4:5], s[18:19]
	s_and_saveexec_b64 s[26:27], s[30:31]
	s_cbranch_execnz .LBB76_143
.LBB76_133:
	s_or_b64 exec, exec, s[26:27]
	s_and_b64 s[30:31], s[6:7], s[18:19]
	s_and_saveexec_b64 s[26:27], s[30:31]
	s_cbranch_execnz .LBB76_147
.LBB76_134:
	s_or_b64 exec, exec, s[26:27]
	s_and_b64 s[30:31], s[8:9], s[18:19]
	s_and_saveexec_b64 s[26:27], s[30:31]
	s_cbranch_execnz .LBB76_151
.LBB76_135:
	s_or_b64 exec, exec, s[26:27]
	s_and_b64 s[30:31], s[10:11], s[18:19]
	s_and_saveexec_b64 s[26:27], s[30:31]
	s_cbranch_execnz .LBB76_155
.LBB76_136:
	s_or_b64 exec, exec, s[26:27]
	s_and_b64 s[30:31], s[12:13], s[18:19]
	s_and_saveexec_b64 s[26:27], s[30:31]
	s_cbranch_execnz .LBB76_159
.LBB76_137:
	s_or_b64 exec, exec, s[26:27]
	s_and_b64 s[30:31], s[14:15], s[18:19]
	s_and_saveexec_b64 s[26:27], s[30:31]
	s_cbranch_execnz .LBB76_163
.LBB76_138:
	s_or_b64 exec, exec, s[26:27]
	s_and_b64 s[26:27], s[16:17], s[18:19]
	s_and_saveexec_b64 s[18:19], s[26:27]
	s_cbranch_execnz .LBB76_167
	s_branch .LBB76_171
.LBB76_139:
	s_and_b64 vcc, exec, s[0:1]
	s_cbranch_vccnz .LBB76_141
; %bb.140:
	v_lshl_add_u64 v[60:61], v[64:65], 2, v[58:59]
	global_load_dword v60, v[60:61], off
	s_waitcnt vmcnt(0)
	v_mul_f32_e32 v60, s33, v60
	s_branch .LBB76_142
.LBB76_141:
	v_mov_b32_e32 v60, 0
.LBB76_142:
	v_pk_add_f32 v[62:63], v[32:33], v[52:53]
	s_nop 0
	v_min3_f32 v61, v62, v63, v134
	v_pk_add_f32 v[62:63], v[34:35], v[54:55]
	s_nop 0
	v_min_f32_e32 v62, v62, v63
	v_min3_f32 v62, v60, v62, v61
	v_lshl_add_u64 v[60:61], v[64:65], 2, v[56:57]
	global_store_dword v[60:61], v62, off
	s_or_b64 exec, exec, s[26:27]
	s_and_b64 s[30:31], s[4:5], s[18:19]
	s_and_saveexec_b64 s[26:27], s[30:31]
	s_cbranch_execz .LBB76_133
.LBB76_143:
	s_and_b64 vcc, exec, s[0:1]
	s_cbranch_vccnz .LBB76_145
; %bb.144:
	v_lshl_add_u64 v[60:61], v[66:67], 2, v[58:59]
	global_load_dword v60, v[60:61], off
	s_waitcnt vmcnt(0)
	v_mul_f32_e32 v60, s33, v60
	s_branch .LBB76_146
.LBB76_145:
	v_mov_b32_e32 v60, 0
.LBB76_146:
	v_pk_add_f32 v[62:63], v[28:29], v[52:53]
	s_nop 0
	v_min3_f32 v61, v62, v63, v132
	v_pk_add_f32 v[62:63], v[30:31], v[54:55]
	s_nop 0
	v_min_f32_e32 v62, v62, v63
	v_min3_f32 v62, v60, v62, v61
	v_lshl_add_u64 v[60:61], v[66:67], 2, v[56:57]
	global_store_dword v[60:61], v62, off
	s_or_b64 exec, exec, s[26:27]
	s_and_b64 s[30:31], s[6:7], s[18:19]
	s_and_saveexec_b64 s[26:27], s[30:31]
	s_cbranch_execz .LBB76_134
.LBB76_147:
	s_and_b64 vcc, exec, s[0:1]
	s_cbranch_vccnz .LBB76_149
; %bb.148:
	v_lshl_add_u64 v[60:61], v[68:69], 2, v[58:59]
	global_load_dword v60, v[60:61], off
	s_waitcnt vmcnt(0)
	v_mul_f32_e32 v60, s33, v60
	s_branch .LBB76_150
.LBB76_149:
	v_mov_b32_e32 v60, 0
.LBB76_150:
	v_pk_add_f32 v[62:63], v[24:25], v[52:53]
	s_nop 0
	v_min3_f32 v61, v62, v63, v130
	v_pk_add_f32 v[62:63], v[26:27], v[54:55]
	s_nop 0
	v_min_f32_e32 v62, v62, v63
	v_min3_f32 v62, v60, v62, v61
	v_lshl_add_u64 v[60:61], v[68:69], 2, v[56:57]
	global_store_dword v[60:61], v62, off
	s_or_b64 exec, exec, s[26:27]
	s_and_b64 s[30:31], s[8:9], s[18:19]
	s_and_saveexec_b64 s[26:27], s[30:31]
	s_cbranch_execz .LBB76_135
.LBB76_151:
	s_and_b64 vcc, exec, s[0:1]
	s_cbranch_vccnz .LBB76_153
; %bb.152:
	v_lshl_add_u64 v[60:61], v[70:71], 2, v[58:59]
	global_load_dword v60, v[60:61], off
	s_waitcnt vmcnt(0)
	v_mul_f32_e32 v60, s33, v60
	s_branch .LBB76_154
.LBB76_153:
	v_mov_b32_e32 v60, 0
.LBB76_154:
	v_pk_add_f32 v[62:63], v[20:21], v[52:53]
	s_nop 0
	v_min3_f32 v61, v62, v63, v129
	v_pk_add_f32 v[62:63], v[22:23], v[54:55]
	s_nop 0
	v_min_f32_e32 v62, v62, v63
	v_min3_f32 v62, v60, v62, v61
	v_lshl_add_u64 v[60:61], v[70:71], 2, v[56:57]
	global_store_dword v[60:61], v62, off
	s_or_b64 exec, exec, s[26:27]
	s_and_b64 s[30:31], s[10:11], s[18:19]
	s_and_saveexec_b64 s[26:27], s[30:31]
	s_cbranch_execz .LBB76_136
.LBB76_155:
	s_and_b64 vcc, exec, s[0:1]
	s_cbranch_vccnz .LBB76_157
; %bb.156:
	v_lshl_add_u64 v[60:61], v[72:73], 2, v[58:59]
	global_load_dword v60, v[60:61], off
	s_waitcnt vmcnt(0)
	v_mul_f32_e32 v60, s33, v60
	s_branch .LBB76_158
.LBB76_157:
	v_mov_b32_e32 v60, 0
.LBB76_158:
	v_pk_add_f32 v[62:63], v[16:17], v[52:53]
	s_nop 0
	v_min3_f32 v61, v62, v63, v128
	v_pk_add_f32 v[62:63], v[18:19], v[54:55]
	s_nop 0
	v_min_f32_e32 v62, v62, v63
	v_min3_f32 v62, v60, v62, v61
	v_lshl_add_u64 v[60:61], v[72:73], 2, v[56:57]
	global_store_dword v[60:61], v62, off
	s_or_b64 exec, exec, s[26:27]
	s_and_b64 s[30:31], s[12:13], s[18:19]
	s_and_saveexec_b64 s[26:27], s[30:31]
	s_cbranch_execz .LBB76_137
.LBB76_159:
	s_and_b64 vcc, exec, s[0:1]
	s_cbranch_vccnz .LBB76_161
; %bb.160:
	v_lshl_add_u64 v[60:61], v[74:75], 2, v[58:59]
	global_load_dword v60, v[60:61], off
	s_waitcnt vmcnt(0)
	v_mul_f32_e32 v60, s33, v60
	s_branch .LBB76_162
.LBB76_161:
	v_mov_b32_e32 v60, 0
.LBB76_162:
	v_pk_add_f32 v[62:63], v[12:13], v[52:53]
	s_nop 0
	v_min3_f32 v61, v62, v63, v127
	v_pk_add_f32 v[62:63], v[14:15], v[54:55]
	s_nop 0
	v_min_f32_e32 v62, v62, v63
	v_min3_f32 v62, v60, v62, v61
	v_lshl_add_u64 v[60:61], v[74:75], 2, v[56:57]
	global_store_dword v[60:61], v62, off
	s_or_b64 exec, exec, s[26:27]
	s_and_b64 s[30:31], s[14:15], s[18:19]
	s_and_saveexec_b64 s[26:27], s[30:31]
	s_cbranch_execz .LBB76_138
.LBB76_163:
	s_and_b64 vcc, exec, s[0:1]
	s_cbranch_vccnz .LBB76_165
; %bb.164:
	v_lshl_add_u64 v[60:61], v[76:77], 2, v[58:59]
	global_load_dword v60, v[60:61], off
	s_waitcnt vmcnt(0)
	v_mul_f32_e32 v60, s33, v60
	s_branch .LBB76_166
.LBB76_165:
	v_mov_b32_e32 v60, 0
.LBB76_166:
	v_pk_add_f32 v[62:63], v[8:9], v[52:53]
	s_nop 0
	v_min3_f32 v61, v62, v63, v126
	v_pk_add_f32 v[62:63], v[10:11], v[54:55]
	s_nop 0
	v_min_f32_e32 v62, v62, v63
	v_min3_f32 v62, v60, v62, v61
	v_lshl_add_u64 v[60:61], v[76:77], 2, v[56:57]
	global_store_dword v[60:61], v62, off
	s_or_b64 exec, exec, s[26:27]
	s_and_b64 s[26:27], s[16:17], s[18:19]
	s_and_saveexec_b64 s[18:19], s[26:27]
	s_cbranch_execz .LBB76_171
.LBB76_167:
	s_and_b64 vcc, exec, s[0:1]
	s_cbranch_vccnz .LBB76_169
; %bb.168:
	v_lshl_add_u64 v[58:59], v[78:79], 2, v[58:59]
	global_load_dword v58, v[58:59], off
	s_waitcnt vmcnt(0)
	v_mul_f32_e32 v58, s33, v58
	s_branch .LBB76_170
.LBB76_169:
	v_mov_b32_e32 v58, 0
.LBB76_170:
	v_pk_add_f32 v[52:53], v[0:1], v[52:53]
	s_nop 0
	v_min3_f32 v59, v52, v53, v125
	v_pk_add_f32 v[52:53], v[2:3], v[54:55]
	s_nop 0
	v_min_f32_e32 v52, v52, v53
	v_min3_f32 v54, v58, v52, v59
	v_lshl_add_u64 v[52:53], v[78:79], 2, v[56:57]
	global_store_dword v[52:53], v54, off
.LBB76_171:
	s_or_b64 exec, exec, s[18:19]
	v_add_u32_e32 v56, 0x60, v123
	v_mad_i64_i32 v[52:53], s[26:27], v56, s29, 0
	v_cmp_gt_i32_e64 s[18:19], s21, v56
	v_lshl_add_u64 v[54:55], v[52:53], 2, s[24:25]
	v_mad_i64_i32 v[52:53], s[26:27], v56, s28, 0
	v_lshl_add_u64 v[52:53], v[52:53], 2, s[22:23]
	s_and_b64 s[30:31], s[2:3], s[18:19]
	s_and_saveexec_b64 s[26:27], s[30:31]
	s_cbranch_execnz .LBB76_179
; %bb.172:
	s_or_b64 exec, exec, s[26:27]
	s_and_b64 s[30:31], s[4:5], s[18:19]
	s_and_saveexec_b64 s[26:27], s[30:31]
	s_cbranch_execnz .LBB76_183
.LBB76_173:
	s_or_b64 exec, exec, s[26:27]
	s_and_b64 s[30:31], s[6:7], s[18:19]
	s_and_saveexec_b64 s[26:27], s[30:31]
	s_cbranch_execnz .LBB76_187
.LBB76_174:
	s_or_b64 exec, exec, s[26:27]
	s_and_b64 s[30:31], s[8:9], s[18:19]
	s_and_saveexec_b64 s[26:27], s[30:31]
	s_cbranch_execnz .LBB76_191
.LBB76_175:
	s_or_b64 exec, exec, s[26:27]
	s_and_b64 s[30:31], s[10:11], s[18:19]
	s_and_saveexec_b64 s[26:27], s[30:31]
	s_cbranch_execnz .LBB76_195
.LBB76_176:
	s_or_b64 exec, exec, s[26:27]
	s_and_b64 s[30:31], s[12:13], s[18:19]
	s_and_saveexec_b64 s[26:27], s[30:31]
	s_cbranch_execnz .LBB76_199
.LBB76_177:
	s_or_b64 exec, exec, s[26:27]
	s_and_b64 s[30:31], s[14:15], s[18:19]
	s_and_saveexec_b64 s[26:27], s[30:31]
	s_cbranch_execnz .LBB76_203
.LBB76_178:
	s_or_b64 exec, exec, s[26:27]
	s_and_b64 s[26:27], s[16:17], s[18:19]
	s_and_saveexec_b64 s[18:19], s[26:27]
	s_cbranch_execnz .LBB76_207
	s_branch .LBB76_211
.LBB76_179:
	s_and_b64 vcc, exec, s[0:1]
	s_cbranch_vccnz .LBB76_181
; %bb.180:
	v_lshl_add_u64 v[56:57], v[64:65], 2, v[54:55]
	global_load_dword v56, v[56:57], off
	s_waitcnt vmcnt(0)
	v_mul_f32_e32 v56, s33, v56
	s_branch .LBB76_182
.LBB76_181:
	v_mov_b32_e32 v56, 0
.LBB76_182:
	v_pk_add_f32 v[58:59], v[32:33], v[48:49]
	s_nop 0
	v_min3_f32 v57, v58, v59, v124
	v_pk_add_f32 v[58:59], v[34:35], v[50:51]
	s_nop 0
	v_min_f32_e32 v58, v58, v59
	v_min3_f32 v58, v56, v58, v57
	v_lshl_add_u64 v[56:57], v[64:65], 2, v[52:53]
	global_store_dword v[56:57], v58, off
	s_or_b64 exec, exec, s[26:27]
	s_and_b64 s[30:31], s[4:5], s[18:19]
	s_and_saveexec_b64 s[26:27], s[30:31]
	s_cbranch_execz .LBB76_173
.LBB76_183:
	s_and_b64 vcc, exec, s[0:1]
	s_cbranch_vccnz .LBB76_185
; %bb.184:
	v_lshl_add_u64 v[56:57], v[66:67], 2, v[54:55]
	global_load_dword v56, v[56:57], off
	s_waitcnt vmcnt(0)
	v_mul_f32_e32 v56, s33, v56
	s_branch .LBB76_186
.LBB76_185:
	v_mov_b32_e32 v56, 0
.LBB76_186:
	v_pk_add_f32 v[58:59], v[28:29], v[48:49]
	s_nop 0
	v_min3_f32 v57, v58, v59, v122
	v_pk_add_f32 v[58:59], v[30:31], v[50:51]
	s_nop 0
	v_min_f32_e32 v58, v58, v59
	v_min3_f32 v58, v56, v58, v57
	v_lshl_add_u64 v[56:57], v[66:67], 2, v[52:53]
	global_store_dword v[56:57], v58, off
	s_or_b64 exec, exec, s[26:27]
	s_and_b64 s[30:31], s[6:7], s[18:19]
	s_and_saveexec_b64 s[26:27], s[30:31]
	s_cbranch_execz .LBB76_174
.LBB76_187:
	s_and_b64 vcc, exec, s[0:1]
	s_cbranch_vccnz .LBB76_189
; %bb.188:
	v_lshl_add_u64 v[56:57], v[68:69], 2, v[54:55]
	global_load_dword v56, v[56:57], off
	s_waitcnt vmcnt(0)
	v_mul_f32_e32 v56, s33, v56
	s_branch .LBB76_190
.LBB76_189:
	v_mov_b32_e32 v56, 0
.LBB76_190:
	v_pk_add_f32 v[58:59], v[24:25], v[48:49]
	s_nop 0
	v_min3_f32 v57, v58, v59, v121
	v_pk_add_f32 v[58:59], v[26:27], v[50:51]
	s_nop 0
	v_min_f32_e32 v58, v58, v59
	v_min3_f32 v58, v56, v58, v57
	v_lshl_add_u64 v[56:57], v[68:69], 2, v[52:53]
	global_store_dword v[56:57], v58, off
	s_or_b64 exec, exec, s[26:27]
	s_and_b64 s[30:31], s[8:9], s[18:19]
	s_and_saveexec_b64 s[26:27], s[30:31]
	s_cbranch_execz .LBB76_175
.LBB76_191:
	s_and_b64 vcc, exec, s[0:1]
	s_cbranch_vccnz .LBB76_193
; %bb.192:
	v_lshl_add_u64 v[56:57], v[70:71], 2, v[54:55]
	global_load_dword v56, v[56:57], off
	s_waitcnt vmcnt(0)
	v_mul_f32_e32 v56, s33, v56
	s_branch .LBB76_194
.LBB76_193:
	v_mov_b32_e32 v56, 0
.LBB76_194:
	v_pk_add_f32 v[58:59], v[20:21], v[48:49]
	s_nop 0
	v_min3_f32 v57, v58, v59, v120
	v_pk_add_f32 v[58:59], v[22:23], v[50:51]
	s_nop 0
	v_min_f32_e32 v58, v58, v59
	v_min3_f32 v58, v56, v58, v57
	v_lshl_add_u64 v[56:57], v[70:71], 2, v[52:53]
	global_store_dword v[56:57], v58, off
	s_or_b64 exec, exec, s[26:27]
	s_and_b64 s[30:31], s[10:11], s[18:19]
	s_and_saveexec_b64 s[26:27], s[30:31]
	s_cbranch_execz .LBB76_176
.LBB76_195:
	s_and_b64 vcc, exec, s[0:1]
	s_cbranch_vccnz .LBB76_197
; %bb.196:
	v_lshl_add_u64 v[56:57], v[72:73], 2, v[54:55]
	global_load_dword v56, v[56:57], off
	s_waitcnt vmcnt(0)
	v_mul_f32_e32 v56, s33, v56
	s_branch .LBB76_198
.LBB76_197:
	v_mov_b32_e32 v56, 0
.LBB76_198:
	v_pk_add_f32 v[58:59], v[16:17], v[48:49]
	s_nop 0
	v_min3_f32 v57, v58, v59, v119
	v_pk_add_f32 v[58:59], v[18:19], v[50:51]
	s_nop 0
	v_min_f32_e32 v58, v58, v59
	v_min3_f32 v58, v56, v58, v57
	v_lshl_add_u64 v[56:57], v[72:73], 2, v[52:53]
	global_store_dword v[56:57], v58, off
	s_or_b64 exec, exec, s[26:27]
	s_and_b64 s[30:31], s[12:13], s[18:19]
	s_and_saveexec_b64 s[26:27], s[30:31]
	s_cbranch_execz .LBB76_177
.LBB76_199:
	s_and_b64 vcc, exec, s[0:1]
	s_cbranch_vccnz .LBB76_201
; %bb.200:
	v_lshl_add_u64 v[56:57], v[74:75], 2, v[54:55]
	global_load_dword v56, v[56:57], off
	s_waitcnt vmcnt(0)
	v_mul_f32_e32 v56, s33, v56
	s_branch .LBB76_202
.LBB76_201:
	v_mov_b32_e32 v56, 0
.LBB76_202:
	v_pk_add_f32 v[58:59], v[12:13], v[48:49]
	s_nop 0
	v_min3_f32 v57, v58, v59, v118
	v_pk_add_f32 v[58:59], v[14:15], v[50:51]
	s_nop 0
	v_min_f32_e32 v58, v58, v59
	v_min3_f32 v58, v56, v58, v57
	v_lshl_add_u64 v[56:57], v[74:75], 2, v[52:53]
	global_store_dword v[56:57], v58, off
	s_or_b64 exec, exec, s[26:27]
	s_and_b64 s[30:31], s[14:15], s[18:19]
	s_and_saveexec_b64 s[26:27], s[30:31]
	s_cbranch_execz .LBB76_178
.LBB76_203:
	s_and_b64 vcc, exec, s[0:1]
	s_cbranch_vccnz .LBB76_205
; %bb.204:
	v_lshl_add_u64 v[56:57], v[76:77], 2, v[54:55]
	global_load_dword v56, v[56:57], off
	s_waitcnt vmcnt(0)
	v_mul_f32_e32 v56, s33, v56
	s_branch .LBB76_206
.LBB76_205:
	v_mov_b32_e32 v56, 0
.LBB76_206:
	v_pk_add_f32 v[58:59], v[8:9], v[48:49]
	s_nop 0
	v_min3_f32 v57, v58, v59, v117
	v_pk_add_f32 v[58:59], v[10:11], v[50:51]
	s_nop 0
	v_min_f32_e32 v58, v58, v59
	v_min3_f32 v58, v56, v58, v57
	v_lshl_add_u64 v[56:57], v[76:77], 2, v[52:53]
	global_store_dword v[56:57], v58, off
	s_or_b64 exec, exec, s[26:27]
	s_and_b64 s[26:27], s[16:17], s[18:19]
	s_and_saveexec_b64 s[18:19], s[26:27]
	s_cbranch_execz .LBB76_211
.LBB76_207:
	s_and_b64 vcc, exec, s[0:1]
	s_cbranch_vccnz .LBB76_209
; %bb.208:
	v_lshl_add_u64 v[54:55], v[78:79], 2, v[54:55]
	global_load_dword v54, v[54:55], off
	s_waitcnt vmcnt(0)
	v_mul_f32_e32 v54, s33, v54
	s_branch .LBB76_210
.LBB76_209:
	v_mov_b32_e32 v54, 0
.LBB76_210:
	v_pk_add_f32 v[48:49], v[0:1], v[48:49]
	s_nop 0
	v_min3_f32 v55, v48, v49, v116
	v_pk_add_f32 v[48:49], v[2:3], v[50:51]
	s_nop 0
	v_min_f32_e32 v48, v48, v49
	v_min3_f32 v50, v54, v48, v55
	v_lshl_add_u64 v[48:49], v[78:79], 2, v[52:53]
	global_store_dword v[48:49], v50, off
.LBB76_211:
	s_or_b64 exec, exec, s[18:19]
	v_add_u32_e32 v52, 0x80, v123
	v_mad_i64_i32 v[48:49], s[26:27], v52, s29, 0
	v_cmp_gt_i32_e64 s[18:19], s21, v52
	v_lshl_add_u64 v[50:51], v[48:49], 2, s[24:25]
	v_mad_i64_i32 v[48:49], s[26:27], v52, s28, 0
	v_lshl_add_u64 v[48:49], v[48:49], 2, s[22:23]
	s_and_b64 s[30:31], s[2:3], s[18:19]
	s_and_saveexec_b64 s[26:27], s[30:31]
	s_cbranch_execnz .LBB76_219
; %bb.212:
	s_or_b64 exec, exec, s[26:27]
	s_and_b64 s[30:31], s[4:5], s[18:19]
	s_and_saveexec_b64 s[26:27], s[30:31]
	s_cbranch_execnz .LBB76_223
.LBB76_213:
	s_or_b64 exec, exec, s[26:27]
	s_and_b64 s[30:31], s[6:7], s[18:19]
	s_and_saveexec_b64 s[26:27], s[30:31]
	s_cbranch_execnz .LBB76_227
.LBB76_214:
	s_or_b64 exec, exec, s[26:27]
	s_and_b64 s[30:31], s[8:9], s[18:19]
	s_and_saveexec_b64 s[26:27], s[30:31]
	s_cbranch_execnz .LBB76_231
.LBB76_215:
	s_or_b64 exec, exec, s[26:27]
	s_and_b64 s[30:31], s[10:11], s[18:19]
	s_and_saveexec_b64 s[26:27], s[30:31]
	s_cbranch_execnz .LBB76_235
.LBB76_216:
	s_or_b64 exec, exec, s[26:27]
	s_and_b64 s[30:31], s[12:13], s[18:19]
	s_and_saveexec_b64 s[26:27], s[30:31]
	s_cbranch_execnz .LBB76_239
.LBB76_217:
	s_or_b64 exec, exec, s[26:27]
	s_and_b64 s[30:31], s[14:15], s[18:19]
	s_and_saveexec_b64 s[26:27], s[30:31]
	s_cbranch_execnz .LBB76_243
.LBB76_218:
	s_or_b64 exec, exec, s[26:27]
	s_and_b64 s[26:27], s[16:17], s[18:19]
	s_and_saveexec_b64 s[18:19], s[26:27]
	s_cbranch_execnz .LBB76_247
	s_branch .LBB76_251
.LBB76_219:
	s_and_b64 vcc, exec, s[0:1]
	s_cbranch_vccnz .LBB76_221
; %bb.220:
	v_lshl_add_u64 v[52:53], v[64:65], 2, v[50:51]
	global_load_dword v52, v[52:53], off
	s_waitcnt vmcnt(0)
	v_mul_f32_e32 v52, s33, v52
	s_branch .LBB76_222
.LBB76_221:
	v_mov_b32_e32 v52, 0
.LBB76_222:
	v_pk_add_f32 v[54:55], v[32:33], v[44:45]
	s_nop 0
	v_min3_f32 v53, v54, v55, v115
	v_pk_add_f32 v[54:55], v[34:35], v[46:47]
	s_nop 0
	v_min_f32_e32 v54, v54, v55
	v_min3_f32 v54, v52, v54, v53
	v_lshl_add_u64 v[52:53], v[64:65], 2, v[48:49]
	global_store_dword v[52:53], v54, off
	s_or_b64 exec, exec, s[26:27]
	s_and_b64 s[30:31], s[4:5], s[18:19]
	s_and_saveexec_b64 s[26:27], s[30:31]
	s_cbranch_execz .LBB76_213
.LBB76_223:
	s_and_b64 vcc, exec, s[0:1]
	s_cbranch_vccnz .LBB76_225
; %bb.224:
	v_lshl_add_u64 v[52:53], v[66:67], 2, v[50:51]
	global_load_dword v52, v[52:53], off
	s_waitcnt vmcnt(0)
	v_mul_f32_e32 v52, s33, v52
	s_branch .LBB76_226
.LBB76_225:
	v_mov_b32_e32 v52, 0
.LBB76_226:
	v_pk_add_f32 v[54:55], v[28:29], v[44:45]
	s_nop 0
	v_min3_f32 v53, v54, v55, v114
	v_pk_add_f32 v[54:55], v[30:31], v[46:47]
	s_nop 0
	v_min_f32_e32 v54, v54, v55
	v_min3_f32 v54, v52, v54, v53
	v_lshl_add_u64 v[52:53], v[66:67], 2, v[48:49]
	global_store_dword v[52:53], v54, off
	s_or_b64 exec, exec, s[26:27]
	s_and_b64 s[30:31], s[6:7], s[18:19]
	s_and_saveexec_b64 s[26:27], s[30:31]
	s_cbranch_execz .LBB76_214
.LBB76_227:
	s_and_b64 vcc, exec, s[0:1]
	s_cbranch_vccnz .LBB76_229
; %bb.228:
	v_lshl_add_u64 v[52:53], v[68:69], 2, v[50:51]
	global_load_dword v52, v[52:53], off
	s_waitcnt vmcnt(0)
	v_mul_f32_e32 v52, s33, v52
	s_branch .LBB76_230
.LBB76_229:
	v_mov_b32_e32 v52, 0
.LBB76_230:
	v_pk_add_f32 v[54:55], v[24:25], v[44:45]
	s_nop 0
	v_min3_f32 v53, v54, v55, v113
	v_pk_add_f32 v[54:55], v[26:27], v[46:47]
	s_nop 0
	v_min_f32_e32 v54, v54, v55
	v_min3_f32 v54, v52, v54, v53
	v_lshl_add_u64 v[52:53], v[68:69], 2, v[48:49]
	global_store_dword v[52:53], v54, off
	s_or_b64 exec, exec, s[26:27]
	s_and_b64 s[30:31], s[8:9], s[18:19]
	s_and_saveexec_b64 s[26:27], s[30:31]
	s_cbranch_execz .LBB76_215
.LBB76_231:
	s_and_b64 vcc, exec, s[0:1]
	s_cbranch_vccnz .LBB76_233
; %bb.232:
	v_lshl_add_u64 v[52:53], v[70:71], 2, v[50:51]
	global_load_dword v52, v[52:53], off
	s_waitcnt vmcnt(0)
	v_mul_f32_e32 v52, s33, v52
	s_branch .LBB76_234
.LBB76_233:
	v_mov_b32_e32 v52, 0
.LBB76_234:
	v_pk_add_f32 v[54:55], v[20:21], v[44:45]
	s_nop 0
	v_min3_f32 v53, v54, v55, v112
	v_pk_add_f32 v[54:55], v[22:23], v[46:47]
	s_nop 0
	v_min_f32_e32 v54, v54, v55
	v_min3_f32 v54, v52, v54, v53
	v_lshl_add_u64 v[52:53], v[70:71], 2, v[48:49]
	global_store_dword v[52:53], v54, off
	s_or_b64 exec, exec, s[26:27]
	s_and_b64 s[30:31], s[10:11], s[18:19]
	s_and_saveexec_b64 s[26:27], s[30:31]
	s_cbranch_execz .LBB76_216
.LBB76_235:
	s_and_b64 vcc, exec, s[0:1]
	s_cbranch_vccnz .LBB76_237
; %bb.236:
	v_lshl_add_u64 v[52:53], v[72:73], 2, v[50:51]
	global_load_dword v52, v[52:53], off
	s_waitcnt vmcnt(0)
	v_mul_f32_e32 v52, s33, v52
	s_branch .LBB76_238
.LBB76_237:
	v_mov_b32_e32 v52, 0
.LBB76_238:
	v_pk_add_f32 v[54:55], v[16:17], v[44:45]
	s_nop 0
	v_min3_f32 v53, v54, v55, v111
	v_pk_add_f32 v[54:55], v[18:19], v[46:47]
	s_nop 0
	v_min_f32_e32 v54, v54, v55
	v_min3_f32 v54, v52, v54, v53
	v_lshl_add_u64 v[52:53], v[72:73], 2, v[48:49]
	global_store_dword v[52:53], v54, off
	s_or_b64 exec, exec, s[26:27]
	s_and_b64 s[30:31], s[12:13], s[18:19]
	s_and_saveexec_b64 s[26:27], s[30:31]
	s_cbranch_execz .LBB76_217
.LBB76_239:
	s_and_b64 vcc, exec, s[0:1]
	s_cbranch_vccnz .LBB76_241
; %bb.240:
	v_lshl_add_u64 v[52:53], v[74:75], 2, v[50:51]
	global_load_dword v52, v[52:53], off
	s_waitcnt vmcnt(0)
	v_mul_f32_e32 v52, s33, v52
	s_branch .LBB76_242
.LBB76_241:
	v_mov_b32_e32 v52, 0
.LBB76_242:
	v_pk_add_f32 v[54:55], v[12:13], v[44:45]
	s_nop 0
	v_min3_f32 v53, v54, v55, v110
	v_pk_add_f32 v[54:55], v[14:15], v[46:47]
	s_nop 0
	v_min_f32_e32 v54, v54, v55
	v_min3_f32 v54, v52, v54, v53
	v_lshl_add_u64 v[52:53], v[74:75], 2, v[48:49]
	global_store_dword v[52:53], v54, off
	s_or_b64 exec, exec, s[26:27]
	s_and_b64 s[30:31], s[14:15], s[18:19]
	s_and_saveexec_b64 s[26:27], s[30:31]
	s_cbranch_execz .LBB76_218
.LBB76_243:
	s_and_b64 vcc, exec, s[0:1]
	s_cbranch_vccnz .LBB76_245
; %bb.244:
	v_lshl_add_u64 v[52:53], v[76:77], 2, v[50:51]
	global_load_dword v52, v[52:53], off
	s_waitcnt vmcnt(0)
	v_mul_f32_e32 v52, s33, v52
	s_branch .LBB76_246
.LBB76_245:
	v_mov_b32_e32 v52, 0
.LBB76_246:
	v_pk_add_f32 v[54:55], v[8:9], v[44:45]
	s_nop 0
	v_min3_f32 v53, v54, v55, v109
	v_pk_add_f32 v[54:55], v[10:11], v[46:47]
	s_nop 0
	v_min_f32_e32 v54, v54, v55
	v_min3_f32 v54, v52, v54, v53
	v_lshl_add_u64 v[52:53], v[76:77], 2, v[48:49]
	global_store_dword v[52:53], v54, off
	s_or_b64 exec, exec, s[26:27]
	s_and_b64 s[26:27], s[16:17], s[18:19]
	s_and_saveexec_b64 s[18:19], s[26:27]
	s_cbranch_execz .LBB76_251
.LBB76_247:
	s_and_b64 vcc, exec, s[0:1]
	s_cbranch_vccnz .LBB76_249
; %bb.248:
	v_lshl_add_u64 v[50:51], v[78:79], 2, v[50:51]
	global_load_dword v50, v[50:51], off
	s_waitcnt vmcnt(0)
	v_mul_f32_e32 v50, s33, v50
	s_branch .LBB76_250
.LBB76_249:
	v_mov_b32_e32 v50, 0
.LBB76_250:
	v_pk_add_f32 v[44:45], v[0:1], v[44:45]
	s_nop 0
	v_min3_f32 v51, v44, v45, v108
	v_pk_add_f32 v[44:45], v[2:3], v[46:47]
	s_nop 0
	v_min_f32_e32 v44, v44, v45
	v_min3_f32 v46, v50, v44, v51
	v_lshl_add_u64 v[44:45], v[78:79], 2, v[48:49]
	global_store_dword v[44:45], v46, off
.LBB76_251:
	s_or_b64 exec, exec, s[18:19]
	v_add_u32_e32 v48, 0xa0, v123
	v_mad_i64_i32 v[44:45], s[26:27], v48, s29, 0
	v_cmp_gt_i32_e64 s[18:19], s21, v48
	v_lshl_add_u64 v[46:47], v[44:45], 2, s[24:25]
	v_mad_i64_i32 v[44:45], s[26:27], v48, s28, 0
	v_lshl_add_u64 v[44:45], v[44:45], 2, s[22:23]
	s_and_b64 s[30:31], s[2:3], s[18:19]
	s_and_saveexec_b64 s[26:27], s[30:31]
	s_cbranch_execnz .LBB76_259
; %bb.252:
	s_or_b64 exec, exec, s[26:27]
	s_and_b64 s[30:31], s[4:5], s[18:19]
	s_and_saveexec_b64 s[26:27], s[30:31]
	s_cbranch_execnz .LBB76_263
.LBB76_253:
	s_or_b64 exec, exec, s[26:27]
	s_and_b64 s[30:31], s[6:7], s[18:19]
	s_and_saveexec_b64 s[26:27], s[30:31]
	s_cbranch_execnz .LBB76_267
.LBB76_254:
	s_or_b64 exec, exec, s[26:27]
	s_and_b64 s[30:31], s[8:9], s[18:19]
	s_and_saveexec_b64 s[26:27], s[30:31]
	s_cbranch_execnz .LBB76_271
.LBB76_255:
	s_or_b64 exec, exec, s[26:27]
	s_and_b64 s[30:31], s[10:11], s[18:19]
	s_and_saveexec_b64 s[26:27], s[30:31]
	s_cbranch_execnz .LBB76_275
.LBB76_256:
	s_or_b64 exec, exec, s[26:27]
	s_and_b64 s[30:31], s[12:13], s[18:19]
	s_and_saveexec_b64 s[26:27], s[30:31]
	s_cbranch_execnz .LBB76_279
.LBB76_257:
	s_or_b64 exec, exec, s[26:27]
	s_and_b64 s[30:31], s[14:15], s[18:19]
	s_and_saveexec_b64 s[26:27], s[30:31]
	s_cbranch_execnz .LBB76_283
.LBB76_258:
	s_or_b64 exec, exec, s[26:27]
	s_and_b64 s[26:27], s[16:17], s[18:19]
	s_and_saveexec_b64 s[18:19], s[26:27]
	s_cbranch_execnz .LBB76_287
	s_branch .LBB76_291
.LBB76_259:
	s_and_b64 vcc, exec, s[0:1]
	s_cbranch_vccnz .LBB76_261
; %bb.260:
	v_lshl_add_u64 v[48:49], v[64:65], 2, v[46:47]
	global_load_dword v48, v[48:49], off
	s_waitcnt vmcnt(0)
	v_mul_f32_e32 v48, s33, v48
	s_branch .LBB76_262
.LBB76_261:
	v_mov_b32_e32 v48, 0
.LBB76_262:
	v_pk_add_f32 v[50:51], v[32:33], v[40:41]
	s_nop 0
	v_min3_f32 v49, v50, v51, v107
	v_pk_add_f32 v[50:51], v[34:35], v[42:43]
	s_nop 0
	v_min_f32_e32 v50, v50, v51
	v_min3_f32 v50, v48, v50, v49
	v_lshl_add_u64 v[48:49], v[64:65], 2, v[44:45]
	global_store_dword v[48:49], v50, off
	s_or_b64 exec, exec, s[26:27]
	s_and_b64 s[30:31], s[4:5], s[18:19]
	s_and_saveexec_b64 s[26:27], s[30:31]
	s_cbranch_execz .LBB76_253
.LBB76_263:
	s_and_b64 vcc, exec, s[0:1]
	s_cbranch_vccnz .LBB76_265
; %bb.264:
	v_lshl_add_u64 v[48:49], v[66:67], 2, v[46:47]
	global_load_dword v48, v[48:49], off
	s_waitcnt vmcnt(0)
	v_mul_f32_e32 v48, s33, v48
	s_branch .LBB76_266
.LBB76_265:
	v_mov_b32_e32 v48, 0
.LBB76_266:
	v_pk_add_f32 v[50:51], v[28:29], v[40:41]
	s_nop 0
	v_min3_f32 v49, v50, v51, v106
	v_pk_add_f32 v[50:51], v[30:31], v[42:43]
	s_nop 0
	v_min_f32_e32 v50, v50, v51
	v_min3_f32 v50, v48, v50, v49
	v_lshl_add_u64 v[48:49], v[66:67], 2, v[44:45]
	global_store_dword v[48:49], v50, off
	s_or_b64 exec, exec, s[26:27]
	s_and_b64 s[30:31], s[6:7], s[18:19]
	s_and_saveexec_b64 s[26:27], s[30:31]
	s_cbranch_execz .LBB76_254
.LBB76_267:
	s_and_b64 vcc, exec, s[0:1]
	s_cbranch_vccnz .LBB76_269
; %bb.268:
	v_lshl_add_u64 v[48:49], v[68:69], 2, v[46:47]
	global_load_dword v48, v[48:49], off
	s_waitcnt vmcnt(0)
	v_mul_f32_e32 v48, s33, v48
	s_branch .LBB76_270
.LBB76_269:
	v_mov_b32_e32 v48, 0
.LBB76_270:
	v_pk_add_f32 v[50:51], v[24:25], v[40:41]
	s_nop 0
	v_min3_f32 v49, v50, v51, v105
	v_pk_add_f32 v[50:51], v[26:27], v[42:43]
	s_nop 0
	v_min_f32_e32 v50, v50, v51
	v_min3_f32 v50, v48, v50, v49
	v_lshl_add_u64 v[48:49], v[68:69], 2, v[44:45]
	global_store_dword v[48:49], v50, off
	s_or_b64 exec, exec, s[26:27]
	s_and_b64 s[30:31], s[8:9], s[18:19]
	s_and_saveexec_b64 s[26:27], s[30:31]
	s_cbranch_execz .LBB76_255
.LBB76_271:
	s_and_b64 vcc, exec, s[0:1]
	s_cbranch_vccnz .LBB76_273
; %bb.272:
	v_lshl_add_u64 v[48:49], v[70:71], 2, v[46:47]
	global_load_dword v48, v[48:49], off
	s_waitcnt vmcnt(0)
	v_mul_f32_e32 v48, s33, v48
	s_branch .LBB76_274
.LBB76_273:
	v_mov_b32_e32 v48, 0
.LBB76_274:
	v_pk_add_f32 v[50:51], v[20:21], v[40:41]
	s_nop 0
	v_min3_f32 v49, v50, v51, v104
	v_pk_add_f32 v[50:51], v[22:23], v[42:43]
	s_nop 0
	v_min_f32_e32 v50, v50, v51
	v_min3_f32 v50, v48, v50, v49
	v_lshl_add_u64 v[48:49], v[70:71], 2, v[44:45]
	global_store_dword v[48:49], v50, off
	s_or_b64 exec, exec, s[26:27]
	s_and_b64 s[30:31], s[10:11], s[18:19]
	s_and_saveexec_b64 s[26:27], s[30:31]
	s_cbranch_execz .LBB76_256
.LBB76_275:
	s_and_b64 vcc, exec, s[0:1]
	s_cbranch_vccnz .LBB76_277
; %bb.276:
	v_lshl_add_u64 v[48:49], v[72:73], 2, v[46:47]
	global_load_dword v48, v[48:49], off
	s_waitcnt vmcnt(0)
	v_mul_f32_e32 v48, s33, v48
	s_branch .LBB76_278
.LBB76_277:
	v_mov_b32_e32 v48, 0
.LBB76_278:
	v_pk_add_f32 v[50:51], v[16:17], v[40:41]
	s_nop 0
	v_min3_f32 v49, v50, v51, v103
	v_pk_add_f32 v[50:51], v[18:19], v[42:43]
	s_nop 0
	v_min_f32_e32 v50, v50, v51
	v_min3_f32 v50, v48, v50, v49
	v_lshl_add_u64 v[48:49], v[72:73], 2, v[44:45]
	global_store_dword v[48:49], v50, off
	s_or_b64 exec, exec, s[26:27]
	s_and_b64 s[30:31], s[12:13], s[18:19]
	s_and_saveexec_b64 s[26:27], s[30:31]
	s_cbranch_execz .LBB76_257
.LBB76_279:
	s_and_b64 vcc, exec, s[0:1]
	s_cbranch_vccnz .LBB76_281
; %bb.280:
	v_lshl_add_u64 v[48:49], v[74:75], 2, v[46:47]
	global_load_dword v48, v[48:49], off
	s_waitcnt vmcnt(0)
	v_mul_f32_e32 v48, s33, v48
	s_branch .LBB76_282
.LBB76_281:
	v_mov_b32_e32 v48, 0
.LBB76_282:
	v_pk_add_f32 v[50:51], v[12:13], v[40:41]
	s_nop 0
	v_min3_f32 v49, v50, v51, v102
	v_pk_add_f32 v[50:51], v[14:15], v[42:43]
	s_nop 0
	v_min_f32_e32 v50, v50, v51
	v_min3_f32 v50, v48, v50, v49
	v_lshl_add_u64 v[48:49], v[74:75], 2, v[44:45]
	global_store_dword v[48:49], v50, off
	s_or_b64 exec, exec, s[26:27]
	s_and_b64 s[30:31], s[14:15], s[18:19]
	s_and_saveexec_b64 s[26:27], s[30:31]
	s_cbranch_execz .LBB76_258
.LBB76_283:
	s_and_b64 vcc, exec, s[0:1]
	s_cbranch_vccnz .LBB76_285
; %bb.284:
	v_lshl_add_u64 v[48:49], v[76:77], 2, v[46:47]
	global_load_dword v48, v[48:49], off
	s_waitcnt vmcnt(0)
	v_mul_f32_e32 v48, s33, v48
	s_branch .LBB76_286
.LBB76_285:
	v_mov_b32_e32 v48, 0
.LBB76_286:
	v_pk_add_f32 v[50:51], v[8:9], v[40:41]
	s_nop 0
	v_min3_f32 v49, v50, v51, v101
	v_pk_add_f32 v[50:51], v[10:11], v[42:43]
	s_nop 0
	v_min_f32_e32 v50, v50, v51
	v_min3_f32 v50, v48, v50, v49
	v_lshl_add_u64 v[48:49], v[76:77], 2, v[44:45]
	global_store_dword v[48:49], v50, off
	s_or_b64 exec, exec, s[26:27]
	s_and_b64 s[26:27], s[16:17], s[18:19]
	s_and_saveexec_b64 s[18:19], s[26:27]
	s_cbranch_execz .LBB76_291
.LBB76_287:
	s_and_b64 vcc, exec, s[0:1]
	s_cbranch_vccnz .LBB76_289
; %bb.288:
	v_lshl_add_u64 v[46:47], v[78:79], 2, v[46:47]
	global_load_dword v46, v[46:47], off
	s_waitcnt vmcnt(0)
	v_mul_f32_e32 v46, s33, v46
	s_branch .LBB76_290
.LBB76_289:
	v_mov_b32_e32 v46, 0
.LBB76_290:
	v_pk_add_f32 v[40:41], v[0:1], v[40:41]
	s_nop 0
	v_min3_f32 v47, v40, v41, v100
	v_pk_add_f32 v[40:41], v[2:3], v[42:43]
	s_nop 0
	v_min_f32_e32 v40, v40, v41
	v_min3_f32 v42, v46, v40, v47
	v_lshl_add_u64 v[40:41], v[78:79], 2, v[44:45]
	global_store_dword v[40:41], v42, off
.LBB76_291:
	s_or_b64 exec, exec, s[18:19]
	v_add_u32_e32 v44, 0xc0, v123
	v_mad_i64_i32 v[40:41], s[26:27], v44, s29, 0
	v_cmp_gt_i32_e64 s[18:19], s21, v44
	v_lshl_add_u64 v[42:43], v[40:41], 2, s[24:25]
	v_mad_i64_i32 v[40:41], s[26:27], v44, s28, 0
	v_lshl_add_u64 v[40:41], v[40:41], 2, s[22:23]
	s_and_b64 s[30:31], s[2:3], s[18:19]
	s_and_saveexec_b64 s[26:27], s[30:31]
	s_cbranch_execnz .LBB76_299
; %bb.292:
	s_or_b64 exec, exec, s[26:27]
	s_and_b64 s[30:31], s[4:5], s[18:19]
	s_and_saveexec_b64 s[26:27], s[30:31]
	s_cbranch_execnz .LBB76_303
.LBB76_293:
	s_or_b64 exec, exec, s[26:27]
	s_and_b64 s[30:31], s[6:7], s[18:19]
	s_and_saveexec_b64 s[26:27], s[30:31]
	s_cbranch_execnz .LBB76_307
.LBB76_294:
	s_or_b64 exec, exec, s[26:27]
	s_and_b64 s[30:31], s[8:9], s[18:19]
	s_and_saveexec_b64 s[26:27], s[30:31]
	s_cbranch_execnz .LBB76_311
.LBB76_295:
	s_or_b64 exec, exec, s[26:27]
	s_and_b64 s[30:31], s[10:11], s[18:19]
	s_and_saveexec_b64 s[26:27], s[30:31]
	s_cbranch_execnz .LBB76_315
.LBB76_296:
	s_or_b64 exec, exec, s[26:27]
	s_and_b64 s[30:31], s[12:13], s[18:19]
	s_and_saveexec_b64 s[26:27], s[30:31]
	s_cbranch_execnz .LBB76_319
.LBB76_297:
	s_or_b64 exec, exec, s[26:27]
	s_and_b64 s[30:31], s[14:15], s[18:19]
	s_and_saveexec_b64 s[26:27], s[30:31]
	s_cbranch_execnz .LBB76_323
.LBB76_298:
	s_or_b64 exec, exec, s[26:27]
	s_and_b64 s[26:27], s[16:17], s[18:19]
	s_and_saveexec_b64 s[18:19], s[26:27]
	s_cbranch_execnz .LBB76_327
	s_branch .LBB76_331
.LBB76_299:
	s_and_b64 vcc, exec, s[0:1]
	s_cbranch_vccnz .LBB76_301
; %bb.300:
	v_lshl_add_u64 v[44:45], v[64:65], 2, v[42:43]
	global_load_dword v44, v[44:45], off
	s_waitcnt vmcnt(0)
	v_mul_f32_e32 v44, s33, v44
	s_branch .LBB76_302
.LBB76_301:
	v_mov_b32_e32 v44, 0
.LBB76_302:
	v_pk_add_f32 v[46:47], v[32:33], v[36:37]
	s_nop 0
	v_min3_f32 v45, v46, v47, v99
	v_pk_add_f32 v[46:47], v[34:35], v[38:39]
	s_nop 0
	v_min_f32_e32 v46, v46, v47
	v_min3_f32 v46, v44, v46, v45
	v_lshl_add_u64 v[44:45], v[64:65], 2, v[40:41]
	global_store_dword v[44:45], v46, off
	s_or_b64 exec, exec, s[26:27]
	s_and_b64 s[30:31], s[4:5], s[18:19]
	s_and_saveexec_b64 s[26:27], s[30:31]
	s_cbranch_execz .LBB76_293
.LBB76_303:
	s_and_b64 vcc, exec, s[0:1]
	s_cbranch_vccnz .LBB76_305
; %bb.304:
	v_lshl_add_u64 v[44:45], v[66:67], 2, v[42:43]
	global_load_dword v44, v[44:45], off
	s_waitcnt vmcnt(0)
	v_mul_f32_e32 v44, s33, v44
	s_branch .LBB76_306
.LBB76_305:
	v_mov_b32_e32 v44, 0
.LBB76_306:
	v_pk_add_f32 v[46:47], v[28:29], v[36:37]
	s_nop 0
	v_min3_f32 v45, v46, v47, v98
	v_pk_add_f32 v[46:47], v[30:31], v[38:39]
	s_nop 0
	v_min_f32_e32 v46, v46, v47
	v_min3_f32 v46, v44, v46, v45
	v_lshl_add_u64 v[44:45], v[66:67], 2, v[40:41]
	global_store_dword v[44:45], v46, off
	s_or_b64 exec, exec, s[26:27]
	s_and_b64 s[30:31], s[6:7], s[18:19]
	s_and_saveexec_b64 s[26:27], s[30:31]
	s_cbranch_execz .LBB76_294
.LBB76_307:
	s_and_b64 vcc, exec, s[0:1]
	s_cbranch_vccnz .LBB76_309
; %bb.308:
	v_lshl_add_u64 v[44:45], v[68:69], 2, v[42:43]
	global_load_dword v44, v[44:45], off
	s_waitcnt vmcnt(0)
	v_mul_f32_e32 v44, s33, v44
	s_branch .LBB76_310
.LBB76_309:
	v_mov_b32_e32 v44, 0
.LBB76_310:
	v_pk_add_f32 v[46:47], v[24:25], v[36:37]
	s_nop 0
	v_min3_f32 v45, v46, v47, v97
	v_pk_add_f32 v[46:47], v[26:27], v[38:39]
	s_nop 0
	v_min_f32_e32 v46, v46, v47
	v_min3_f32 v46, v44, v46, v45
	v_lshl_add_u64 v[44:45], v[68:69], 2, v[40:41]
	global_store_dword v[44:45], v46, off
	s_or_b64 exec, exec, s[26:27]
	s_and_b64 s[30:31], s[8:9], s[18:19]
	s_and_saveexec_b64 s[26:27], s[30:31]
	s_cbranch_execz .LBB76_295
.LBB76_311:
	s_and_b64 vcc, exec, s[0:1]
	s_cbranch_vccnz .LBB76_313
; %bb.312:
	v_lshl_add_u64 v[44:45], v[70:71], 2, v[42:43]
	global_load_dword v44, v[44:45], off
	s_waitcnt vmcnt(0)
	v_mul_f32_e32 v44, s33, v44
	s_branch .LBB76_314
.LBB76_313:
	v_mov_b32_e32 v44, 0
.LBB76_314:
	v_pk_add_f32 v[46:47], v[20:21], v[36:37]
	s_nop 0
	v_min3_f32 v45, v46, v47, v96
	v_pk_add_f32 v[46:47], v[22:23], v[38:39]
	s_nop 0
	v_min_f32_e32 v46, v46, v47
	v_min3_f32 v46, v44, v46, v45
	v_lshl_add_u64 v[44:45], v[70:71], 2, v[40:41]
	global_store_dword v[44:45], v46, off
	s_or_b64 exec, exec, s[26:27]
	s_and_b64 s[30:31], s[10:11], s[18:19]
	s_and_saveexec_b64 s[26:27], s[30:31]
	s_cbranch_execz .LBB76_296
.LBB76_315:
	s_and_b64 vcc, exec, s[0:1]
	s_cbranch_vccnz .LBB76_317
; %bb.316:
	v_lshl_add_u64 v[44:45], v[72:73], 2, v[42:43]
	global_load_dword v44, v[44:45], off
	s_waitcnt vmcnt(0)
	v_mul_f32_e32 v44, s33, v44
	s_branch .LBB76_318
.LBB76_317:
	v_mov_b32_e32 v44, 0
.LBB76_318:
	v_pk_add_f32 v[46:47], v[16:17], v[36:37]
	s_nop 0
	v_min3_f32 v45, v46, v47, v95
	v_pk_add_f32 v[46:47], v[18:19], v[38:39]
	s_nop 0
	v_min_f32_e32 v46, v46, v47
	v_min3_f32 v46, v44, v46, v45
	v_lshl_add_u64 v[44:45], v[72:73], 2, v[40:41]
	global_store_dword v[44:45], v46, off
	s_or_b64 exec, exec, s[26:27]
	s_and_b64 s[30:31], s[12:13], s[18:19]
	s_and_saveexec_b64 s[26:27], s[30:31]
	s_cbranch_execz .LBB76_297
.LBB76_319:
	s_and_b64 vcc, exec, s[0:1]
	s_cbranch_vccnz .LBB76_321
; %bb.320:
	v_lshl_add_u64 v[44:45], v[74:75], 2, v[42:43]
	global_load_dword v44, v[44:45], off
	s_waitcnt vmcnt(0)
	v_mul_f32_e32 v44, s33, v44
	s_branch .LBB76_322
.LBB76_321:
	v_mov_b32_e32 v44, 0
.LBB76_322:
	v_pk_add_f32 v[46:47], v[12:13], v[36:37]
	s_nop 0
	v_min3_f32 v45, v46, v47, v94
	v_pk_add_f32 v[46:47], v[14:15], v[38:39]
	s_nop 0
	v_min_f32_e32 v46, v46, v47
	v_min3_f32 v46, v44, v46, v45
	v_lshl_add_u64 v[44:45], v[74:75], 2, v[40:41]
	global_store_dword v[44:45], v46, off
	s_or_b64 exec, exec, s[26:27]
	s_and_b64 s[30:31], s[14:15], s[18:19]
	s_and_saveexec_b64 s[26:27], s[30:31]
	s_cbranch_execz .LBB76_298
.LBB76_323:
	s_and_b64 vcc, exec, s[0:1]
	s_cbranch_vccnz .LBB76_325
; %bb.324:
	v_lshl_add_u64 v[44:45], v[76:77], 2, v[42:43]
	global_load_dword v44, v[44:45], off
	s_waitcnt vmcnt(0)
	v_mul_f32_e32 v44, s33, v44
	s_branch .LBB76_326
.LBB76_325:
	v_mov_b32_e32 v44, 0
.LBB76_326:
	v_pk_add_f32 v[46:47], v[8:9], v[36:37]
	s_nop 0
	v_min3_f32 v45, v46, v47, v93
	v_pk_add_f32 v[46:47], v[10:11], v[38:39]
	s_nop 0
	v_min_f32_e32 v46, v46, v47
	v_min3_f32 v46, v44, v46, v45
	v_lshl_add_u64 v[44:45], v[76:77], 2, v[40:41]
	global_store_dword v[44:45], v46, off
	s_or_b64 exec, exec, s[26:27]
	s_and_b64 s[26:27], s[16:17], s[18:19]
	s_and_saveexec_b64 s[18:19], s[26:27]
	s_cbranch_execz .LBB76_331
.LBB76_327:
	s_and_b64 vcc, exec, s[0:1]
	s_cbranch_vccnz .LBB76_329
; %bb.328:
	v_lshl_add_u64 v[42:43], v[78:79], 2, v[42:43]
	global_load_dword v42, v[42:43], off
	s_waitcnt vmcnt(0)
	v_mul_f32_e32 v42, s33, v42
	s_branch .LBB76_330
.LBB76_329:
	v_mov_b32_e32 v42, 0
.LBB76_330:
	v_pk_add_f32 v[36:37], v[0:1], v[36:37]
	s_nop 0
	v_min3_f32 v43, v36, v37, v92
	v_pk_add_f32 v[36:37], v[2:3], v[38:39]
	s_nop 0
	v_min_f32_e32 v36, v36, v37
	v_min3_f32 v38, v42, v36, v43
	v_lshl_add_u64 v[36:37], v[78:79], 2, v[40:41]
	global_store_dword v[36:37], v38, off
.LBB76_331:
	s_or_b64 exec, exec, s[18:19]
	v_add_u32_e32 v40, 0xe0, v123
	v_cmp_gt_i32_e64 s[18:19], s21, v40
	v_mad_i64_i32 v[36:37], s[20:21], v40, s29, 0
	v_lshl_add_u64 v[38:39], v[36:37], 2, s[24:25]
	v_mad_i64_i32 v[36:37], s[20:21], v40, s28, 0
	v_lshl_add_u64 v[36:37], v[36:37], 2, s[22:23]
	s_and_b64 s[20:21], s[2:3], s[18:19]
	s_and_saveexec_b64 s[2:3], s[20:21]
	s_cbranch_execnz .LBB76_340
; %bb.332:
	s_or_b64 exec, exec, s[2:3]
	s_and_b64 s[4:5], s[4:5], s[18:19]
	s_and_saveexec_b64 s[2:3], s[4:5]
	s_cbranch_execnz .LBB76_344
.LBB76_333:
	s_or_b64 exec, exec, s[2:3]
	s_and_b64 s[4:5], s[6:7], s[18:19]
	s_and_saveexec_b64 s[2:3], s[4:5]
	s_cbranch_execnz .LBB76_348
.LBB76_334:
	s_or_b64 exec, exec, s[2:3]
	s_and_b64 s[4:5], s[8:9], s[18:19]
	s_and_saveexec_b64 s[2:3], s[4:5]
	s_cbranch_execnz .LBB76_352
.LBB76_335:
	s_or_b64 exec, exec, s[2:3]
	s_and_b64 s[4:5], s[10:11], s[18:19]
	s_and_saveexec_b64 s[2:3], s[4:5]
	s_cbranch_execnz .LBB76_356
.LBB76_336:
	s_or_b64 exec, exec, s[2:3]
	s_and_b64 s[4:5], s[12:13], s[18:19]
	s_and_saveexec_b64 s[2:3], s[4:5]
	s_cbranch_execnz .LBB76_360
.LBB76_337:
	s_or_b64 exec, exec, s[2:3]
	s_and_b64 s[4:5], s[14:15], s[18:19]
	s_and_saveexec_b64 s[2:3], s[4:5]
	s_cbranch_execnz .LBB76_364
.LBB76_338:
	s_or_b64 exec, exec, s[2:3]
	s_and_b64 s[2:3], s[16:17], s[18:19]
	s_and_saveexec_b64 s[4:5], s[2:3]
	s_cbranch_execnz .LBB76_368
.LBB76_339:
	s_endpgm
.LBB76_340:
	s_and_b64 vcc, exec, s[0:1]
	s_cbranch_vccnz .LBB76_342
; %bb.341:
	v_lshl_add_u64 v[40:41], v[64:65], 2, v[38:39]
	global_load_dword v40, v[40:41], off
	s_waitcnt vmcnt(0)
	v_mul_f32_e32 v40, s33, v40
	s_branch .LBB76_343
.LBB76_342:
	v_mov_b32_e32 v40, 0
.LBB76_343:
	v_pk_add_f32 v[32:33], v[32:33], v[4:5]
	s_nop 0
	v_min3_f32 v41, v32, v33, v91
	v_pk_add_f32 v[32:33], v[34:35], v[6:7]
	s_nop 0
	v_min_f32_e32 v32, v32, v33
	v_min3_f32 v34, v40, v32, v41
	v_lshl_add_u64 v[32:33], v[64:65], 2, v[36:37]
	global_store_dword v[32:33], v34, off
	s_or_b64 exec, exec, s[2:3]
	s_and_b64 s[4:5], s[4:5], s[18:19]
	s_and_saveexec_b64 s[2:3], s[4:5]
	s_cbranch_execz .LBB76_333
.LBB76_344:
	s_and_b64 vcc, exec, s[0:1]
	s_cbranch_vccnz .LBB76_346
; %bb.345:
	v_lshl_add_u64 v[32:33], v[66:67], 2, v[38:39]
	global_load_dword v32, v[32:33], off
	s_waitcnt vmcnt(0)
	v_mul_f32_e32 v32, s33, v32
	s_branch .LBB76_347
.LBB76_346:
	v_mov_b32_e32 v32, 0
.LBB76_347:
	v_pk_add_f32 v[28:29], v[28:29], v[4:5]
	s_nop 0
	v_min3_f32 v33, v28, v29, v90
	v_pk_add_f32 v[28:29], v[30:31], v[6:7]
	s_nop 0
	v_min_f32_e32 v28, v28, v29
	v_min3_f32 v30, v32, v28, v33
	v_lshl_add_u64 v[28:29], v[66:67], 2, v[36:37]
	global_store_dword v[28:29], v30, off
	s_or_b64 exec, exec, s[2:3]
	s_and_b64 s[4:5], s[6:7], s[18:19]
	s_and_saveexec_b64 s[2:3], s[4:5]
	s_cbranch_execz .LBB76_334
.LBB76_348:
	s_and_b64 vcc, exec, s[0:1]
	s_cbranch_vccnz .LBB76_350
; %bb.349:
	v_lshl_add_u64 v[28:29], v[68:69], 2, v[38:39]
	global_load_dword v28, v[28:29], off
	s_waitcnt vmcnt(0)
	v_mul_f32_e32 v28, s33, v28
	s_branch .LBB76_351
.LBB76_350:
	v_mov_b32_e32 v28, 0
.LBB76_351:
	v_pk_add_f32 v[24:25], v[24:25], v[4:5]
	s_nop 0
	v_min3_f32 v29, v24, v25, v89
	v_pk_add_f32 v[24:25], v[26:27], v[6:7]
	s_nop 0
	v_min_f32_e32 v24, v24, v25
	v_min3_f32 v26, v28, v24, v29
	v_lshl_add_u64 v[24:25], v[68:69], 2, v[36:37]
	global_store_dword v[24:25], v26, off
	s_or_b64 exec, exec, s[2:3]
	s_and_b64 s[4:5], s[8:9], s[18:19]
	s_and_saveexec_b64 s[2:3], s[4:5]
	s_cbranch_execz .LBB76_335
.LBB76_352:
	s_and_b64 vcc, exec, s[0:1]
	s_cbranch_vccnz .LBB76_354
; %bb.353:
	v_lshl_add_u64 v[24:25], v[70:71], 2, v[38:39]
	global_load_dword v24, v[24:25], off
	s_waitcnt vmcnt(0)
	v_mul_f32_e32 v24, s33, v24
	s_branch .LBB76_355
.LBB76_354:
	v_mov_b32_e32 v24, 0
.LBB76_355:
	v_pk_add_f32 v[20:21], v[20:21], v[4:5]
	s_nop 0
	v_min3_f32 v25, v20, v21, v87
	v_pk_add_f32 v[20:21], v[22:23], v[6:7]
	s_nop 0
	v_min_f32_e32 v20, v20, v21
	v_min3_f32 v22, v24, v20, v25
	v_lshl_add_u64 v[20:21], v[70:71], 2, v[36:37]
	global_store_dword v[20:21], v22, off
	s_or_b64 exec, exec, s[2:3]
	s_and_b64 s[4:5], s[10:11], s[18:19]
	s_and_saveexec_b64 s[2:3], s[4:5]
	s_cbranch_execz .LBB76_336
.LBB76_356:
	s_and_b64 vcc, exec, s[0:1]
	s_cbranch_vccnz .LBB76_358
; %bb.357:
	v_lshl_add_u64 v[20:21], v[72:73], 2, v[38:39]
	global_load_dword v20, v[20:21], off
	s_waitcnt vmcnt(0)
	v_mul_f32_e32 v20, s33, v20
	s_branch .LBB76_359
.LBB76_358:
	v_mov_b32_e32 v20, 0
.LBB76_359:
	v_pk_add_f32 v[16:17], v[16:17], v[4:5]
	s_nop 0
	v_min3_f32 v21, v16, v17, v86
	v_pk_add_f32 v[16:17], v[18:19], v[6:7]
	s_nop 0
	v_min_f32_e32 v16, v16, v17
	v_min3_f32 v18, v20, v16, v21
	v_lshl_add_u64 v[16:17], v[72:73], 2, v[36:37]
	global_store_dword v[16:17], v18, off
	s_or_b64 exec, exec, s[2:3]
	s_and_b64 s[4:5], s[12:13], s[18:19]
	s_and_saveexec_b64 s[2:3], s[4:5]
	s_cbranch_execz .LBB76_337
.LBB76_360:
	s_and_b64 vcc, exec, s[0:1]
	s_cbranch_vccnz .LBB76_362
; %bb.361:
	v_lshl_add_u64 v[16:17], v[74:75], 2, v[38:39]
	global_load_dword v16, v[16:17], off
	s_waitcnt vmcnt(0)
	v_mul_f32_e32 v16, s33, v16
	s_branch .LBB76_363
.LBB76_362:
	v_mov_b32_e32 v16, 0
.LBB76_363:
	v_pk_add_f32 v[12:13], v[12:13], v[4:5]
	s_nop 0
	v_min3_f32 v17, v12, v13, v85
	v_pk_add_f32 v[12:13], v[14:15], v[6:7]
	s_nop 0
	v_min_f32_e32 v12, v12, v13
	v_min3_f32 v14, v16, v12, v17
	v_lshl_add_u64 v[12:13], v[74:75], 2, v[36:37]
	global_store_dword v[12:13], v14, off
	s_or_b64 exec, exec, s[2:3]
	s_and_b64 s[4:5], s[14:15], s[18:19]
	s_and_saveexec_b64 s[2:3], s[4:5]
	s_cbranch_execz .LBB76_338
.LBB76_364:
	s_and_b64 vcc, exec, s[0:1]
	s_cbranch_vccnz .LBB76_366
; %bb.365:
	v_lshl_add_u64 v[12:13], v[76:77], 2, v[38:39]
	global_load_dword v12, v[12:13], off
	s_waitcnt vmcnt(0)
	v_mul_f32_e32 v12, s33, v12
	s_branch .LBB76_367
.LBB76_366:
	v_mov_b32_e32 v12, 0
.LBB76_367:
	v_pk_add_f32 v[8:9], v[8:9], v[4:5]
	s_nop 0
	v_min3_f32 v13, v8, v9, v84
	v_pk_add_f32 v[8:9], v[10:11], v[6:7]
	s_nop 0
	v_min_f32_e32 v8, v8, v9
	v_min3_f32 v10, v12, v8, v13
	v_lshl_add_u64 v[8:9], v[76:77], 2, v[36:37]
	global_store_dword v[8:9], v10, off
	s_or_b64 exec, exec, s[2:3]
	s_and_b64 s[2:3], s[16:17], s[18:19]
	s_and_saveexec_b64 s[4:5], s[2:3]
	s_cbranch_execz .LBB76_339
.LBB76_368:
	s_and_b64 vcc, exec, s[0:1]
	s_cbranch_vccnz .LBB76_370
; %bb.369:
	v_lshl_add_u64 v[8:9], v[78:79], 2, v[38:39]
	global_load_dword v8, v[8:9], off
	s_waitcnt vmcnt(0)
	v_mul_f32_e32 v8, s33, v8
	s_branch .LBB76_371
.LBB76_370:
	v_mov_b32_e32 v8, 0
.LBB76_371:
	v_pk_add_f32 v[0:1], v[0:1], v[4:5]
	s_nop 0
	v_min3_f32 v4, v0, v1, v88
	v_pk_add_f32 v[0:1], v[2:3], v[6:7]
	s_nop 0
	v_min_f32_e32 v0, v0, v1
	v_min3_f32 v2, v8, v0, v4
	v_lshl_add_u64 v[0:1], v[78:79], 2, v[36:37]
	global_store_dword v[0:1], v2, off
	s_endpgm
	.section	.rodata,"a",@progbits
	.p2align	6, 0x0
	.amdhsa_kernel _ZN12_GLOBAL__N_120geam_min_plus_kernelIf15HIP_vector_typeIfLj2EEfLi8ELi32ELi64ELi256ELi4ELi4ELi64ELi64ELi4ELc84ELc84ELb1ELb1ELb1EfKffEEviiiT16_PT17_ilS6_ilS4_S6_ilPT18_ili26rocblas_geam_ex_operation_
		.amdhsa_group_segment_fixed_size 10240
		.amdhsa_private_segment_fixed_size 0
		.amdhsa_kernarg_size 128
		.amdhsa_user_sgpr_count 2
		.amdhsa_user_sgpr_dispatch_ptr 0
		.amdhsa_user_sgpr_queue_ptr 0
		.amdhsa_user_sgpr_kernarg_segment_ptr 1
		.amdhsa_user_sgpr_dispatch_id 0
		.amdhsa_user_sgpr_kernarg_preload_length 0
		.amdhsa_user_sgpr_kernarg_preload_offset 0
		.amdhsa_user_sgpr_private_segment_size 0
		.amdhsa_uses_dynamic_stack 0
		.amdhsa_enable_private_segment 0
		.amdhsa_system_sgpr_workgroup_id_x 1
		.amdhsa_system_sgpr_workgroup_id_y 0
		.amdhsa_system_sgpr_workgroup_id_z 1
		.amdhsa_system_sgpr_workgroup_info 0
		.amdhsa_system_vgpr_workitem_id 1
		.amdhsa_next_free_vgpr 161
		.amdhsa_next_free_sgpr 40
		.amdhsa_accum_offset 164
		.amdhsa_reserve_vcc 1
		.amdhsa_float_round_mode_32 0
		.amdhsa_float_round_mode_16_64 0
		.amdhsa_float_denorm_mode_32 3
		.amdhsa_float_denorm_mode_16_64 3
		.amdhsa_dx10_clamp 1
		.amdhsa_ieee_mode 1
		.amdhsa_fp16_overflow 0
		.amdhsa_tg_split 0
		.amdhsa_exception_fp_ieee_invalid_op 0
		.amdhsa_exception_fp_denorm_src 0
		.amdhsa_exception_fp_ieee_div_zero 0
		.amdhsa_exception_fp_ieee_overflow 0
		.amdhsa_exception_fp_ieee_underflow 0
		.amdhsa_exception_fp_ieee_inexact 0
		.amdhsa_exception_int_div_zero 0
	.end_amdhsa_kernel
	.section	.text._ZN12_GLOBAL__N_120geam_min_plus_kernelIf15HIP_vector_typeIfLj2EEfLi8ELi32ELi64ELi256ELi4ELi4ELi64ELi64ELi4ELc84ELc84ELb1ELb1ELb1EfKffEEviiiT16_PT17_ilS6_ilS4_S6_ilPT18_ili26rocblas_geam_ex_operation_,"axG",@progbits,_ZN12_GLOBAL__N_120geam_min_plus_kernelIf15HIP_vector_typeIfLj2EEfLi8ELi32ELi64ELi256ELi4ELi4ELi64ELi64ELi4ELc84ELc84ELb1ELb1ELb1EfKffEEviiiT16_PT17_ilS6_ilS4_S6_ilPT18_ili26rocblas_geam_ex_operation_,comdat
.Lfunc_end76:
	.size	_ZN12_GLOBAL__N_120geam_min_plus_kernelIf15HIP_vector_typeIfLj2EEfLi8ELi32ELi64ELi256ELi4ELi4ELi64ELi64ELi4ELc84ELc84ELb1ELb1ELb1EfKffEEviiiT16_PT17_ilS6_ilS4_S6_ilPT18_ili26rocblas_geam_ex_operation_, .Lfunc_end76-_ZN12_GLOBAL__N_120geam_min_plus_kernelIf15HIP_vector_typeIfLj2EEfLi8ELi32ELi64ELi256ELi4ELi4ELi64ELi64ELi4ELc84ELc84ELb1ELb1ELb1EfKffEEviiiT16_PT17_ilS6_ilS4_S6_ilPT18_ili26rocblas_geam_ex_operation_
                                        ; -- End function
	.set _ZN12_GLOBAL__N_120geam_min_plus_kernelIf15HIP_vector_typeIfLj2EEfLi8ELi32ELi64ELi256ELi4ELi4ELi64ELi64ELi4ELc84ELc84ELb1ELb1ELb1EfKffEEviiiT16_PT17_ilS6_ilS4_S6_ilPT18_ili26rocblas_geam_ex_operation_.num_vgpr, 161
	.set _ZN12_GLOBAL__N_120geam_min_plus_kernelIf15HIP_vector_typeIfLj2EEfLi8ELi32ELi64ELi256ELi4ELi4ELi64ELi64ELi4ELc84ELc84ELb1ELb1ELb1EfKffEEviiiT16_PT17_ilS6_ilS4_S6_ilPT18_ili26rocblas_geam_ex_operation_.num_agpr, 0
	.set _ZN12_GLOBAL__N_120geam_min_plus_kernelIf15HIP_vector_typeIfLj2EEfLi8ELi32ELi64ELi256ELi4ELi4ELi64ELi64ELi4ELc84ELc84ELb1ELb1ELb1EfKffEEviiiT16_PT17_ilS6_ilS4_S6_ilPT18_ili26rocblas_geam_ex_operation_.numbered_sgpr, 40
	.set _ZN12_GLOBAL__N_120geam_min_plus_kernelIf15HIP_vector_typeIfLj2EEfLi8ELi32ELi64ELi256ELi4ELi4ELi64ELi64ELi4ELc84ELc84ELb1ELb1ELb1EfKffEEviiiT16_PT17_ilS6_ilS4_S6_ilPT18_ili26rocblas_geam_ex_operation_.num_named_barrier, 0
	.set _ZN12_GLOBAL__N_120geam_min_plus_kernelIf15HIP_vector_typeIfLj2EEfLi8ELi32ELi64ELi256ELi4ELi4ELi64ELi64ELi4ELc84ELc84ELb1ELb1ELb1EfKffEEviiiT16_PT17_ilS6_ilS4_S6_ilPT18_ili26rocblas_geam_ex_operation_.private_seg_size, 0
	.set _ZN12_GLOBAL__N_120geam_min_plus_kernelIf15HIP_vector_typeIfLj2EEfLi8ELi32ELi64ELi256ELi4ELi4ELi64ELi64ELi4ELc84ELc84ELb1ELb1ELb1EfKffEEviiiT16_PT17_ilS6_ilS4_S6_ilPT18_ili26rocblas_geam_ex_operation_.uses_vcc, 1
	.set _ZN12_GLOBAL__N_120geam_min_plus_kernelIf15HIP_vector_typeIfLj2EEfLi8ELi32ELi64ELi256ELi4ELi4ELi64ELi64ELi4ELc84ELc84ELb1ELb1ELb1EfKffEEviiiT16_PT17_ilS6_ilS4_S6_ilPT18_ili26rocblas_geam_ex_operation_.uses_flat_scratch, 0
	.set _ZN12_GLOBAL__N_120geam_min_plus_kernelIf15HIP_vector_typeIfLj2EEfLi8ELi32ELi64ELi256ELi4ELi4ELi64ELi64ELi4ELc84ELc84ELb1ELb1ELb1EfKffEEviiiT16_PT17_ilS6_ilS4_S6_ilPT18_ili26rocblas_geam_ex_operation_.has_dyn_sized_stack, 0
	.set _ZN12_GLOBAL__N_120geam_min_plus_kernelIf15HIP_vector_typeIfLj2EEfLi8ELi32ELi64ELi256ELi4ELi4ELi64ELi64ELi4ELc84ELc84ELb1ELb1ELb1EfKffEEviiiT16_PT17_ilS6_ilS4_S6_ilPT18_ili26rocblas_geam_ex_operation_.has_recursion, 0
	.set _ZN12_GLOBAL__N_120geam_min_plus_kernelIf15HIP_vector_typeIfLj2EEfLi8ELi32ELi64ELi256ELi4ELi4ELi64ELi64ELi4ELc84ELc84ELb1ELb1ELb1EfKffEEviiiT16_PT17_ilS6_ilS4_S6_ilPT18_ili26rocblas_geam_ex_operation_.has_indirect_call, 0
	.section	.AMDGPU.csdata,"",@progbits
; Kernel info:
; codeLenInByte = 18376
; TotalNumSgprs: 46
; NumVgprs: 161
; NumAgprs: 0
; TotalNumVgprs: 161
; ScratchSize: 0
; MemoryBound: 0
; FloatMode: 240
; IeeeMode: 1
; LDSByteSize: 10240 bytes/workgroup (compile time only)
; SGPRBlocks: 5
; VGPRBlocks: 20
; NumSGPRsForWavesPerEU: 46
; NumVGPRsForWavesPerEU: 161
; AccumOffset: 164
; Occupancy: 3
; WaveLimiterHint : 0
; COMPUTE_PGM_RSRC2:SCRATCH_EN: 0
; COMPUTE_PGM_RSRC2:USER_SGPR: 2
; COMPUTE_PGM_RSRC2:TRAP_HANDLER: 0
; COMPUTE_PGM_RSRC2:TGID_X_EN: 1
; COMPUTE_PGM_RSRC2:TGID_Y_EN: 0
; COMPUTE_PGM_RSRC2:TGID_Z_EN: 1
; COMPUTE_PGM_RSRC2:TIDIG_COMP_CNT: 1
; COMPUTE_PGM_RSRC3_GFX90A:ACCUM_OFFSET: 40
; COMPUTE_PGM_RSRC3_GFX90A:TG_SPLIT: 0
	.section	.text._ZN12_GLOBAL__N_120geam_min_plus_kernelIf15HIP_vector_typeIfLj2EEfLi8ELi32ELi64ELi256ELi4ELi4ELi64ELi64ELi4ELc84ELc84ELb0ELb1ELb1EfKffEEviiiT16_PT17_ilS6_ilS4_S6_ilPT18_ili26rocblas_geam_ex_operation_,"axG",@progbits,_ZN12_GLOBAL__N_120geam_min_plus_kernelIf15HIP_vector_typeIfLj2EEfLi8ELi32ELi64ELi256ELi4ELi4ELi64ELi64ELi4ELc84ELc84ELb0ELb1ELb1EfKffEEviiiT16_PT17_ilS6_ilS4_S6_ilPT18_ili26rocblas_geam_ex_operation_,comdat
	.globl	_ZN12_GLOBAL__N_120geam_min_plus_kernelIf15HIP_vector_typeIfLj2EEfLi8ELi32ELi64ELi256ELi4ELi4ELi64ELi64ELi4ELc84ELc84ELb0ELb1ELb1EfKffEEviiiT16_PT17_ilS6_ilS4_S6_ilPT18_ili26rocblas_geam_ex_operation_ ; -- Begin function _ZN12_GLOBAL__N_120geam_min_plus_kernelIf15HIP_vector_typeIfLj2EEfLi8ELi32ELi64ELi256ELi4ELi4ELi64ELi64ELi4ELc84ELc84ELb0ELb1ELb1EfKffEEviiiT16_PT17_ilS6_ilS4_S6_ilPT18_ili26rocblas_geam_ex_operation_
	.p2align	8
	.type	_ZN12_GLOBAL__N_120geam_min_plus_kernelIf15HIP_vector_typeIfLj2EEfLi8ELi32ELi64ELi256ELi4ELi4ELi64ELi64ELi4ELc84ELc84ELb0ELb1ELb1EfKffEEviiiT16_PT17_ilS6_ilS4_S6_ilPT18_ili26rocblas_geam_ex_operation_,@function
_ZN12_GLOBAL__N_120geam_min_plus_kernelIf15HIP_vector_typeIfLj2EEfLi8ELi32ELi64ELi256ELi4ELi4ELi64ELi64ELi4ELc84ELc84ELb0ELb1ELb1EfKffEEviiiT16_PT17_ilS6_ilS4_S6_ilPT18_ili26rocblas_geam_ex_operation_: ; @_ZN12_GLOBAL__N_120geam_min_plus_kernelIf15HIP_vector_typeIfLj2EEfLi8ELi32ELi64ELi256ELi4ELi4ELi64ELi64ELi4ELc84ELc84ELb0ELb1ELb1EfKffEEviiiT16_PT17_ilS6_ilS4_S6_ilPT18_ili26rocblas_geam_ex_operation_
; %bb.0:
	s_load_dwordx4 s[20:23], s[0:1], 0x0
	s_load_dwordx4 s[4:7], s[0:1], 0x20
	s_waitcnt lgkmcnt(0)
	v_cmp_eq_f32_e64 s[8:9], s23, 0
	s_and_b64 vcc, exec, s[8:9]
	s_cbranch_vccnz .LBB77_61
; %bb.1:
	s_load_dwordx2 s[10:11], s[0:1], 0x10
	s_mul_i32 s5, s5, s3
	s_mul_hi_u32 s12, s4, s3
	s_add_i32 s5, s12, s5
	s_mul_i32 s4, s4, s3
	s_lshl_b64 s[4:5], s[4:5], 2
	s_waitcnt lgkmcnt(0)
	s_add_u32 s30, s10, s4
	s_addc_u32 s31, s11, s5
	s_andn2_b64 vcc, exec, s[8:9]
	s_mov_b64 s[4:5], -1
	s_cbranch_vccnz .LBB77_3
.LBB77_2:
	s_mov_b64 s[4:5], 0
.LBB77_3:
	s_mov_b64 s[24:25], 0
	s_andn2_b64 vcc, exec, s[4:5]
	s_mov_b64 s[28:29], 0
	s_cbranch_vccnz .LBB77_5
; %bb.4:
	s_load_dwordx2 s[4:5], s[0:1], 0x38
	s_waitcnt lgkmcnt(0)
	s_mul_i32 s5, s5, s3
	s_mul_hi_u32 s8, s4, s3
	s_add_i32 s5, s8, s5
	s_mul_i32 s4, s4, s3
	s_lshl_b64 s[4:5], s[4:5], 2
	s_add_u32 s28, s6, s4
	s_addc_u32 s29, s7, s5
.LBB77_5:
	s_load_dword s33, s[0:1], 0x40
	s_load_dwordx4 s[16:19], s[0:1], 0x58
	s_waitcnt lgkmcnt(0)
	v_cmp_eq_f32_e64 s[4:5], s33, 0
	v_cmp_neq_f32_e64 s[26:27], s33, 0
	s_and_b64 vcc, exec, s[4:5]
	s_cbranch_vccnz .LBB77_7
; %bb.6:
	s_load_dwordx2 s[4:5], s[0:1], 0x48
	s_mul_i32 s6, s17, s3
	s_mul_hi_u32 s7, s16, s3
	s_add_i32 s7, s7, s6
	s_mul_i32 s6, s16, s3
	s_lshl_b64 s[6:7], s[6:7], 2
	s_waitcnt lgkmcnt(0)
	s_add_u32 s24, s4, s6
	s_addc_u32 s25, s5, s7
.LBB77_7:
	s_add_i32 s4, s20, -1
	s_ashr_i32 s5, s4, 31
	s_lshr_b32 s5, s5, 26
	s_add_i32 s4, s4, s5
	s_ashr_i32 s4, s4, 6
	s_add_i32 s5, s4, 1
	v_cvt_f32_u32_e32 v1, s5
	v_and_b32_e32 v70, 0x3ff, v0
	v_bfe_u32 v71, v0, 10, 10
	v_and_b32_e32 v72, 3, v0
	v_rcp_iflag_f32_e32 v1, v1
	s_not_b32 s4, s4
	s_load_dword s36, s[0:1], 0x18
	v_cmp_eq_f32_e64 s[16:17], s23, 0
	v_mul_f32_e32 v0, 0x4f7ffffe, v1
	v_cvt_u32_f32_e32 v1, v0
	v_lshl_add_u32 v0, v71, 3, v70
	v_lshrrev_b32_e32 v2, 2, v0
                                        ; implicit-def: $vgpr3
                                        ; implicit-def: $sgpr9
	v_readfirstlane_b32 s6, v1
	s_mul_i32 s4, s4, s6
	s_mul_hi_u32 s4, s6, s4
	s_add_i32 s6, s6, s4
	s_mul_hi_u32 s4, s2, s6
	s_mul_i32 s6, s4, s5
	s_sub_i32 s6, s2, s6
	s_add_i32 s7, s4, 1
	s_sub_i32 s8, s6, s5
	s_cmp_ge_u32 s6, s5
	s_cselect_b32 s4, s7, s4
	s_cselect_b32 s6, s8, s6
	s_add_i32 s7, s4, 1
	s_cmp_ge_u32 s6, s5
	s_cselect_b32 s8, s7, s4
	s_mul_i32 s4, s8, s5
	s_sub_i32 s2, s2, s4
	s_lshl_b32 s2, s2, 6
	v_add_u32_e32 v56, s2, v2
	v_cmp_le_i32_e64 s[4:5], s22, v72
	v_cmp_le_i32_e32 vcc, s20, v56
	s_or_b64 s[4:5], s[4:5], vcc
	s_nor_b64 s[6:7], s[16:17], s[4:5]
	s_and_saveexec_b64 s[10:11], s[6:7]
	s_xor_b64 s[6:7], exec, s[10:11]
	s_cbranch_execz .LBB77_9
; %bb.8:
	s_add_i32 s9, s22, -1
	s_waitcnt lgkmcnt(0)
	v_mad_i64_i32 v[4:5], s[10:11], v56, s36, 0
	v_min_u32_e32 v1, s9, v72
	v_lshl_add_u64 v[4:5], v[4:5], 2, s[30:31]
	v_lshlrev_b32_e32 v6, 2, v1
	v_mov_b32_e32 v7, 0
	v_lshl_add_u64 v[4:5], v[4:5], 0, v[6:7]
	global_load_dword v1, v[4:5], off
	s_waitcnt vmcnt(0)
	v_mul_f32_e32 v3, s23, v1
.LBB77_9:
	s_or_saveexec_b64 s[6:7], s[6:7]
	v_mov_b32_e32 v1, s9
	s_xor_b64 exec, exec, s[6:7]
; %bb.10:
	v_mov_b32_e32 v1, 0x7f7fffff
	v_cndmask_b32_e64 v3, 0, v1, s[4:5]
	s_add_i32 s4, s22, -1
	v_mov_b32_e32 v1, s4
; %bb.11:
	s_or_b64 exec, exec, s[6:7]
	s_load_dword s35, s[0:1], 0x30
	v_and_b32_e32 v4, 63, v0
	v_lshrrev_b32_e32 v73, 6, v0
	s_lshl_b32 s34, s8, 8
	v_or_b32_e32 v64, s34, v4
	v_min_i32_e32 v0, v73, v1
	v_cmp_le_i32_e64 s[10:11], s22, v73
	s_waitcnt lgkmcnt(0)
	v_mad_i64_i32 v[0:1], s[4:5], v0, s35, 0
	v_cmp_le_i32_e64 s[12:13], s21, v64
	v_mov_b32_e32 v6, 0x7f7fffff
	s_or_b64 s[4:5], s[12:13], s[10:11]
	v_lshl_add_u64 v[0:1], v[0:1], 2, s[28:29]
	v_cndmask_b32_e64 v5, 0, v6, s[4:5]
	s_nor_b64 s[6:7], s[16:17], s[4:5]
	v_ashrrev_i32_e32 v65, 31, v64
	s_and_saveexec_b64 s[4:5], s[6:7]
	s_cbranch_execz .LBB77_13
; %bb.12:
	v_lshl_add_u64 v[8:9], v[64:65], 2, v[0:1]
	global_load_dword v5, v[8:9], off
	s_waitcnt vmcnt(0)
	v_mul_f32_e32 v5, s23, v5
.LBB77_13:
	s_or_b64 exec, exec, s[4:5]
	v_or_b32_e32 v7, 64, v64
	v_cmp_le_i32_e64 s[4:5], s21, v7
	s_or_b64 s[6:7], s[4:5], s[10:11]
	v_cndmask_b32_e64 v6, 0, v6, s[6:7]
	s_nor_b64 s[8:9], s[16:17], s[6:7]
	s_and_saveexec_b64 s[6:7], s[8:9]
	s_cbranch_execz .LBB77_15
; %bb.14:
	v_lshl_add_u64 v[6:7], v[64:65], 2, v[0:1]
	global_load_dword v6, v[6:7], off offset:256
	s_waitcnt vmcnt(0)
	v_mul_f32_e32 v6, s23, v6
.LBB77_15:
	s_or_b64 exec, exec, s[6:7]
	v_or_b32_e32 v7, 0x80, v64
	v_cmp_le_i32_e64 s[6:7], s21, v7
	v_mov_b32_e32 v8, 0x7f7fffff
	s_or_b64 s[8:9], s[6:7], s[10:11]
	v_cndmask_b32_e64 v7, 0, v8, s[8:9]
	s_nor_b64 s[14:15], s[16:17], s[8:9]
	s_and_saveexec_b64 s[8:9], s[14:15]
	s_cbranch_execz .LBB77_17
; %bb.16:
	v_lshl_add_u64 v[10:11], v[64:65], 2, v[0:1]
	global_load_dword v7, v[10:11], off offset:512
	s_waitcnt vmcnt(0)
	v_mul_f32_e32 v7, s23, v7
.LBB77_17:
	s_or_b64 exec, exec, s[8:9]
	v_or_b32_e32 v9, 0xc0, v64
	v_cmp_le_i32_e64 s[8:9], s21, v9
	s_or_b64 s[10:11], s[8:9], s[10:11]
	v_cndmask_b32_e64 v8, 0, v8, s[10:11]
	s_nor_b64 s[14:15], s[16:17], s[10:11]
	s_and_saveexec_b64 s[10:11], s[14:15]
	s_cbranch_execz .LBB77_19
; %bb.18:
	v_lshl_add_u64 v[0:1], v[64:65], 2, v[0:1]
	global_load_dword v0, v[0:1], off offset:768
	s_waitcnt vmcnt(0)
	v_mul_f32_e32 v8, s23, v0
.LBB77_19:
	s_or_b64 exec, exec, s[10:11]
	v_or_b32_e32 v0, 4, v72
	v_cmp_le_i32_e64 s[10:11], s22, v0
	s_or_b64 s[10:11], s[10:11], vcc
	s_nor_b64 s[14:15], s[16:17], s[10:11]
                                        ; implicit-def: $vgpr57
                                        ; implicit-def: $sgpr37
	s_and_saveexec_b64 s[38:39], s[14:15]
	s_xor_b64 s[14:15], exec, s[38:39]
	s_cbranch_execz .LBB77_21
; %bb.20:
	s_add_i32 s37, s22, -1
	v_mad_i64_i32 v[10:11], s[38:39], v56, s36, 0
	v_min_u32_e32 v0, s37, v0
	v_lshl_add_u64 v[10:11], v[10:11], 2, s[30:31]
	v_lshlrev_b32_e32 v0, 2, v0
	v_mov_b32_e32 v1, 0
	v_lshl_add_u64 v[0:1], v[10:11], 0, v[0:1]
	global_load_dword v0, v[0:1], off
	s_waitcnt vmcnt(0)
	v_mul_f32_e32 v57, s23, v0
.LBB77_21:
	s_or_saveexec_b64 s[14:15], s[14:15]
	v_mov_b32_e32 v0, s37
	s_xor_b64 exec, exec, s[14:15]
; %bb.22:
	v_mov_b32_e32 v0, 0x7f7fffff
	v_cndmask_b32_e64 v57, 0, v0, s[10:11]
	s_add_i32 s10, s22, -1
	v_mov_b32_e32 v0, s10
; %bb.23:
	s_or_b64 exec, exec, s[14:15]
	v_add_u32_e32 v1, 4, v73
	v_min_i32_e32 v0, v1, v0
	v_cmp_le_i32_e64 s[10:11], s22, v1
	v_mad_i64_i32 v[0:1], s[14:15], v0, s35, 0
	v_mov_b32_e32 v9, 0x7f7fffff
	s_or_b64 s[14:15], s[12:13], s[10:11]
	v_lshl_add_u64 v[0:1], v[0:1], 2, s[28:29]
	v_cndmask_b32_e64 v58, 0, v9, s[14:15]
	s_nor_b64 s[38:39], s[16:17], s[14:15]
	s_and_saveexec_b64 s[14:15], s[38:39]
	s_cbranch_execz .LBB77_25
; %bb.24:
	v_lshl_add_u64 v[10:11], v[64:65], 2, v[0:1]
	global_load_dword v10, v[10:11], off
	s_waitcnt vmcnt(0)
	v_mul_f32_e32 v58, s23, v10
.LBB77_25:
	s_or_b64 exec, exec, s[14:15]
	s_or_b64 s[14:15], s[4:5], s[10:11]
	v_cndmask_b32_e64 v59, 0, v9, s[14:15]
	s_nor_b64 s[38:39], s[16:17], s[14:15]
	s_and_saveexec_b64 s[14:15], s[38:39]
	s_cbranch_execz .LBB77_27
; %bb.26:
	v_lshl_add_u64 v[10:11], v[64:65], 2, v[0:1]
	global_load_dword v9, v[10:11], off offset:256
	s_waitcnt vmcnt(0)
	v_mul_f32_e32 v59, s23, v9
.LBB77_27:
	s_or_b64 exec, exec, s[14:15]
	v_mov_b32_e32 v9, 0x7f7fffff
	s_or_b64 s[14:15], s[6:7], s[10:11]
	v_cndmask_b32_e64 v60, 0, v9, s[14:15]
	s_nor_b64 s[38:39], s[16:17], s[14:15]
	s_and_saveexec_b64 s[14:15], s[38:39]
	s_cbranch_execz .LBB77_29
; %bb.28:
	v_lshl_add_u64 v[10:11], v[64:65], 2, v[0:1]
	global_load_dword v10, v[10:11], off offset:512
	s_waitcnt vmcnt(0)
	v_mul_f32_e32 v60, s23, v10
.LBB77_29:
	s_or_b64 exec, exec, s[14:15]
	s_or_b64 s[10:11], s[8:9], s[10:11]
	v_cndmask_b32_e64 v61, 0, v9, s[10:11]
	s_nor_b64 s[38:39], s[16:17], s[10:11]
	s_mov_b32 s14, 0x7f7fffff
	s_and_saveexec_b64 s[10:11], s[38:39]
	s_cbranch_execz .LBB77_31
; %bb.30:
	v_lshl_add_u64 v[0:1], v[64:65], 2, v[0:1]
	global_load_dword v0, v[0:1], off offset:768
	s_waitcnt vmcnt(0)
	v_mul_f32_e32 v61, s23, v0
.LBB77_31:
	s_or_b64 exec, exec, s[10:11]
	v_lshlrev_b32_e32 v0, 2, v72
	v_lshl_or_b32 v62, v2, 4, v0
	v_lshlrev_b32_e32 v0, 4, v4
	v_lshl_add_u32 v76, v73, 2, v0
	v_lshlrev_b32_e32 v75, 4, v70
	ds_write_b32 v62, v3 offset:8192
	ds_write2st64_b32 v76, v5, v6 offset1:4
	ds_write2st64_b32 v76, v7, v8 offset0:8 offset1:12
	s_waitcnt lgkmcnt(0)
	s_barrier
	v_lshlrev_b32_e32 v74, 4, v71
	ds_read_b128 v[28:31], v75 offset:8192
	ds_read_b128 v[24:27], v75 offset:8320
	;; [unrolled: 1-line block ×8, first 2 shown]
	ds_read_b128 v[52:55], v74
	ds_read_b128 v[48:51], v74 offset:512
	ds_read_b128 v[44:47], v74 offset:1024
	;; [unrolled: 1-line block ×5, first 2 shown]
	s_waitcnt lgkmcnt(5)
	v_pk_add_f32 v[66:67], v[28:29], v[52:53]
	s_cmp_lt_i32 s22, 9
	v_min3_f32 v63, v66, v67, s14
	v_pk_add_f32 v[66:67], v[24:25], v[52:53]
	s_nop 0
	v_min3_f32 v68, v66, v67, s14
	v_pk_add_f32 v[66:67], v[20:21], v[52:53]
	s_nop 0
	v_min3_f32 v69, v66, v67, s14
	v_pk_add_f32 v[66:67], v[16:17], v[52:53]
	s_nop 0
	v_min3_f32 v77, v66, v67, s14
	v_pk_add_f32 v[66:67], v[12:13], v[52:53]
	s_nop 0
	v_min3_f32 v78, v66, v67, s14
	v_pk_add_f32 v[66:67], v[8:9], v[52:53]
	s_nop 0
	v_min3_f32 v80, v66, v67, s14
	v_pk_add_f32 v[66:67], v[4:5], v[52:53]
	v_pk_add_f32 v[52:53], v[0:1], v[52:53]
	v_min3_f32 v66, v66, v67, s14
	v_min3_f32 v67, v52, v53, s14
	s_waitcnt lgkmcnt(4)
	v_pk_add_f32 v[52:53], v[28:29], v[48:49]
	s_nop 0
	v_min3_f32 v81, v52, v53, s14
	v_pk_add_f32 v[52:53], v[24:25], v[48:49]
	s_nop 0
	v_min3_f32 v82, v52, v53, s14
	v_pk_add_f32 v[52:53], v[20:21], v[48:49]
	s_nop 0
	v_min3_f32 v83, v52, v53, s14
	v_pk_add_f32 v[52:53], v[16:17], v[48:49]
	s_nop 0
	v_min3_f32 v84, v52, v53, s14
	v_pk_add_f32 v[52:53], v[12:13], v[48:49]
	s_nop 0
	v_min3_f32 v85, v52, v53, s14
	v_pk_add_f32 v[52:53], v[8:9], v[48:49]
	s_nop 0
	v_min3_f32 v86, v52, v53, s14
	v_pk_add_f32 v[52:53], v[4:5], v[48:49]
	v_pk_add_f32 v[48:49], v[0:1], v[48:49]
	v_min3_f32 v87, v52, v53, s14
	v_min3_f32 v88, v48, v49, s14
	s_waitcnt lgkmcnt(3)
	v_pk_add_f32 v[48:49], v[28:29], v[44:45]
	s_nop 0
	;; [unrolled: 23-line block ×5, first 2 shown]
	v_min3_f32 v124, v36, v37, s14
	v_pk_add_f32 v[36:37], v[24:25], v[32:33]
	s_nop 0
	v_min3_f32 v146, v36, v37, s14
	v_pk_add_f32 v[36:37], v[20:21], v[32:33]
	s_nop 0
	;; [unrolled: 3-line block ×12, first 2 shown]
	v_min3_f32 v78, v36, v37, v66
	v_pk_add_f32 v[36:37], v[4:5], v[32:33]
	v_pk_add_f32 v[32:33], v[0:1], v[32:33]
	v_min3_f32 v63, v36, v37, s14
	v_min3_f32 v66, v32, v33, s14
	v_pk_add_f32 v[32:33], v[2:3], v[54:55]
	ds_read_b128 v[52:55], v74 offset:3072
	v_min3_f32 v141, v32, v33, v67
	v_pk_add_f32 v[32:33], v[30:31], v[50:51]
	s_nop 0
	v_min3_f32 v140, v32, v33, v81
	v_pk_add_f32 v[32:33], v[26:27], v[50:51]
	s_nop 0
	v_min3_f32 v139, v32, v33, v82
	v_pk_add_f32 v[32:33], v[22:23], v[50:51]
	s_nop 0
	v_min3_f32 v138, v32, v33, v83
	v_pk_add_f32 v[32:33], v[18:19], v[50:51]
	s_nop 0
	v_min3_f32 v137, v32, v33, v84
	v_pk_add_f32 v[32:33], v[14:15], v[50:51]
	s_nop 0
	v_min3_f32 v135, v32, v33, v85
	v_pk_add_f32 v[32:33], v[10:11], v[50:51]
	s_nop 0
	v_min3_f32 v133, v32, v33, v86
	v_pk_add_f32 v[32:33], v[6:7], v[50:51]
	s_nop 0
	v_min3_f32 v131, v32, v33, v87
	v_pk_add_f32 v[32:33], v[2:3], v[50:51]
	ds_read_b128 v[48:51], v74 offset:3584
	v_min3_f32 v136, v32, v33, v88
	v_pk_add_f32 v[32:33], v[30:31], v[46:47]
	s_waitcnt lgkmcnt(1)
	v_pk_add_f32 v[36:37], v[28:29], v[52:53]
	v_min3_f32 v134, v32, v33, v89
	v_pk_add_f32 v[32:33], v[26:27], v[46:47]
	v_min3_f32 v67, v36, v37, s14
	v_min3_f32 v132, v32, v33, v90
	v_pk_add_f32 v[32:33], v[22:23], v[46:47]
	v_pk_add_f32 v[36:37], v[24:25], v[52:53]
	v_min3_f32 v130, v32, v33, v91
	v_pk_add_f32 v[32:33], v[18:19], v[46:47]
	v_min3_f32 v68, v36, v37, s14
	v_min3_f32 v129, v32, v33, v92
	v_pk_add_f32 v[32:33], v[14:15], v[46:47]
	v_pk_add_f32 v[36:37], v[12:13], v[52:53]
	v_min3_f32 v128, v32, v33, v93
	v_pk_add_f32 v[32:33], v[10:11], v[46:47]
	s_waitcnt lgkmcnt(0)
	v_pk_add_f32 v[28:29], v[28:29], v[48:49]
	v_min3_f32 v127, v32, v33, v94
	v_pk_add_f32 v[32:33], v[6:7], v[46:47]
	v_min3_f32 v28, v28, v29, s14
	v_min3_f32 v126, v32, v33, v95
	v_pk_add_f32 v[32:33], v[20:21], v[52:53]
	v_pk_add_f32 v[24:25], v[24:25], v[48:49]
	v_min3_f32 v69, v32, v33, s14
	v_pk_add_f32 v[32:33], v[16:17], v[52:53]
	v_pk_add_f32 v[12:13], v[12:13], v[48:49]
	v_min3_f32 v80, v32, v33, s14
	v_pk_add_f32 v[32:33], v[2:3], v[46:47]
	v_min3_f32 v46, v36, v37, s14
	v_min3_f32 v125, v32, v33, v96
	v_pk_add_f32 v[32:33], v[30:31], v[42:43]
	v_pk_add_f32 v[36:37], v[8:9], v[52:53]
	v_min3_f32 v123, v32, v33, v97
	v_pk_add_f32 v[32:33], v[26:27], v[42:43]
	v_min3_f32 v36, v36, v37, s14
	;; [unrolled: 6-line block ×3, first 2 shown]
	v_min3_f32 v120, v32, v33, v100
	v_pk_add_f32 v[32:33], v[14:15], v[42:43]
	v_pk_add_f32 v[24:25], v[30:31], v[34:35]
	v_min3_f32 v119, v32, v33, v101
	v_pk_add_f32 v[32:33], v[10:11], v[42:43]
	v_pk_add_f32 v[20:21], v[20:21], v[48:49]
	v_min3_f32 v118, v32, v33, v102
	v_pk_add_f32 v[32:33], v[6:7], v[42:43]
	v_min3_f32 v12, v12, v13, s14
	v_min3_f32 v117, v32, v33, v44
	v_pk_add_f32 v[32:33], v[4:5], v[52:53]
	v_pk_add_f32 v[4:5], v[4:5], v[48:49]
	v_min3_f32 v37, v32, v33, s14
	v_pk_add_f32 v[32:33], v[0:1], v[52:53]
	v_pk_add_f32 v[0:1], v[0:1], v[48:49]
	v_min3_f32 v44, v32, v33, s14
	v_pk_add_f32 v[32:33], v[2:3], v[42:43]
	v_min3_f32 v4, v4, v5, s14
	v_min3_f32 v116, v32, v33, v45
	v_pk_add_f32 v[32:33], v[30:31], v[38:39]
	v_min3_f32 v5, v0, v1, s14
	v_min3_f32 v115, v32, v33, v103
	v_pk_add_f32 v[32:33], v[26:27], v[38:39]
	v_pk_add_f32 v[0:1], v[2:3], v[54:55]
	v_min3_f32 v114, v32, v33, v104
	v_pk_add_f32 v[32:33], v[22:23], v[38:39]
	v_min3_f32 v92, v0, v1, v44
	v_min3_f32 v113, v32, v33, v105
	v_pk_add_f32 v[32:33], v[18:19], v[38:39]
	v_pk_add_f32 v[0:1], v[30:31], v[50:51]
	v_min3_f32 v112, v32, v33, v106
	v_pk_add_f32 v[32:33], v[14:15], v[38:39]
	v_min3_f32 v13, v8, v9, s14
	;; [unrolled: 2-line block ×4, first 2 shown]
	v_min3_f32 v107, v24, v25, v124
	v_pk_add_f32 v[24:25], v[26:27], v[34:35]
	v_min3_f32 v20, v20, v21, s14
	v_pk_add_f32 v[16:17], v[16:17], v[48:49]
	;; [unrolled: 2-line block ×5, first 2 shown]
	v_min3_f32 v21, v16, v17, s14
	v_min3_f32 v98, v8, v9, v68
	v_pk_add_f32 v[8:9], v[22:23], v[54:55]
	v_min3_f32 v89, v0, v1, v20
	v_pk_add_f32 v[0:1], v[18:19], v[50:51]
	;; [unrolled: 2-line block ×5, first 2 shown]
	v_pk_add_f32 v[32:33], v[10:11], v[38:39]
	v_min3_f32 v104, v24, v25, v148
	v_pk_add_f32 v[24:25], v[14:15], v[34:35]
	v_min3_f32 v96, v8, v9, v80
	v_pk_add_f32 v[8:9], v[14:15], v[54:55]
	v_min3_f32 v86, v0, v1, v12
	v_pk_add_f32 v[0:1], v[10:11], v[50:51]
	v_min3_f32 v110, v32, v33, v108
	v_pk_add_f32 v[32:33], v[6:7], v[38:39]
	v_min3_f32 v103, v24, v25, v149
	v_pk_add_f32 v[24:25], v[10:11], v[34:35]
	v_min3_f32 v95, v8, v9, v46
	v_pk_add_f32 v[8:9], v[10:11], v[54:55]
	v_min3_f32 v85, v0, v1, v13
	v_pk_add_f32 v[0:1], v[6:7], v[50:51]
	v_min3_f32 v109, v32, v33, v40
	v_pk_add_f32 v[32:33], v[2:3], v[38:39]
	v_min3_f32 v102, v24, v25, v150
	v_pk_add_f32 v[24:25], v[6:7], v[34:35]
	v_pk_add_f32 v[16:17], v[2:3], v[34:35]
	v_min3_f32 v94, v8, v9, v36
	v_pk_add_f32 v[8:9], v[6:7], v[54:55]
	v_min3_f32 v84, v0, v1, v4
	;; [unrolled: 2-line block ×3, first 2 shown]
	v_min3_f32 v101, v24, v25, v63
	v_min3_f32 v100, v16, v17, v66
	;; [unrolled: 1-line block ×4, first 2 shown]
	ds_write_b32 v62, v57 offset:9216
	ds_write2st64_b32 v76, v58, v59 offset0:16 offset1:20
	ds_write2st64_b32 v76, v60, v61 offset0:24 offset1:28
	s_waitcnt lgkmcnt(0)
	s_barrier
	s_cbranch_scc1 .LBB77_58
; %bb.32:
	v_mov_b32_e32 v0, 0x2400
	v_lshl_add_u32 v124, v70, 4, v0
	v_mov_b32_e32 v0, 0x1000
	v_and_b32_e32 v2, 3, v70
	v_lshl_add_u32 v146, v71, 4, v0
	v_mad_i64_i32 v[0:1], s[10:11], s36, v56, 0
	v_lshlrev_b32_e32 v2, 2, v2
	v_mov_b32_e32 v3, 0
	v_lshl_add_u64 v[0:1], v[0:1], 2, v[2:3]
	v_lshl_add_u64 v[0:1], s[30:31], 0, v[0:1]
	v_add_u32_e32 v80, 0x2000, v62
	v_add_u32_e32 v81, 0x2000, v75
	;; [unrolled: 1-line block ×4, first 2 shown]
	s_add_i32 s37, s22, -8
	s_add_i32 s38, s22, -1
	v_lshl_add_u64 v[66:67], v[0:1], 0, 32
	s_mov_b32 s30, 0
	v_mov_b32_e32 v147, 0x7f7fffff
	s_branch .LBB77_34
.LBB77_33:                              ;   in Loop: Header=BB77_34 Depth=1
	s_or_b64 exec, exec, s[10:11]
	v_pk_add_f32 v[68:69], v[28:29], v[60:61]
	s_add_i32 s30, s30, 8
	v_min3_f32 v145, v68, v69, v145
	v_pk_add_f32 v[68:69], v[24:25], v[60:61]
	s_cmp_ge_i32 s30, s37
	v_min3_f32 v144, v68, v69, v144
	v_pk_add_f32 v[68:69], v[20:21], v[60:61]
	v_lshl_add_u64 v[66:67], v[66:67], 0, 32
	v_min3_f32 v143, v68, v69, v143
	v_pk_add_f32 v[68:69], v[16:17], v[60:61]
	s_nop 0
	v_min3_f32 v142, v68, v69, v142
	v_pk_add_f32 v[68:69], v[12:13], v[60:61]
	s_nop 0
	v_min3_f32 v79, v68, v69, v79
	v_pk_add_f32 v[68:69], v[8:9], v[60:61]
	s_nop 0
	v_min3_f32 v77, v68, v69, v77
	v_pk_add_f32 v[68:69], v[4:5], v[60:61]
	v_pk_add_f32 v[60:61], v[0:1], v[60:61]
	v_min3_f32 v68, v68, v69, v78
	v_min3_f32 v69, v60, v61, v141
	v_pk_add_f32 v[60:61], v[28:29], v[56:57]
	s_nop 0
	v_min3_f32 v78, v60, v61, v140
	v_pk_add_f32 v[60:61], v[24:25], v[56:57]
	s_nop 0
	v_min3_f32 v139, v60, v61, v139
	v_pk_add_f32 v[60:61], v[20:21], v[56:57]
	s_nop 0
	v_min3_f32 v138, v60, v61, v138
	v_pk_add_f32 v[60:61], v[16:17], v[56:57]
	s_nop 0
	v_min3_f32 v137, v60, v61, v137
	v_pk_add_f32 v[60:61], v[12:13], v[56:57]
	s_nop 0
	v_min3_f32 v135, v60, v61, v135
	v_pk_add_f32 v[60:61], v[8:9], v[56:57]
	s_nop 0
	v_min3_f32 v133, v60, v61, v133
	v_pk_add_f32 v[60:61], v[4:5], v[56:57]
	v_pk_add_f32 v[56:57], v[0:1], v[56:57]
	v_min3_f32 v60, v60, v61, v131
	v_min3_f32 v61, v56, v57, v136
	v_pk_add_f32 v[56:57], v[28:29], v[52:53]
	s_nop 0
	v_min3_f32 v131, v56, v57, v134
	v_pk_add_f32 v[56:57], v[24:25], v[52:53]
	s_nop 0
	v_min3_f32 v132, v56, v57, v132
	v_pk_add_f32 v[56:57], v[20:21], v[52:53]
	s_nop 0
	v_min3_f32 v130, v56, v57, v130
	v_pk_add_f32 v[56:57], v[16:17], v[52:53]
	s_nop 0
	v_min3_f32 v129, v56, v57, v129
	v_pk_add_f32 v[56:57], v[12:13], v[52:53]
	s_nop 0
	v_min3_f32 v128, v56, v57, v128
	v_pk_add_f32 v[56:57], v[8:9], v[52:53]
	s_nop 0
	v_min3_f32 v127, v56, v57, v127
	v_pk_add_f32 v[56:57], v[4:5], v[52:53]
	v_pk_add_f32 v[52:53], v[0:1], v[52:53]
	v_min3_f32 v56, v56, v57, v126
	v_min3_f32 v57, v52, v53, v125
	v_pk_add_f32 v[52:53], v[28:29], v[48:49]
	s_nop 0
	v_min3_f32 v123, v52, v53, v123
	v_pk_add_f32 v[52:53], v[24:25], v[48:49]
	s_nop 0
	v_min3_f32 v122, v52, v53, v122
	v_pk_add_f32 v[52:53], v[20:21], v[48:49]
	s_nop 0
	v_min3_f32 v121, v52, v53, v121
	v_pk_add_f32 v[52:53], v[16:17], v[48:49]
	s_nop 0
	v_min3_f32 v120, v52, v53, v120
	v_pk_add_f32 v[52:53], v[12:13], v[48:49]
	s_nop 0
	v_min3_f32 v119, v52, v53, v119
	v_pk_add_f32 v[52:53], v[8:9], v[48:49]
	s_nop 0
	v_min3_f32 v118, v52, v53, v118
	v_pk_add_f32 v[52:53], v[4:5], v[48:49]
	v_pk_add_f32 v[48:49], v[0:1], v[48:49]
	v_min3_f32 v52, v52, v53, v117
	v_min3_f32 v53, v48, v49, v116
	v_pk_add_f32 v[48:49], v[28:29], v[44:45]
	s_nop 0
	v_min3_f32 v115, v48, v49, v115
	v_pk_add_f32 v[48:49], v[24:25], v[44:45]
	s_nop 0
	v_min3_f32 v114, v48, v49, v114
	v_pk_add_f32 v[48:49], v[20:21], v[44:45]
	s_nop 0
	v_min3_f32 v113, v48, v49, v113
	v_pk_add_f32 v[48:49], v[16:17], v[44:45]
	s_nop 0
	v_min3_f32 v112, v48, v49, v112
	v_pk_add_f32 v[48:49], v[12:13], v[44:45]
	s_nop 0
	v_min3_f32 v111, v48, v49, v111
	v_pk_add_f32 v[48:49], v[8:9], v[44:45]
	s_nop 0
	v_min3_f32 v110, v48, v49, v110
	v_pk_add_f32 v[48:49], v[4:5], v[44:45]
	v_pk_add_f32 v[44:45], v[0:1], v[44:45]
	v_min3_f32 v48, v48, v49, v109
	v_min3_f32 v49, v44, v45, v108
	v_pk_add_f32 v[44:45], v[28:29], v[40:41]
	s_nop 0
	v_min3_f32 v107, v44, v45, v107
	v_pk_add_f32 v[44:45], v[24:25], v[40:41]
	s_nop 0
	v_min3_f32 v106, v44, v45, v106
	v_pk_add_f32 v[44:45], v[20:21], v[40:41]
	s_nop 0
	v_min3_f32 v105, v44, v45, v105
	v_pk_add_f32 v[44:45], v[16:17], v[40:41]
	s_nop 0
	v_min3_f32 v104, v44, v45, v104
	v_pk_add_f32 v[44:45], v[12:13], v[40:41]
	s_nop 0
	;; [unrolled: 3-line block ×3, first 2 shown]
	v_min3_f32 v102, v44, v45, v102
	v_pk_add_f32 v[44:45], v[4:5], v[40:41]
	v_pk_add_f32 v[40:41], v[0:1], v[40:41]
	v_min3_f32 v44, v44, v45, v101
	v_min3_f32 v45, v40, v41, v100
	v_pk_add_f32 v[40:41], v[28:29], v[36:37]
	v_pk_add_f32 v[28:29], v[28:29], v[32:33]
	v_min3_f32 v99, v40, v41, v99
	v_pk_add_f32 v[40:41], v[24:25], v[36:37]
	v_pk_add_f32 v[24:25], v[24:25], v[32:33]
	;; [unrolled: 3-line block ×7, first 2 shown]
	v_pk_add_f32 v[4:5], v[4:5], v[32:33]
	v_pk_add_f32 v[0:1], v[0:1], v[32:33]
	v_min3_f32 v4, v4, v5, v84
	v_min3_f32 v5, v0, v1, v88
	v_pk_add_f32 v[0:1], v[30:31], v[62:63]
	v_min3_f32 v8, v8, v9, v85
	v_min3_f32 v84, v0, v1, v145
	;; [unrolled: 3-line block ×9, first 2 shown]
	v_pk_add_f32 v[0:1], v[30:31], v[58:59]
	s_nop 0
	v_min3_f32 v78, v0, v1, v78
	v_pk_add_f32 v[0:1], v[26:27], v[58:59]
	s_nop 0
	v_min3_f32 v90, v0, v1, v139
	v_pk_add_f32 v[0:1], v[22:23], v[58:59]
	s_nop 0
	v_min3_f32 v91, v0, v1, v138
	v_pk_add_f32 v[0:1], v[18:19], v[58:59]
	s_nop 0
	v_min3_f32 v92, v0, v1, v137
	v_pk_add_f32 v[0:1], v[14:15], v[58:59]
	s_nop 0
	v_min3_f32 v93, v0, v1, v135
	v_pk_add_f32 v[0:1], v[10:11], v[58:59]
	s_nop 0
	v_min3_f32 v100, v0, v1, v133
	v_pk_add_f32 v[0:1], v[6:7], v[58:59]
	s_nop 0
	v_min3_f32 v101, v0, v1, v60
	v_pk_add_f32 v[0:1], v[2:3], v[58:59]
	s_nop 0
	v_min3_f32 v108, v0, v1, v61
	v_pk_add_f32 v[0:1], v[30:31], v[54:55]
	s_nop 0
	v_min3_f32 v109, v0, v1, v131
	v_pk_add_f32 v[0:1], v[26:27], v[54:55]
	s_nop 0
	v_min3_f32 v116, v0, v1, v132
	v_pk_add_f32 v[0:1], v[22:23], v[54:55]
	s_nop 0
	v_min3_f32 v117, v0, v1, v130
	v_pk_add_f32 v[0:1], v[18:19], v[54:55]
	s_nop 0
	v_min3_f32 v125, v0, v1, v129
	v_pk_add_f32 v[0:1], v[14:15], v[54:55]
	s_nop 0
	v_min3_f32 v126, v0, v1, v128
	v_pk_add_f32 v[0:1], v[10:11], v[54:55]
	s_nop 0
	v_min3_f32 v127, v0, v1, v127
	v_pk_add_f32 v[0:1], v[6:7], v[54:55]
	s_nop 0
	v_min3_f32 v128, v0, v1, v56
	v_pk_add_f32 v[0:1], v[2:3], v[54:55]
	s_nop 0
	v_min3_f32 v129, v0, v1, v57
	v_pk_add_f32 v[0:1], v[30:31], v[50:51]
	s_nop 0
	v_min3_f32 v123, v0, v1, v123
	v_pk_add_f32 v[0:1], v[26:27], v[50:51]
	s_nop 0
	v_min3_f32 v122, v0, v1, v122
	v_pk_add_f32 v[0:1], v[22:23], v[50:51]
	s_nop 0
	v_min3_f32 v121, v0, v1, v121
	v_pk_add_f32 v[0:1], v[18:19], v[50:51]
	s_nop 0
	v_min3_f32 v120, v0, v1, v120
	v_pk_add_f32 v[0:1], v[14:15], v[50:51]
	s_nop 0
	v_min3_f32 v119, v0, v1, v119
	v_pk_add_f32 v[0:1], v[10:11], v[50:51]
	s_nop 0
	v_min3_f32 v118, v0, v1, v118
	v_pk_add_f32 v[0:1], v[6:7], v[50:51]
	s_nop 0
	v_min3_f32 v130, v0, v1, v52
	v_pk_add_f32 v[0:1], v[2:3], v[50:51]
	s_nop 0
	v_min3_f32 v131, v0, v1, v53
	v_pk_add_f32 v[0:1], v[30:31], v[46:47]
	s_nop 0
	v_min3_f32 v115, v0, v1, v115
	v_pk_add_f32 v[0:1], v[26:27], v[46:47]
	s_nop 0
	v_min3_f32 v114, v0, v1, v114
	v_pk_add_f32 v[0:1], v[22:23], v[46:47]
	s_nop 0
	v_min3_f32 v113, v0, v1, v113
	v_pk_add_f32 v[0:1], v[18:19], v[46:47]
	s_nop 0
	v_min3_f32 v112, v0, v1, v112
	v_pk_add_f32 v[0:1], v[14:15], v[46:47]
	s_nop 0
	v_min3_f32 v111, v0, v1, v111
	v_pk_add_f32 v[0:1], v[10:11], v[46:47]
	s_nop 0
	v_min3_f32 v110, v0, v1, v110
	v_pk_add_f32 v[0:1], v[6:7], v[46:47]
	s_nop 0
	v_min3_f32 v132, v0, v1, v48
	v_pk_add_f32 v[0:1], v[2:3], v[46:47]
	s_nop 0
	v_min3_f32 v133, v0, v1, v49
	v_pk_add_f32 v[0:1], v[30:31], v[42:43]
	s_nop 0
	v_min3_f32 v107, v0, v1, v107
	v_pk_add_f32 v[0:1], v[26:27], v[42:43]
	s_nop 0
	v_min3_f32 v106, v0, v1, v106
	v_pk_add_f32 v[0:1], v[22:23], v[42:43]
	s_nop 0
	v_min3_f32 v105, v0, v1, v105
	v_pk_add_f32 v[0:1], v[18:19], v[42:43]
	s_nop 0
	v_min3_f32 v104, v0, v1, v104
	v_pk_add_f32 v[0:1], v[14:15], v[42:43]
	s_nop 0
	v_min3_f32 v103, v0, v1, v103
	v_pk_add_f32 v[0:1], v[10:11], v[42:43]
	s_nop 0
	v_min3_f32 v102, v0, v1, v102
	v_pk_add_f32 v[0:1], v[6:7], v[42:43]
	s_nop 0
	v_min3_f32 v134, v0, v1, v44
	v_pk_add_f32 v[0:1], v[2:3], v[42:43]
	s_nop 0
	v_min3_f32 v135, v0, v1, v45
	v_pk_add_f32 v[0:1], v[30:31], v[38:39]
	s_nop 0
	v_min3_f32 v99, v0, v1, v99
	v_pk_add_f32 v[0:1], v[26:27], v[38:39]
	s_nop 0
	v_min3_f32 v98, v0, v1, v98
	v_pk_add_f32 v[0:1], v[22:23], v[38:39]
	s_nop 0
	v_min3_f32 v97, v0, v1, v97
	v_pk_add_f32 v[0:1], v[18:19], v[38:39]
	s_nop 0
	v_min3_f32 v96, v0, v1, v96
	v_pk_add_f32 v[0:1], v[14:15], v[38:39]
	s_nop 0
	v_min3_f32 v95, v0, v1, v95
	v_pk_add_f32 v[0:1], v[10:11], v[38:39]
	s_nop 0
	v_min3_f32 v94, v0, v1, v94
	v_pk_add_f32 v[0:1], v[6:7], v[38:39]
	s_nop 0
	v_min3_f32 v136, v0, v1, v40
	v_pk_add_f32 v[0:1], v[2:3], v[38:39]
	s_nop 0
	v_min3_f32 v137, v0, v1, v36
	v_pk_add_f32 v[0:1], v[30:31], v[34:35]
	s_nop 0
	v_min3_f32 v138, v0, v1, v28
	v_pk_add_f32 v[0:1], v[26:27], v[34:35]
	s_nop 0
	v_min3_f32 v139, v0, v1, v24
	v_pk_add_f32 v[0:1], v[22:23], v[34:35]
	s_nop 0
	v_min3_f32 v140, v0, v1, v20
	v_pk_add_f32 v[0:1], v[18:19], v[34:35]
	s_nop 0
	v_min3_f32 v141, v0, v1, v16
	v_pk_add_f32 v[0:1], v[14:15], v[34:35]
	s_nop 0
	v_min3_f32 v142, v0, v1, v12
	v_pk_add_f32 v[0:1], v[10:11], v[34:35]
	s_nop 0
	v_min3_f32 v143, v0, v1, v8
	v_pk_add_f32 v[0:1], v[6:7], v[34:35]
	s_nop 0
	v_min3_f32 v144, v0, v1, v4
	v_pk_add_f32 v[0:1], v[2:3], v[34:35]
	s_nop 0
	v_min3_f32 v145, v0, v1, v5
	ds_read_b128 v[0:3], v81
	ds_read_b128 v[4:7], v81 offset:128
	ds_read_b128 v[8:11], v81 offset:256
	;; [unrolled: 1-line block ×7, first 2 shown]
	ds_read_b128 v[36:39], v74
	ds_read_b128 v[40:43], v74 offset:512
	ds_read_b128 v[44:47], v74 offset:1024
	;; [unrolled: 1-line block ×7, first 2 shown]
	s_waitcnt lgkmcnt(7)
	v_pk_add_f32 v[68:69], v[0:1], v[36:37]
	ds_write_b32 v82, v148
	ds_write2st64_b32 v83, v149, v150 offset1:4
	ds_write2st64_b32 v83, v151, v152 offset0:8 offset1:12
	v_min3_f32 v84, v68, v69, v84
	v_pk_add_f32 v[68:69], v[4:5], v[36:37]
	s_waitcnt lgkmcnt(0)
	v_min3_f32 v85, v68, v69, v85
	v_pk_add_f32 v[68:69], v[8:9], v[36:37]
	s_barrier
	v_min3_f32 v86, v68, v69, v86
	v_pk_add_f32 v[68:69], v[12:13], v[36:37]
	s_nop 0
	v_min3_f32 v87, v68, v69, v87
	v_pk_add_f32 v[68:69], v[16:17], v[36:37]
	s_nop 0
	;; [unrolled: 3-line block ×3, first 2 shown]
	v_min3_f32 v77, v68, v69, v77
	v_pk_add_f32 v[68:69], v[24:25], v[36:37]
	v_pk_add_f32 v[36:37], v[28:29], v[36:37]
	v_min3_f32 v68, v68, v69, v88
	v_min3_f32 v69, v36, v37, v89
	v_pk_add_f32 v[36:37], v[0:1], v[40:41]
	s_nop 0
	v_min3_f32 v88, v36, v37, v78
	v_pk_add_f32 v[36:37], v[4:5], v[40:41]
	s_nop 0
	;; [unrolled: 3-line block ×40, first 2 shown]
	v_min3_f32 v56, v36, v37, v135
	v_pk_add_f32 v[36:37], v[0:1], v[60:61]
	v_pk_add_f32 v[0:1], v[0:1], v[32:33]
	v_min3_f32 v57, v36, v37, v99
	v_pk_add_f32 v[36:37], v[4:5], v[60:61]
	s_nop 0
	v_min3_f32 v98, v36, v37, v98
	v_pk_add_f32 v[36:37], v[8:9], v[60:61]
	s_nop 0
	;; [unrolled: 3-line block ×7, first 2 shown]
	v_min3_f32 v36, v36, v37, v137
	v_min3_f32 v37, v0, v1, v138
	v_pk_add_f32 v[0:1], v[4:5], v[32:33]
	s_nop 0
	v_min3_f32 v4, v0, v1, v139
	v_pk_add_f32 v[0:1], v[8:9], v[32:33]
	s_nop 0
	;; [unrolled: 3-line block ×71, first 2 shown]
	v_min3_f32 v88, v0, v1, v16
	s_cbranch_scc1 .LBB77_58
.LBB77_34:                              ; =>This Inner Loop Header: Depth=1
	v_add_u32_e32 v68, s30, v72
	v_add_u32_e32 v0, 8, v68
	v_cmp_le_i32_e64 s[10:11], s22, v0
	s_or_b64 s[10:11], s[10:11], vcc
	s_nor_b64 s[14:15], s[16:17], s[10:11]
                                        ; implicit-def: $vgpr148
	s_and_saveexec_b64 s[40:41], s[14:15]
	s_xor_b64 s[14:15], exec, s[40:41]
	s_cbranch_execz .LBB77_36
; %bb.35:                               ;   in Loop: Header=BB77_34 Depth=1
	global_load_dword v0, v[66:67], off
	s_waitcnt vmcnt(0)
	v_mul_f32_e32 v148, s23, v0
.LBB77_36:                              ;   in Loop: Header=BB77_34 Depth=1
	s_andn2_saveexec_b64 s[14:15], s[14:15]
; %bb.37:                               ;   in Loop: Header=BB77_34 Depth=1
	v_cndmask_b32_e64 v148, 0, v147, s[10:11]
; %bb.38:                               ;   in Loop: Header=BB77_34 Depth=1
	s_or_b64 exec, exec, s[14:15]
	v_add_u32_e32 v69, s30, v73
	v_add_u32_e32 v0, 8, v69
	v_cmp_le_i32_e64 s[10:11], s22, v0
	v_min_i32_e32 v0, s38, v0
	v_mad_i64_i32 v[0:1], s[14:15], v0, s35, 0
	v_lshl_add_u64 v[0:1], v[0:1], 2, s[28:29]
	s_or_b64 s[14:15], s[12:13], s[10:11]
	v_cndmask_b32_e64 v149, 0, v147, s[14:15]
	s_nor_b64 s[40:41], s[16:17], s[14:15]
	v_lshl_add_u64 v[0:1], v[64:65], 2, v[0:1]
	s_and_saveexec_b64 s[14:15], s[40:41]
	s_cbranch_execz .LBB77_40
; %bb.39:                               ;   in Loop: Header=BB77_34 Depth=1
	global_load_dword v2, v[0:1], off
	s_waitcnt vmcnt(0)
	v_mul_f32_e32 v149, s23, v2
.LBB77_40:                              ;   in Loop: Header=BB77_34 Depth=1
	s_or_b64 exec, exec, s[14:15]
	s_or_b64 s[14:15], s[4:5], s[10:11]
	v_cndmask_b32_e64 v150, 0, v147, s[14:15]
	s_nor_b64 s[40:41], s[16:17], s[14:15]
	s_and_saveexec_b64 s[14:15], s[40:41]
	s_cbranch_execz .LBB77_42
; %bb.41:                               ;   in Loop: Header=BB77_34 Depth=1
	global_load_dword v2, v[0:1], off offset:256
	s_waitcnt vmcnt(0)
	v_mul_f32_e32 v150, s23, v2
.LBB77_42:                              ;   in Loop: Header=BB77_34 Depth=1
	s_or_b64 exec, exec, s[14:15]
	s_or_b64 s[14:15], s[6:7], s[10:11]
	v_cndmask_b32_e64 v151, 0, v147, s[14:15]
	s_nor_b64 s[40:41], s[16:17], s[14:15]
	s_and_saveexec_b64 s[14:15], s[40:41]
	s_cbranch_execz .LBB77_44
; %bb.43:                               ;   in Loop: Header=BB77_34 Depth=1
	global_load_dword v2, v[0:1], off offset:512
	s_waitcnt vmcnt(0)
	v_mul_f32_e32 v151, s23, v2
.LBB77_44:                              ;   in Loop: Header=BB77_34 Depth=1
	s_or_b64 exec, exec, s[14:15]
	s_or_b64 s[10:11], s[8:9], s[10:11]
	v_cndmask_b32_e64 v152, 0, v147, s[10:11]
	s_nor_b64 s[14:15], s[16:17], s[10:11]
	s_and_saveexec_b64 s[10:11], s[14:15]
	s_cbranch_execz .LBB77_46
; %bb.45:                               ;   in Loop: Header=BB77_34 Depth=1
	global_load_dword v0, v[0:1], off offset:768
	s_waitcnt vmcnt(0)
	v_mul_f32_e32 v152, s23, v0
.LBB77_46:                              ;   in Loop: Header=BB77_34 Depth=1
	s_or_b64 exec, exec, s[10:11]
	ds_read_b128 v[28:31], v124
	ds_read_b128 v[24:27], v124 offset:128
	ds_read_b128 v[20:23], v124 offset:256
	ds_read_b128 v[16:19], v124 offset:384
	ds_read_b128 v[12:15], v124 offset:512
	ds_read_b128 v[8:11], v124 offset:640
	ds_read_b128 v[4:7], v124 offset:768
	ds_read_b128 v[0:3], v124 offset:896
	ds_read_b128 v[60:63], v146
	ds_read_b128 v[56:59], v146 offset:512
	ds_read_b128 v[52:55], v146 offset:1024
	;; [unrolled: 1-line block ×7, first 2 shown]
	v_add_u32_e32 v68, 12, v68
	v_cmp_le_i32_e64 s[10:11], s22, v68
	s_or_b64 s[10:11], s[10:11], vcc
	s_nor_b64 s[14:15], s[16:17], s[10:11]
	ds_write_b32 v80, v148
	ds_write2st64_b32 v76, v149, v150 offset1:4
	ds_write2st64_b32 v76, v151, v152 offset0:8 offset1:12
	s_waitcnt lgkmcnt(0)
	s_barrier
                                        ; implicit-def: $vgpr148
	s_and_saveexec_b64 s[40:41], s[14:15]
	s_xor_b64 s[14:15], exec, s[40:41]
	s_cbranch_execz .LBB77_48
; %bb.47:                               ;   in Loop: Header=BB77_34 Depth=1
	global_load_dword v68, v[66:67], off offset:16
	s_waitcnt vmcnt(0)
	v_mul_f32_e32 v148, s23, v68
.LBB77_48:                              ;   in Loop: Header=BB77_34 Depth=1
	s_andn2_saveexec_b64 s[14:15], s[14:15]
; %bb.49:                               ;   in Loop: Header=BB77_34 Depth=1
	v_cndmask_b32_e64 v148, 0, v147, s[10:11]
; %bb.50:                               ;   in Loop: Header=BB77_34 Depth=1
	s_or_b64 exec, exec, s[14:15]
	v_add_u32_e32 v68, 12, v69
	v_cmp_le_i32_e64 s[10:11], s22, v68
	v_min_i32_e32 v68, s38, v68
	v_mad_i64_i32 v[68:69], s[14:15], v68, s35, 0
	v_lshl_add_u64 v[68:69], v[68:69], 2, s[28:29]
	s_or_b64 s[14:15], s[12:13], s[10:11]
	v_cndmask_b32_e64 v149, 0, v147, s[14:15]
	s_nor_b64 s[40:41], s[16:17], s[14:15]
	v_lshl_add_u64 v[68:69], v[64:65], 2, v[68:69]
	s_and_saveexec_b64 s[14:15], s[40:41]
	s_cbranch_execz .LBB77_52
; %bb.51:                               ;   in Loop: Header=BB77_34 Depth=1
	global_load_dword v149, v[68:69], off
	s_waitcnt vmcnt(0)
	v_mul_f32_e32 v149, s23, v149
.LBB77_52:                              ;   in Loop: Header=BB77_34 Depth=1
	s_or_b64 exec, exec, s[14:15]
	s_or_b64 s[14:15], s[4:5], s[10:11]
	v_cndmask_b32_e64 v150, 0, v147, s[14:15]
	s_nor_b64 s[40:41], s[16:17], s[14:15]
	s_and_saveexec_b64 s[14:15], s[40:41]
	s_cbranch_execz .LBB77_54
; %bb.53:                               ;   in Loop: Header=BB77_34 Depth=1
	global_load_dword v150, v[68:69], off offset:256
	s_waitcnt vmcnt(0)
	v_mul_f32_e32 v150, s23, v150
.LBB77_54:                              ;   in Loop: Header=BB77_34 Depth=1
	s_or_b64 exec, exec, s[14:15]
	s_or_b64 s[14:15], s[6:7], s[10:11]
	v_cndmask_b32_e64 v151, 0, v147, s[14:15]
	s_nor_b64 s[40:41], s[16:17], s[14:15]
	s_and_saveexec_b64 s[14:15], s[40:41]
	s_cbranch_execz .LBB77_56
; %bb.55:                               ;   in Loop: Header=BB77_34 Depth=1
	global_load_dword v151, v[68:69], off offset:512
	s_waitcnt vmcnt(0)
	v_mul_f32_e32 v151, s23, v151
.LBB77_56:                              ;   in Loop: Header=BB77_34 Depth=1
	s_or_b64 exec, exec, s[14:15]
	s_or_b64 s[10:11], s[8:9], s[10:11]
	v_cndmask_b32_e64 v152, 0, v147, s[10:11]
	s_nor_b64 s[14:15], s[16:17], s[10:11]
	s_and_saveexec_b64 s[10:11], s[14:15]
	s_cbranch_execz .LBB77_33
; %bb.57:                               ;   in Loop: Header=BB77_34 Depth=1
	global_load_dword v68, v[68:69], off offset:768
	s_waitcnt vmcnt(0)
	v_mul_f32_e32 v152, s23, v68
	s_branch .LBB77_33
.LBB77_58:
	s_load_dwordx2 s[4:5], s[0:1], 0x70
	s_load_dword s29, s[0:1], 0x50
	s_load_dword s28, s[0:1], 0x68
	ds_read_b128 v[32:35], v75 offset:9216
	ds_read_b128 v[28:31], v75 offset:9344
	ds_read_b128 v[24:27], v75 offset:9472
	ds_read_b128 v[20:23], v75 offset:9600
	ds_read_b128 v[16:19], v75 offset:9728
	ds_read_b128 v[12:15], v75 offset:9856
	ds_read_b128 v[8:11], v75 offset:9984
	ds_read_b128 v[0:3], v75 offset:10112
	ds_read_b128 v[60:63], v74 offset:4096
	ds_read_b128 v[56:59], v74 offset:4608
	ds_read_b128 v[52:55], v74 offset:5120
	ds_read_b128 v[48:51], v74 offset:5632
	ds_read_b128 v[44:47], v74 offset:6144
	ds_read_b128 v[40:43], v74 offset:6656
	ds_read_b128 v[36:39], v74 offset:7168
	ds_read_b128 v[4:7], v74 offset:7680
	v_add_u32_e32 v124, s34, v71
	s_waitcnt lgkmcnt(0)
	s_mul_i32 s1, s5, s3
	s_mul_hi_u32 s5, s4, s3
	s_mul_i32 s0, s4, s3
	s_add_i32 s1, s5, s1
	s_lshl_b64 s[0:1], s[0:1], 2
	s_add_u32 s22, s18, s0
	s_addc_u32 s23, s19, s1
	v_mad_i64_i32 v[66:67], s[0:1], v124, s29, 0
	v_add_u32_e32 v64, s2, v70
	v_lshl_add_u64 v[82:83], v[66:67], 2, s[24:25]
	v_mad_i64_i32 v[66:67], s[0:1], v124, s28, 0
	v_cmp_gt_i32_e64 s[18:19], s21, v124
	v_lshl_add_u64 v[80:81], v[66:67], 2, s[22:23]
	v_cmp_gt_i32_e64 s[2:3], s20, v64
	v_cndmask_b32_e64 v66, 0, 1, s[26:27]
	s_and_b64 s[6:7], s[2:3], s[18:19]
	v_ashrrev_i32_e32 v65, 31, v64
	v_cmp_ne_u32_e64 s[0:1], 1, v66
	s_and_saveexec_b64 s[4:5], s[6:7]
	s_cbranch_execz .LBB77_64
; %bb.59:
	s_and_b64 vcc, exec, s[0:1]
	s_cbranch_vccnz .LBB77_62
; %bb.60:
	v_lshl_add_u64 v[66:67], v[64:65], 2, v[82:83]
	global_load_dword v66, v[66:67], off
	s_waitcnt vmcnt(0)
	v_mul_f32_e32 v66, s33, v66
	s_branch .LBB77_63
.LBB77_61:
	s_mov_b64 s[30:31], 0
	s_andn2_b64 vcc, exec, s[8:9]
	s_mov_b64 s[4:5], -1
	s_cbranch_vccz .LBB77_2
	s_branch .LBB77_3
.LBB77_62:
	v_mov_b32_e32 v66, 0
.LBB77_63:
	v_pk_add_f32 v[68:69], v[32:33], v[60:61]
	s_nop 0
	v_min3_f32 v67, v68, v69, v145
	v_pk_add_f32 v[68:69], v[34:35], v[62:63]
	s_nop 0
	v_min_f32_e32 v68, v68, v69
	v_min3_f32 v68, v66, v68, v67
	v_lshl_add_u64 v[66:67], v[64:65], 2, v[80:81]
	global_store_dword v[66:67], v68, off
.LBB77_64:
	s_or_b64 exec, exec, s[4:5]
	v_add_u32_e32 v66, 8, v64
	v_cmp_gt_i32_e64 s[4:5], s20, v66
	s_and_b64 s[8:9], s[4:5], s[18:19]
	v_ashrrev_i32_e32 v67, 31, v66
	s_and_saveexec_b64 s[6:7], s[8:9]
	s_cbranch_execz .LBB77_69
; %bb.65:
	s_and_b64 vcc, exec, s[0:1]
	s_cbranch_vccnz .LBB77_67
; %bb.66:
	v_lshl_add_u64 v[68:69], v[66:67], 2, v[82:83]
	global_load_dword v68, v[68:69], off
	s_waitcnt vmcnt(0)
	v_mul_f32_e32 v68, s33, v68
	s_branch .LBB77_68
.LBB77_67:
	v_mov_b32_e32 v68, 0
.LBB77_68:
	v_pk_add_f32 v[70:71], v[28:29], v[60:61]
	s_nop 0
	v_min3_f32 v69, v70, v71, v144
	v_pk_add_f32 v[70:71], v[30:31], v[62:63]
	s_nop 0
	v_min_f32_e32 v70, v70, v71
	v_min3_f32 v70, v68, v70, v69
	v_lshl_add_u64 v[68:69], v[66:67], 2, v[80:81]
	global_store_dword v[68:69], v70, off
.LBB77_69:
	s_or_b64 exec, exec, s[6:7]
	v_add_u32_e32 v68, 16, v64
	v_cmp_gt_i32_e64 s[6:7], s20, v68
	s_and_b64 s[10:11], s[6:7], s[18:19]
	v_ashrrev_i32_e32 v69, 31, v68
	s_and_saveexec_b64 s[8:9], s[10:11]
	s_cbranch_execz .LBB77_74
; %bb.70:
	s_and_b64 vcc, exec, s[0:1]
	s_cbranch_vccnz .LBB77_72
; %bb.71:
	v_lshl_add_u64 v[70:71], v[68:69], 2, v[82:83]
	global_load_dword v70, v[70:71], off
	s_waitcnt vmcnt(0)
	v_mul_f32_e32 v70, s33, v70
	s_branch .LBB77_73
.LBB77_72:
	v_mov_b32_e32 v70, 0
.LBB77_73:
	v_pk_add_f32 v[72:73], v[24:25], v[60:61]
	s_nop 0
	v_min3_f32 v71, v72, v73, v143
	v_pk_add_f32 v[72:73], v[26:27], v[62:63]
	s_nop 0
	v_min_f32_e32 v72, v72, v73
	v_min3_f32 v72, v70, v72, v71
	v_lshl_add_u64 v[70:71], v[68:69], 2, v[80:81]
	global_store_dword v[70:71], v72, off
.LBB77_74:
	;; [unrolled: 29-line block ×7, first 2 shown]
	s_or_b64 exec, exec, s[18:19]
	v_add_u32_e32 v80, 32, v124
	v_mad_i64_i32 v[60:61], s[26:27], v80, s29, 0
	v_cmp_gt_i32_e64 s[18:19], s21, v80
	v_lshl_add_u64 v[62:63], v[60:61], 2, s[24:25]
	v_mad_i64_i32 v[60:61], s[26:27], v80, s28, 0
	v_lshl_add_u64 v[60:61], v[60:61], 2, s[22:23]
	s_and_b64 s[30:31], s[2:3], s[18:19]
	s_and_saveexec_b64 s[26:27], s[30:31]
	s_cbranch_execnz .LBB77_107
; %bb.100:
	s_or_b64 exec, exec, s[26:27]
	s_and_b64 s[30:31], s[4:5], s[18:19]
	s_and_saveexec_b64 s[26:27], s[30:31]
	s_cbranch_execnz .LBB77_111
.LBB77_101:
	s_or_b64 exec, exec, s[26:27]
	s_and_b64 s[30:31], s[6:7], s[18:19]
	s_and_saveexec_b64 s[26:27], s[30:31]
	s_cbranch_execnz .LBB77_115
.LBB77_102:
	s_or_b64 exec, exec, s[26:27]
	s_and_b64 s[30:31], s[8:9], s[18:19]
	s_and_saveexec_b64 s[26:27], s[30:31]
	s_cbranch_execnz .LBB77_119
.LBB77_103:
	s_or_b64 exec, exec, s[26:27]
	s_and_b64 s[30:31], s[10:11], s[18:19]
	s_and_saveexec_b64 s[26:27], s[30:31]
	s_cbranch_execnz .LBB77_123
.LBB77_104:
	s_or_b64 exec, exec, s[26:27]
	s_and_b64 s[30:31], s[12:13], s[18:19]
	s_and_saveexec_b64 s[26:27], s[30:31]
	s_cbranch_execnz .LBB77_127
.LBB77_105:
	s_or_b64 exec, exec, s[26:27]
	s_and_b64 s[30:31], s[14:15], s[18:19]
	s_and_saveexec_b64 s[26:27], s[30:31]
	s_cbranch_execnz .LBB77_131
.LBB77_106:
	s_or_b64 exec, exec, s[26:27]
	s_and_b64 s[26:27], s[16:17], s[18:19]
	s_and_saveexec_b64 s[18:19], s[26:27]
	s_cbranch_execnz .LBB77_135
	s_branch .LBB77_139
.LBB77_107:
	s_and_b64 vcc, exec, s[0:1]
	s_cbranch_vccnz .LBB77_109
; %bb.108:
	v_lshl_add_u64 v[80:81], v[64:65], 2, v[62:63]
	global_load_dword v80, v[80:81], off
	s_waitcnt vmcnt(0)
	v_mul_f32_e32 v80, s33, v80
	s_branch .LBB77_110
.LBB77_109:
	v_mov_b32_e32 v80, 0
.LBB77_110:
	v_pk_add_f32 v[82:83], v[32:33], v[56:57]
	s_nop 0
	v_min3_f32 v81, v82, v83, v140
	v_pk_add_f32 v[82:83], v[34:35], v[58:59]
	s_nop 0
	v_min_f32_e32 v82, v82, v83
	v_min3_f32 v82, v80, v82, v81
	v_lshl_add_u64 v[80:81], v[64:65], 2, v[60:61]
	global_store_dword v[80:81], v82, off
	s_or_b64 exec, exec, s[26:27]
	s_and_b64 s[30:31], s[4:5], s[18:19]
	s_and_saveexec_b64 s[26:27], s[30:31]
	s_cbranch_execz .LBB77_101
.LBB77_111:
	s_and_b64 vcc, exec, s[0:1]
	s_cbranch_vccnz .LBB77_113
; %bb.112:
	v_lshl_add_u64 v[80:81], v[66:67], 2, v[62:63]
	global_load_dword v80, v[80:81], off
	s_waitcnt vmcnt(0)
	v_mul_f32_e32 v80, s33, v80
	s_branch .LBB77_114
.LBB77_113:
	v_mov_b32_e32 v80, 0
.LBB77_114:
	v_pk_add_f32 v[82:83], v[28:29], v[56:57]
	s_nop 0
	v_min3_f32 v81, v82, v83, v139
	v_pk_add_f32 v[82:83], v[30:31], v[58:59]
	s_nop 0
	v_min_f32_e32 v82, v82, v83
	v_min3_f32 v82, v80, v82, v81
	v_lshl_add_u64 v[80:81], v[66:67], 2, v[60:61]
	global_store_dword v[80:81], v82, off
	s_or_b64 exec, exec, s[26:27]
	s_and_b64 s[30:31], s[6:7], s[18:19]
	s_and_saveexec_b64 s[26:27], s[30:31]
	s_cbranch_execz .LBB77_102
.LBB77_115:
	s_and_b64 vcc, exec, s[0:1]
	s_cbranch_vccnz .LBB77_117
; %bb.116:
	v_lshl_add_u64 v[80:81], v[68:69], 2, v[62:63]
	global_load_dword v80, v[80:81], off
	s_waitcnt vmcnt(0)
	v_mul_f32_e32 v80, s33, v80
	s_branch .LBB77_118
.LBB77_117:
	v_mov_b32_e32 v80, 0
.LBB77_118:
	v_pk_add_f32 v[82:83], v[24:25], v[56:57]
	s_nop 0
	v_min3_f32 v81, v82, v83, v138
	v_pk_add_f32 v[82:83], v[26:27], v[58:59]
	s_nop 0
	v_min_f32_e32 v82, v82, v83
	v_min3_f32 v82, v80, v82, v81
	v_lshl_add_u64 v[80:81], v[68:69], 2, v[60:61]
	global_store_dword v[80:81], v82, off
	s_or_b64 exec, exec, s[26:27]
	s_and_b64 s[30:31], s[8:9], s[18:19]
	s_and_saveexec_b64 s[26:27], s[30:31]
	s_cbranch_execz .LBB77_103
.LBB77_119:
	s_and_b64 vcc, exec, s[0:1]
	s_cbranch_vccnz .LBB77_121
; %bb.120:
	v_lshl_add_u64 v[80:81], v[70:71], 2, v[62:63]
	global_load_dword v80, v[80:81], off
	s_waitcnt vmcnt(0)
	v_mul_f32_e32 v80, s33, v80
	s_branch .LBB77_122
.LBB77_121:
	v_mov_b32_e32 v80, 0
.LBB77_122:
	v_pk_add_f32 v[82:83], v[20:21], v[56:57]
	s_nop 0
	v_min3_f32 v81, v82, v83, v137
	v_pk_add_f32 v[82:83], v[22:23], v[58:59]
	s_nop 0
	v_min_f32_e32 v82, v82, v83
	v_min3_f32 v82, v80, v82, v81
	v_lshl_add_u64 v[80:81], v[70:71], 2, v[60:61]
	global_store_dword v[80:81], v82, off
	s_or_b64 exec, exec, s[26:27]
	s_and_b64 s[30:31], s[10:11], s[18:19]
	s_and_saveexec_b64 s[26:27], s[30:31]
	s_cbranch_execz .LBB77_104
.LBB77_123:
	s_and_b64 vcc, exec, s[0:1]
	s_cbranch_vccnz .LBB77_125
; %bb.124:
	v_lshl_add_u64 v[80:81], v[72:73], 2, v[62:63]
	global_load_dword v80, v[80:81], off
	s_waitcnt vmcnt(0)
	v_mul_f32_e32 v80, s33, v80
	s_branch .LBB77_126
.LBB77_125:
	v_mov_b32_e32 v80, 0
.LBB77_126:
	v_pk_add_f32 v[82:83], v[16:17], v[56:57]
	s_nop 0
	v_min3_f32 v81, v82, v83, v135
	v_pk_add_f32 v[82:83], v[18:19], v[58:59]
	s_nop 0
	v_min_f32_e32 v82, v82, v83
	v_min3_f32 v82, v80, v82, v81
	v_lshl_add_u64 v[80:81], v[72:73], 2, v[60:61]
	global_store_dword v[80:81], v82, off
	s_or_b64 exec, exec, s[26:27]
	s_and_b64 s[30:31], s[12:13], s[18:19]
	s_and_saveexec_b64 s[26:27], s[30:31]
	s_cbranch_execz .LBB77_105
.LBB77_127:
	s_and_b64 vcc, exec, s[0:1]
	s_cbranch_vccnz .LBB77_129
; %bb.128:
	v_lshl_add_u64 v[80:81], v[74:75], 2, v[62:63]
	global_load_dword v80, v[80:81], off
	s_waitcnt vmcnt(0)
	v_mul_f32_e32 v80, s33, v80
	s_branch .LBB77_130
.LBB77_129:
	v_mov_b32_e32 v80, 0
.LBB77_130:
	v_pk_add_f32 v[82:83], v[12:13], v[56:57]
	s_nop 0
	v_min3_f32 v81, v82, v83, v133
	v_pk_add_f32 v[82:83], v[14:15], v[58:59]
	s_nop 0
	v_min_f32_e32 v82, v82, v83
	v_min3_f32 v82, v80, v82, v81
	v_lshl_add_u64 v[80:81], v[74:75], 2, v[60:61]
	global_store_dword v[80:81], v82, off
	s_or_b64 exec, exec, s[26:27]
	s_and_b64 s[30:31], s[14:15], s[18:19]
	s_and_saveexec_b64 s[26:27], s[30:31]
	s_cbranch_execz .LBB77_106
.LBB77_131:
	s_and_b64 vcc, exec, s[0:1]
	s_cbranch_vccnz .LBB77_133
; %bb.132:
	v_lshl_add_u64 v[80:81], v[76:77], 2, v[62:63]
	global_load_dword v80, v[80:81], off
	s_waitcnt vmcnt(0)
	v_mul_f32_e32 v80, s33, v80
	s_branch .LBB77_134
.LBB77_133:
	v_mov_b32_e32 v80, 0
.LBB77_134:
	v_pk_add_f32 v[82:83], v[8:9], v[56:57]
	s_nop 0
	v_min3_f32 v81, v82, v83, v131
	v_pk_add_f32 v[82:83], v[10:11], v[58:59]
	s_nop 0
	v_min_f32_e32 v82, v82, v83
	v_min3_f32 v82, v80, v82, v81
	v_lshl_add_u64 v[80:81], v[76:77], 2, v[60:61]
	global_store_dword v[80:81], v82, off
	s_or_b64 exec, exec, s[26:27]
	s_and_b64 s[26:27], s[16:17], s[18:19]
	s_and_saveexec_b64 s[18:19], s[26:27]
	s_cbranch_execz .LBB77_139
.LBB77_135:
	s_and_b64 vcc, exec, s[0:1]
	s_cbranch_vccnz .LBB77_137
; %bb.136:
	v_lshl_add_u64 v[62:63], v[78:79], 2, v[62:63]
	global_load_dword v62, v[62:63], off
	s_waitcnt vmcnt(0)
	v_mul_f32_e32 v62, s33, v62
	s_branch .LBB77_138
.LBB77_137:
	v_mov_b32_e32 v62, 0
.LBB77_138:
	v_pk_add_f32 v[56:57], v[0:1], v[56:57]
	s_nop 0
	v_min3_f32 v63, v56, v57, v136
	v_pk_add_f32 v[56:57], v[2:3], v[58:59]
	s_nop 0
	v_min_f32_e32 v56, v56, v57
	v_min3_f32 v58, v62, v56, v63
	v_lshl_add_u64 v[56:57], v[78:79], 2, v[60:61]
	global_store_dword v[56:57], v58, off
.LBB77_139:
	s_or_b64 exec, exec, s[18:19]
	v_add_u32_e32 v60, 64, v124
	v_mad_i64_i32 v[56:57], s[26:27], v60, s29, 0
	v_cmp_gt_i32_e64 s[18:19], s21, v60
	v_lshl_add_u64 v[58:59], v[56:57], 2, s[24:25]
	v_mad_i64_i32 v[56:57], s[26:27], v60, s28, 0
	v_lshl_add_u64 v[56:57], v[56:57], 2, s[22:23]
	s_and_b64 s[30:31], s[2:3], s[18:19]
	s_and_saveexec_b64 s[26:27], s[30:31]
	s_cbranch_execnz .LBB77_147
; %bb.140:
	s_or_b64 exec, exec, s[26:27]
	s_and_b64 s[30:31], s[4:5], s[18:19]
	s_and_saveexec_b64 s[26:27], s[30:31]
	s_cbranch_execnz .LBB77_151
.LBB77_141:
	s_or_b64 exec, exec, s[26:27]
	s_and_b64 s[30:31], s[6:7], s[18:19]
	s_and_saveexec_b64 s[26:27], s[30:31]
	s_cbranch_execnz .LBB77_155
.LBB77_142:
	s_or_b64 exec, exec, s[26:27]
	s_and_b64 s[30:31], s[8:9], s[18:19]
	s_and_saveexec_b64 s[26:27], s[30:31]
	s_cbranch_execnz .LBB77_159
.LBB77_143:
	s_or_b64 exec, exec, s[26:27]
	s_and_b64 s[30:31], s[10:11], s[18:19]
	s_and_saveexec_b64 s[26:27], s[30:31]
	s_cbranch_execnz .LBB77_163
.LBB77_144:
	s_or_b64 exec, exec, s[26:27]
	s_and_b64 s[30:31], s[12:13], s[18:19]
	s_and_saveexec_b64 s[26:27], s[30:31]
	s_cbranch_execnz .LBB77_167
.LBB77_145:
	s_or_b64 exec, exec, s[26:27]
	s_and_b64 s[30:31], s[14:15], s[18:19]
	s_and_saveexec_b64 s[26:27], s[30:31]
	s_cbranch_execnz .LBB77_171
.LBB77_146:
	s_or_b64 exec, exec, s[26:27]
	s_and_b64 s[26:27], s[16:17], s[18:19]
	s_and_saveexec_b64 s[18:19], s[26:27]
	s_cbranch_execnz .LBB77_175
	s_branch .LBB77_179
.LBB77_147:
	s_and_b64 vcc, exec, s[0:1]
	s_cbranch_vccnz .LBB77_149
; %bb.148:
	v_lshl_add_u64 v[60:61], v[64:65], 2, v[58:59]
	global_load_dword v60, v[60:61], off
	s_waitcnt vmcnt(0)
	v_mul_f32_e32 v60, s33, v60
	s_branch .LBB77_150
.LBB77_149:
	v_mov_b32_e32 v60, 0
.LBB77_150:
	v_pk_add_f32 v[62:63], v[32:33], v[52:53]
	s_nop 0
	v_min3_f32 v61, v62, v63, v134
	v_pk_add_f32 v[62:63], v[34:35], v[54:55]
	s_nop 0
	v_min_f32_e32 v62, v62, v63
	v_min3_f32 v62, v60, v62, v61
	v_lshl_add_u64 v[60:61], v[64:65], 2, v[56:57]
	global_store_dword v[60:61], v62, off
	s_or_b64 exec, exec, s[26:27]
	s_and_b64 s[30:31], s[4:5], s[18:19]
	s_and_saveexec_b64 s[26:27], s[30:31]
	s_cbranch_execz .LBB77_141
.LBB77_151:
	s_and_b64 vcc, exec, s[0:1]
	s_cbranch_vccnz .LBB77_153
; %bb.152:
	v_lshl_add_u64 v[60:61], v[66:67], 2, v[58:59]
	global_load_dword v60, v[60:61], off
	s_waitcnt vmcnt(0)
	v_mul_f32_e32 v60, s33, v60
	s_branch .LBB77_154
.LBB77_153:
	v_mov_b32_e32 v60, 0
.LBB77_154:
	v_pk_add_f32 v[62:63], v[28:29], v[52:53]
	s_nop 0
	v_min3_f32 v61, v62, v63, v132
	v_pk_add_f32 v[62:63], v[30:31], v[54:55]
	s_nop 0
	v_min_f32_e32 v62, v62, v63
	v_min3_f32 v62, v60, v62, v61
	v_lshl_add_u64 v[60:61], v[66:67], 2, v[56:57]
	global_store_dword v[60:61], v62, off
	s_or_b64 exec, exec, s[26:27]
	s_and_b64 s[30:31], s[6:7], s[18:19]
	s_and_saveexec_b64 s[26:27], s[30:31]
	s_cbranch_execz .LBB77_142
.LBB77_155:
	s_and_b64 vcc, exec, s[0:1]
	s_cbranch_vccnz .LBB77_157
; %bb.156:
	v_lshl_add_u64 v[60:61], v[68:69], 2, v[58:59]
	global_load_dword v60, v[60:61], off
	s_waitcnt vmcnt(0)
	v_mul_f32_e32 v60, s33, v60
	s_branch .LBB77_158
.LBB77_157:
	v_mov_b32_e32 v60, 0
.LBB77_158:
	v_pk_add_f32 v[62:63], v[24:25], v[52:53]
	s_nop 0
	v_min3_f32 v61, v62, v63, v130
	v_pk_add_f32 v[62:63], v[26:27], v[54:55]
	s_nop 0
	v_min_f32_e32 v62, v62, v63
	v_min3_f32 v62, v60, v62, v61
	v_lshl_add_u64 v[60:61], v[68:69], 2, v[56:57]
	global_store_dword v[60:61], v62, off
	s_or_b64 exec, exec, s[26:27]
	s_and_b64 s[30:31], s[8:9], s[18:19]
	s_and_saveexec_b64 s[26:27], s[30:31]
	s_cbranch_execz .LBB77_143
.LBB77_159:
	s_and_b64 vcc, exec, s[0:1]
	s_cbranch_vccnz .LBB77_161
; %bb.160:
	v_lshl_add_u64 v[60:61], v[70:71], 2, v[58:59]
	global_load_dword v60, v[60:61], off
	s_waitcnt vmcnt(0)
	v_mul_f32_e32 v60, s33, v60
	s_branch .LBB77_162
.LBB77_161:
	v_mov_b32_e32 v60, 0
.LBB77_162:
	v_pk_add_f32 v[62:63], v[20:21], v[52:53]
	s_nop 0
	v_min3_f32 v61, v62, v63, v129
	v_pk_add_f32 v[62:63], v[22:23], v[54:55]
	s_nop 0
	v_min_f32_e32 v62, v62, v63
	v_min3_f32 v62, v60, v62, v61
	v_lshl_add_u64 v[60:61], v[70:71], 2, v[56:57]
	global_store_dword v[60:61], v62, off
	s_or_b64 exec, exec, s[26:27]
	s_and_b64 s[30:31], s[10:11], s[18:19]
	s_and_saveexec_b64 s[26:27], s[30:31]
	s_cbranch_execz .LBB77_144
.LBB77_163:
	s_and_b64 vcc, exec, s[0:1]
	s_cbranch_vccnz .LBB77_165
; %bb.164:
	v_lshl_add_u64 v[60:61], v[72:73], 2, v[58:59]
	global_load_dword v60, v[60:61], off
	s_waitcnt vmcnt(0)
	v_mul_f32_e32 v60, s33, v60
	s_branch .LBB77_166
.LBB77_165:
	v_mov_b32_e32 v60, 0
.LBB77_166:
	v_pk_add_f32 v[62:63], v[16:17], v[52:53]
	s_nop 0
	v_min3_f32 v61, v62, v63, v128
	v_pk_add_f32 v[62:63], v[18:19], v[54:55]
	s_nop 0
	v_min_f32_e32 v62, v62, v63
	v_min3_f32 v62, v60, v62, v61
	v_lshl_add_u64 v[60:61], v[72:73], 2, v[56:57]
	global_store_dword v[60:61], v62, off
	s_or_b64 exec, exec, s[26:27]
	s_and_b64 s[30:31], s[12:13], s[18:19]
	s_and_saveexec_b64 s[26:27], s[30:31]
	s_cbranch_execz .LBB77_145
.LBB77_167:
	s_and_b64 vcc, exec, s[0:1]
	s_cbranch_vccnz .LBB77_169
; %bb.168:
	v_lshl_add_u64 v[60:61], v[74:75], 2, v[58:59]
	global_load_dword v60, v[60:61], off
	s_waitcnt vmcnt(0)
	v_mul_f32_e32 v60, s33, v60
	s_branch .LBB77_170
.LBB77_169:
	v_mov_b32_e32 v60, 0
.LBB77_170:
	v_pk_add_f32 v[62:63], v[12:13], v[52:53]
	s_nop 0
	v_min3_f32 v61, v62, v63, v127
	v_pk_add_f32 v[62:63], v[14:15], v[54:55]
	s_nop 0
	v_min_f32_e32 v62, v62, v63
	v_min3_f32 v62, v60, v62, v61
	v_lshl_add_u64 v[60:61], v[74:75], 2, v[56:57]
	global_store_dword v[60:61], v62, off
	s_or_b64 exec, exec, s[26:27]
	s_and_b64 s[30:31], s[14:15], s[18:19]
	s_and_saveexec_b64 s[26:27], s[30:31]
	s_cbranch_execz .LBB77_146
.LBB77_171:
	s_and_b64 vcc, exec, s[0:1]
	s_cbranch_vccnz .LBB77_173
; %bb.172:
	v_lshl_add_u64 v[60:61], v[76:77], 2, v[58:59]
	global_load_dword v60, v[60:61], off
	s_waitcnt vmcnt(0)
	v_mul_f32_e32 v60, s33, v60
	s_branch .LBB77_174
.LBB77_173:
	v_mov_b32_e32 v60, 0
.LBB77_174:
	v_pk_add_f32 v[62:63], v[8:9], v[52:53]
	s_nop 0
	v_min3_f32 v61, v62, v63, v126
	v_pk_add_f32 v[62:63], v[10:11], v[54:55]
	s_nop 0
	v_min_f32_e32 v62, v62, v63
	v_min3_f32 v62, v60, v62, v61
	v_lshl_add_u64 v[60:61], v[76:77], 2, v[56:57]
	global_store_dword v[60:61], v62, off
	s_or_b64 exec, exec, s[26:27]
	s_and_b64 s[26:27], s[16:17], s[18:19]
	s_and_saveexec_b64 s[18:19], s[26:27]
	s_cbranch_execz .LBB77_179
.LBB77_175:
	s_and_b64 vcc, exec, s[0:1]
	s_cbranch_vccnz .LBB77_177
; %bb.176:
	v_lshl_add_u64 v[58:59], v[78:79], 2, v[58:59]
	global_load_dword v58, v[58:59], off
	s_waitcnt vmcnt(0)
	v_mul_f32_e32 v58, s33, v58
	s_branch .LBB77_178
.LBB77_177:
	v_mov_b32_e32 v58, 0
.LBB77_178:
	v_pk_add_f32 v[52:53], v[0:1], v[52:53]
	s_nop 0
	v_min3_f32 v59, v52, v53, v125
	v_pk_add_f32 v[52:53], v[2:3], v[54:55]
	s_nop 0
	v_min_f32_e32 v52, v52, v53
	v_min3_f32 v54, v58, v52, v59
	v_lshl_add_u64 v[52:53], v[78:79], 2, v[56:57]
	global_store_dword v[52:53], v54, off
.LBB77_179:
	s_or_b64 exec, exec, s[18:19]
	v_add_u32_e32 v56, 0x60, v124
	v_mad_i64_i32 v[52:53], s[26:27], v56, s29, 0
	v_cmp_gt_i32_e64 s[18:19], s21, v56
	v_lshl_add_u64 v[54:55], v[52:53], 2, s[24:25]
	v_mad_i64_i32 v[52:53], s[26:27], v56, s28, 0
	v_lshl_add_u64 v[52:53], v[52:53], 2, s[22:23]
	s_and_b64 s[30:31], s[2:3], s[18:19]
	s_and_saveexec_b64 s[26:27], s[30:31]
	s_cbranch_execnz .LBB77_187
; %bb.180:
	s_or_b64 exec, exec, s[26:27]
	s_and_b64 s[30:31], s[4:5], s[18:19]
	s_and_saveexec_b64 s[26:27], s[30:31]
	s_cbranch_execnz .LBB77_191
.LBB77_181:
	s_or_b64 exec, exec, s[26:27]
	s_and_b64 s[30:31], s[6:7], s[18:19]
	s_and_saveexec_b64 s[26:27], s[30:31]
	s_cbranch_execnz .LBB77_195
.LBB77_182:
	s_or_b64 exec, exec, s[26:27]
	s_and_b64 s[30:31], s[8:9], s[18:19]
	s_and_saveexec_b64 s[26:27], s[30:31]
	s_cbranch_execnz .LBB77_199
.LBB77_183:
	s_or_b64 exec, exec, s[26:27]
	s_and_b64 s[30:31], s[10:11], s[18:19]
	s_and_saveexec_b64 s[26:27], s[30:31]
	s_cbranch_execnz .LBB77_203
.LBB77_184:
	s_or_b64 exec, exec, s[26:27]
	s_and_b64 s[30:31], s[12:13], s[18:19]
	s_and_saveexec_b64 s[26:27], s[30:31]
	s_cbranch_execnz .LBB77_207
.LBB77_185:
	s_or_b64 exec, exec, s[26:27]
	s_and_b64 s[30:31], s[14:15], s[18:19]
	s_and_saveexec_b64 s[26:27], s[30:31]
	s_cbranch_execnz .LBB77_211
.LBB77_186:
	s_or_b64 exec, exec, s[26:27]
	s_and_b64 s[26:27], s[16:17], s[18:19]
	s_and_saveexec_b64 s[18:19], s[26:27]
	s_cbranch_execnz .LBB77_215
	s_branch .LBB77_219
.LBB77_187:
	s_and_b64 vcc, exec, s[0:1]
	s_cbranch_vccnz .LBB77_189
; %bb.188:
	v_lshl_add_u64 v[56:57], v[64:65], 2, v[54:55]
	global_load_dword v56, v[56:57], off
	s_waitcnt vmcnt(0)
	v_mul_f32_e32 v56, s33, v56
	s_branch .LBB77_190
.LBB77_189:
	v_mov_b32_e32 v56, 0
.LBB77_190:
	v_pk_add_f32 v[58:59], v[32:33], v[48:49]
	s_nop 0
	v_min3_f32 v57, v58, v59, v123
	v_pk_add_f32 v[58:59], v[34:35], v[50:51]
	s_nop 0
	v_min_f32_e32 v58, v58, v59
	v_min3_f32 v58, v56, v58, v57
	v_lshl_add_u64 v[56:57], v[64:65], 2, v[52:53]
	global_store_dword v[56:57], v58, off
	s_or_b64 exec, exec, s[26:27]
	s_and_b64 s[30:31], s[4:5], s[18:19]
	s_and_saveexec_b64 s[26:27], s[30:31]
	s_cbranch_execz .LBB77_181
.LBB77_191:
	s_and_b64 vcc, exec, s[0:1]
	s_cbranch_vccnz .LBB77_193
; %bb.192:
	v_lshl_add_u64 v[56:57], v[66:67], 2, v[54:55]
	global_load_dword v56, v[56:57], off
	s_waitcnt vmcnt(0)
	v_mul_f32_e32 v56, s33, v56
	s_branch .LBB77_194
.LBB77_193:
	v_mov_b32_e32 v56, 0
.LBB77_194:
	v_pk_add_f32 v[58:59], v[28:29], v[48:49]
	s_nop 0
	v_min3_f32 v57, v58, v59, v122
	v_pk_add_f32 v[58:59], v[30:31], v[50:51]
	s_nop 0
	v_min_f32_e32 v58, v58, v59
	v_min3_f32 v58, v56, v58, v57
	v_lshl_add_u64 v[56:57], v[66:67], 2, v[52:53]
	global_store_dword v[56:57], v58, off
	s_or_b64 exec, exec, s[26:27]
	s_and_b64 s[30:31], s[6:7], s[18:19]
	s_and_saveexec_b64 s[26:27], s[30:31]
	s_cbranch_execz .LBB77_182
.LBB77_195:
	s_and_b64 vcc, exec, s[0:1]
	s_cbranch_vccnz .LBB77_197
; %bb.196:
	v_lshl_add_u64 v[56:57], v[68:69], 2, v[54:55]
	global_load_dword v56, v[56:57], off
	s_waitcnt vmcnt(0)
	v_mul_f32_e32 v56, s33, v56
	s_branch .LBB77_198
.LBB77_197:
	v_mov_b32_e32 v56, 0
.LBB77_198:
	v_pk_add_f32 v[58:59], v[24:25], v[48:49]
	s_nop 0
	v_min3_f32 v57, v58, v59, v121
	v_pk_add_f32 v[58:59], v[26:27], v[50:51]
	s_nop 0
	v_min_f32_e32 v58, v58, v59
	v_min3_f32 v58, v56, v58, v57
	v_lshl_add_u64 v[56:57], v[68:69], 2, v[52:53]
	global_store_dword v[56:57], v58, off
	s_or_b64 exec, exec, s[26:27]
	s_and_b64 s[30:31], s[8:9], s[18:19]
	s_and_saveexec_b64 s[26:27], s[30:31]
	s_cbranch_execz .LBB77_183
.LBB77_199:
	s_and_b64 vcc, exec, s[0:1]
	s_cbranch_vccnz .LBB77_201
; %bb.200:
	v_lshl_add_u64 v[56:57], v[70:71], 2, v[54:55]
	global_load_dword v56, v[56:57], off
	s_waitcnt vmcnt(0)
	v_mul_f32_e32 v56, s33, v56
	s_branch .LBB77_202
.LBB77_201:
	v_mov_b32_e32 v56, 0
.LBB77_202:
	v_pk_add_f32 v[58:59], v[20:21], v[48:49]
	s_nop 0
	v_min3_f32 v57, v58, v59, v120
	v_pk_add_f32 v[58:59], v[22:23], v[50:51]
	s_nop 0
	v_min_f32_e32 v58, v58, v59
	v_min3_f32 v58, v56, v58, v57
	v_lshl_add_u64 v[56:57], v[70:71], 2, v[52:53]
	global_store_dword v[56:57], v58, off
	s_or_b64 exec, exec, s[26:27]
	s_and_b64 s[30:31], s[10:11], s[18:19]
	s_and_saveexec_b64 s[26:27], s[30:31]
	s_cbranch_execz .LBB77_184
.LBB77_203:
	s_and_b64 vcc, exec, s[0:1]
	s_cbranch_vccnz .LBB77_205
; %bb.204:
	v_lshl_add_u64 v[56:57], v[72:73], 2, v[54:55]
	global_load_dword v56, v[56:57], off
	s_waitcnt vmcnt(0)
	v_mul_f32_e32 v56, s33, v56
	s_branch .LBB77_206
.LBB77_205:
	v_mov_b32_e32 v56, 0
.LBB77_206:
	v_pk_add_f32 v[58:59], v[16:17], v[48:49]
	s_nop 0
	v_min3_f32 v57, v58, v59, v119
	v_pk_add_f32 v[58:59], v[18:19], v[50:51]
	s_nop 0
	v_min_f32_e32 v58, v58, v59
	v_min3_f32 v58, v56, v58, v57
	v_lshl_add_u64 v[56:57], v[72:73], 2, v[52:53]
	global_store_dword v[56:57], v58, off
	s_or_b64 exec, exec, s[26:27]
	s_and_b64 s[30:31], s[12:13], s[18:19]
	s_and_saveexec_b64 s[26:27], s[30:31]
	s_cbranch_execz .LBB77_185
.LBB77_207:
	s_and_b64 vcc, exec, s[0:1]
	s_cbranch_vccnz .LBB77_209
; %bb.208:
	v_lshl_add_u64 v[56:57], v[74:75], 2, v[54:55]
	global_load_dword v56, v[56:57], off
	s_waitcnt vmcnt(0)
	v_mul_f32_e32 v56, s33, v56
	s_branch .LBB77_210
.LBB77_209:
	v_mov_b32_e32 v56, 0
.LBB77_210:
	v_pk_add_f32 v[58:59], v[12:13], v[48:49]
	s_nop 0
	v_min3_f32 v57, v58, v59, v118
	v_pk_add_f32 v[58:59], v[14:15], v[50:51]
	s_nop 0
	v_min_f32_e32 v58, v58, v59
	v_min3_f32 v58, v56, v58, v57
	v_lshl_add_u64 v[56:57], v[74:75], 2, v[52:53]
	global_store_dword v[56:57], v58, off
	s_or_b64 exec, exec, s[26:27]
	s_and_b64 s[30:31], s[14:15], s[18:19]
	s_and_saveexec_b64 s[26:27], s[30:31]
	s_cbranch_execz .LBB77_186
.LBB77_211:
	s_and_b64 vcc, exec, s[0:1]
	s_cbranch_vccnz .LBB77_213
; %bb.212:
	v_lshl_add_u64 v[56:57], v[76:77], 2, v[54:55]
	global_load_dword v56, v[56:57], off
	s_waitcnt vmcnt(0)
	v_mul_f32_e32 v56, s33, v56
	s_branch .LBB77_214
.LBB77_213:
	v_mov_b32_e32 v56, 0
.LBB77_214:
	v_pk_add_f32 v[58:59], v[8:9], v[48:49]
	s_nop 0
	v_min3_f32 v57, v58, v59, v117
	v_pk_add_f32 v[58:59], v[10:11], v[50:51]
	s_nop 0
	v_min_f32_e32 v58, v58, v59
	v_min3_f32 v58, v56, v58, v57
	v_lshl_add_u64 v[56:57], v[76:77], 2, v[52:53]
	global_store_dword v[56:57], v58, off
	s_or_b64 exec, exec, s[26:27]
	s_and_b64 s[26:27], s[16:17], s[18:19]
	s_and_saveexec_b64 s[18:19], s[26:27]
	s_cbranch_execz .LBB77_219
.LBB77_215:
	s_and_b64 vcc, exec, s[0:1]
	s_cbranch_vccnz .LBB77_217
; %bb.216:
	v_lshl_add_u64 v[54:55], v[78:79], 2, v[54:55]
	global_load_dword v54, v[54:55], off
	s_waitcnt vmcnt(0)
	v_mul_f32_e32 v54, s33, v54
	s_branch .LBB77_218
.LBB77_217:
	v_mov_b32_e32 v54, 0
.LBB77_218:
	v_pk_add_f32 v[48:49], v[0:1], v[48:49]
	s_nop 0
	v_min3_f32 v55, v48, v49, v116
	v_pk_add_f32 v[48:49], v[2:3], v[50:51]
	s_nop 0
	v_min_f32_e32 v48, v48, v49
	v_min3_f32 v50, v54, v48, v55
	v_lshl_add_u64 v[48:49], v[78:79], 2, v[52:53]
	global_store_dword v[48:49], v50, off
.LBB77_219:
	s_or_b64 exec, exec, s[18:19]
	v_add_u32_e32 v52, 0x80, v124
	v_mad_i64_i32 v[48:49], s[26:27], v52, s29, 0
	v_cmp_gt_i32_e64 s[18:19], s21, v52
	v_lshl_add_u64 v[50:51], v[48:49], 2, s[24:25]
	v_mad_i64_i32 v[48:49], s[26:27], v52, s28, 0
	v_lshl_add_u64 v[48:49], v[48:49], 2, s[22:23]
	s_and_b64 s[30:31], s[2:3], s[18:19]
	s_and_saveexec_b64 s[26:27], s[30:31]
	s_cbranch_execnz .LBB77_227
; %bb.220:
	s_or_b64 exec, exec, s[26:27]
	s_and_b64 s[30:31], s[4:5], s[18:19]
	s_and_saveexec_b64 s[26:27], s[30:31]
	s_cbranch_execnz .LBB77_231
.LBB77_221:
	s_or_b64 exec, exec, s[26:27]
	s_and_b64 s[30:31], s[6:7], s[18:19]
	s_and_saveexec_b64 s[26:27], s[30:31]
	s_cbranch_execnz .LBB77_235
.LBB77_222:
	s_or_b64 exec, exec, s[26:27]
	s_and_b64 s[30:31], s[8:9], s[18:19]
	s_and_saveexec_b64 s[26:27], s[30:31]
	s_cbranch_execnz .LBB77_239
.LBB77_223:
	s_or_b64 exec, exec, s[26:27]
	s_and_b64 s[30:31], s[10:11], s[18:19]
	s_and_saveexec_b64 s[26:27], s[30:31]
	s_cbranch_execnz .LBB77_243
.LBB77_224:
	s_or_b64 exec, exec, s[26:27]
	s_and_b64 s[30:31], s[12:13], s[18:19]
	s_and_saveexec_b64 s[26:27], s[30:31]
	s_cbranch_execnz .LBB77_247
.LBB77_225:
	s_or_b64 exec, exec, s[26:27]
	s_and_b64 s[30:31], s[14:15], s[18:19]
	s_and_saveexec_b64 s[26:27], s[30:31]
	s_cbranch_execnz .LBB77_251
.LBB77_226:
	s_or_b64 exec, exec, s[26:27]
	s_and_b64 s[26:27], s[16:17], s[18:19]
	s_and_saveexec_b64 s[18:19], s[26:27]
	s_cbranch_execnz .LBB77_255
	s_branch .LBB77_259
.LBB77_227:
	s_and_b64 vcc, exec, s[0:1]
	s_cbranch_vccnz .LBB77_229
; %bb.228:
	v_lshl_add_u64 v[52:53], v[64:65], 2, v[50:51]
	global_load_dword v52, v[52:53], off
	s_waitcnt vmcnt(0)
	v_mul_f32_e32 v52, s33, v52
	s_branch .LBB77_230
.LBB77_229:
	v_mov_b32_e32 v52, 0
.LBB77_230:
	v_pk_add_f32 v[54:55], v[32:33], v[44:45]
	s_nop 0
	v_min3_f32 v53, v54, v55, v115
	v_pk_add_f32 v[54:55], v[34:35], v[46:47]
	s_nop 0
	v_min_f32_e32 v54, v54, v55
	v_min3_f32 v54, v52, v54, v53
	v_lshl_add_u64 v[52:53], v[64:65], 2, v[48:49]
	global_store_dword v[52:53], v54, off
	s_or_b64 exec, exec, s[26:27]
	s_and_b64 s[30:31], s[4:5], s[18:19]
	s_and_saveexec_b64 s[26:27], s[30:31]
	s_cbranch_execz .LBB77_221
.LBB77_231:
	s_and_b64 vcc, exec, s[0:1]
	s_cbranch_vccnz .LBB77_233
; %bb.232:
	v_lshl_add_u64 v[52:53], v[66:67], 2, v[50:51]
	global_load_dword v52, v[52:53], off
	s_waitcnt vmcnt(0)
	v_mul_f32_e32 v52, s33, v52
	s_branch .LBB77_234
.LBB77_233:
	v_mov_b32_e32 v52, 0
.LBB77_234:
	v_pk_add_f32 v[54:55], v[28:29], v[44:45]
	s_nop 0
	v_min3_f32 v53, v54, v55, v114
	v_pk_add_f32 v[54:55], v[30:31], v[46:47]
	s_nop 0
	v_min_f32_e32 v54, v54, v55
	v_min3_f32 v54, v52, v54, v53
	v_lshl_add_u64 v[52:53], v[66:67], 2, v[48:49]
	global_store_dword v[52:53], v54, off
	s_or_b64 exec, exec, s[26:27]
	s_and_b64 s[30:31], s[6:7], s[18:19]
	s_and_saveexec_b64 s[26:27], s[30:31]
	s_cbranch_execz .LBB77_222
.LBB77_235:
	s_and_b64 vcc, exec, s[0:1]
	s_cbranch_vccnz .LBB77_237
; %bb.236:
	v_lshl_add_u64 v[52:53], v[68:69], 2, v[50:51]
	global_load_dword v52, v[52:53], off
	s_waitcnt vmcnt(0)
	v_mul_f32_e32 v52, s33, v52
	s_branch .LBB77_238
.LBB77_237:
	v_mov_b32_e32 v52, 0
.LBB77_238:
	v_pk_add_f32 v[54:55], v[24:25], v[44:45]
	s_nop 0
	v_min3_f32 v53, v54, v55, v113
	v_pk_add_f32 v[54:55], v[26:27], v[46:47]
	s_nop 0
	v_min_f32_e32 v54, v54, v55
	v_min3_f32 v54, v52, v54, v53
	v_lshl_add_u64 v[52:53], v[68:69], 2, v[48:49]
	global_store_dword v[52:53], v54, off
	s_or_b64 exec, exec, s[26:27]
	s_and_b64 s[30:31], s[8:9], s[18:19]
	s_and_saveexec_b64 s[26:27], s[30:31]
	s_cbranch_execz .LBB77_223
.LBB77_239:
	s_and_b64 vcc, exec, s[0:1]
	s_cbranch_vccnz .LBB77_241
; %bb.240:
	v_lshl_add_u64 v[52:53], v[70:71], 2, v[50:51]
	global_load_dword v52, v[52:53], off
	s_waitcnt vmcnt(0)
	v_mul_f32_e32 v52, s33, v52
	s_branch .LBB77_242
.LBB77_241:
	v_mov_b32_e32 v52, 0
.LBB77_242:
	v_pk_add_f32 v[54:55], v[20:21], v[44:45]
	s_nop 0
	v_min3_f32 v53, v54, v55, v112
	v_pk_add_f32 v[54:55], v[22:23], v[46:47]
	s_nop 0
	v_min_f32_e32 v54, v54, v55
	v_min3_f32 v54, v52, v54, v53
	v_lshl_add_u64 v[52:53], v[70:71], 2, v[48:49]
	global_store_dword v[52:53], v54, off
	s_or_b64 exec, exec, s[26:27]
	s_and_b64 s[30:31], s[10:11], s[18:19]
	s_and_saveexec_b64 s[26:27], s[30:31]
	s_cbranch_execz .LBB77_224
.LBB77_243:
	s_and_b64 vcc, exec, s[0:1]
	s_cbranch_vccnz .LBB77_245
; %bb.244:
	v_lshl_add_u64 v[52:53], v[72:73], 2, v[50:51]
	global_load_dword v52, v[52:53], off
	s_waitcnt vmcnt(0)
	v_mul_f32_e32 v52, s33, v52
	s_branch .LBB77_246
.LBB77_245:
	v_mov_b32_e32 v52, 0
.LBB77_246:
	v_pk_add_f32 v[54:55], v[16:17], v[44:45]
	s_nop 0
	v_min3_f32 v53, v54, v55, v111
	v_pk_add_f32 v[54:55], v[18:19], v[46:47]
	s_nop 0
	v_min_f32_e32 v54, v54, v55
	v_min3_f32 v54, v52, v54, v53
	v_lshl_add_u64 v[52:53], v[72:73], 2, v[48:49]
	global_store_dword v[52:53], v54, off
	s_or_b64 exec, exec, s[26:27]
	s_and_b64 s[30:31], s[12:13], s[18:19]
	s_and_saveexec_b64 s[26:27], s[30:31]
	s_cbranch_execz .LBB77_225
.LBB77_247:
	s_and_b64 vcc, exec, s[0:1]
	s_cbranch_vccnz .LBB77_249
; %bb.248:
	v_lshl_add_u64 v[52:53], v[74:75], 2, v[50:51]
	global_load_dword v52, v[52:53], off
	s_waitcnt vmcnt(0)
	v_mul_f32_e32 v52, s33, v52
	s_branch .LBB77_250
.LBB77_249:
	v_mov_b32_e32 v52, 0
.LBB77_250:
	v_pk_add_f32 v[54:55], v[12:13], v[44:45]
	s_nop 0
	v_min3_f32 v53, v54, v55, v110
	v_pk_add_f32 v[54:55], v[14:15], v[46:47]
	s_nop 0
	v_min_f32_e32 v54, v54, v55
	v_min3_f32 v54, v52, v54, v53
	v_lshl_add_u64 v[52:53], v[74:75], 2, v[48:49]
	global_store_dword v[52:53], v54, off
	s_or_b64 exec, exec, s[26:27]
	s_and_b64 s[30:31], s[14:15], s[18:19]
	s_and_saveexec_b64 s[26:27], s[30:31]
	s_cbranch_execz .LBB77_226
.LBB77_251:
	s_and_b64 vcc, exec, s[0:1]
	s_cbranch_vccnz .LBB77_253
; %bb.252:
	v_lshl_add_u64 v[52:53], v[76:77], 2, v[50:51]
	global_load_dword v52, v[52:53], off
	s_waitcnt vmcnt(0)
	v_mul_f32_e32 v52, s33, v52
	s_branch .LBB77_254
.LBB77_253:
	v_mov_b32_e32 v52, 0
.LBB77_254:
	v_pk_add_f32 v[54:55], v[8:9], v[44:45]
	s_nop 0
	v_min3_f32 v53, v54, v55, v109
	v_pk_add_f32 v[54:55], v[10:11], v[46:47]
	s_nop 0
	v_min_f32_e32 v54, v54, v55
	v_min3_f32 v54, v52, v54, v53
	v_lshl_add_u64 v[52:53], v[76:77], 2, v[48:49]
	global_store_dword v[52:53], v54, off
	s_or_b64 exec, exec, s[26:27]
	s_and_b64 s[26:27], s[16:17], s[18:19]
	s_and_saveexec_b64 s[18:19], s[26:27]
	s_cbranch_execz .LBB77_259
.LBB77_255:
	s_and_b64 vcc, exec, s[0:1]
	s_cbranch_vccnz .LBB77_257
; %bb.256:
	v_lshl_add_u64 v[50:51], v[78:79], 2, v[50:51]
	global_load_dword v50, v[50:51], off
	s_waitcnt vmcnt(0)
	v_mul_f32_e32 v50, s33, v50
	s_branch .LBB77_258
.LBB77_257:
	v_mov_b32_e32 v50, 0
.LBB77_258:
	v_pk_add_f32 v[44:45], v[0:1], v[44:45]
	s_nop 0
	v_min3_f32 v51, v44, v45, v108
	v_pk_add_f32 v[44:45], v[2:3], v[46:47]
	s_nop 0
	v_min_f32_e32 v44, v44, v45
	v_min3_f32 v46, v50, v44, v51
	v_lshl_add_u64 v[44:45], v[78:79], 2, v[48:49]
	global_store_dword v[44:45], v46, off
.LBB77_259:
	s_or_b64 exec, exec, s[18:19]
	v_add_u32_e32 v48, 0xa0, v124
	v_mad_i64_i32 v[44:45], s[26:27], v48, s29, 0
	v_cmp_gt_i32_e64 s[18:19], s21, v48
	v_lshl_add_u64 v[46:47], v[44:45], 2, s[24:25]
	v_mad_i64_i32 v[44:45], s[26:27], v48, s28, 0
	v_lshl_add_u64 v[44:45], v[44:45], 2, s[22:23]
	s_and_b64 s[30:31], s[2:3], s[18:19]
	s_and_saveexec_b64 s[26:27], s[30:31]
	s_cbranch_execnz .LBB77_267
; %bb.260:
	s_or_b64 exec, exec, s[26:27]
	s_and_b64 s[30:31], s[4:5], s[18:19]
	s_and_saveexec_b64 s[26:27], s[30:31]
	s_cbranch_execnz .LBB77_271
.LBB77_261:
	s_or_b64 exec, exec, s[26:27]
	s_and_b64 s[30:31], s[6:7], s[18:19]
	s_and_saveexec_b64 s[26:27], s[30:31]
	s_cbranch_execnz .LBB77_275
.LBB77_262:
	s_or_b64 exec, exec, s[26:27]
	s_and_b64 s[30:31], s[8:9], s[18:19]
	s_and_saveexec_b64 s[26:27], s[30:31]
	s_cbranch_execnz .LBB77_279
.LBB77_263:
	s_or_b64 exec, exec, s[26:27]
	s_and_b64 s[30:31], s[10:11], s[18:19]
	s_and_saveexec_b64 s[26:27], s[30:31]
	s_cbranch_execnz .LBB77_283
.LBB77_264:
	s_or_b64 exec, exec, s[26:27]
	s_and_b64 s[30:31], s[12:13], s[18:19]
	s_and_saveexec_b64 s[26:27], s[30:31]
	s_cbranch_execnz .LBB77_287
.LBB77_265:
	s_or_b64 exec, exec, s[26:27]
	s_and_b64 s[30:31], s[14:15], s[18:19]
	s_and_saveexec_b64 s[26:27], s[30:31]
	s_cbranch_execnz .LBB77_291
.LBB77_266:
	s_or_b64 exec, exec, s[26:27]
	s_and_b64 s[26:27], s[16:17], s[18:19]
	s_and_saveexec_b64 s[18:19], s[26:27]
	s_cbranch_execnz .LBB77_295
	s_branch .LBB77_299
.LBB77_267:
	s_and_b64 vcc, exec, s[0:1]
	s_cbranch_vccnz .LBB77_269
; %bb.268:
	v_lshl_add_u64 v[48:49], v[64:65], 2, v[46:47]
	global_load_dword v48, v[48:49], off
	s_waitcnt vmcnt(0)
	v_mul_f32_e32 v48, s33, v48
	s_branch .LBB77_270
.LBB77_269:
	v_mov_b32_e32 v48, 0
.LBB77_270:
	v_pk_add_f32 v[50:51], v[32:33], v[40:41]
	s_nop 0
	v_min3_f32 v49, v50, v51, v107
	v_pk_add_f32 v[50:51], v[34:35], v[42:43]
	s_nop 0
	v_min_f32_e32 v50, v50, v51
	v_min3_f32 v50, v48, v50, v49
	v_lshl_add_u64 v[48:49], v[64:65], 2, v[44:45]
	global_store_dword v[48:49], v50, off
	s_or_b64 exec, exec, s[26:27]
	s_and_b64 s[30:31], s[4:5], s[18:19]
	s_and_saveexec_b64 s[26:27], s[30:31]
	s_cbranch_execz .LBB77_261
.LBB77_271:
	s_and_b64 vcc, exec, s[0:1]
	s_cbranch_vccnz .LBB77_273
; %bb.272:
	v_lshl_add_u64 v[48:49], v[66:67], 2, v[46:47]
	global_load_dword v48, v[48:49], off
	s_waitcnt vmcnt(0)
	v_mul_f32_e32 v48, s33, v48
	s_branch .LBB77_274
.LBB77_273:
	v_mov_b32_e32 v48, 0
.LBB77_274:
	v_pk_add_f32 v[50:51], v[28:29], v[40:41]
	s_nop 0
	v_min3_f32 v49, v50, v51, v106
	v_pk_add_f32 v[50:51], v[30:31], v[42:43]
	s_nop 0
	v_min_f32_e32 v50, v50, v51
	v_min3_f32 v50, v48, v50, v49
	v_lshl_add_u64 v[48:49], v[66:67], 2, v[44:45]
	global_store_dword v[48:49], v50, off
	s_or_b64 exec, exec, s[26:27]
	s_and_b64 s[30:31], s[6:7], s[18:19]
	s_and_saveexec_b64 s[26:27], s[30:31]
	s_cbranch_execz .LBB77_262
.LBB77_275:
	s_and_b64 vcc, exec, s[0:1]
	s_cbranch_vccnz .LBB77_277
; %bb.276:
	v_lshl_add_u64 v[48:49], v[68:69], 2, v[46:47]
	global_load_dword v48, v[48:49], off
	s_waitcnt vmcnt(0)
	v_mul_f32_e32 v48, s33, v48
	s_branch .LBB77_278
.LBB77_277:
	v_mov_b32_e32 v48, 0
.LBB77_278:
	v_pk_add_f32 v[50:51], v[24:25], v[40:41]
	s_nop 0
	v_min3_f32 v49, v50, v51, v105
	v_pk_add_f32 v[50:51], v[26:27], v[42:43]
	s_nop 0
	v_min_f32_e32 v50, v50, v51
	v_min3_f32 v50, v48, v50, v49
	v_lshl_add_u64 v[48:49], v[68:69], 2, v[44:45]
	global_store_dword v[48:49], v50, off
	s_or_b64 exec, exec, s[26:27]
	s_and_b64 s[30:31], s[8:9], s[18:19]
	s_and_saveexec_b64 s[26:27], s[30:31]
	s_cbranch_execz .LBB77_263
.LBB77_279:
	s_and_b64 vcc, exec, s[0:1]
	s_cbranch_vccnz .LBB77_281
; %bb.280:
	v_lshl_add_u64 v[48:49], v[70:71], 2, v[46:47]
	global_load_dword v48, v[48:49], off
	s_waitcnt vmcnt(0)
	v_mul_f32_e32 v48, s33, v48
	s_branch .LBB77_282
.LBB77_281:
	v_mov_b32_e32 v48, 0
.LBB77_282:
	v_pk_add_f32 v[50:51], v[20:21], v[40:41]
	s_nop 0
	v_min3_f32 v49, v50, v51, v104
	v_pk_add_f32 v[50:51], v[22:23], v[42:43]
	s_nop 0
	v_min_f32_e32 v50, v50, v51
	v_min3_f32 v50, v48, v50, v49
	v_lshl_add_u64 v[48:49], v[70:71], 2, v[44:45]
	global_store_dword v[48:49], v50, off
	s_or_b64 exec, exec, s[26:27]
	s_and_b64 s[30:31], s[10:11], s[18:19]
	s_and_saveexec_b64 s[26:27], s[30:31]
	s_cbranch_execz .LBB77_264
.LBB77_283:
	s_and_b64 vcc, exec, s[0:1]
	s_cbranch_vccnz .LBB77_285
; %bb.284:
	v_lshl_add_u64 v[48:49], v[72:73], 2, v[46:47]
	global_load_dword v48, v[48:49], off
	s_waitcnt vmcnt(0)
	v_mul_f32_e32 v48, s33, v48
	s_branch .LBB77_286
.LBB77_285:
	v_mov_b32_e32 v48, 0
.LBB77_286:
	v_pk_add_f32 v[50:51], v[16:17], v[40:41]
	s_nop 0
	v_min3_f32 v49, v50, v51, v103
	v_pk_add_f32 v[50:51], v[18:19], v[42:43]
	s_nop 0
	v_min_f32_e32 v50, v50, v51
	v_min3_f32 v50, v48, v50, v49
	v_lshl_add_u64 v[48:49], v[72:73], 2, v[44:45]
	global_store_dword v[48:49], v50, off
	s_or_b64 exec, exec, s[26:27]
	s_and_b64 s[30:31], s[12:13], s[18:19]
	s_and_saveexec_b64 s[26:27], s[30:31]
	s_cbranch_execz .LBB77_265
.LBB77_287:
	s_and_b64 vcc, exec, s[0:1]
	s_cbranch_vccnz .LBB77_289
; %bb.288:
	v_lshl_add_u64 v[48:49], v[74:75], 2, v[46:47]
	global_load_dword v48, v[48:49], off
	s_waitcnt vmcnt(0)
	v_mul_f32_e32 v48, s33, v48
	s_branch .LBB77_290
.LBB77_289:
	v_mov_b32_e32 v48, 0
.LBB77_290:
	v_pk_add_f32 v[50:51], v[12:13], v[40:41]
	s_nop 0
	v_min3_f32 v49, v50, v51, v102
	v_pk_add_f32 v[50:51], v[14:15], v[42:43]
	s_nop 0
	v_min_f32_e32 v50, v50, v51
	v_min3_f32 v50, v48, v50, v49
	v_lshl_add_u64 v[48:49], v[74:75], 2, v[44:45]
	global_store_dword v[48:49], v50, off
	s_or_b64 exec, exec, s[26:27]
	s_and_b64 s[30:31], s[14:15], s[18:19]
	s_and_saveexec_b64 s[26:27], s[30:31]
	s_cbranch_execz .LBB77_266
.LBB77_291:
	s_and_b64 vcc, exec, s[0:1]
	s_cbranch_vccnz .LBB77_293
; %bb.292:
	v_lshl_add_u64 v[48:49], v[76:77], 2, v[46:47]
	global_load_dword v48, v[48:49], off
	s_waitcnt vmcnt(0)
	v_mul_f32_e32 v48, s33, v48
	s_branch .LBB77_294
.LBB77_293:
	v_mov_b32_e32 v48, 0
.LBB77_294:
	v_pk_add_f32 v[50:51], v[8:9], v[40:41]
	s_nop 0
	v_min3_f32 v49, v50, v51, v101
	v_pk_add_f32 v[50:51], v[10:11], v[42:43]
	s_nop 0
	v_min_f32_e32 v50, v50, v51
	v_min3_f32 v50, v48, v50, v49
	v_lshl_add_u64 v[48:49], v[76:77], 2, v[44:45]
	global_store_dword v[48:49], v50, off
	s_or_b64 exec, exec, s[26:27]
	s_and_b64 s[26:27], s[16:17], s[18:19]
	s_and_saveexec_b64 s[18:19], s[26:27]
	s_cbranch_execz .LBB77_299
.LBB77_295:
	s_and_b64 vcc, exec, s[0:1]
	s_cbranch_vccnz .LBB77_297
; %bb.296:
	v_lshl_add_u64 v[46:47], v[78:79], 2, v[46:47]
	global_load_dword v46, v[46:47], off
	s_waitcnt vmcnt(0)
	v_mul_f32_e32 v46, s33, v46
	s_branch .LBB77_298
.LBB77_297:
	v_mov_b32_e32 v46, 0
.LBB77_298:
	v_pk_add_f32 v[40:41], v[0:1], v[40:41]
	s_nop 0
	v_min3_f32 v47, v40, v41, v100
	v_pk_add_f32 v[40:41], v[2:3], v[42:43]
	s_nop 0
	v_min_f32_e32 v40, v40, v41
	v_min3_f32 v42, v46, v40, v47
	v_lshl_add_u64 v[40:41], v[78:79], 2, v[44:45]
	global_store_dword v[40:41], v42, off
.LBB77_299:
	s_or_b64 exec, exec, s[18:19]
	v_add_u32_e32 v44, 0xc0, v124
	v_mad_i64_i32 v[40:41], s[26:27], v44, s29, 0
	v_cmp_gt_i32_e64 s[18:19], s21, v44
	v_lshl_add_u64 v[42:43], v[40:41], 2, s[24:25]
	v_mad_i64_i32 v[40:41], s[26:27], v44, s28, 0
	v_lshl_add_u64 v[40:41], v[40:41], 2, s[22:23]
	s_and_b64 s[30:31], s[2:3], s[18:19]
	s_and_saveexec_b64 s[26:27], s[30:31]
	s_cbranch_execnz .LBB77_307
; %bb.300:
	s_or_b64 exec, exec, s[26:27]
	s_and_b64 s[30:31], s[4:5], s[18:19]
	s_and_saveexec_b64 s[26:27], s[30:31]
	s_cbranch_execnz .LBB77_311
.LBB77_301:
	s_or_b64 exec, exec, s[26:27]
	s_and_b64 s[30:31], s[6:7], s[18:19]
	s_and_saveexec_b64 s[26:27], s[30:31]
	s_cbranch_execnz .LBB77_315
.LBB77_302:
	s_or_b64 exec, exec, s[26:27]
	s_and_b64 s[30:31], s[8:9], s[18:19]
	s_and_saveexec_b64 s[26:27], s[30:31]
	s_cbranch_execnz .LBB77_319
.LBB77_303:
	s_or_b64 exec, exec, s[26:27]
	s_and_b64 s[30:31], s[10:11], s[18:19]
	s_and_saveexec_b64 s[26:27], s[30:31]
	s_cbranch_execnz .LBB77_323
.LBB77_304:
	s_or_b64 exec, exec, s[26:27]
	s_and_b64 s[30:31], s[12:13], s[18:19]
	s_and_saveexec_b64 s[26:27], s[30:31]
	s_cbranch_execnz .LBB77_327
.LBB77_305:
	s_or_b64 exec, exec, s[26:27]
	s_and_b64 s[30:31], s[14:15], s[18:19]
	s_and_saveexec_b64 s[26:27], s[30:31]
	s_cbranch_execnz .LBB77_331
.LBB77_306:
	s_or_b64 exec, exec, s[26:27]
	s_and_b64 s[26:27], s[16:17], s[18:19]
	s_and_saveexec_b64 s[18:19], s[26:27]
	s_cbranch_execnz .LBB77_335
	s_branch .LBB77_339
.LBB77_307:
	s_and_b64 vcc, exec, s[0:1]
	s_cbranch_vccnz .LBB77_309
; %bb.308:
	v_lshl_add_u64 v[44:45], v[64:65], 2, v[42:43]
	global_load_dword v44, v[44:45], off
	s_waitcnt vmcnt(0)
	v_mul_f32_e32 v44, s33, v44
	s_branch .LBB77_310
.LBB77_309:
	v_mov_b32_e32 v44, 0
.LBB77_310:
	v_pk_add_f32 v[46:47], v[32:33], v[36:37]
	s_nop 0
	v_min3_f32 v45, v46, v47, v99
	v_pk_add_f32 v[46:47], v[34:35], v[38:39]
	s_nop 0
	v_min_f32_e32 v46, v46, v47
	v_min3_f32 v46, v44, v46, v45
	v_lshl_add_u64 v[44:45], v[64:65], 2, v[40:41]
	global_store_dword v[44:45], v46, off
	s_or_b64 exec, exec, s[26:27]
	s_and_b64 s[30:31], s[4:5], s[18:19]
	s_and_saveexec_b64 s[26:27], s[30:31]
	s_cbranch_execz .LBB77_301
.LBB77_311:
	s_and_b64 vcc, exec, s[0:1]
	s_cbranch_vccnz .LBB77_313
; %bb.312:
	v_lshl_add_u64 v[44:45], v[66:67], 2, v[42:43]
	global_load_dword v44, v[44:45], off
	s_waitcnt vmcnt(0)
	v_mul_f32_e32 v44, s33, v44
	s_branch .LBB77_314
.LBB77_313:
	v_mov_b32_e32 v44, 0
.LBB77_314:
	v_pk_add_f32 v[46:47], v[28:29], v[36:37]
	s_nop 0
	v_min3_f32 v45, v46, v47, v98
	v_pk_add_f32 v[46:47], v[30:31], v[38:39]
	s_nop 0
	v_min_f32_e32 v46, v46, v47
	v_min3_f32 v46, v44, v46, v45
	v_lshl_add_u64 v[44:45], v[66:67], 2, v[40:41]
	global_store_dword v[44:45], v46, off
	s_or_b64 exec, exec, s[26:27]
	s_and_b64 s[30:31], s[6:7], s[18:19]
	s_and_saveexec_b64 s[26:27], s[30:31]
	s_cbranch_execz .LBB77_302
.LBB77_315:
	s_and_b64 vcc, exec, s[0:1]
	s_cbranch_vccnz .LBB77_317
; %bb.316:
	v_lshl_add_u64 v[44:45], v[68:69], 2, v[42:43]
	global_load_dword v44, v[44:45], off
	s_waitcnt vmcnt(0)
	v_mul_f32_e32 v44, s33, v44
	s_branch .LBB77_318
.LBB77_317:
	v_mov_b32_e32 v44, 0
.LBB77_318:
	v_pk_add_f32 v[46:47], v[24:25], v[36:37]
	s_nop 0
	v_min3_f32 v45, v46, v47, v97
	v_pk_add_f32 v[46:47], v[26:27], v[38:39]
	s_nop 0
	v_min_f32_e32 v46, v46, v47
	v_min3_f32 v46, v44, v46, v45
	v_lshl_add_u64 v[44:45], v[68:69], 2, v[40:41]
	global_store_dword v[44:45], v46, off
	s_or_b64 exec, exec, s[26:27]
	s_and_b64 s[30:31], s[8:9], s[18:19]
	s_and_saveexec_b64 s[26:27], s[30:31]
	s_cbranch_execz .LBB77_303
.LBB77_319:
	s_and_b64 vcc, exec, s[0:1]
	s_cbranch_vccnz .LBB77_321
; %bb.320:
	v_lshl_add_u64 v[44:45], v[70:71], 2, v[42:43]
	global_load_dword v44, v[44:45], off
	s_waitcnt vmcnt(0)
	v_mul_f32_e32 v44, s33, v44
	s_branch .LBB77_322
.LBB77_321:
	v_mov_b32_e32 v44, 0
.LBB77_322:
	v_pk_add_f32 v[46:47], v[20:21], v[36:37]
	s_nop 0
	v_min3_f32 v45, v46, v47, v96
	v_pk_add_f32 v[46:47], v[22:23], v[38:39]
	s_nop 0
	v_min_f32_e32 v46, v46, v47
	v_min3_f32 v46, v44, v46, v45
	v_lshl_add_u64 v[44:45], v[70:71], 2, v[40:41]
	global_store_dword v[44:45], v46, off
	s_or_b64 exec, exec, s[26:27]
	s_and_b64 s[30:31], s[10:11], s[18:19]
	s_and_saveexec_b64 s[26:27], s[30:31]
	s_cbranch_execz .LBB77_304
.LBB77_323:
	s_and_b64 vcc, exec, s[0:1]
	s_cbranch_vccnz .LBB77_325
; %bb.324:
	v_lshl_add_u64 v[44:45], v[72:73], 2, v[42:43]
	global_load_dword v44, v[44:45], off
	s_waitcnt vmcnt(0)
	v_mul_f32_e32 v44, s33, v44
	s_branch .LBB77_326
.LBB77_325:
	v_mov_b32_e32 v44, 0
.LBB77_326:
	v_pk_add_f32 v[46:47], v[16:17], v[36:37]
	s_nop 0
	v_min3_f32 v45, v46, v47, v95
	v_pk_add_f32 v[46:47], v[18:19], v[38:39]
	s_nop 0
	v_min_f32_e32 v46, v46, v47
	v_min3_f32 v46, v44, v46, v45
	v_lshl_add_u64 v[44:45], v[72:73], 2, v[40:41]
	global_store_dword v[44:45], v46, off
	s_or_b64 exec, exec, s[26:27]
	s_and_b64 s[30:31], s[12:13], s[18:19]
	s_and_saveexec_b64 s[26:27], s[30:31]
	s_cbranch_execz .LBB77_305
.LBB77_327:
	s_and_b64 vcc, exec, s[0:1]
	s_cbranch_vccnz .LBB77_329
; %bb.328:
	v_lshl_add_u64 v[44:45], v[74:75], 2, v[42:43]
	global_load_dword v44, v[44:45], off
	s_waitcnt vmcnt(0)
	v_mul_f32_e32 v44, s33, v44
	s_branch .LBB77_330
.LBB77_329:
	v_mov_b32_e32 v44, 0
.LBB77_330:
	v_pk_add_f32 v[46:47], v[12:13], v[36:37]
	s_nop 0
	v_min3_f32 v45, v46, v47, v94
	v_pk_add_f32 v[46:47], v[14:15], v[38:39]
	s_nop 0
	v_min_f32_e32 v46, v46, v47
	v_min3_f32 v46, v44, v46, v45
	v_lshl_add_u64 v[44:45], v[74:75], 2, v[40:41]
	global_store_dword v[44:45], v46, off
	s_or_b64 exec, exec, s[26:27]
	s_and_b64 s[30:31], s[14:15], s[18:19]
	s_and_saveexec_b64 s[26:27], s[30:31]
	s_cbranch_execz .LBB77_306
.LBB77_331:
	s_and_b64 vcc, exec, s[0:1]
	s_cbranch_vccnz .LBB77_333
; %bb.332:
	v_lshl_add_u64 v[44:45], v[76:77], 2, v[42:43]
	global_load_dword v44, v[44:45], off
	s_waitcnt vmcnt(0)
	v_mul_f32_e32 v44, s33, v44
	s_branch .LBB77_334
.LBB77_333:
	v_mov_b32_e32 v44, 0
.LBB77_334:
	v_pk_add_f32 v[46:47], v[8:9], v[36:37]
	s_nop 0
	v_min3_f32 v45, v46, v47, v93
	v_pk_add_f32 v[46:47], v[10:11], v[38:39]
	s_nop 0
	v_min_f32_e32 v46, v46, v47
	v_min3_f32 v46, v44, v46, v45
	v_lshl_add_u64 v[44:45], v[76:77], 2, v[40:41]
	global_store_dword v[44:45], v46, off
	s_or_b64 exec, exec, s[26:27]
	s_and_b64 s[26:27], s[16:17], s[18:19]
	s_and_saveexec_b64 s[18:19], s[26:27]
	s_cbranch_execz .LBB77_339
.LBB77_335:
	s_and_b64 vcc, exec, s[0:1]
	s_cbranch_vccnz .LBB77_337
; %bb.336:
	v_lshl_add_u64 v[42:43], v[78:79], 2, v[42:43]
	global_load_dword v42, v[42:43], off
	s_waitcnt vmcnt(0)
	v_mul_f32_e32 v42, s33, v42
	s_branch .LBB77_338
.LBB77_337:
	v_mov_b32_e32 v42, 0
.LBB77_338:
	v_pk_add_f32 v[36:37], v[0:1], v[36:37]
	s_nop 0
	v_min3_f32 v43, v36, v37, v92
	v_pk_add_f32 v[36:37], v[2:3], v[38:39]
	s_nop 0
	v_min_f32_e32 v36, v36, v37
	v_min3_f32 v38, v42, v36, v43
	v_lshl_add_u64 v[36:37], v[78:79], 2, v[40:41]
	global_store_dword v[36:37], v38, off
.LBB77_339:
	s_or_b64 exec, exec, s[18:19]
	v_add_u32_e32 v40, 0xe0, v124
	v_cmp_gt_i32_e64 s[18:19], s21, v40
	v_mad_i64_i32 v[36:37], s[20:21], v40, s29, 0
	v_lshl_add_u64 v[38:39], v[36:37], 2, s[24:25]
	v_mad_i64_i32 v[36:37], s[20:21], v40, s28, 0
	v_lshl_add_u64 v[36:37], v[36:37], 2, s[22:23]
	s_and_b64 s[20:21], s[2:3], s[18:19]
	s_and_saveexec_b64 s[2:3], s[20:21]
	s_cbranch_execnz .LBB77_348
; %bb.340:
	s_or_b64 exec, exec, s[2:3]
	s_and_b64 s[4:5], s[4:5], s[18:19]
	s_and_saveexec_b64 s[2:3], s[4:5]
	s_cbranch_execnz .LBB77_352
.LBB77_341:
	s_or_b64 exec, exec, s[2:3]
	s_and_b64 s[4:5], s[6:7], s[18:19]
	s_and_saveexec_b64 s[2:3], s[4:5]
	s_cbranch_execnz .LBB77_356
.LBB77_342:
	s_or_b64 exec, exec, s[2:3]
	s_and_b64 s[4:5], s[8:9], s[18:19]
	s_and_saveexec_b64 s[2:3], s[4:5]
	s_cbranch_execnz .LBB77_360
.LBB77_343:
	s_or_b64 exec, exec, s[2:3]
	s_and_b64 s[4:5], s[10:11], s[18:19]
	s_and_saveexec_b64 s[2:3], s[4:5]
	s_cbranch_execnz .LBB77_364
.LBB77_344:
	s_or_b64 exec, exec, s[2:3]
	s_and_b64 s[4:5], s[12:13], s[18:19]
	s_and_saveexec_b64 s[2:3], s[4:5]
	s_cbranch_execnz .LBB77_368
.LBB77_345:
	s_or_b64 exec, exec, s[2:3]
	s_and_b64 s[4:5], s[14:15], s[18:19]
	s_and_saveexec_b64 s[2:3], s[4:5]
	s_cbranch_execnz .LBB77_372
.LBB77_346:
	s_or_b64 exec, exec, s[2:3]
	s_and_b64 s[2:3], s[16:17], s[18:19]
	s_and_saveexec_b64 s[4:5], s[2:3]
	s_cbranch_execnz .LBB77_376
.LBB77_347:
	s_endpgm
.LBB77_348:
	s_and_b64 vcc, exec, s[0:1]
	s_cbranch_vccnz .LBB77_350
; %bb.349:
	v_lshl_add_u64 v[40:41], v[64:65], 2, v[38:39]
	global_load_dword v40, v[40:41], off
	s_waitcnt vmcnt(0)
	v_mul_f32_e32 v40, s33, v40
	s_branch .LBB77_351
.LBB77_350:
	v_mov_b32_e32 v40, 0
.LBB77_351:
	v_pk_add_f32 v[32:33], v[32:33], v[4:5]
	s_nop 0
	v_min3_f32 v41, v32, v33, v91
	v_pk_add_f32 v[32:33], v[34:35], v[6:7]
	s_nop 0
	v_min_f32_e32 v32, v32, v33
	v_min3_f32 v34, v40, v32, v41
	v_lshl_add_u64 v[32:33], v[64:65], 2, v[36:37]
	global_store_dword v[32:33], v34, off
	s_or_b64 exec, exec, s[2:3]
	s_and_b64 s[4:5], s[4:5], s[18:19]
	s_and_saveexec_b64 s[2:3], s[4:5]
	s_cbranch_execz .LBB77_341
.LBB77_352:
	s_and_b64 vcc, exec, s[0:1]
	s_cbranch_vccnz .LBB77_354
; %bb.353:
	v_lshl_add_u64 v[32:33], v[66:67], 2, v[38:39]
	global_load_dword v32, v[32:33], off
	s_waitcnt vmcnt(0)
	v_mul_f32_e32 v32, s33, v32
	s_branch .LBB77_355
.LBB77_354:
	v_mov_b32_e32 v32, 0
.LBB77_355:
	v_pk_add_f32 v[28:29], v[28:29], v[4:5]
	s_nop 0
	v_min3_f32 v33, v28, v29, v90
	v_pk_add_f32 v[28:29], v[30:31], v[6:7]
	s_nop 0
	v_min_f32_e32 v28, v28, v29
	v_min3_f32 v30, v32, v28, v33
	v_lshl_add_u64 v[28:29], v[66:67], 2, v[36:37]
	global_store_dword v[28:29], v30, off
	s_or_b64 exec, exec, s[2:3]
	s_and_b64 s[4:5], s[6:7], s[18:19]
	s_and_saveexec_b64 s[2:3], s[4:5]
	s_cbranch_execz .LBB77_342
.LBB77_356:
	s_and_b64 vcc, exec, s[0:1]
	s_cbranch_vccnz .LBB77_358
; %bb.357:
	v_lshl_add_u64 v[28:29], v[68:69], 2, v[38:39]
	global_load_dword v28, v[28:29], off
	s_waitcnt vmcnt(0)
	v_mul_f32_e32 v28, s33, v28
	s_branch .LBB77_359
.LBB77_358:
	v_mov_b32_e32 v28, 0
.LBB77_359:
	v_pk_add_f32 v[24:25], v[24:25], v[4:5]
	s_nop 0
	v_min3_f32 v29, v24, v25, v89
	v_pk_add_f32 v[24:25], v[26:27], v[6:7]
	s_nop 0
	v_min_f32_e32 v24, v24, v25
	v_min3_f32 v26, v28, v24, v29
	v_lshl_add_u64 v[24:25], v[68:69], 2, v[36:37]
	global_store_dword v[24:25], v26, off
	s_or_b64 exec, exec, s[2:3]
	s_and_b64 s[4:5], s[8:9], s[18:19]
	s_and_saveexec_b64 s[2:3], s[4:5]
	s_cbranch_execz .LBB77_343
.LBB77_360:
	s_and_b64 vcc, exec, s[0:1]
	s_cbranch_vccnz .LBB77_362
; %bb.361:
	v_lshl_add_u64 v[24:25], v[70:71], 2, v[38:39]
	global_load_dword v24, v[24:25], off
	s_waitcnt vmcnt(0)
	v_mul_f32_e32 v24, s33, v24
	s_branch .LBB77_363
.LBB77_362:
	v_mov_b32_e32 v24, 0
.LBB77_363:
	v_pk_add_f32 v[20:21], v[20:21], v[4:5]
	s_nop 0
	v_min3_f32 v25, v20, v21, v87
	v_pk_add_f32 v[20:21], v[22:23], v[6:7]
	s_nop 0
	v_min_f32_e32 v20, v20, v21
	v_min3_f32 v22, v24, v20, v25
	v_lshl_add_u64 v[20:21], v[70:71], 2, v[36:37]
	global_store_dword v[20:21], v22, off
	s_or_b64 exec, exec, s[2:3]
	s_and_b64 s[4:5], s[10:11], s[18:19]
	s_and_saveexec_b64 s[2:3], s[4:5]
	s_cbranch_execz .LBB77_344
.LBB77_364:
	s_and_b64 vcc, exec, s[0:1]
	s_cbranch_vccnz .LBB77_366
; %bb.365:
	v_lshl_add_u64 v[20:21], v[72:73], 2, v[38:39]
	global_load_dword v20, v[20:21], off
	s_waitcnt vmcnt(0)
	v_mul_f32_e32 v20, s33, v20
	s_branch .LBB77_367
.LBB77_366:
	v_mov_b32_e32 v20, 0
.LBB77_367:
	v_pk_add_f32 v[16:17], v[16:17], v[4:5]
	s_nop 0
	v_min3_f32 v21, v16, v17, v86
	v_pk_add_f32 v[16:17], v[18:19], v[6:7]
	s_nop 0
	v_min_f32_e32 v16, v16, v17
	v_min3_f32 v18, v20, v16, v21
	v_lshl_add_u64 v[16:17], v[72:73], 2, v[36:37]
	global_store_dword v[16:17], v18, off
	s_or_b64 exec, exec, s[2:3]
	s_and_b64 s[4:5], s[12:13], s[18:19]
	s_and_saveexec_b64 s[2:3], s[4:5]
	s_cbranch_execz .LBB77_345
.LBB77_368:
	s_and_b64 vcc, exec, s[0:1]
	s_cbranch_vccnz .LBB77_370
; %bb.369:
	v_lshl_add_u64 v[16:17], v[74:75], 2, v[38:39]
	global_load_dword v16, v[16:17], off
	s_waitcnt vmcnt(0)
	v_mul_f32_e32 v16, s33, v16
	s_branch .LBB77_371
.LBB77_370:
	v_mov_b32_e32 v16, 0
.LBB77_371:
	v_pk_add_f32 v[12:13], v[12:13], v[4:5]
	s_nop 0
	v_min3_f32 v17, v12, v13, v85
	v_pk_add_f32 v[12:13], v[14:15], v[6:7]
	s_nop 0
	v_min_f32_e32 v12, v12, v13
	v_min3_f32 v14, v16, v12, v17
	v_lshl_add_u64 v[12:13], v[74:75], 2, v[36:37]
	global_store_dword v[12:13], v14, off
	s_or_b64 exec, exec, s[2:3]
	s_and_b64 s[4:5], s[14:15], s[18:19]
	s_and_saveexec_b64 s[2:3], s[4:5]
	s_cbranch_execz .LBB77_346
.LBB77_372:
	s_and_b64 vcc, exec, s[0:1]
	s_cbranch_vccnz .LBB77_374
; %bb.373:
	v_lshl_add_u64 v[12:13], v[76:77], 2, v[38:39]
	global_load_dword v12, v[12:13], off
	s_waitcnt vmcnt(0)
	v_mul_f32_e32 v12, s33, v12
	s_branch .LBB77_375
.LBB77_374:
	v_mov_b32_e32 v12, 0
.LBB77_375:
	v_pk_add_f32 v[8:9], v[8:9], v[4:5]
	s_nop 0
	v_min3_f32 v13, v8, v9, v84
	v_pk_add_f32 v[8:9], v[10:11], v[6:7]
	s_nop 0
	v_min_f32_e32 v8, v8, v9
	v_min3_f32 v10, v12, v8, v13
	v_lshl_add_u64 v[8:9], v[76:77], 2, v[36:37]
	global_store_dword v[8:9], v10, off
	s_or_b64 exec, exec, s[2:3]
	s_and_b64 s[2:3], s[16:17], s[18:19]
	s_and_saveexec_b64 s[4:5], s[2:3]
	s_cbranch_execz .LBB77_347
.LBB77_376:
	s_and_b64 vcc, exec, s[0:1]
	s_cbranch_vccnz .LBB77_378
; %bb.377:
	v_lshl_add_u64 v[8:9], v[78:79], 2, v[38:39]
	global_load_dword v8, v[8:9], off
	s_waitcnt vmcnt(0)
	v_mul_f32_e32 v8, s33, v8
	s_branch .LBB77_379
.LBB77_378:
	v_mov_b32_e32 v8, 0
.LBB77_379:
	v_pk_add_f32 v[0:1], v[0:1], v[4:5]
	s_nop 0
	v_min3_f32 v4, v0, v1, v88
	v_pk_add_f32 v[0:1], v[2:3], v[6:7]
	s_nop 0
	v_min_f32_e32 v0, v0, v1
	v_min3_f32 v2, v8, v0, v4
	v_lshl_add_u64 v[0:1], v[78:79], 2, v[36:37]
	global_store_dword v[0:1], v2, off
	s_endpgm
	.section	.rodata,"a",@progbits
	.p2align	6, 0x0
	.amdhsa_kernel _ZN12_GLOBAL__N_120geam_min_plus_kernelIf15HIP_vector_typeIfLj2EEfLi8ELi32ELi64ELi256ELi4ELi4ELi64ELi64ELi4ELc84ELc84ELb0ELb1ELb1EfKffEEviiiT16_PT17_ilS6_ilS4_S6_ilPT18_ili26rocblas_geam_ex_operation_
		.amdhsa_group_segment_fixed_size 10240
		.amdhsa_private_segment_fixed_size 0
		.amdhsa_kernarg_size 128
		.amdhsa_user_sgpr_count 2
		.amdhsa_user_sgpr_dispatch_ptr 0
		.amdhsa_user_sgpr_queue_ptr 0
		.amdhsa_user_sgpr_kernarg_segment_ptr 1
		.amdhsa_user_sgpr_dispatch_id 0
		.amdhsa_user_sgpr_kernarg_preload_length 0
		.amdhsa_user_sgpr_kernarg_preload_offset 0
		.amdhsa_user_sgpr_private_segment_size 0
		.amdhsa_uses_dynamic_stack 0
		.amdhsa_enable_private_segment 0
		.amdhsa_system_sgpr_workgroup_id_x 1
		.amdhsa_system_sgpr_workgroup_id_y 0
		.amdhsa_system_sgpr_workgroup_id_z 1
		.amdhsa_system_sgpr_workgroup_info 0
		.amdhsa_system_vgpr_workitem_id 1
		.amdhsa_next_free_vgpr 157
		.amdhsa_next_free_sgpr 42
		.amdhsa_accum_offset 160
		.amdhsa_reserve_vcc 1
		.amdhsa_float_round_mode_32 0
		.amdhsa_float_round_mode_16_64 0
		.amdhsa_float_denorm_mode_32 3
		.amdhsa_float_denorm_mode_16_64 3
		.amdhsa_dx10_clamp 1
		.amdhsa_ieee_mode 1
		.amdhsa_fp16_overflow 0
		.amdhsa_tg_split 0
		.amdhsa_exception_fp_ieee_invalid_op 0
		.amdhsa_exception_fp_denorm_src 0
		.amdhsa_exception_fp_ieee_div_zero 0
		.amdhsa_exception_fp_ieee_overflow 0
		.amdhsa_exception_fp_ieee_underflow 0
		.amdhsa_exception_fp_ieee_inexact 0
		.amdhsa_exception_int_div_zero 0
	.end_amdhsa_kernel
	.section	.text._ZN12_GLOBAL__N_120geam_min_plus_kernelIf15HIP_vector_typeIfLj2EEfLi8ELi32ELi64ELi256ELi4ELi4ELi64ELi64ELi4ELc84ELc84ELb0ELb1ELb1EfKffEEviiiT16_PT17_ilS6_ilS4_S6_ilPT18_ili26rocblas_geam_ex_operation_,"axG",@progbits,_ZN12_GLOBAL__N_120geam_min_plus_kernelIf15HIP_vector_typeIfLj2EEfLi8ELi32ELi64ELi256ELi4ELi4ELi64ELi64ELi4ELc84ELc84ELb0ELb1ELb1EfKffEEviiiT16_PT17_ilS6_ilS4_S6_ilPT18_ili26rocblas_geam_ex_operation_,comdat
.Lfunc_end77:
	.size	_ZN12_GLOBAL__N_120geam_min_plus_kernelIf15HIP_vector_typeIfLj2EEfLi8ELi32ELi64ELi256ELi4ELi4ELi64ELi64ELi4ELc84ELc84ELb0ELb1ELb1EfKffEEviiiT16_PT17_ilS6_ilS4_S6_ilPT18_ili26rocblas_geam_ex_operation_, .Lfunc_end77-_ZN12_GLOBAL__N_120geam_min_plus_kernelIf15HIP_vector_typeIfLj2EEfLi8ELi32ELi64ELi256ELi4ELi4ELi64ELi64ELi4ELc84ELc84ELb0ELb1ELb1EfKffEEviiiT16_PT17_ilS6_ilS4_S6_ilPT18_ili26rocblas_geam_ex_operation_
                                        ; -- End function
	.set _ZN12_GLOBAL__N_120geam_min_plus_kernelIf15HIP_vector_typeIfLj2EEfLi8ELi32ELi64ELi256ELi4ELi4ELi64ELi64ELi4ELc84ELc84ELb0ELb1ELb1EfKffEEviiiT16_PT17_ilS6_ilS4_S6_ilPT18_ili26rocblas_geam_ex_operation_.num_vgpr, 157
	.set _ZN12_GLOBAL__N_120geam_min_plus_kernelIf15HIP_vector_typeIfLj2EEfLi8ELi32ELi64ELi256ELi4ELi4ELi64ELi64ELi4ELc84ELc84ELb0ELb1ELb1EfKffEEviiiT16_PT17_ilS6_ilS4_S6_ilPT18_ili26rocblas_geam_ex_operation_.num_agpr, 0
	.set _ZN12_GLOBAL__N_120geam_min_plus_kernelIf15HIP_vector_typeIfLj2EEfLi8ELi32ELi64ELi256ELi4ELi4ELi64ELi64ELi4ELc84ELc84ELb0ELb1ELb1EfKffEEviiiT16_PT17_ilS6_ilS4_S6_ilPT18_ili26rocblas_geam_ex_operation_.numbered_sgpr, 42
	.set _ZN12_GLOBAL__N_120geam_min_plus_kernelIf15HIP_vector_typeIfLj2EEfLi8ELi32ELi64ELi256ELi4ELi4ELi64ELi64ELi4ELc84ELc84ELb0ELb1ELb1EfKffEEviiiT16_PT17_ilS6_ilS4_S6_ilPT18_ili26rocblas_geam_ex_operation_.num_named_barrier, 0
	.set _ZN12_GLOBAL__N_120geam_min_plus_kernelIf15HIP_vector_typeIfLj2EEfLi8ELi32ELi64ELi256ELi4ELi4ELi64ELi64ELi4ELc84ELc84ELb0ELb1ELb1EfKffEEviiiT16_PT17_ilS6_ilS4_S6_ilPT18_ili26rocblas_geam_ex_operation_.private_seg_size, 0
	.set _ZN12_GLOBAL__N_120geam_min_plus_kernelIf15HIP_vector_typeIfLj2EEfLi8ELi32ELi64ELi256ELi4ELi4ELi64ELi64ELi4ELc84ELc84ELb0ELb1ELb1EfKffEEviiiT16_PT17_ilS6_ilS4_S6_ilPT18_ili26rocblas_geam_ex_operation_.uses_vcc, 1
	.set _ZN12_GLOBAL__N_120geam_min_plus_kernelIf15HIP_vector_typeIfLj2EEfLi8ELi32ELi64ELi256ELi4ELi4ELi64ELi64ELi4ELc84ELc84ELb0ELb1ELb1EfKffEEviiiT16_PT17_ilS6_ilS4_S6_ilPT18_ili26rocblas_geam_ex_operation_.uses_flat_scratch, 0
	.set _ZN12_GLOBAL__N_120geam_min_plus_kernelIf15HIP_vector_typeIfLj2EEfLi8ELi32ELi64ELi256ELi4ELi4ELi64ELi64ELi4ELc84ELc84ELb0ELb1ELb1EfKffEEviiiT16_PT17_ilS6_ilS4_S6_ilPT18_ili26rocblas_geam_ex_operation_.has_dyn_sized_stack, 0
	.set _ZN12_GLOBAL__N_120geam_min_plus_kernelIf15HIP_vector_typeIfLj2EEfLi8ELi32ELi64ELi256ELi4ELi4ELi64ELi64ELi4ELc84ELc84ELb0ELb1ELb1EfKffEEviiiT16_PT17_ilS6_ilS4_S6_ilPT18_ili26rocblas_geam_ex_operation_.has_recursion, 0
	.set _ZN12_GLOBAL__N_120geam_min_plus_kernelIf15HIP_vector_typeIfLj2EEfLi8ELi32ELi64ELi256ELi4ELi4ELi64ELi64ELi4ELc84ELc84ELb0ELb1ELb1EfKffEEviiiT16_PT17_ilS6_ilS4_S6_ilPT18_ili26rocblas_geam_ex_operation_.has_indirect_call, 0
	.section	.AMDGPU.csdata,"",@progbits
; Kernel info:
; codeLenInByte = 18712
; TotalNumSgprs: 48
; NumVgprs: 157
; NumAgprs: 0
; TotalNumVgprs: 157
; ScratchSize: 0
; MemoryBound: 0
; FloatMode: 240
; IeeeMode: 1
; LDSByteSize: 10240 bytes/workgroup (compile time only)
; SGPRBlocks: 5
; VGPRBlocks: 19
; NumSGPRsForWavesPerEU: 48
; NumVGPRsForWavesPerEU: 157
; AccumOffset: 160
; Occupancy: 3
; WaveLimiterHint : 0
; COMPUTE_PGM_RSRC2:SCRATCH_EN: 0
; COMPUTE_PGM_RSRC2:USER_SGPR: 2
; COMPUTE_PGM_RSRC2:TRAP_HANDLER: 0
; COMPUTE_PGM_RSRC2:TGID_X_EN: 1
; COMPUTE_PGM_RSRC2:TGID_Y_EN: 0
; COMPUTE_PGM_RSRC2:TGID_Z_EN: 1
; COMPUTE_PGM_RSRC2:TIDIG_COMP_CNT: 1
; COMPUTE_PGM_RSRC3_GFX90A:ACCUM_OFFSET: 39
; COMPUTE_PGM_RSRC3_GFX90A:TG_SPLIT: 0
	.section	.text._ZN12_GLOBAL__N_120geam_min_plus_kernelIf15HIP_vector_typeIfLj2EES2_Li8ELi32ELi64ELi128ELi4ELi64ELi4ELi4ELi64ELc78ELc78ELb0ELb0ELb0EPKfS3_fEEviiiT16_PT17_ilS7_ilS5_S7_ilPT18_ili26rocblas_geam_ex_operation_,"axG",@progbits,_ZN12_GLOBAL__N_120geam_min_plus_kernelIf15HIP_vector_typeIfLj2EES2_Li8ELi32ELi64ELi128ELi4ELi64ELi4ELi4ELi64ELc78ELc78ELb0ELb0ELb0EPKfS3_fEEviiiT16_PT17_ilS7_ilS5_S7_ilPT18_ili26rocblas_geam_ex_operation_,comdat
	.globl	_ZN12_GLOBAL__N_120geam_min_plus_kernelIf15HIP_vector_typeIfLj2EES2_Li8ELi32ELi64ELi128ELi4ELi64ELi4ELi4ELi64ELc78ELc78ELb0ELb0ELb0EPKfS3_fEEviiiT16_PT17_ilS7_ilS5_S7_ilPT18_ili26rocblas_geam_ex_operation_ ; -- Begin function _ZN12_GLOBAL__N_120geam_min_plus_kernelIf15HIP_vector_typeIfLj2EES2_Li8ELi32ELi64ELi128ELi4ELi64ELi4ELi4ELi64ELc78ELc78ELb0ELb0ELb0EPKfS3_fEEviiiT16_PT17_ilS7_ilS5_S7_ilPT18_ili26rocblas_geam_ex_operation_
	.p2align	8
	.type	_ZN12_GLOBAL__N_120geam_min_plus_kernelIf15HIP_vector_typeIfLj2EES2_Li8ELi32ELi64ELi128ELi4ELi64ELi4ELi4ELi64ELc78ELc78ELb0ELb0ELb0EPKfS3_fEEviiiT16_PT17_ilS7_ilS5_S7_ilPT18_ili26rocblas_geam_ex_operation_,@function
_ZN12_GLOBAL__N_120geam_min_plus_kernelIf15HIP_vector_typeIfLj2EES2_Li8ELi32ELi64ELi128ELi4ELi64ELi4ELi4ELi64ELc78ELc78ELb0ELb0ELb0EPKfS3_fEEviiiT16_PT17_ilS7_ilS5_S7_ilPT18_ili26rocblas_geam_ex_operation_: ; @_ZN12_GLOBAL__N_120geam_min_plus_kernelIf15HIP_vector_typeIfLj2EES2_Li8ELi32ELi64ELi128ELi4ELi64ELi4ELi4ELi64ELc78ELc78ELb0ELb0ELb0EPKfS3_fEEviiiT16_PT17_ilS7_ilS5_S7_ilPT18_ili26rocblas_geam_ex_operation_
; %bb.0:
	s_load_dwordx4 s[4:7], s[0:1], 0x10
	s_load_dwordx4 s[8:11], s[0:1], 0x28
	;; [unrolled: 1-line block ×3, first 2 shown]
	s_mov_b32 s16, s3
	s_mov_b32 s17, 0
	s_lshl_b64 s[20:21], s[16:17], 2
	s_waitcnt lgkmcnt(0)
	s_add_u32 s4, s4, s20
	s_addc_u32 s5, s5, s21
	s_load_dword s18, s[4:5], 0x0
	s_load_dwordx2 s[24:25], s[0:1], 0x50
	s_add_u32 s14, s14, s20
	s_addc_u32 s15, s15, s21
	s_mov_b64 s[20:21], 0
	s_waitcnt lgkmcnt(0)
	v_cmp_eq_f32_e64 s[4:5], s18, 0
	s_and_b64 s[4:5], exec, s[4:5]
	v_cmp_neq_f32_e64 s[26:27], s18, 0
	s_mov_b64 s[22:23], 0
	s_mov_b64 vcc, s[4:5]
	s_cbranch_vccnz .LBB78_2
; %bb.1:
	s_mul_i32 s3, s9, s16
	s_mul_hi_u32 s9, s8, s16
	s_add_i32 s9, s9, s3
	s_mul_i32 s8, s8, s16
	s_lshl_b64 s[8:9], s[8:9], 2
	s_add_u32 s22, s6, s8
	s_addc_u32 s23, s7, s9
.LBB78_2:
	s_load_dword s17, s[14:15], 0x0
	v_cndmask_b32_e64 v1, 0, 1, s[26:27]
	v_cmp_ne_u32_e64 s[6:7], 1, v1
	s_andn2_b64 vcc, exec, s[26:27]
	s_cbranch_vccnz .LBB78_4
; %bb.3:
	s_mul_i32 s3, s13, s16
	s_mul_hi_u32 s8, s12, s16
	s_add_i32 s9, s8, s3
	s_mul_i32 s8, s12, s16
	s_lshl_b64 s[8:9], s[8:9], 2
	s_add_u32 s20, s10, s8
	s_addc_u32 s21, s11, s9
.LBB78_4:
	s_load_dwordx4 s[12:15], s[0:1], 0x60
	s_waitcnt lgkmcnt(0)
	v_cmp_eq_f32_e64 s[8:9], s17, 0
	s_and_b64 s[8:9], exec, s[8:9]
	s_mov_b64 vcc, s[8:9]
	s_cbranch_vccnz .LBB78_6
; %bb.5:
	s_mul_i32 s3, s13, s16
	s_mul_hi_u32 s10, s12, s16
	s_add_i32 s11, s10, s3
	s_mul_i32 s10, s12, s16
	s_lshl_b64 s[10:11], s[10:11], 2
	s_add_u32 s10, s24, s10
	s_addc_u32 s11, s25, s11
	s_branch .LBB78_7
.LBB78_6:
	s_mov_b64 s[10:11], 0
.LBB78_7:
	s_load_dword s3, s[0:1], 0x0
	s_load_dword s24, s[0:1], 0x20
	;; [unrolled: 1-line block ×3, first 2 shown]
	v_and_b32_e32 v80, 0x3ff, v0
	v_bfe_u32 v81, v0, 10, 10
	s_waitcnt lgkmcnt(0)
	s_add_i32 s3, s3, -1
	s_ashr_i32 s12, s3, 31
	s_lshr_b32 s12, s12, 26
	s_add_i32 s3, s3, s12
	s_ashr_i32 s3, s3, 6
	s_add_i32 s12, s3, 1
	v_cvt_f32_u32_e32 v1, s12
	v_and_b32_e32 v82, 3, v0
	s_not_b32 s3, s3
	s_ashr_i32 s25, s24, 31
	v_rcp_iflag_f32_e32 v0, v1
	v_lshl_add_u32 v1, v81, 3, v80
	v_and_b32_e32 v2, 63, v1
	v_lshrrev_b32_e32 v74, 2, v1
	v_mul_f32_e32 v0, 0x4f7ffffe, v0
	v_cvt_u32_f32_e32 v0, v0
	v_lshrrev_b32_e32 v83, 6, v1
	v_mov_b32_e32 v77, 0
	v_lshlrev_b32_e32 v70, 2, v82
	v_readfirstlane_b32 s13, v0
	s_mul_i32 s3, s3, s13
	s_mul_hi_u32 s3, s13, s3
	s_add_i32 s13, s13, s3
	s_mul_hi_u32 s3, s2, s13
	s_mul_i32 s13, s3, s12
	s_sub_i32 s13, s2, s13
	s_add_i32 s26, s3, 1
	s_sub_i32 s27, s13, s12
	s_cmp_ge_u32 s13, s12
	s_cselect_b32 s3, s26, s3
	s_cselect_b32 s13, s27, s13
	s_add_i32 s26, s3, 1
	s_cmp_ge_u32 s13, s12
	s_cselect_b32 s3, s26, s3
	s_mul_i32 s12, s3, s12
	s_sub_i32 s2, s2, s12
	s_lshl_b32 s12, s2, 6
	s_lshl_b32 s13, s3, 7
	v_or_b32_e32 v68, s12, v2
	v_add_u32_e32 v75, s13, v74
	s_and_b64 vcc, exec, s[6:7]
	v_ashrrev_i32_e32 v69, 31, v68
	v_add_u32_e32 v76, 64, v75
	v_mov_b32_e32 v3, 0
	v_mov_b32_e32 v0, 0
	;; [unrolled: 1-line block ×3, first 2 shown]
	s_cbranch_vccnz .LBB78_9
; %bb.8:
	v_mad_i64_i32 v[0:1], s[2:3], s24, v83, 0
	v_mov_b32_e32 v71, 0
	v_lshl_add_u64 v[0:1], v[0:1], 2, s[22:23]
	v_lshl_add_u64 v[4:5], s[20:21], 0, v[70:71]
	v_mad_i64_i32 v[6:7], s[2:3], v75, s19, 0
	v_lshl_add_u64 v[0:1], v[68:69], 2, v[0:1]
	v_lshl_add_u64 v[6:7], v[6:7], 2, v[4:5]
	v_mad_i64_i32 v[8:9], s[2:3], v76, s19, 0
	global_load_dword v0, v[0:1], off
	v_lshl_add_u64 v[4:5], v[8:9], 2, v[4:5]
	global_load_dword v3, v[6:7], off
	global_load_dword v1, v[4:5], off
	s_waitcnt vmcnt(1)
	v_mul_f32_e32 v3, s18, v3
	s_waitcnt vmcnt(0)
	v_pk_mul_f32 v[0:1], s[18:19], v[0:1] op_sel_hi:[0,1]
.LBB78_9:
	s_and_b64 vcc, exec, s[6:7]
	v_add_u32_e32 v84, 4, v83
	v_mov_b32_e32 v72, 0
	v_mov_b32_e32 v73, 0
	s_cbranch_vccnz .LBB78_11
; %bb.10:
	v_mad_i64_i32 v[4:5], s[2:3], s24, v84, 0
	v_mov_b32_e32 v71, 0
	v_lshl_add_u64 v[4:5], v[4:5], 2, s[22:23]
	v_lshl_add_u64 v[6:7], s[20:21], 0, v[70:71]
	v_mad_i64_i32 v[8:9], s[2:3], v75, s19, 0
	v_lshl_add_u64 v[4:5], v[68:69], 2, v[4:5]
	v_lshl_add_u64 v[8:9], v[8:9], 2, v[6:7]
	v_mad_i64_i32 v[10:11], s[2:3], v76, s19, 0
	global_load_dword v4, v[4:5], off
	v_lshl_add_u64 v[6:7], v[10:11], 2, v[6:7]
	global_load_dword v10, v[8:9], off offset:16
	global_load_dword v5, v[6:7], off offset:16
	s_waitcnt vmcnt(1)
	v_mul_f32_e32 v77, s18, v10
	s_waitcnt vmcnt(0)
	v_pk_mul_f32 v[72:73], s[18:19], v[4:5] op_sel_hi:[0,1]
.LBB78_11:
	v_lshlrev_b32_e32 v2, 4, v2
	v_lshl_add_u32 v71, v83, 2, v2
	ds_write_b32 v71, v0 offset:4096
	v_lshlrev_b32_e32 v0, 4, v74
	v_lshl_or_b32 v85, v82, 2, v0
	v_mov_b32_e32 v0, 0x1000
	v_mov_b32_e32 v66, 0
	v_cmp_neq_f32_e64 s[2:3], s17, 0
	v_lshl_add_u32 v86, v80, 4, v0
	s_mov_b32 s26, 0
	s_mov_b64 s[6:7], -1
	v_mov_b32_e32 v67, v66
	v_mov_b32_e32 v64, v66
	v_mov_b32_e32 v65, v66
	v_mov_b32_e32 v62, v66
	v_mov_b32_e32 v63, v66
	v_mov_b32_e32 v60, v66
	v_mov_b32_e32 v61, v66
	v_mov_b32_e32 v58, v66
	v_mov_b32_e32 v59, v66
	v_mov_b32_e32 v56, v66
	v_mov_b32_e32 v57, v66
	v_mov_b32_e32 v54, v66
	v_mov_b32_e32 v55, v66
	v_mov_b32_e32 v52, v66
	v_mov_b32_e32 v53, v66
	v_mov_b32_e32 v50, v66
	v_mov_b32_e32 v51, v66
	v_mov_b32_e32 v48, v66
	v_mov_b32_e32 v49, v66
	v_mov_b32_e32 v46, v66
	v_mov_b32_e32 v47, v66
	v_mov_b32_e32 v44, v66
	v_mov_b32_e32 v45, v66
	v_mov_b32_e32 v42, v66
	v_mov_b32_e32 v43, v66
	v_mov_b32_e32 v40, v66
	v_mov_b32_e32 v41, v66
	v_mov_b32_e32 v38, v66
	v_mov_b32_e32 v39, v66
	v_mov_b32_e32 v36, v66
	v_mov_b32_e32 v37, v66
	v_mov_b32_e32 v34, v66
	v_mov_b32_e32 v35, v66
	v_mov_b32_e32 v32, v66
	v_mov_b32_e32 v33, v66
	v_mov_b32_e32 v30, v66
	v_mov_b32_e32 v31, v66
	v_mov_b32_e32 v28, v66
	v_mov_b32_e32 v29, v66
	v_mov_b32_e32 v26, v66
	v_mov_b32_e32 v27, v66
	v_mov_b32_e32 v24, v66
	v_mov_b32_e32 v25, v66
	v_mov_b32_e32 v22, v66
	v_mov_b32_e32 v23, v66
	v_mov_b32_e32 v20, v66
	v_mov_b32_e32 v21, v66
	v_mov_b32_e32 v18, v66
	v_mov_b32_e32 v19, v66
	v_mov_b32_e32 v16, v66
	v_mov_b32_e32 v17, v66
	v_mov_b32_e32 v14, v66
	v_mov_b32_e32 v15, v66
	v_mov_b32_e32 v12, v66
	v_mov_b32_e32 v13, v66
	v_mov_b32_e32 v10, v66
	v_mov_b32_e32 v11, v66
	v_mov_b32_e32 v8, v66
	v_mov_b32_e32 v9, v66
	v_mov_b32_e32 v6, v66
	v_mov_b32_e32 v7, v66
	v_mov_b32_e32 v4, v66
	v_mov_b32_e32 v5, v66
	v_or_b32_e32 v87, 0x1000, v71
	v_lshlrev_b32_e32 v88, 4, v81
	ds_write2st64_b32 v85, v3, v1 offset1:4
	s_waitcnt lgkmcnt(0)
	s_barrier
.LBB78_12:                              ; =>This Inner Loop Header: Depth=1
	v_cndmask_b32_e64 v0, 0, 1, s[6:7]
	s_lshl_b32 s6, s26, 2
	v_cmp_ne_u32_e32 vcc, 1, v0
	v_add_u32_e32 v0, s6, v86
	ds_read2_b64 v[90:93], v0 offset1:16
	ds_read2_b64 v[94:97], v0 offset0:32 offset1:48
	ds_read2_b64 v[98:101], v0 offset0:64 offset1:80
	;; [unrolled: 1-line block ×3, first 2 shown]
	v_add_u32_e32 v0, s6, v88
	ds_read2st64_b64 v[106:109], v0 offset1:1
	ds_read2st64_b64 v[0:3], v0 offset0:2 offset1:3
	s_waitcnt lgkmcnt(5)
	v_max_f32_e32 v90, v90, v90
	v_max_f32_e32 v91, v91, v91
	;; [unrolled: 1-line block ×3, first 2 shown]
	s_waitcnt lgkmcnt(1)
	v_max_f32_e32 v89, v106, v106
	v_max_f32_e32 v106, v107, v107
	v_min_f32_e32 v78, v90, v89
	v_min_f32_e32 v79, v91, v106
	v_max_f32_e32 v93, v93, v93
	v_pk_add_f32 v[66:67], v[78:79], v[66:67]
	v_min_f32_e32 v78, v92, v89
	v_min_f32_e32 v79, v93, v106
	v_max_f32_e32 v94, v94, v94
	v_max_f32_e32 v95, v95, v95
	v_pk_add_f32 v[64:65], v[78:79], v[64:65]
	v_min_f32_e32 v78, v94, v89
	v_min_f32_e32 v79, v95, v106
	v_max_f32_e32 v96, v96, v96
	;; [unrolled: 5-line block ×6, first 2 shown]
	v_pk_add_f32 v[54:55], v[78:79], v[54:55]
	v_min_f32_e32 v78, v104, v89
	v_max_f32_e32 v89, v105, v105
	v_min_f32_e32 v79, v89, v106
	v_max_f32_e32 v105, v108, v108
	v_max_f32_e32 v106, v109, v109
	v_pk_add_f32 v[52:53], v[78:79], v[52:53]
	v_min_f32_e32 v78, v90, v105
	v_min_f32_e32 v79, v91, v106
	v_pk_add_f32 v[50:51], v[78:79], v[50:51]
	v_min_f32_e32 v78, v92, v105
	v_min_f32_e32 v79, v93, v106
	;; [unrolled: 3-line block ×8, first 2 shown]
	v_pk_add_f32 v[36:37], v[78:79], v[36:37]
	s_waitcnt lgkmcnt(0)
	v_max_f32_e32 v78, v0, v0
	v_max_f32_e32 v79, v1, v1
	v_min_f32_e32 v0, v90, v78
	v_min_f32_e32 v1, v91, v79
	v_pk_add_f32 v[34:35], v[0:1], v[34:35]
	v_min_f32_e32 v0, v92, v78
	v_min_f32_e32 v1, v93, v79
	v_pk_add_f32 v[32:33], v[0:1], v[32:33]
	;; [unrolled: 3-line block ×7, first 2 shown]
	v_min_f32_e32 v0, v104, v78
	v_min_f32_e32 v1, v89, v79
	v_max_f32_e32 v2, v2, v2
	v_max_f32_e32 v3, v3, v3
	v_pk_add_f32 v[20:21], v[0:1], v[20:21]
	v_min_f32_e32 v0, v90, v2
	v_min_f32_e32 v1, v91, v3
	v_pk_add_f32 v[18:19], v[0:1], v[18:19]
	v_min_f32_e32 v0, v92, v2
	v_min_f32_e32 v1, v93, v3
	;; [unrolled: 3-line block ×8, first 2 shown]
	v_pk_add_f32 v[4:5], v[0:1], v[4:5]
	s_mov_b64 s[6:7], 0
	s_mov_b32 s26, 2
	s_cbranch_vccz .LBB78_12
; %bb.13:
	s_load_dword s26, s[0:1], 0x8
	v_lshl_or_b32 v0, v74, 4, v70
	ds_write_b32 v71, v72 offset:5120
	ds_write2st64_b32 v0, v77, v73 offset0:8 offset1:12
	s_waitcnt lgkmcnt(0)
	s_cmp_lt_i32 s26, 9
	s_barrier
	s_cbranch_scc1 .LBB78_28
; %bb.14:
	v_add_u32_e32 v90, 0x800, v0
	v_mov_b32_e32 v0, 0x1400
	v_lshl_add_u32 v91, v80, 4, v0
	v_mov_b32_e32 v0, 0x800
	v_add_u32_e32 v89, 0x1400, v71
	s_add_i32 s26, s26, -8
	v_lshl_add_u64 v[68:69], v[68:69], 2, s[22:23]
	v_mad_i64_i32 v[70:71], s[6:7], v75, s19, 0
	v_mad_i64_i32 v[72:73], s[6:7], v76, s19, 0
	v_lshl_add_u32 v92, v81, 4, v0
	s_mov_b32 s19, s18
	s_mov_b32 s22, 8
	;; [unrolled: 1-line block ×3, first 2 shown]
	v_mov_b32_e32 v75, 0
.LBB78_15:                              ; =>This Loop Header: Depth=1
                                        ;     Child Loop BB78_20 Depth 2
                                        ;     Child Loop BB78_26 Depth 2
	s_mov_b64 s[6:7], -1
	s_mov_b64 vcc, s[4:5]
                                        ; implicit-def: $vgpr76_vgpr77
	s_cbranch_vccz .LBB78_17
; %bb.16:                               ;   in Loop: Header=BB78_15 Depth=1
	v_mov_b32_e32 v76, v75
	s_mov_b64 s[6:7], 0
.LBB78_17:                              ;   in Loop: Header=BB78_15 Depth=1
	v_mov_b32_e32 v78, 0
	s_andn2_b64 vcc, exec, s[6:7]
	v_mov_b32_e32 v79, 0
	s_cbranch_vccnz .LBB78_19
; %bb.18:                               ;   in Loop: Header=BB78_15 Depth=1
	v_add_u32_e32 v3, s22, v83
	v_mad_u64_u32 v[0:1], s[6:7], v3, s24, 0
	v_mov_b32_e32 v2, v1
	v_mad_u64_u32 v[2:3], s[6:7], v3, s25, v[2:3]
	v_or_b32_e32 v74, s22, v82
	v_mov_b32_e32 v1, v2
	v_lshl_add_u64 v[2:3], v[74:75], 2, s[20:21]
	v_lshl_add_u64 v[0:1], v[0:1], 2, v[68:69]
	;; [unrolled: 1-line block ×3, first 2 shown]
	global_load_dword v0, v[0:1], off
	v_lshl_add_u64 v[2:3], v[72:73], 2, v[2:3]
	global_load_dword v74, v[76:77], off
	global_load_dword v1, v[2:3], off
	s_waitcnt vmcnt(1)
	v_mul_f32_e32 v76, s18, v74
	s_waitcnt vmcnt(0)
	v_pk_mul_f32 v[78:79], s[18:19], v[0:1]
.LBB78_19:                              ;   in Loop: Header=BB78_15 Depth=1
	s_mov_b32 s27, 0
	s_mov_b64 s[6:7], -1
.LBB78_20:                              ;   Parent Loop BB78_15 Depth=1
                                        ; =>  This Inner Loop Header: Depth=2
	v_cndmask_b32_e64 v0, 0, 1, s[6:7]
	s_lshl_b32 s6, s27, 2
	v_cmp_ne_u32_e32 vcc, 1, v0
	v_add_u32_e32 v0, s6, v91
	ds_read2_b64 v[94:97], v0 offset1:16
	ds_read2_b64 v[98:101], v0 offset0:32 offset1:48
	ds_read2_b64 v[102:105], v0 offset0:64 offset1:80
	;; [unrolled: 1-line block ×3, first 2 shown]
	v_add_u32_e32 v0, s6, v92
	ds_read2st64_b64 v[110:113], v0 offset1:1
	ds_read2st64_b64 v[0:3], v0 offset0:2 offset1:3
	s_waitcnt lgkmcnt(5)
	v_max_f32_e32 v77, v94, v94
	v_max_f32_e32 v96, v96, v96
	;; [unrolled: 1-line block ×3, first 2 shown]
	s_waitcnt lgkmcnt(1)
	v_max_f32_e32 v74, v110, v110
	v_max_f32_e32 v93, v111, v111
	;; [unrolled: 1-line block ×3, first 2 shown]
	v_min_f32_e32 v94, v77, v74
	v_min_f32_e32 v95, v110, v93
	v_pk_add_f32 v[66:67], v[94:95], v[66:67]
	v_min_f32_e32 v94, v96, v74
	v_min_f32_e32 v95, v97, v93
	v_max_f32_e32 v98, v98, v98
	v_max_f32_e32 v99, v99, v99
	v_pk_add_f32 v[64:65], v[94:95], v[64:65]
	v_min_f32_e32 v94, v98, v74
	v_min_f32_e32 v95, v99, v93
	v_max_f32_e32 v100, v100, v100
	v_max_f32_e32 v101, v101, v101
	v_pk_add_f32 v[62:63], v[94:95], v[62:63]
	v_min_f32_e32 v94, v100, v74
	v_min_f32_e32 v95, v101, v93
	v_max_f32_e32 v102, v102, v102
	v_max_f32_e32 v103, v103, v103
	v_pk_add_f32 v[60:61], v[94:95], v[60:61]
	v_min_f32_e32 v94, v102, v74
	v_min_f32_e32 v95, v103, v93
	v_max_f32_e32 v104, v104, v104
	v_max_f32_e32 v105, v105, v105
	v_pk_add_f32 v[58:59], v[94:95], v[58:59]
	v_min_f32_e32 v94, v104, v74
	v_min_f32_e32 v95, v105, v93
	v_max_f32_e32 v106, v106, v106
	v_max_f32_e32 v107, v107, v107
	v_pk_add_f32 v[56:57], v[94:95], v[56:57]
	v_min_f32_e32 v94, v106, v74
	v_min_f32_e32 v95, v107, v93
	v_max_f32_e32 v108, v108, v108
	v_pk_add_f32 v[54:55], v[94:95], v[54:55]
	v_min_f32_e32 v94, v108, v74
	v_max_f32_e32 v74, v109, v109
	v_min_f32_e32 v95, v74, v93
	v_max_f32_e32 v93, v112, v112
	v_max_f32_e32 v109, v113, v113
	v_pk_add_f32 v[52:53], v[94:95], v[52:53]
	v_min_f32_e32 v94, v77, v93
	v_min_f32_e32 v95, v110, v109
	v_pk_add_f32 v[50:51], v[94:95], v[50:51]
	v_min_f32_e32 v94, v96, v93
	v_min_f32_e32 v95, v97, v109
	v_pk_add_f32 v[48:49], v[94:95], v[48:49]
	v_min_f32_e32 v94, v98, v93
	v_min_f32_e32 v95, v99, v109
	v_pk_add_f32 v[46:47], v[94:95], v[46:47]
	v_min_f32_e32 v94, v100, v93
	v_min_f32_e32 v95, v101, v109
	v_pk_add_f32 v[44:45], v[94:95], v[44:45]
	v_min_f32_e32 v94, v102, v93
	v_min_f32_e32 v95, v103, v109
	v_pk_add_f32 v[42:43], v[94:95], v[42:43]
	v_min_f32_e32 v94, v104, v93
	v_min_f32_e32 v95, v105, v109
	v_pk_add_f32 v[40:41], v[94:95], v[40:41]
	v_min_f32_e32 v94, v106, v93
	v_min_f32_e32 v95, v107, v109
	v_pk_add_f32 v[38:39], v[94:95], v[38:39]
	v_min_f32_e32 v94, v108, v93
	v_min_f32_e32 v95, v74, v109
	v_pk_add_f32 v[36:37], v[94:95], v[36:37]
	s_waitcnt lgkmcnt(0)
	v_max_f32_e32 v93, v0, v0
	v_max_f32_e32 v94, v1, v1
	v_min_f32_e32 v0, v77, v93
	v_min_f32_e32 v1, v110, v94
	v_pk_add_f32 v[34:35], v[0:1], v[34:35]
	v_min_f32_e32 v0, v96, v93
	v_min_f32_e32 v1, v97, v94
	v_pk_add_f32 v[32:33], v[0:1], v[32:33]
	;; [unrolled: 3-line block ×7, first 2 shown]
	v_min_f32_e32 v0, v108, v93
	v_min_f32_e32 v1, v74, v94
	v_max_f32_e32 v2, v2, v2
	v_max_f32_e32 v3, v3, v3
	v_pk_add_f32 v[20:21], v[0:1], v[20:21]
	v_min_f32_e32 v0, v77, v2
	v_min_f32_e32 v1, v110, v3
	v_pk_add_f32 v[18:19], v[0:1], v[18:19]
	v_min_f32_e32 v0, v96, v2
	v_min_f32_e32 v1, v97, v3
	;; [unrolled: 3-line block ×8, first 2 shown]
	v_pk_add_f32 v[4:5], v[0:1], v[4:5]
	s_mov_b64 s[6:7], 0
	s_mov_b32 s27, 2
	s_cbranch_vccz .LBB78_20
; %bb.21:                               ;   in Loop: Header=BB78_15 Depth=1
	s_mov_b64 s[6:7], -1
	s_mov_b64 vcc, s[4:5]
	ds_write_b32 v87, v78
	ds_write2st64_b32 v85, v76, v79 offset1:4
	s_waitcnt lgkmcnt(0)
	s_barrier
                                        ; implicit-def: $vgpr76_vgpr77
	s_cbranch_vccz .LBB78_23
; %bb.22:                               ;   in Loop: Header=BB78_15 Depth=1
	v_mov_b32_e32 v76, v75
	s_mov_b64 s[6:7], 0
.LBB78_23:                              ;   in Loop: Header=BB78_15 Depth=1
	v_mov_b32_e32 v78, 0
	s_andn2_b64 vcc, exec, s[6:7]
	v_mov_b32_e32 v79, 0
	s_cbranch_vccnz .LBB78_25
; %bb.24:                               ;   in Loop: Header=BB78_15 Depth=1
	v_add_u32_e32 v3, s22, v84
	v_mad_u64_u32 v[0:1], s[6:7], v3, s24, 0
	v_mov_b32_e32 v2, v1
	v_mad_u64_u32 v[2:3], s[6:7], v3, s25, v[2:3]
	v_or_b32_e32 v74, s22, v82
	v_mov_b32_e32 v1, v2
	v_lshl_add_u64 v[2:3], v[74:75], 2, s[20:21]
	v_lshl_add_u64 v[0:1], v[0:1], 2, v[68:69]
	;; [unrolled: 1-line block ×3, first 2 shown]
	global_load_dword v0, v[0:1], off
	v_lshl_add_u64 v[2:3], v[72:73], 2, v[2:3]
	global_load_dword v74, v[76:77], off offset:16
	global_load_dword v1, v[2:3], off offset:16
	s_waitcnt vmcnt(1)
	v_mul_f32_e32 v76, s18, v74
	s_waitcnt vmcnt(0)
	v_pk_mul_f32 v[78:79], s[18:19], v[0:1]
.LBB78_25:                              ;   in Loop: Header=BB78_15 Depth=1
	s_mov_b32 s27, 0
	s_mov_b64 s[6:7], -1
.LBB78_26:                              ;   Parent Loop BB78_15 Depth=1
                                        ; =>  This Inner Loop Header: Depth=2
	v_cndmask_b32_e64 v0, 0, 1, s[6:7]
	s_lshl_b32 s6, s27, 2
	v_cmp_ne_u32_e32 vcc, 1, v0
	v_add_u32_e32 v0, s6, v86
	ds_read2_b64 v[94:97], v0 offset1:16
	ds_read2_b64 v[98:101], v0 offset0:32 offset1:48
	ds_read2_b64 v[102:105], v0 offset0:64 offset1:80
	;; [unrolled: 1-line block ×3, first 2 shown]
	v_add_u32_e32 v0, s6, v88
	ds_read2st64_b64 v[110:113], v0 offset1:1
	ds_read2st64_b64 v[0:3], v0 offset0:2 offset1:3
	s_waitcnt lgkmcnt(5)
	v_max_f32_e32 v77, v94, v94
	v_max_f32_e32 v96, v96, v96
	v_max_f32_e32 v97, v97, v97
	s_waitcnt lgkmcnt(1)
	v_max_f32_e32 v74, v110, v110
	v_max_f32_e32 v93, v111, v111
	;; [unrolled: 1-line block ×3, first 2 shown]
	v_min_f32_e32 v94, v77, v74
	v_min_f32_e32 v95, v110, v93
	v_pk_add_f32 v[66:67], v[94:95], v[66:67]
	v_min_f32_e32 v94, v96, v74
	v_min_f32_e32 v95, v97, v93
	v_max_f32_e32 v98, v98, v98
	v_max_f32_e32 v99, v99, v99
	v_pk_add_f32 v[64:65], v[94:95], v[64:65]
	v_min_f32_e32 v94, v98, v74
	v_min_f32_e32 v95, v99, v93
	v_max_f32_e32 v100, v100, v100
	v_max_f32_e32 v101, v101, v101
	;; [unrolled: 5-line block ×5, first 2 shown]
	v_pk_add_f32 v[56:57], v[94:95], v[56:57]
	v_min_f32_e32 v94, v106, v74
	v_min_f32_e32 v95, v107, v93
	v_max_f32_e32 v108, v108, v108
	v_pk_add_f32 v[54:55], v[94:95], v[54:55]
	v_min_f32_e32 v94, v108, v74
	v_max_f32_e32 v74, v109, v109
	v_min_f32_e32 v95, v74, v93
	v_max_f32_e32 v93, v112, v112
	v_max_f32_e32 v109, v113, v113
	v_pk_add_f32 v[52:53], v[94:95], v[52:53]
	v_min_f32_e32 v94, v77, v93
	v_min_f32_e32 v95, v110, v109
	v_pk_add_f32 v[50:51], v[94:95], v[50:51]
	v_min_f32_e32 v94, v96, v93
	v_min_f32_e32 v95, v97, v109
	;; [unrolled: 3-line block ×8, first 2 shown]
	v_pk_add_f32 v[36:37], v[94:95], v[36:37]
	s_waitcnt lgkmcnt(0)
	v_max_f32_e32 v93, v0, v0
	v_max_f32_e32 v94, v1, v1
	v_min_f32_e32 v0, v77, v93
	v_min_f32_e32 v1, v110, v94
	v_pk_add_f32 v[34:35], v[0:1], v[34:35]
	v_min_f32_e32 v0, v96, v93
	v_min_f32_e32 v1, v97, v94
	v_pk_add_f32 v[32:33], v[0:1], v[32:33]
	;; [unrolled: 3-line block ×7, first 2 shown]
	v_min_f32_e32 v0, v108, v93
	v_min_f32_e32 v1, v74, v94
	v_max_f32_e32 v2, v2, v2
	v_max_f32_e32 v3, v3, v3
	v_pk_add_f32 v[20:21], v[0:1], v[20:21]
	v_min_f32_e32 v0, v77, v2
	v_min_f32_e32 v1, v110, v3
	v_pk_add_f32 v[18:19], v[0:1], v[18:19]
	v_min_f32_e32 v0, v96, v2
	v_min_f32_e32 v1, v97, v3
	;; [unrolled: 3-line block ×8, first 2 shown]
	v_pk_add_f32 v[4:5], v[0:1], v[4:5]
	s_mov_b64 s[6:7], 0
	s_mov_b32 s27, 2
	s_cbranch_vccz .LBB78_26
; %bb.27:                               ;   in Loop: Header=BB78_15 Depth=1
	s_add_i32 s22, s22, 8
	s_add_i32 s23, s23, 8
	s_cmp_ge_i32 s23, s26
	ds_write_b32 v89, v78
	ds_write2st64_b32 v90, v76, v79 offset1:4
	s_waitcnt lgkmcnt(0)
	s_barrier
	s_cbranch_scc0 .LBB78_15
.LBB78_28:
	v_mov_b32_e32 v0, 0x1400
	v_lshl_add_u32 v68, v80, 4, v0
	v_mov_b32_e32 v0, 0x800
	v_lshl_add_u32 v69, v81, 4, v0
	s_mov_b32 s6, 0
	s_mov_b64 s[4:5], -1
.LBB78_29:                              ; =>This Inner Loop Header: Depth=1
	v_cndmask_b32_e64 v0, 0, 1, s[4:5]
	s_lshl_b32 s4, s6, 2
	v_cmp_ne_u32_e32 vcc, 1, v0
	v_add_u32_e32 v0, s4, v68
	ds_read2_b64 v[70:73], v0 offset1:16
	ds_read2_b64 v[74:77], v0 offset0:32 offset1:48
	ds_read2_b64 v[82:85], v0 offset0:64 offset1:80
	;; [unrolled: 1-line block ×3, first 2 shown]
	v_add_u32_e32 v0, s4, v69
	ds_read2st64_b64 v[90:93], v0 offset1:1
	ds_read2st64_b64 v[0:3], v0 offset0:2 offset1:3
	s_waitcnt lgkmcnt(5)
	v_max_f32_e32 v79, v70, v70
	v_max_f32_e32 v72, v72, v72
	;; [unrolled: 1-line block ×3, first 2 shown]
	s_waitcnt lgkmcnt(1)
	v_max_f32_e32 v78, v90, v90
	v_max_f32_e32 v90, v91, v91
	;; [unrolled: 1-line block ×3, first 2 shown]
	v_min_f32_e32 v70, v79, v78
	v_min_f32_e32 v71, v91, v90
	v_pk_add_f32 v[66:67], v[70:71], v[66:67]
	v_min_f32_e32 v70, v72, v78
	v_min_f32_e32 v71, v73, v90
	v_max_f32_e32 v74, v74, v74
	v_max_f32_e32 v75, v75, v75
	v_pk_add_f32 v[64:65], v[70:71], v[64:65]
	v_min_f32_e32 v70, v74, v78
	v_min_f32_e32 v71, v75, v90
	v_max_f32_e32 v76, v76, v76
	v_max_f32_e32 v77, v77, v77
	;; [unrolled: 5-line block ×5, first 2 shown]
	v_pk_add_f32 v[56:57], v[70:71], v[56:57]
	v_min_f32_e32 v70, v86, v78
	v_min_f32_e32 v71, v87, v90
	v_max_f32_e32 v88, v88, v88
	v_pk_add_f32 v[54:55], v[70:71], v[54:55]
	v_min_f32_e32 v70, v88, v78
	v_max_f32_e32 v78, v89, v89
	v_min_f32_e32 v71, v78, v90
	v_max_f32_e32 v89, v92, v92
	v_max_f32_e32 v90, v93, v93
	v_pk_add_f32 v[52:53], v[70:71], v[52:53]
	v_min_f32_e32 v70, v79, v89
	v_min_f32_e32 v71, v91, v90
	v_pk_add_f32 v[50:51], v[70:71], v[50:51]
	v_min_f32_e32 v70, v72, v89
	v_min_f32_e32 v71, v73, v90
	;; [unrolled: 3-line block ×8, first 2 shown]
	v_pk_add_f32 v[36:37], v[70:71], v[36:37]
	s_waitcnt lgkmcnt(0)
	v_max_f32_e32 v70, v0, v0
	v_max_f32_e32 v71, v1, v1
	v_min_f32_e32 v0, v79, v70
	v_min_f32_e32 v1, v91, v71
	v_pk_add_f32 v[34:35], v[0:1], v[34:35]
	v_min_f32_e32 v0, v72, v70
	v_min_f32_e32 v1, v73, v71
	v_pk_add_f32 v[32:33], v[0:1], v[32:33]
	;; [unrolled: 3-line block ×7, first 2 shown]
	v_min_f32_e32 v0, v88, v70
	v_min_f32_e32 v1, v78, v71
	v_max_f32_e32 v2, v2, v2
	v_max_f32_e32 v3, v3, v3
	v_pk_add_f32 v[20:21], v[0:1], v[20:21]
	v_min_f32_e32 v0, v79, v2
	v_min_f32_e32 v1, v91, v3
	v_pk_add_f32 v[18:19], v[0:1], v[18:19]
	v_min_f32_e32 v0, v72, v2
	v_min_f32_e32 v1, v73, v3
	;; [unrolled: 3-line block ×8, first 2 shown]
	v_pk_add_f32 v[4:5], v[0:1], v[4:5]
	s_mov_b64 s[4:5], 0
	s_mov_b32 s6, 2
	s_cbranch_vccz .LBB78_29
; %bb.30:
	s_load_dword s6, s[0:1], 0x58
	v_add_u32_e32 v72, s13, v81
	v_add_u32_e32 v0, s12, v80
	v_ashrrev_i32_e32 v1, 31, v0
	v_mov_b32_e32 v73, 0
	s_waitcnt lgkmcnt(0)
	v_mad_i64_i32 v[2:3], s[4:5], v72, s6, 0
	v_lshl_add_u64 v[68:69], v[2:3], 2, s[10:11]
	v_cndmask_b32_e64 v2, 0, 1, s[2:3]
	v_cmp_ne_u32_e64 s[4:5], 1, v2
	s_andn2_b64 vcc, exec, s[2:3]
	v_mov_b32_e32 v74, 0
	s_cbranch_vccnz .LBB78_32
; %bb.31:
	v_lshl_add_u64 v[2:3], v[0:1], 2, v[68:69]
	global_load_dword v2, v[2:3], off
	s_waitcnt vmcnt(0)
	v_mul_f32_e32 v74, s17, v2
.LBB78_32:
	s_load_dwordx2 s[12:13], s[0:1], 0x78
	s_load_dword s2, s[0:1], 0x70
	v_add_u32_e32 v2, 8, v0
	v_add_f32_e32 v66, v66, v67
	v_ashrrev_i32_e32 v3, 31, v2
	s_waitcnt lgkmcnt(0)
	s_mul_i32 s1, s13, s16
	s_mul_hi_u32 s3, s12, s16
	s_mul_i32 s0, s12, s16
	s_add_i32 s1, s3, s1
	s_lshl_b64 s[0:1], s[0:1], 2
	s_add_u32 s0, s14, s0
	s_addc_u32 s1, s15, s1
	v_mad_i64_i32 v[70:71], s[12:13], v72, s2, 0
	v_lshl_add_u64 v[70:71], v[70:71], 2, s[0:1]
	v_add_f32_e32 v74, v66, v74
	v_lshl_add_u64 v[66:67], v[0:1], 2, v[70:71]
	s_and_b64 vcc, exec, s[4:5]
	global_store_dword v[66:67], v74, off
	s_cbranch_vccnz .LBB78_34
; %bb.33:
	v_lshl_add_u64 v[66:67], v[2:3], 2, v[68:69]
	global_load_dword v66, v[66:67], off
	s_waitcnt vmcnt(0)
	v_mul_f32_e32 v73, s17, v66
.LBB78_34:
	v_add_f32_e32 v66, v64, v65
	v_add_u32_e32 v64, 16, v0
	v_add_f32_e32 v73, v66, v73
	v_lshl_add_u64 v[66:67], v[2:3], 2, v[70:71]
	v_ashrrev_i32_e32 v65, 31, v64
	global_store_dword v[66:67], v73, off
	v_mov_b32_e32 v66, 0
	s_and_b64 vcc, exec, s[4:5]
	v_mov_b32_e32 v67, 0
	s_cbranch_vccnz .LBB78_36
; %bb.35:
	v_lshl_add_u64 v[74:75], v[64:65], 2, v[68:69]
	global_load_dword v67, v[74:75], off
	s_waitcnt vmcnt(0)
	v_mul_f32_e32 v67, s17, v67
.LBB78_36:
	v_add_f32_e32 v73, v62, v63
	v_add_u32_e32 v62, 24, v0
	v_ashrrev_i32_e32 v63, 31, v62
	v_add_f32_e32 v67, v73, v67
	v_lshl_add_u64 v[74:75], v[64:65], 2, v[70:71]
	s_and_b64 vcc, exec, s[4:5]
	global_store_dword v[74:75], v67, off
	s_cbranch_vccnz .LBB78_38
; %bb.37:
	v_lshl_add_u64 v[66:67], v[62:63], 2, v[68:69]
	global_load_dword v66, v[66:67], off
	s_waitcnt vmcnt(0)
	v_mul_f32_e32 v66, s17, v66
.LBB78_38:
	v_add_f32_e32 v67, v60, v61
	v_add_u32_e32 v60, 32, v0
	v_add_f32_e32 v73, v67, v66
	v_lshl_add_u64 v[66:67], v[62:63], 2, v[70:71]
	v_ashrrev_i32_e32 v61, 31, v60
	global_store_dword v[66:67], v73, off
	v_mov_b32_e32 v66, 0
	s_and_b64 vcc, exec, s[4:5]
	v_mov_b32_e32 v67, 0
	s_cbranch_vccnz .LBB78_40
; %bb.39:
	v_lshl_add_u64 v[74:75], v[60:61], 2, v[68:69]
	global_load_dword v67, v[74:75], off
	s_waitcnt vmcnt(0)
	v_mul_f32_e32 v67, s17, v67
.LBB78_40:
	v_add_f32_e32 v73, v58, v59
	v_add_u32_e32 v58, 40, v0
	v_ashrrev_i32_e32 v59, 31, v58
	;; [unrolled: 30-line block ×3, first 2 shown]
	v_add_f32_e32 v67, v73, v67
	v_lshl_add_u64 v[74:75], v[56:57], 2, v[70:71]
	s_and_b64 vcc, exec, s[4:5]
	global_store_dword v[74:75], v67, off
	s_cbranch_vccnz .LBB78_46
; %bb.45:
	v_lshl_add_u64 v[66:67], v[54:55], 2, v[68:69]
	global_load_dword v66, v[66:67], off
	s_waitcnt vmcnt(0)
	v_mul_f32_e32 v66, s17, v66
.LBB78_46:
	v_add_f32_e32 v52, v52, v53
	v_add_f32_e32 v66, v52, v66
	v_lshl_add_u64 v[52:53], v[54:55], 2, v[70:71]
	global_store_dword v[52:53], v66, off
	v_add_u32_e32 v66, 32, v72
	v_mad_i64_i32 v[52:53], s[12:13], v66, s6, 0
	v_lshl_add_u64 v[52:53], v[52:53], 2, s[10:11]
	v_mov_b32_e32 v68, 0
	s_and_b64 vcc, exec, s[4:5]
	v_mov_b32_e32 v69, 0
	s_cbranch_vccnz .LBB78_48
; %bb.47:
	v_lshl_add_u64 v[70:71], v[0:1], 2, v[52:53]
	global_load_dword v67, v[70:71], off
	s_waitcnt vmcnt(0)
	v_mul_f32_e32 v69, s17, v67
.LBB78_48:
	v_mad_i64_i32 v[66:67], s[12:13], v66, s2, 0
	v_lshl_add_u64 v[66:67], v[66:67], 2, s[0:1]
	v_add_f32_e32 v50, v50, v51
	v_add_f32_e32 v69, v50, v69
	v_lshl_add_u64 v[50:51], v[0:1], 2, v[66:67]
	s_and_b64 vcc, exec, s[4:5]
	global_store_dword v[50:51], v69, off
	s_cbranch_vccnz .LBB78_50
; %bb.49:
	v_lshl_add_u64 v[50:51], v[2:3], 2, v[52:53]
	global_load_dword v50, v[50:51], off
	s_waitcnt vmcnt(0)
	v_mul_f32_e32 v68, s17, v50
.LBB78_50:
	v_add_f32_e32 v48, v48, v49
	v_add_f32_e32 v50, v48, v68
	v_lshl_add_u64 v[48:49], v[2:3], 2, v[66:67]
	global_store_dword v[48:49], v50, off
	v_mov_b32_e32 v48, 0
	s_and_b64 vcc, exec, s[4:5]
	v_mov_b32_e32 v49, 0
	s_cbranch_vccnz .LBB78_52
; %bb.51:
	v_lshl_add_u64 v[50:51], v[64:65], 2, v[52:53]
	global_load_dword v49, v[50:51], off
	s_waitcnt vmcnt(0)
	v_mul_f32_e32 v49, s17, v49
.LBB78_52:
	v_add_f32_e32 v46, v46, v47
	v_add_f32_e32 v49, v46, v49
	v_lshl_add_u64 v[46:47], v[64:65], 2, v[66:67]
	s_and_b64 vcc, exec, s[4:5]
	global_store_dword v[46:47], v49, off
	s_cbranch_vccnz .LBB78_54
; %bb.53:
	v_lshl_add_u64 v[46:47], v[62:63], 2, v[52:53]
	global_load_dword v46, v[46:47], off
	s_waitcnt vmcnt(0)
	v_mul_f32_e32 v48, s17, v46
.LBB78_54:
	v_add_f32_e32 v44, v44, v45
	v_add_f32_e32 v46, v44, v48
	v_lshl_add_u64 v[44:45], v[62:63], 2, v[66:67]
	global_store_dword v[44:45], v46, off
	v_mov_b32_e32 v44, 0
	s_and_b64 vcc, exec, s[4:5]
	v_mov_b32_e32 v45, 0
	s_cbranch_vccnz .LBB78_56
; %bb.55:
	v_lshl_add_u64 v[46:47], v[60:61], 2, v[52:53]
	global_load_dword v45, v[46:47], off
	s_waitcnt vmcnt(0)
	v_mul_f32_e32 v45, s17, v45
.LBB78_56:
	;; [unrolled: 26-line block ×3, first 2 shown]
	v_add_f32_e32 v38, v38, v39
	v_add_f32_e32 v41, v38, v41
	v_lshl_add_u64 v[38:39], v[56:57], 2, v[66:67]
	s_and_b64 vcc, exec, s[4:5]
	global_store_dword v[38:39], v41, off
	s_cbranch_vccnz .LBB78_62
; %bb.61:
	v_lshl_add_u64 v[38:39], v[54:55], 2, v[52:53]
	global_load_dword v38, v[38:39], off
	s_waitcnt vmcnt(0)
	v_mul_f32_e32 v40, s17, v38
.LBB78_62:
	v_add_f32_e32 v36, v36, v37
	v_add_f32_e32 v38, v36, v40
	v_lshl_add_u64 v[36:37], v[54:55], 2, v[66:67]
	global_store_dword v[36:37], v38, off
	v_add_u32_e32 v38, 64, v72
	v_mad_i64_i32 v[36:37], s[12:13], v38, s6, 0
	v_lshl_add_u64 v[36:37], v[36:37], 2, s[10:11]
	v_mov_b32_e32 v40, 0
	s_and_b64 vcc, exec, s[4:5]
	v_mov_b32_e32 v41, 0
	s_cbranch_vccnz .LBB78_64
; %bb.63:
	v_lshl_add_u64 v[42:43], v[0:1], 2, v[36:37]
	global_load_dword v39, v[42:43], off
	s_waitcnt vmcnt(0)
	v_mul_f32_e32 v41, s17, v39
.LBB78_64:
	v_mad_i64_i32 v[38:39], s[12:13], v38, s2, 0
	v_lshl_add_u64 v[38:39], v[38:39], 2, s[0:1]
	v_add_f32_e32 v34, v34, v35
	v_add_f32_e32 v41, v34, v41
	v_lshl_add_u64 v[34:35], v[0:1], 2, v[38:39]
	s_and_b64 vcc, exec, s[4:5]
	global_store_dword v[34:35], v41, off
	s_cbranch_vccnz .LBB78_66
; %bb.65:
	v_lshl_add_u64 v[34:35], v[2:3], 2, v[36:37]
	global_load_dword v34, v[34:35], off
	s_waitcnt vmcnt(0)
	v_mul_f32_e32 v40, s17, v34
.LBB78_66:
	v_add_f32_e32 v32, v32, v33
	v_add_f32_e32 v34, v32, v40
	v_lshl_add_u64 v[32:33], v[2:3], 2, v[38:39]
	global_store_dword v[32:33], v34, off
	v_mov_b32_e32 v32, 0
	s_and_b64 vcc, exec, s[4:5]
	v_mov_b32_e32 v33, 0
	s_cbranch_vccnz .LBB78_68
; %bb.67:
	v_lshl_add_u64 v[34:35], v[64:65], 2, v[36:37]
	global_load_dword v33, v[34:35], off
	s_waitcnt vmcnt(0)
	v_mul_f32_e32 v33, s17, v33
.LBB78_68:
	v_add_f32_e32 v30, v30, v31
	v_add_f32_e32 v33, v30, v33
	v_lshl_add_u64 v[30:31], v[64:65], 2, v[38:39]
	s_and_b64 vcc, exec, s[4:5]
	global_store_dword v[30:31], v33, off
	s_cbranch_vccnz .LBB78_70
; %bb.69:
	v_lshl_add_u64 v[30:31], v[62:63], 2, v[36:37]
	global_load_dword v30, v[30:31], off
	s_waitcnt vmcnt(0)
	v_mul_f32_e32 v32, s17, v30
.LBB78_70:
	v_add_f32_e32 v28, v28, v29
	v_add_f32_e32 v30, v28, v32
	v_lshl_add_u64 v[28:29], v[62:63], 2, v[38:39]
	global_store_dword v[28:29], v30, off
	v_mov_b32_e32 v28, 0
	s_and_b64 vcc, exec, s[4:5]
	v_mov_b32_e32 v29, 0
	s_cbranch_vccnz .LBB78_72
; %bb.71:
	v_lshl_add_u64 v[30:31], v[60:61], 2, v[36:37]
	global_load_dword v29, v[30:31], off
	s_waitcnt vmcnt(0)
	v_mul_f32_e32 v29, s17, v29
.LBB78_72:
	;; [unrolled: 26-line block ×3, first 2 shown]
	v_add_f32_e32 v22, v22, v23
	v_add_f32_e32 v25, v22, v25
	v_lshl_add_u64 v[22:23], v[56:57], 2, v[38:39]
	s_and_b64 vcc, exec, s[4:5]
	global_store_dword v[22:23], v25, off
	s_cbranch_vccnz .LBB78_78
; %bb.77:
	v_lshl_add_u64 v[22:23], v[54:55], 2, v[36:37]
	global_load_dword v22, v[22:23], off
	s_waitcnt vmcnt(0)
	v_mul_f32_e32 v24, s17, v22
.LBB78_78:
	v_add_f32_e32 v20, v20, v21
	v_add_f32_e32 v22, v20, v24
	v_lshl_add_u64 v[20:21], v[54:55], 2, v[38:39]
	global_store_dword v[20:21], v22, off
	v_add_u32_e32 v22, 0x60, v72
	v_mad_i64_i32 v[20:21], s[6:7], v22, s6, 0
	v_lshl_add_u64 v[20:21], v[20:21], 2, s[10:11]
	v_mov_b32_e32 v24, 0
	s_and_b64 vcc, exec, s[4:5]
	v_mov_b32_e32 v25, 0
	s_cbranch_vccnz .LBB78_80
; %bb.79:
	v_lshl_add_u64 v[26:27], v[0:1], 2, v[20:21]
	global_load_dword v23, v[26:27], off
	s_waitcnt vmcnt(0)
	v_mul_f32_e32 v25, s17, v23
.LBB78_80:
	v_mad_i64_i32 v[22:23], s[2:3], v22, s2, 0
	v_lshl_add_u64 v[22:23], v[22:23], 2, s[0:1]
	v_add_f32_e32 v18, v18, v19
	v_add_f32_e32 v18, v18, v25
	v_lshl_add_u64 v[0:1], v[0:1], 2, v[22:23]
	s_and_b64 vcc, exec, s[4:5]
	global_store_dword v[0:1], v18, off
	s_cbranch_vccnz .LBB78_82
; %bb.81:
	v_lshl_add_u64 v[0:1], v[2:3], 2, v[20:21]
	global_load_dword v0, v[0:1], off
	s_waitcnt vmcnt(0)
	v_mul_f32_e32 v24, s17, v0
.LBB78_82:
	v_add_f32_e32 v0, v16, v17
	v_add_f32_e32 v16, v0, v24
	v_lshl_add_u64 v[0:1], v[2:3], 2, v[22:23]
	global_store_dword v[0:1], v16, off
	v_mov_b32_e32 v0, 0
	s_and_b64 vcc, exec, s[4:5]
	v_mov_b32_e32 v1, 0
	s_cbranch_vccnz .LBB78_84
; %bb.83:
	v_lshl_add_u64 v[2:3], v[64:65], 2, v[20:21]
	global_load_dword v1, v[2:3], off
	s_waitcnt vmcnt(0)
	v_mul_f32_e32 v1, s17, v1
.LBB78_84:
	v_add_f32_e32 v2, v14, v15
	v_add_f32_e32 v1, v2, v1
	v_lshl_add_u64 v[2:3], v[64:65], 2, v[22:23]
	s_and_b64 vcc, exec, s[4:5]
	global_store_dword v[2:3], v1, off
	s_cbranch_vccnz .LBB78_86
; %bb.85:
	v_lshl_add_u64 v[0:1], v[62:63], 2, v[20:21]
	global_load_dword v0, v[0:1], off
	s_waitcnt vmcnt(0)
	v_mul_f32_e32 v0, s17, v0
.LBB78_86:
	v_add_f32_e32 v1, v12, v13
	v_add_f32_e32 v2, v1, v0
	v_lshl_add_u64 v[0:1], v[62:63], 2, v[22:23]
	global_store_dword v[0:1], v2, off
	v_mov_b32_e32 v0, 0
	s_and_b64 vcc, exec, s[4:5]
	v_mov_b32_e32 v1, 0
	s_cbranch_vccnz .LBB78_88
; %bb.87:
	v_lshl_add_u64 v[2:3], v[60:61], 2, v[20:21]
	global_load_dword v1, v[2:3], off
	s_waitcnt vmcnt(0)
	v_mul_f32_e32 v1, s17, v1
.LBB78_88:
	v_add_f32_e32 v2, v10, v11
	v_add_f32_e32 v1, v2, v1
	v_lshl_add_u64 v[2:3], v[60:61], 2, v[22:23]
	s_and_b64 vcc, exec, s[4:5]
	global_store_dword v[2:3], v1, off
	s_cbranch_vccnz .LBB78_90
; %bb.89:
	v_lshl_add_u64 v[0:1], v[58:59], 2, v[20:21]
	global_load_dword v0, v[0:1], off
	s_waitcnt vmcnt(0)
	v_mul_f32_e32 v0, s17, v0
.LBB78_90:
	v_add_f32_e32 v1, v8, v9
	v_add_f32_e32 v2, v1, v0
	v_lshl_add_u64 v[0:1], v[58:59], 2, v[22:23]
	global_store_dword v[0:1], v2, off
	v_add_f32_e32 v0, v6, v7
	s_mov_b64 s[0:1], -1
	s_mov_b64 vcc, s[8:9]
	s_cbranch_vccz .LBB78_92
; %bb.91:
	v_add_f32_e32 v1, 0, v0
	v_lshl_add_u64 v[2:3], v[56:57], 2, v[22:23]
	global_store_dword v[2:3], v1, off
	s_mov_b64 s[0:1], 0
.LBB78_92:
	s_andn2_b64 vcc, exec, s[0:1]
	v_mov_b32_e32 v1, 0
	s_cbranch_vccnz .LBB78_94
; %bb.93:
	v_lshlrev_b64 v[2:3], 2, v[56:57]
	v_lshl_add_u64 v[6:7], v[20:21], 0, v[2:3]
	global_load_dword v1, v[6:7], off
	v_lshl_add_u64 v[2:3], v[22:23], 0, v[2:3]
	s_waitcnt vmcnt(0)
	v_fmac_f32_e32 v0, s17, v1
	global_store_dword v[2:3], v0, off
	v_lshl_add_u64 v[0:1], v[54:55], 2, v[20:21]
	global_load_dword v0, v[0:1], off
	s_waitcnt vmcnt(0)
	v_mul_f32_e32 v1, s17, v0
.LBB78_94:
	v_add_f32_e32 v0, v4, v5
	v_add_f32_e32 v2, v0, v1
	v_lshl_add_u64 v[0:1], v[54:55], 2, v[22:23]
	global_store_dword v[0:1], v2, off
	s_endpgm
	.section	.rodata,"a",@progbits
	.p2align	6, 0x0
	.amdhsa_kernel _ZN12_GLOBAL__N_120geam_min_plus_kernelIf15HIP_vector_typeIfLj2EES2_Li8ELi32ELi64ELi128ELi4ELi64ELi4ELi4ELi64ELc78ELc78ELb0ELb0ELb0EPKfS3_fEEviiiT16_PT17_ilS7_ilS5_S7_ilPT18_ili26rocblas_geam_ex_operation_
		.amdhsa_group_segment_fixed_size 6144
		.amdhsa_private_segment_fixed_size 0
		.amdhsa_kernarg_size 136
		.amdhsa_user_sgpr_count 2
		.amdhsa_user_sgpr_dispatch_ptr 0
		.amdhsa_user_sgpr_queue_ptr 0
		.amdhsa_user_sgpr_kernarg_segment_ptr 1
		.amdhsa_user_sgpr_dispatch_id 0
		.amdhsa_user_sgpr_kernarg_preload_length 0
		.amdhsa_user_sgpr_kernarg_preload_offset 0
		.amdhsa_user_sgpr_private_segment_size 0
		.amdhsa_uses_dynamic_stack 0
		.amdhsa_enable_private_segment 0
		.amdhsa_system_sgpr_workgroup_id_x 1
		.amdhsa_system_sgpr_workgroup_id_y 0
		.amdhsa_system_sgpr_workgroup_id_z 1
		.amdhsa_system_sgpr_workgroup_info 0
		.amdhsa_system_vgpr_workitem_id 1
		.amdhsa_next_free_vgpr 114
		.amdhsa_next_free_sgpr 28
		.amdhsa_accum_offset 116
		.amdhsa_reserve_vcc 1
		.amdhsa_float_round_mode_32 0
		.amdhsa_float_round_mode_16_64 0
		.amdhsa_float_denorm_mode_32 3
		.amdhsa_float_denorm_mode_16_64 3
		.amdhsa_dx10_clamp 1
		.amdhsa_ieee_mode 1
		.amdhsa_fp16_overflow 0
		.amdhsa_tg_split 0
		.amdhsa_exception_fp_ieee_invalid_op 0
		.amdhsa_exception_fp_denorm_src 0
		.amdhsa_exception_fp_ieee_div_zero 0
		.amdhsa_exception_fp_ieee_overflow 0
		.amdhsa_exception_fp_ieee_underflow 0
		.amdhsa_exception_fp_ieee_inexact 0
		.amdhsa_exception_int_div_zero 0
	.end_amdhsa_kernel
	.section	.text._ZN12_GLOBAL__N_120geam_min_plus_kernelIf15HIP_vector_typeIfLj2EES2_Li8ELi32ELi64ELi128ELi4ELi64ELi4ELi4ELi64ELc78ELc78ELb0ELb0ELb0EPKfS3_fEEviiiT16_PT17_ilS7_ilS5_S7_ilPT18_ili26rocblas_geam_ex_operation_,"axG",@progbits,_ZN12_GLOBAL__N_120geam_min_plus_kernelIf15HIP_vector_typeIfLj2EES2_Li8ELi32ELi64ELi128ELi4ELi64ELi4ELi4ELi64ELc78ELc78ELb0ELb0ELb0EPKfS3_fEEviiiT16_PT17_ilS7_ilS5_S7_ilPT18_ili26rocblas_geam_ex_operation_,comdat
.Lfunc_end78:
	.size	_ZN12_GLOBAL__N_120geam_min_plus_kernelIf15HIP_vector_typeIfLj2EES2_Li8ELi32ELi64ELi128ELi4ELi64ELi4ELi4ELi64ELc78ELc78ELb0ELb0ELb0EPKfS3_fEEviiiT16_PT17_ilS7_ilS5_S7_ilPT18_ili26rocblas_geam_ex_operation_, .Lfunc_end78-_ZN12_GLOBAL__N_120geam_min_plus_kernelIf15HIP_vector_typeIfLj2EES2_Li8ELi32ELi64ELi128ELi4ELi64ELi4ELi4ELi64ELc78ELc78ELb0ELb0ELb0EPKfS3_fEEviiiT16_PT17_ilS7_ilS5_S7_ilPT18_ili26rocblas_geam_ex_operation_
                                        ; -- End function
	.set _ZN12_GLOBAL__N_120geam_min_plus_kernelIf15HIP_vector_typeIfLj2EES2_Li8ELi32ELi64ELi128ELi4ELi64ELi4ELi4ELi64ELc78ELc78ELb0ELb0ELb0EPKfS3_fEEviiiT16_PT17_ilS7_ilS5_S7_ilPT18_ili26rocblas_geam_ex_operation_.num_vgpr, 114
	.set _ZN12_GLOBAL__N_120geam_min_plus_kernelIf15HIP_vector_typeIfLj2EES2_Li8ELi32ELi64ELi128ELi4ELi64ELi4ELi4ELi64ELc78ELc78ELb0ELb0ELb0EPKfS3_fEEviiiT16_PT17_ilS7_ilS5_S7_ilPT18_ili26rocblas_geam_ex_operation_.num_agpr, 0
	.set _ZN12_GLOBAL__N_120geam_min_plus_kernelIf15HIP_vector_typeIfLj2EES2_Li8ELi32ELi64ELi128ELi4ELi64ELi4ELi4ELi64ELc78ELc78ELb0ELb0ELb0EPKfS3_fEEviiiT16_PT17_ilS7_ilS5_S7_ilPT18_ili26rocblas_geam_ex_operation_.numbered_sgpr, 28
	.set _ZN12_GLOBAL__N_120geam_min_plus_kernelIf15HIP_vector_typeIfLj2EES2_Li8ELi32ELi64ELi128ELi4ELi64ELi4ELi4ELi64ELc78ELc78ELb0ELb0ELb0EPKfS3_fEEviiiT16_PT17_ilS7_ilS5_S7_ilPT18_ili26rocblas_geam_ex_operation_.num_named_barrier, 0
	.set _ZN12_GLOBAL__N_120geam_min_plus_kernelIf15HIP_vector_typeIfLj2EES2_Li8ELi32ELi64ELi128ELi4ELi64ELi4ELi4ELi64ELc78ELc78ELb0ELb0ELb0EPKfS3_fEEviiiT16_PT17_ilS7_ilS5_S7_ilPT18_ili26rocblas_geam_ex_operation_.private_seg_size, 0
	.set _ZN12_GLOBAL__N_120geam_min_plus_kernelIf15HIP_vector_typeIfLj2EES2_Li8ELi32ELi64ELi128ELi4ELi64ELi4ELi4ELi64ELc78ELc78ELb0ELb0ELb0EPKfS3_fEEviiiT16_PT17_ilS7_ilS5_S7_ilPT18_ili26rocblas_geam_ex_operation_.uses_vcc, 1
	.set _ZN12_GLOBAL__N_120geam_min_plus_kernelIf15HIP_vector_typeIfLj2EES2_Li8ELi32ELi64ELi128ELi4ELi64ELi4ELi4ELi64ELc78ELc78ELb0ELb0ELb0EPKfS3_fEEviiiT16_PT17_ilS7_ilS5_S7_ilPT18_ili26rocblas_geam_ex_operation_.uses_flat_scratch, 0
	.set _ZN12_GLOBAL__N_120geam_min_plus_kernelIf15HIP_vector_typeIfLj2EES2_Li8ELi32ELi64ELi128ELi4ELi64ELi4ELi4ELi64ELc78ELc78ELb0ELb0ELb0EPKfS3_fEEviiiT16_PT17_ilS7_ilS5_S7_ilPT18_ili26rocblas_geam_ex_operation_.has_dyn_sized_stack, 0
	.set _ZN12_GLOBAL__N_120geam_min_plus_kernelIf15HIP_vector_typeIfLj2EES2_Li8ELi32ELi64ELi128ELi4ELi64ELi4ELi4ELi64ELc78ELc78ELb0ELb0ELb0EPKfS3_fEEviiiT16_PT17_ilS7_ilS5_S7_ilPT18_ili26rocblas_geam_ex_operation_.has_recursion, 0
	.set _ZN12_GLOBAL__N_120geam_min_plus_kernelIf15HIP_vector_typeIfLj2EES2_Li8ELi32ELi64ELi128ELi4ELi64ELi4ELi4ELi64ELc78ELc78ELb0ELb0ELb0EPKfS3_fEEviiiT16_PT17_ilS7_ilS5_S7_ilPT18_ili26rocblas_geam_ex_operation_.has_indirect_call, 0
	.section	.AMDGPU.csdata,"",@progbits
; Kernel info:
; codeLenInByte = 6704
; TotalNumSgprs: 34
; NumVgprs: 114
; NumAgprs: 0
; TotalNumVgprs: 114
; ScratchSize: 0
; MemoryBound: 0
; FloatMode: 240
; IeeeMode: 1
; LDSByteSize: 6144 bytes/workgroup (compile time only)
; SGPRBlocks: 4
; VGPRBlocks: 14
; NumSGPRsForWavesPerEU: 34
; NumVGPRsForWavesPerEU: 114
; AccumOffset: 116
; Occupancy: 4
; WaveLimiterHint : 0
; COMPUTE_PGM_RSRC2:SCRATCH_EN: 0
; COMPUTE_PGM_RSRC2:USER_SGPR: 2
; COMPUTE_PGM_RSRC2:TRAP_HANDLER: 0
; COMPUTE_PGM_RSRC2:TGID_X_EN: 1
; COMPUTE_PGM_RSRC2:TGID_Y_EN: 0
; COMPUTE_PGM_RSRC2:TGID_Z_EN: 1
; COMPUTE_PGM_RSRC2:TIDIG_COMP_CNT: 1
; COMPUTE_PGM_RSRC3_GFX90A:ACCUM_OFFSET: 28
; COMPUTE_PGM_RSRC3_GFX90A:TG_SPLIT: 0
	.section	.text._ZN12_GLOBAL__N_120geam_min_plus_kernelIf15HIP_vector_typeIfLj2EES2_Li8ELi32ELi64ELi128ELi4ELi64ELi4ELi4ELi64ELc78ELc78ELb1ELb0ELb0EfKffEEviiiT16_PT17_ilS6_ilS4_S6_ilPT18_ili26rocblas_geam_ex_operation_,"axG",@progbits,_ZN12_GLOBAL__N_120geam_min_plus_kernelIf15HIP_vector_typeIfLj2EES2_Li8ELi32ELi64ELi128ELi4ELi64ELi4ELi4ELi64ELc78ELc78ELb1ELb0ELb0EfKffEEviiiT16_PT17_ilS6_ilS4_S6_ilPT18_ili26rocblas_geam_ex_operation_,comdat
	.globl	_ZN12_GLOBAL__N_120geam_min_plus_kernelIf15HIP_vector_typeIfLj2EES2_Li8ELi32ELi64ELi128ELi4ELi64ELi4ELi4ELi64ELc78ELc78ELb1ELb0ELb0EfKffEEviiiT16_PT17_ilS6_ilS4_S6_ilPT18_ili26rocblas_geam_ex_operation_ ; -- Begin function _ZN12_GLOBAL__N_120geam_min_plus_kernelIf15HIP_vector_typeIfLj2EES2_Li8ELi32ELi64ELi128ELi4ELi64ELi4ELi4ELi64ELc78ELc78ELb1ELb0ELb0EfKffEEviiiT16_PT17_ilS6_ilS4_S6_ilPT18_ili26rocblas_geam_ex_operation_
	.p2align	8
	.type	_ZN12_GLOBAL__N_120geam_min_plus_kernelIf15HIP_vector_typeIfLj2EES2_Li8ELi32ELi64ELi128ELi4ELi64ELi4ELi4ELi64ELc78ELc78ELb1ELb0ELb0EfKffEEviiiT16_PT17_ilS6_ilS4_S6_ilPT18_ili26rocblas_geam_ex_operation_,@function
_ZN12_GLOBAL__N_120geam_min_plus_kernelIf15HIP_vector_typeIfLj2EES2_Li8ELi32ELi64ELi128ELi4ELi64ELi4ELi4ELi64ELc78ELc78ELb1ELb0ELb0EfKffEEviiiT16_PT17_ilS6_ilS4_S6_ilPT18_ili26rocblas_geam_ex_operation_: ; @_ZN12_GLOBAL__N_120geam_min_plus_kernelIf15HIP_vector_typeIfLj2EES2_Li8ELi32ELi64ELi128ELi4ELi64ELi4ELi4ELi64ELc78ELc78ELb1ELb0ELb0EfKffEEviiiT16_PT17_ilS6_ilS4_S6_ilPT18_ili26rocblas_geam_ex_operation_
; %bb.0:
	s_load_dwordx2 s[14:15], s[0:1], 0x8
	s_load_dwordx4 s[4:7], s[0:1], 0x20
	s_waitcnt lgkmcnt(0)
	v_cmp_eq_f32_e64 s[8:9], s15, 0
	s_and_b64 vcc, exec, s[8:9]
	s_cbranch_vccnz .LBB79_83
; %bb.1:
	s_load_dwordx2 s[10:11], s[0:1], 0x10
	s_mul_i32 s5, s5, s3
	s_mul_hi_u32 s12, s4, s3
	s_add_i32 s5, s12, s5
	s_mul_i32 s4, s4, s3
	s_lshl_b64 s[4:5], s[4:5], 2
	s_waitcnt lgkmcnt(0)
	s_add_u32 s16, s10, s4
	s_addc_u32 s17, s11, s5
	s_andn2_b64 vcc, exec, s[8:9]
	s_mov_b64 s[4:5], -1
	s_cbranch_vccnz .LBB79_3
.LBB79_2:
	s_mov_b64 s[4:5], 0
.LBB79_3:
	s_mov_b64 s[12:13], 0
	s_andn2_b64 vcc, exec, s[4:5]
	s_mov_b64 s[4:5], 0
	s_cbranch_vccnz .LBB79_5
; %bb.4:
	s_load_dwordx2 s[4:5], s[0:1], 0x38
	s_waitcnt lgkmcnt(0)
	s_mul_i32 s5, s5, s3
	s_mul_hi_u32 s8, s4, s3
	s_add_i32 s5, s8, s5
	s_mul_i32 s4, s4, s3
	s_lshl_b64 s[4:5], s[4:5], 2
	s_add_u32 s4, s6, s4
	s_addc_u32 s5, s7, s5
.LBB79_5:
	s_load_dword s20, s[0:1], 0x40
	s_load_dwordx4 s[8:11], s[0:1], 0x58
	s_mov_b32 s15, 0
	s_waitcnt lgkmcnt(0)
	v_cmp_eq_f32_e64 s[6:7], s20, 0
	s_and_b64 s[6:7], exec, s[6:7]
	s_mov_b64 vcc, s[6:7]
	s_cbranch_vccnz .LBB79_7
; %bb.6:
	s_load_dwordx2 s[12:13], s[0:1], 0x48
	s_mul_i32 s9, s9, s3
	s_mul_hi_u32 s18, s8, s3
	s_add_i32 s9, s18, s9
	s_mul_i32 s8, s8, s3
	s_lshl_b64 s[8:9], s[8:9], 2
	s_waitcnt lgkmcnt(0)
	s_add_u32 s12, s12, s8
	s_addc_u32 s13, s13, s9
.LBB79_7:
	s_load_dword s8, s[0:1], 0x0
	s_load_dword s22, s[0:1], 0x18
	;; [unrolled: 1-line block ×3, first 2 shown]
	v_and_b32_e32 v80, 0x3ff, v0
	v_bfe_u32 v81, v0, 10, 10
	s_waitcnt lgkmcnt(0)
	s_add_i32 s8, s8, -1
	s_ashr_i32 s9, s8, 31
	s_lshr_b32 s9, s9, 26
	s_add_i32 s8, s8, s9
	s_ashr_i32 s8, s8, 6
	s_add_i32 s9, s8, 1
	v_cvt_f32_u32_e32 v1, s9
	v_and_b32_e32 v82, 3, v0
	s_not_b32 s8, s8
	s_ashr_i32 s23, s22, 31
	v_rcp_iflag_f32_e32 v0, v1
	v_lshl_add_u32 v1, v81, 3, v80
	v_and_b32_e32 v8, 63, v1
	v_lshrrev_b32_e32 v9, 2, v1
	v_mul_f32_e32 v0, 0x4f7ffffe, v0
	v_cvt_u32_f32_e32 v0, v0
	v_lshrrev_b32_e32 v83, 6, v1
	v_lshlrev_b32_e32 v60, 2, v82
	v_mov_b32_e32 v61, 0
	v_readfirstlane_b32 s19, v0
	s_mul_i32 s8, s8, s19
	s_mul_hi_u32 s8, s19, s8
	s_add_i32 s19, s19, s8
	s_mul_hi_u32 s8, s2, s19
	s_mul_i32 s19, s8, s9
	s_sub_i32 s19, s2, s19
	s_add_i32 s21, s8, 1
	s_sub_i32 s24, s19, s9
	s_cmp_ge_u32 s19, s9
	s_cselect_b32 s8, s21, s8
	s_cselect_b32 s19, s24, s19
	s_add_i32 s21, s8, 1
	s_cmp_ge_u32 s19, s9
	s_cselect_b32 s8, s21, s8
	s_mul_i32 s9, s8, s9
	s_sub_i32 s2, s2, s9
	s_lshl_b32 s2, s2, 6
	s_lshl_b32 s21, s8, 7
	v_or_b32_e32 v72, s2, v8
	v_add_u32_e32 v6, s21, v9
	v_mad_i64_i32 v[0:1], s[8:9], s22, v83, 0
	v_mad_i64_i32 v[68:69], s[8:9], v6, s18, 0
	v_add_u32_e32 v6, 64, v6
	v_ashrrev_i32_e32 v73, 31, v72
	v_lshl_add_u64 v[2:3], s[4:5], 0, v[60:61]
	v_mad_i64_i32 v[70:71], s[8:9], v6, s18, 0
	v_lshl_add_u64 v[0:1], v[0:1], 2, s[16:17]
	v_lshlrev_b64 v[6:7], 2, v[72:73]
	v_lshl_add_u64 v[4:5], v[68:69], 2, v[2:3]
	v_lshl_add_u64 v[0:1], v[0:1], 0, v[6:7]
	v_add_u32_e32 v84, 4, v83
	v_lshl_add_u64 v[2:3], v[70:71], 2, v[2:3]
	global_load_dword v10, v[4:5], off
	global_load_dword v11, v[2:3], off
	;; [unrolled: 1-line block ×3, first 2 shown]
	v_mad_i64_i32 v[0:1], s[8:9], s22, v84, 0
	v_lshl_add_u64 v[0:1], v[0:1], 2, s[16:17]
	v_lshl_add_u64 v[0:1], v[0:1], 0, v[6:7]
	global_load_dword v74, v[2:3], off offset:16
	global_load_dword v75, v[4:5], off offset:16
	global_load_dword v76, v[0:1], off
	v_mov_b32_e32 v0, 0x1000
	v_lshl_add_u32 v85, v80, 4, v0
	v_lshlrev_b32_e32 v0, 4, v8
	v_lshl_or_b32 v86, v9, 4, v60
	v_lshl_add_u32 v77, v83, 2, v0
	v_cmp_neq_f32_e64 s[8:9], s20, 0
	s_mov_b64 s[18:19], -1
	v_mov_b32_e32 v66, v61
	v_mov_b32_e32 v67, v61
	;; [unrolled: 1-line block ×48, first 2 shown]
	s_waitcnt vmcnt(4)
	ds_write2st64_b32 v86, v10, v11 offset1:4
	s_waitcnt vmcnt(3)
	ds_write_b32 v77, v12 offset:4096
	v_mov_b32_e32 v19, v61
	v_mov_b32_e32 v16, v61
	v_mov_b32_e32 v17, v61
	v_mov_b32_e32 v14, v61
	v_mov_b32_e32 v15, v61
	v_mov_b32_e32 v12, v61
	v_mov_b32_e32 v13, v61
	v_mov_b32_e32 v10, v61
	v_mov_b32_e32 v11, v61
	v_mov_b32_e32 v8, v61
	v_mov_b32_e32 v9, v61
	v_mov_b32_e32 v6, v61
	v_mov_b32_e32 v7, v61
	v_mov_b32_e32 v4, v61
	v_mov_b32_e32 v5, v61
	v_or_b32_e32 v87, 0x1000, v77
	v_lshlrev_b32_e32 v88, 4, v81
	s_waitcnt lgkmcnt(0)
	s_barrier
.LBB79_8:                               ; =>This Inner Loop Header: Depth=1
	v_cndmask_b32_e64 v0, 0, 1, s[18:19]
	s_lshl_b32 s15, s15, 2
	v_cmp_ne_u32_e32 vcc, 1, v0
	v_add_u32_e32 v0, s15, v85
	ds_read2_b64 v[90:93], v0 offset1:16
	ds_read2_b64 v[94:97], v0 offset0:32 offset1:48
	ds_read2_b64 v[98:101], v0 offset0:64 offset1:80
	;; [unrolled: 1-line block ×3, first 2 shown]
	v_add_u32_e32 v0, s15, v88
	ds_read2st64_b64 v[106:109], v0 offset1:1
	ds_read2st64_b64 v[0:3], v0 offset0:2 offset1:3
	s_waitcnt lgkmcnt(5)
	v_max_f32_e32 v90, v90, v90
	v_max_f32_e32 v91, v91, v91
	;; [unrolled: 1-line block ×3, first 2 shown]
	s_waitcnt lgkmcnt(1)
	v_max_f32_e32 v89, v106, v106
	v_max_f32_e32 v106, v107, v107
	v_min_f32_e32 v78, v90, v89
	v_min_f32_e32 v79, v91, v106
	v_max_f32_e32 v93, v93, v93
	v_pk_add_f32 v[60:61], v[78:79], v[60:61]
	v_min_f32_e32 v78, v92, v89
	v_min_f32_e32 v79, v93, v106
	v_max_f32_e32 v94, v94, v94
	v_max_f32_e32 v95, v95, v95
	v_pk_add_f32 v[66:67], v[78:79], v[66:67]
	v_min_f32_e32 v78, v94, v89
	v_min_f32_e32 v79, v95, v106
	v_max_f32_e32 v96, v96, v96
	v_max_f32_e32 v97, v97, v97
	v_pk_add_f32 v[64:65], v[78:79], v[64:65]
	v_min_f32_e32 v78, v96, v89
	v_min_f32_e32 v79, v97, v106
	v_max_f32_e32 v98, v98, v98
	v_max_f32_e32 v99, v99, v99
	v_pk_add_f32 v[62:63], v[78:79], v[62:63]
	v_min_f32_e32 v78, v98, v89
	v_min_f32_e32 v79, v99, v106
	v_max_f32_e32 v100, v100, v100
	v_max_f32_e32 v101, v101, v101
	v_pk_add_f32 v[58:59], v[78:79], v[58:59]
	v_min_f32_e32 v78, v100, v89
	v_min_f32_e32 v79, v101, v106
	v_max_f32_e32 v102, v102, v102
	v_max_f32_e32 v103, v103, v103
	v_pk_add_f32 v[56:57], v[78:79], v[56:57]
	v_min_f32_e32 v78, v102, v89
	v_min_f32_e32 v79, v103, v106
	v_max_f32_e32 v104, v104, v104
	v_pk_add_f32 v[54:55], v[78:79], v[54:55]
	v_min_f32_e32 v78, v104, v89
	v_max_f32_e32 v89, v105, v105
	v_min_f32_e32 v79, v89, v106
	v_max_f32_e32 v105, v108, v108
	v_max_f32_e32 v106, v109, v109
	v_pk_add_f32 v[52:53], v[78:79], v[52:53]
	v_min_f32_e32 v78, v90, v105
	v_min_f32_e32 v79, v91, v106
	v_pk_add_f32 v[50:51], v[78:79], v[50:51]
	v_min_f32_e32 v78, v92, v105
	v_min_f32_e32 v79, v93, v106
	;; [unrolled: 3-line block ×8, first 2 shown]
	v_pk_add_f32 v[36:37], v[78:79], v[36:37]
	s_waitcnt lgkmcnt(0)
	v_max_f32_e32 v78, v0, v0
	v_max_f32_e32 v79, v1, v1
	v_min_f32_e32 v0, v90, v78
	v_min_f32_e32 v1, v91, v79
	v_pk_add_f32 v[34:35], v[0:1], v[34:35]
	v_min_f32_e32 v0, v92, v78
	v_min_f32_e32 v1, v93, v79
	v_pk_add_f32 v[32:33], v[0:1], v[32:33]
	v_min_f32_e32 v0, v94, v78
	v_min_f32_e32 v1, v95, v79
	v_pk_add_f32 v[30:31], v[0:1], v[30:31]
	v_min_f32_e32 v0, v96, v78
	v_min_f32_e32 v1, v97, v79
	v_pk_add_f32 v[28:29], v[0:1], v[28:29]
	v_min_f32_e32 v0, v98, v78
	v_min_f32_e32 v1, v99, v79
	v_pk_add_f32 v[26:27], v[0:1], v[26:27]
	v_min_f32_e32 v0, v100, v78
	v_min_f32_e32 v1, v101, v79
	v_pk_add_f32 v[24:25], v[0:1], v[24:25]
	v_min_f32_e32 v0, v102, v78
	v_min_f32_e32 v1, v103, v79
	v_pk_add_f32 v[22:23], v[0:1], v[22:23]
	v_min_f32_e32 v0, v104, v78
	v_min_f32_e32 v1, v89, v79
	v_max_f32_e32 v2, v2, v2
	v_max_f32_e32 v3, v3, v3
	v_pk_add_f32 v[20:21], v[0:1], v[20:21]
	v_min_f32_e32 v0, v90, v2
	v_min_f32_e32 v1, v91, v3
	v_pk_add_f32 v[18:19], v[0:1], v[18:19]
	v_min_f32_e32 v0, v92, v2
	v_min_f32_e32 v1, v93, v3
	;; [unrolled: 3-line block ×8, first 2 shown]
	v_pk_add_f32 v[4:5], v[0:1], v[4:5]
	s_mov_b64 s[18:19], 0
	s_mov_b32 s15, 2
	s_cbranch_vccz .LBB79_8
; %bb.9:
	s_cmp_lt_i32 s14, 9
	s_waitcnt vmcnt(0)
	ds_write_b32 v77, v76 offset:5120
	ds_write2st64_b32 v86, v75, v74 offset0:8 offset1:12
	s_waitcnt lgkmcnt(0)
	s_barrier
	s_cbranch_scc1 .LBB79_16
; %bb.10:
	v_mov_b32_e32 v0, 0x1400
	v_lshl_add_u32 v91, v80, 4, v0
	v_mov_b32_e32 v0, 0x800
	v_add_u32_e32 v89, 0x1400, v77
	v_add_u32_e32 v90, 0x800, v86
	s_add_i32 s18, s14, -8
	v_lshl_add_u64 v[72:73], v[72:73], 2, s[16:17]
	v_lshl_add_u32 v92, v81, 4, v0
	s_mov_b32 s16, 8
	s_mov_b32 s17, 0
	v_mov_b32_e32 v75, 0
.LBB79_11:                              ; =>This Loop Header: Depth=1
                                        ;     Child Loop BB79_12 Depth 2
                                        ;     Child Loop BB79_14 Depth 2
	v_add_u32_e32 v3, s16, v83
	v_mad_u64_u32 v[0:1], s[14:15], v3, s22, 0
	v_mov_b32_e32 v2, v1
	v_mad_u64_u32 v[2:3], s[14:15], v3, s23, v[2:3]
	v_mov_b32_e32 v1, v2
	v_lshl_add_u64 v[0:1], v[0:1], 2, v[72:73]
	v_or_b32_e32 v74, s16, v82
	global_load_dword v93, v[0:1], off
	v_lshl_add_u64 v[0:1], v[74:75], 2, s[4:5]
	v_lshl_add_u64 v[76:77], v[68:69], 2, v[0:1]
	;; [unrolled: 1-line block ×3, first 2 shown]
	global_load_dword v74, v[76:77], off
	global_load_dword v94, v[78:79], off
	s_mov_b64 s[14:15], -1
	s_mov_b32 s19, 0
.LBB79_12:                              ;   Parent Loop BB79_11 Depth=1
                                        ; =>  This Inner Loop Header: Depth=2
	v_cndmask_b32_e64 v0, 0, 1, s[14:15]
	s_lshl_b32 s14, s19, 2
	v_cmp_ne_u32_e32 vcc, 1, v0
	v_add_u32_e32 v0, s14, v91
	ds_read2_b64 v[96:99], v0 offset1:16
	ds_read2_b64 v[100:103], v0 offset0:32 offset1:48
	ds_read2_b64 v[104:107], v0 offset0:64 offset1:80
	;; [unrolled: 1-line block ×3, first 2 shown]
	v_add_u32_e32 v0, s14, v92
	ds_read2st64_b64 v[112:115], v0 offset1:1
	ds_read2st64_b64 v[0:3], v0 offset0:2 offset1:3
	s_waitcnt lgkmcnt(5)
	v_max_f32_e32 v116, v97, v97
	v_max_f32_e32 v98, v98, v98
	;; [unrolled: 1-line block ×3, first 2 shown]
	s_waitcnt lgkmcnt(1)
	v_max_f32_e32 v95, v112, v112
	v_max_f32_e32 v112, v96, v96
	;; [unrolled: 1-line block ×3, first 2 shown]
	v_min_f32_e32 v96, v112, v95
	v_min_f32_e32 v97, v116, v113
	v_pk_add_f32 v[60:61], v[96:97], v[60:61]
	v_min_f32_e32 v96, v98, v95
	v_min_f32_e32 v97, v99, v113
	v_max_f32_e32 v100, v100, v100
	v_max_f32_e32 v101, v101, v101
	v_pk_add_f32 v[66:67], v[96:97], v[66:67]
	v_min_f32_e32 v96, v100, v95
	v_min_f32_e32 v97, v101, v113
	v_max_f32_e32 v102, v102, v102
	v_max_f32_e32 v103, v103, v103
	;; [unrolled: 5-line block ×5, first 2 shown]
	v_pk_add_f32 v[56:57], v[96:97], v[56:57]
	v_min_f32_e32 v96, v108, v95
	v_min_f32_e32 v97, v109, v113
	v_max_f32_e32 v110, v110, v110
	v_pk_add_f32 v[54:55], v[96:97], v[54:55]
	v_min_f32_e32 v96, v110, v95
	v_max_f32_e32 v95, v111, v111
	v_min_f32_e32 v97, v95, v113
	v_max_f32_e32 v111, v114, v114
	v_max_f32_e32 v113, v115, v115
	v_pk_add_f32 v[52:53], v[96:97], v[52:53]
	v_min_f32_e32 v96, v112, v111
	v_min_f32_e32 v97, v116, v113
	v_pk_add_f32 v[50:51], v[96:97], v[50:51]
	v_min_f32_e32 v96, v98, v111
	v_min_f32_e32 v97, v99, v113
	;; [unrolled: 3-line block ×8, first 2 shown]
	v_pk_add_f32 v[36:37], v[96:97], v[36:37]
	s_waitcnt lgkmcnt(0)
	v_max_f32_e32 v96, v0, v0
	v_max_f32_e32 v97, v1, v1
	v_min_f32_e32 v0, v112, v96
	v_min_f32_e32 v1, v116, v97
	v_pk_add_f32 v[34:35], v[0:1], v[34:35]
	v_min_f32_e32 v0, v98, v96
	v_min_f32_e32 v1, v99, v97
	v_pk_add_f32 v[32:33], v[0:1], v[32:33]
	;; [unrolled: 3-line block ×7, first 2 shown]
	v_min_f32_e32 v0, v110, v96
	v_min_f32_e32 v1, v95, v97
	v_max_f32_e32 v2, v2, v2
	v_max_f32_e32 v3, v3, v3
	v_pk_add_f32 v[20:21], v[0:1], v[20:21]
	v_min_f32_e32 v0, v112, v2
	v_min_f32_e32 v1, v116, v3
	v_pk_add_f32 v[18:19], v[0:1], v[18:19]
	v_min_f32_e32 v0, v98, v2
	v_min_f32_e32 v1, v99, v3
	;; [unrolled: 3-line block ×8, first 2 shown]
	v_pk_add_f32 v[4:5], v[0:1], v[4:5]
	s_mov_b64 s[14:15], 0
	s_mov_b32 s19, 2
	s_cbranch_vccz .LBB79_12
; %bb.13:                               ;   in Loop: Header=BB79_11 Depth=1
	v_add_u32_e32 v3, s16, v84
	v_mad_u64_u32 v[0:1], s[14:15], v3, s22, 0
	v_mov_b32_e32 v2, v1
	v_mad_u64_u32 v[2:3], s[14:15], v3, s23, v[2:3]
	v_mov_b32_e32 v1, v2
	v_lshl_add_u64 v[0:1], v[0:1], 2, v[72:73]
	s_waitcnt vmcnt(2)
	ds_write_b32 v87, v93
	s_waitcnt vmcnt(0)
	ds_write2st64_b32 v86, v74, v94 offset1:4
	s_waitcnt lgkmcnt(0)
	s_barrier
	global_load_dword v74, v[0:1], off
	global_load_dword v93, v[76:77], off offset:16
	global_load_dword v94, v[78:79], off offset:16
	s_mov_b32 s19, 0
	s_mov_b64 s[14:15], -1
.LBB79_14:                              ;   Parent Loop BB79_11 Depth=1
                                        ; =>  This Inner Loop Header: Depth=2
	v_cndmask_b32_e64 v0, 0, 1, s[14:15]
	s_lshl_b32 s14, s19, 2
	v_cmp_ne_u32_e32 vcc, 1, v0
	v_add_u32_e32 v0, s14, v85
	ds_read2_b64 v[76:79], v0 offset1:16
	ds_read2_b64 v[96:99], v0 offset0:32 offset1:48
	ds_read2_b64 v[100:103], v0 offset0:64 offset1:80
	;; [unrolled: 1-line block ×3, first 2 shown]
	v_add_u32_e32 v0, s14, v88
	ds_read2st64_b64 v[108:111], v0 offset1:1
	ds_read2st64_b64 v[0:3], v0 offset0:2 offset1:3
	s_waitcnt lgkmcnt(5)
	v_max_f32_e32 v112, v77, v77
	v_max_f32_e32 v78, v78, v78
	;; [unrolled: 1-line block ×3, first 2 shown]
	s_waitcnt lgkmcnt(1)
	v_max_f32_e32 v95, v108, v108
	v_max_f32_e32 v108, v76, v76
	;; [unrolled: 1-line block ×3, first 2 shown]
	v_min_f32_e32 v76, v108, v95
	v_min_f32_e32 v77, v112, v109
	v_pk_add_f32 v[60:61], v[76:77], v[60:61]
	v_min_f32_e32 v76, v78, v95
	v_min_f32_e32 v77, v79, v109
	v_max_f32_e32 v96, v96, v96
	v_max_f32_e32 v97, v97, v97
	v_pk_add_f32 v[66:67], v[76:77], v[66:67]
	v_min_f32_e32 v76, v96, v95
	v_min_f32_e32 v77, v97, v109
	v_max_f32_e32 v98, v98, v98
	v_max_f32_e32 v99, v99, v99
	;; [unrolled: 5-line block ×5, first 2 shown]
	v_pk_add_f32 v[56:57], v[76:77], v[56:57]
	v_min_f32_e32 v76, v104, v95
	v_min_f32_e32 v77, v105, v109
	v_max_f32_e32 v106, v106, v106
	v_pk_add_f32 v[54:55], v[76:77], v[54:55]
	v_min_f32_e32 v76, v106, v95
	v_max_f32_e32 v95, v107, v107
	v_min_f32_e32 v77, v95, v109
	v_max_f32_e32 v107, v110, v110
	v_max_f32_e32 v109, v111, v111
	v_pk_add_f32 v[52:53], v[76:77], v[52:53]
	v_min_f32_e32 v76, v108, v107
	v_min_f32_e32 v77, v112, v109
	v_pk_add_f32 v[50:51], v[76:77], v[50:51]
	v_min_f32_e32 v76, v78, v107
	v_min_f32_e32 v77, v79, v109
	;; [unrolled: 3-line block ×8, first 2 shown]
	v_pk_add_f32 v[36:37], v[76:77], v[36:37]
	s_waitcnt lgkmcnt(0)
	v_max_f32_e32 v76, v0, v0
	v_max_f32_e32 v77, v1, v1
	v_min_f32_e32 v0, v108, v76
	v_min_f32_e32 v1, v112, v77
	v_pk_add_f32 v[34:35], v[0:1], v[34:35]
	v_min_f32_e32 v0, v78, v76
	v_min_f32_e32 v1, v79, v77
	v_pk_add_f32 v[32:33], v[0:1], v[32:33]
	v_min_f32_e32 v0, v96, v76
	v_min_f32_e32 v1, v97, v77
	v_pk_add_f32 v[30:31], v[0:1], v[30:31]
	v_min_f32_e32 v0, v98, v76
	v_min_f32_e32 v1, v99, v77
	v_pk_add_f32 v[28:29], v[0:1], v[28:29]
	v_min_f32_e32 v0, v100, v76
	v_min_f32_e32 v1, v101, v77
	v_pk_add_f32 v[26:27], v[0:1], v[26:27]
	v_min_f32_e32 v0, v102, v76
	v_min_f32_e32 v1, v103, v77
	v_pk_add_f32 v[24:25], v[0:1], v[24:25]
	v_min_f32_e32 v0, v104, v76
	v_min_f32_e32 v1, v105, v77
	v_pk_add_f32 v[22:23], v[0:1], v[22:23]
	v_min_f32_e32 v0, v106, v76
	v_min_f32_e32 v1, v95, v77
	v_max_f32_e32 v2, v2, v2
	v_max_f32_e32 v3, v3, v3
	v_pk_add_f32 v[20:21], v[0:1], v[20:21]
	v_min_f32_e32 v0, v108, v2
	v_min_f32_e32 v1, v112, v3
	v_pk_add_f32 v[18:19], v[0:1], v[18:19]
	v_min_f32_e32 v0, v78, v2
	v_min_f32_e32 v1, v79, v3
	;; [unrolled: 3-line block ×8, first 2 shown]
	v_pk_add_f32 v[4:5], v[0:1], v[4:5]
	s_mov_b64 s[14:15], 0
	s_mov_b32 s19, 2
	s_cbranch_vccz .LBB79_14
; %bb.15:                               ;   in Loop: Header=BB79_11 Depth=1
	s_add_i32 s16, s16, 8
	s_add_i32 s17, s17, 8
	s_cmp_ge_i32 s17, s18
	s_waitcnt vmcnt(2)
	ds_write_b32 v89, v74
	s_waitcnt vmcnt(0)
	ds_write2st64_b32 v90, v93, v94 offset1:4
	s_waitcnt lgkmcnt(0)
	s_barrier
	s_cbranch_scc0 .LBB79_11
.LBB79_16:
	v_mov_b32_e32 v0, 0x1400
	v_lshl_add_u32 v68, v80, 4, v0
	v_mov_b32_e32 v0, 0x800
	v_lshl_add_u32 v69, v81, 4, v0
	s_mov_b32 s14, 0
	s_mov_b64 s[4:5], -1
.LBB79_17:                              ; =>This Inner Loop Header: Depth=1
	v_cndmask_b32_e64 v0, 0, 1, s[4:5]
	s_lshl_b32 s4, s14, 2
	v_cmp_ne_u32_e32 vcc, 1, v0
	v_add_u32_e32 v0, s4, v68
	ds_read2_b64 v[70:73], v0 offset1:16
	ds_read2_b64 v[74:77], v0 offset0:32 offset1:48
	ds_read2_b64 v[82:85], v0 offset0:64 offset1:80
	;; [unrolled: 1-line block ×3, first 2 shown]
	v_add_u32_e32 v0, s4, v69
	ds_read2st64_b64 v[90:93], v0 offset1:1
	ds_read2st64_b64 v[0:3], v0 offset0:2 offset1:3
	s_waitcnt lgkmcnt(5)
	v_max_f32_e32 v79, v70, v70
	v_max_f32_e32 v72, v72, v72
	;; [unrolled: 1-line block ×3, first 2 shown]
	s_waitcnt lgkmcnt(1)
	v_max_f32_e32 v78, v90, v90
	v_max_f32_e32 v90, v91, v91
	;; [unrolled: 1-line block ×3, first 2 shown]
	v_min_f32_e32 v70, v79, v78
	v_min_f32_e32 v71, v91, v90
	v_pk_add_f32 v[60:61], v[70:71], v[60:61]
	v_min_f32_e32 v70, v72, v78
	v_min_f32_e32 v71, v73, v90
	v_max_f32_e32 v74, v74, v74
	v_max_f32_e32 v75, v75, v75
	v_pk_add_f32 v[66:67], v[70:71], v[66:67]
	v_min_f32_e32 v70, v74, v78
	v_min_f32_e32 v71, v75, v90
	v_max_f32_e32 v76, v76, v76
	v_max_f32_e32 v77, v77, v77
	;; [unrolled: 5-line block ×5, first 2 shown]
	v_pk_add_f32 v[56:57], v[70:71], v[56:57]
	v_min_f32_e32 v70, v86, v78
	v_min_f32_e32 v71, v87, v90
	v_max_f32_e32 v88, v88, v88
	v_pk_add_f32 v[54:55], v[70:71], v[54:55]
	v_min_f32_e32 v70, v88, v78
	v_max_f32_e32 v78, v89, v89
	v_min_f32_e32 v71, v78, v90
	v_max_f32_e32 v89, v92, v92
	v_max_f32_e32 v90, v93, v93
	v_pk_add_f32 v[52:53], v[70:71], v[52:53]
	v_min_f32_e32 v70, v79, v89
	v_min_f32_e32 v71, v91, v90
	v_pk_add_f32 v[50:51], v[70:71], v[50:51]
	v_min_f32_e32 v70, v72, v89
	v_min_f32_e32 v71, v73, v90
	;; [unrolled: 3-line block ×8, first 2 shown]
	v_pk_add_f32 v[36:37], v[70:71], v[36:37]
	s_waitcnt lgkmcnt(0)
	v_max_f32_e32 v70, v0, v0
	v_max_f32_e32 v71, v1, v1
	v_min_f32_e32 v0, v79, v70
	v_min_f32_e32 v1, v91, v71
	v_pk_add_f32 v[34:35], v[0:1], v[34:35]
	v_min_f32_e32 v0, v72, v70
	v_min_f32_e32 v1, v73, v71
	v_pk_add_f32 v[32:33], v[0:1], v[32:33]
	;; [unrolled: 3-line block ×7, first 2 shown]
	v_min_f32_e32 v0, v88, v70
	v_min_f32_e32 v1, v78, v71
	v_max_f32_e32 v2, v2, v2
	v_max_f32_e32 v3, v3, v3
	v_pk_add_f32 v[20:21], v[0:1], v[20:21]
	v_min_f32_e32 v0, v79, v2
	v_min_f32_e32 v1, v91, v3
	v_pk_add_f32 v[18:19], v[0:1], v[18:19]
	v_min_f32_e32 v0, v72, v2
	v_min_f32_e32 v1, v73, v3
	;; [unrolled: 3-line block ×8, first 2 shown]
	v_pk_add_f32 v[4:5], v[0:1], v[4:5]
	s_mov_b64 s[4:5], 0
	s_mov_b32 s14, 2
	s_cbranch_vccz .LBB79_17
; %bb.18:
	s_load_dword s14, s[0:1], 0x50
	v_add_u32_e32 v72, s21, v81
	v_add_u32_e32 v0, s2, v80
	v_ashrrev_i32_e32 v1, 31, v0
	v_mov_b32_e32 v73, 0
	s_waitcnt lgkmcnt(0)
	v_mad_i64_i32 v[2:3], s[4:5], v72, s14, 0
	v_lshl_add_u64 v[68:69], v[2:3], 2, s[12:13]
	v_cndmask_b32_e64 v2, 0, 1, s[8:9]
	v_cmp_ne_u32_e64 s[4:5], 1, v2
	s_andn2_b64 vcc, exec, s[8:9]
	v_mov_b32_e32 v74, 0
	s_cbranch_vccnz .LBB79_20
; %bb.19:
	v_lshl_add_u64 v[2:3], v[0:1], 2, v[68:69]
	global_load_dword v2, v[2:3], off
	s_waitcnt vmcnt(0)
	v_mul_f32_e32 v74, s20, v2
.LBB79_20:
	s_load_dwordx2 s[8:9], s[0:1], 0x70
	s_load_dword s2, s[0:1], 0x68
	v_add_u32_e32 v2, 8, v0
	v_add_f32_e32 v60, v60, v61
	v_ashrrev_i32_e32 v3, 31, v2
	s_waitcnt lgkmcnt(0)
	s_mul_i32 s1, s9, s3
	s_mul_hi_u32 s9, s8, s3
	s_mul_i32 s0, s8, s3
	s_add_i32 s1, s9, s1
	s_lshl_b64 s[0:1], s[0:1], 2
	s_add_u32 s0, s10, s0
	s_addc_u32 s1, s11, s1
	v_mad_i64_i32 v[70:71], s[8:9], v72, s2, 0
	v_lshl_add_u64 v[70:71], v[70:71], 2, s[0:1]
	v_add_f32_e32 v74, v60, v74
	v_lshl_add_u64 v[60:61], v[0:1], 2, v[70:71]
	s_and_b64 vcc, exec, s[4:5]
	global_store_dword v[60:61], v74, off
	s_cbranch_vccnz .LBB79_22
; %bb.21:
	v_lshl_add_u64 v[60:61], v[2:3], 2, v[68:69]
	global_load_dword v60, v[60:61], off
	s_waitcnt vmcnt(0)
	v_mul_f32_e32 v73, s20, v60
.LBB79_22:
	v_add_f32_e32 v66, v66, v67
	v_add_u32_e32 v60, 16, v0
	v_add_f32_e32 v73, v66, v73
	v_lshl_add_u64 v[66:67], v[2:3], 2, v[70:71]
	v_ashrrev_i32_e32 v61, 31, v60
	global_store_dword v[66:67], v73, off
	v_mov_b32_e32 v66, 0
	s_and_b64 vcc, exec, s[4:5]
	v_mov_b32_e32 v67, 0
	s_cbranch_vccnz .LBB79_24
; %bb.23:
	v_lshl_add_u64 v[74:75], v[60:61], 2, v[68:69]
	global_load_dword v67, v[74:75], off
	s_waitcnt vmcnt(0)
	v_mul_f32_e32 v67, s20, v67
.LBB79_24:
	v_add_f32_e32 v73, v64, v65
	v_add_u32_e32 v64, 24, v0
	v_ashrrev_i32_e32 v65, 31, v64
	v_add_f32_e32 v67, v73, v67
	v_lshl_add_u64 v[74:75], v[60:61], 2, v[70:71]
	s_and_b64 vcc, exec, s[4:5]
	global_store_dword v[74:75], v67, off
	s_cbranch_vccnz .LBB79_26
; %bb.25:
	v_lshl_add_u64 v[66:67], v[64:65], 2, v[68:69]
	global_load_dword v66, v[66:67], off
	s_waitcnt vmcnt(0)
	v_mul_f32_e32 v66, s20, v66
.LBB79_26:
	v_add_f32_e32 v67, v62, v63
	v_add_u32_e32 v62, 32, v0
	v_add_f32_e32 v73, v67, v66
	v_lshl_add_u64 v[66:67], v[64:65], 2, v[70:71]
	v_ashrrev_i32_e32 v63, 31, v62
	global_store_dword v[66:67], v73, off
	v_mov_b32_e32 v66, 0
	s_and_b64 vcc, exec, s[4:5]
	v_mov_b32_e32 v67, 0
	s_cbranch_vccnz .LBB79_28
; %bb.27:
	v_lshl_add_u64 v[74:75], v[62:63], 2, v[68:69]
	global_load_dword v67, v[74:75], off
	s_waitcnt vmcnt(0)
	v_mul_f32_e32 v67, s20, v67
.LBB79_28:
	v_add_f32_e32 v73, v58, v59
	v_add_u32_e32 v58, 40, v0
	v_ashrrev_i32_e32 v59, 31, v58
	v_add_f32_e32 v67, v73, v67
	v_lshl_add_u64 v[74:75], v[62:63], 2, v[70:71]
	s_and_b64 vcc, exec, s[4:5]
	global_store_dword v[74:75], v67, off
	s_cbranch_vccnz .LBB79_30
; %bb.29:
	v_lshl_add_u64 v[66:67], v[58:59], 2, v[68:69]
	global_load_dword v66, v[66:67], off
	s_waitcnt vmcnt(0)
	v_mul_f32_e32 v66, s20, v66
.LBB79_30:
	v_add_f32_e32 v67, v56, v57
	v_add_u32_e32 v56, 48, v0
	v_add_f32_e32 v73, v67, v66
	v_lshl_add_u64 v[66:67], v[58:59], 2, v[70:71]
	v_ashrrev_i32_e32 v57, 31, v56
	global_store_dword v[66:67], v73, off
	v_mov_b32_e32 v66, 0
	s_and_b64 vcc, exec, s[4:5]
	v_mov_b32_e32 v67, 0
	s_cbranch_vccnz .LBB79_32
; %bb.31:
	v_lshl_add_u64 v[74:75], v[56:57], 2, v[68:69]
	global_load_dword v67, v[74:75], off
	s_waitcnt vmcnt(0)
	v_mul_f32_e32 v67, s20, v67
.LBB79_32:
	v_add_f32_e32 v73, v54, v55
	v_add_u32_e32 v54, 56, v0
	v_ashrrev_i32_e32 v55, 31, v54
	v_add_f32_e32 v67, v73, v67
	v_lshl_add_u64 v[74:75], v[56:57], 2, v[70:71]
	s_and_b64 vcc, exec, s[4:5]
	global_store_dword v[74:75], v67, off
	s_cbranch_vccnz .LBB79_34
; %bb.33:
	v_lshl_add_u64 v[66:67], v[54:55], 2, v[68:69]
	global_load_dword v66, v[66:67], off
	s_waitcnt vmcnt(0)
	v_mul_f32_e32 v66, s20, v66
.LBB79_34:
	v_add_f32_e32 v52, v52, v53
	v_add_f32_e32 v66, v52, v66
	v_lshl_add_u64 v[52:53], v[54:55], 2, v[70:71]
	global_store_dword v[52:53], v66, off
	v_add_u32_e32 v66, 32, v72
	v_mad_i64_i32 v[52:53], s[8:9], v66, s14, 0
	v_lshl_add_u64 v[52:53], v[52:53], 2, s[12:13]
	v_mov_b32_e32 v68, 0
	s_and_b64 vcc, exec, s[4:5]
	v_mov_b32_e32 v69, 0
	s_cbranch_vccnz .LBB79_36
; %bb.35:
	v_lshl_add_u64 v[70:71], v[0:1], 2, v[52:53]
	global_load_dword v67, v[70:71], off
	s_waitcnt vmcnt(0)
	v_mul_f32_e32 v69, s20, v67
.LBB79_36:
	v_mad_i64_i32 v[66:67], s[8:9], v66, s2, 0
	v_lshl_add_u64 v[66:67], v[66:67], 2, s[0:1]
	v_add_f32_e32 v50, v50, v51
	v_add_f32_e32 v69, v50, v69
	v_lshl_add_u64 v[50:51], v[0:1], 2, v[66:67]
	s_and_b64 vcc, exec, s[4:5]
	global_store_dword v[50:51], v69, off
	s_cbranch_vccnz .LBB79_38
; %bb.37:
	v_lshl_add_u64 v[50:51], v[2:3], 2, v[52:53]
	global_load_dword v50, v[50:51], off
	s_waitcnt vmcnt(0)
	v_mul_f32_e32 v68, s20, v50
.LBB79_38:
	v_add_f32_e32 v48, v48, v49
	v_add_f32_e32 v50, v48, v68
	v_lshl_add_u64 v[48:49], v[2:3], 2, v[66:67]
	global_store_dword v[48:49], v50, off
	v_mov_b32_e32 v48, 0
	s_and_b64 vcc, exec, s[4:5]
	v_mov_b32_e32 v49, 0
	s_cbranch_vccnz .LBB79_40
; %bb.39:
	v_lshl_add_u64 v[50:51], v[60:61], 2, v[52:53]
	global_load_dword v49, v[50:51], off
	s_waitcnt vmcnt(0)
	v_mul_f32_e32 v49, s20, v49
.LBB79_40:
	v_add_f32_e32 v46, v46, v47
	v_add_f32_e32 v49, v46, v49
	v_lshl_add_u64 v[46:47], v[60:61], 2, v[66:67]
	s_and_b64 vcc, exec, s[4:5]
	global_store_dword v[46:47], v49, off
	s_cbranch_vccnz .LBB79_42
; %bb.41:
	v_lshl_add_u64 v[46:47], v[64:65], 2, v[52:53]
	global_load_dword v46, v[46:47], off
	s_waitcnt vmcnt(0)
	v_mul_f32_e32 v48, s20, v46
.LBB79_42:
	v_add_f32_e32 v44, v44, v45
	v_add_f32_e32 v46, v44, v48
	v_lshl_add_u64 v[44:45], v[64:65], 2, v[66:67]
	global_store_dword v[44:45], v46, off
	v_mov_b32_e32 v44, 0
	s_and_b64 vcc, exec, s[4:5]
	v_mov_b32_e32 v45, 0
	s_cbranch_vccnz .LBB79_44
; %bb.43:
	v_lshl_add_u64 v[46:47], v[62:63], 2, v[52:53]
	global_load_dword v45, v[46:47], off
	s_waitcnt vmcnt(0)
	v_mul_f32_e32 v45, s20, v45
.LBB79_44:
	;; [unrolled: 26-line block ×3, first 2 shown]
	v_add_f32_e32 v38, v38, v39
	v_add_f32_e32 v41, v38, v41
	v_lshl_add_u64 v[38:39], v[56:57], 2, v[66:67]
	s_and_b64 vcc, exec, s[4:5]
	global_store_dword v[38:39], v41, off
	s_cbranch_vccnz .LBB79_50
; %bb.49:
	v_lshl_add_u64 v[38:39], v[54:55], 2, v[52:53]
	global_load_dword v38, v[38:39], off
	s_waitcnt vmcnt(0)
	v_mul_f32_e32 v40, s20, v38
.LBB79_50:
	v_add_f32_e32 v36, v36, v37
	v_add_f32_e32 v38, v36, v40
	v_lshl_add_u64 v[36:37], v[54:55], 2, v[66:67]
	global_store_dword v[36:37], v38, off
	v_add_u32_e32 v38, 64, v72
	v_mad_i64_i32 v[36:37], s[8:9], v38, s14, 0
	v_lshl_add_u64 v[36:37], v[36:37], 2, s[12:13]
	v_mov_b32_e32 v40, 0
	s_and_b64 vcc, exec, s[4:5]
	v_mov_b32_e32 v41, 0
	s_cbranch_vccnz .LBB79_52
; %bb.51:
	v_lshl_add_u64 v[42:43], v[0:1], 2, v[36:37]
	global_load_dword v39, v[42:43], off
	s_waitcnt vmcnt(0)
	v_mul_f32_e32 v41, s20, v39
.LBB79_52:
	v_mad_i64_i32 v[38:39], s[8:9], v38, s2, 0
	v_lshl_add_u64 v[38:39], v[38:39], 2, s[0:1]
	v_add_f32_e32 v34, v34, v35
	v_add_f32_e32 v41, v34, v41
	v_lshl_add_u64 v[34:35], v[0:1], 2, v[38:39]
	s_and_b64 vcc, exec, s[4:5]
	global_store_dword v[34:35], v41, off
	s_cbranch_vccnz .LBB79_54
; %bb.53:
	v_lshl_add_u64 v[34:35], v[2:3], 2, v[36:37]
	global_load_dword v34, v[34:35], off
	s_waitcnt vmcnt(0)
	v_mul_f32_e32 v40, s20, v34
.LBB79_54:
	v_add_f32_e32 v32, v32, v33
	v_add_f32_e32 v34, v32, v40
	v_lshl_add_u64 v[32:33], v[2:3], 2, v[38:39]
	global_store_dword v[32:33], v34, off
	v_mov_b32_e32 v32, 0
	s_and_b64 vcc, exec, s[4:5]
	v_mov_b32_e32 v33, 0
	s_cbranch_vccnz .LBB79_56
; %bb.55:
	v_lshl_add_u64 v[34:35], v[60:61], 2, v[36:37]
	global_load_dword v33, v[34:35], off
	s_waitcnt vmcnt(0)
	v_mul_f32_e32 v33, s20, v33
.LBB79_56:
	v_add_f32_e32 v30, v30, v31
	v_add_f32_e32 v33, v30, v33
	v_lshl_add_u64 v[30:31], v[60:61], 2, v[38:39]
	s_and_b64 vcc, exec, s[4:5]
	global_store_dword v[30:31], v33, off
	s_cbranch_vccnz .LBB79_58
; %bb.57:
	v_lshl_add_u64 v[30:31], v[64:65], 2, v[36:37]
	global_load_dword v30, v[30:31], off
	s_waitcnt vmcnt(0)
	v_mul_f32_e32 v32, s20, v30
.LBB79_58:
	v_add_f32_e32 v28, v28, v29
	v_add_f32_e32 v30, v28, v32
	v_lshl_add_u64 v[28:29], v[64:65], 2, v[38:39]
	global_store_dword v[28:29], v30, off
	v_mov_b32_e32 v28, 0
	s_and_b64 vcc, exec, s[4:5]
	v_mov_b32_e32 v29, 0
	s_cbranch_vccnz .LBB79_60
; %bb.59:
	v_lshl_add_u64 v[30:31], v[62:63], 2, v[36:37]
	global_load_dword v29, v[30:31], off
	s_waitcnt vmcnt(0)
	v_mul_f32_e32 v29, s20, v29
.LBB79_60:
	;; [unrolled: 26-line block ×3, first 2 shown]
	v_add_f32_e32 v22, v22, v23
	v_add_f32_e32 v25, v22, v25
	v_lshl_add_u64 v[22:23], v[56:57], 2, v[38:39]
	s_and_b64 vcc, exec, s[4:5]
	global_store_dword v[22:23], v25, off
	s_cbranch_vccnz .LBB79_66
; %bb.65:
	v_lshl_add_u64 v[22:23], v[54:55], 2, v[36:37]
	global_load_dword v22, v[22:23], off
	s_waitcnt vmcnt(0)
	v_mul_f32_e32 v24, s20, v22
.LBB79_66:
	v_add_f32_e32 v20, v20, v21
	v_add_f32_e32 v22, v20, v24
	v_lshl_add_u64 v[20:21], v[54:55], 2, v[38:39]
	global_store_dword v[20:21], v22, off
	v_add_u32_e32 v22, 0x60, v72
	v_mad_i64_i32 v[20:21], s[8:9], v22, s14, 0
	v_lshl_add_u64 v[20:21], v[20:21], 2, s[12:13]
	v_mov_b32_e32 v24, 0
	s_and_b64 vcc, exec, s[4:5]
	v_mov_b32_e32 v25, 0
	s_cbranch_vccnz .LBB79_68
; %bb.67:
	v_lshl_add_u64 v[26:27], v[0:1], 2, v[20:21]
	global_load_dword v23, v[26:27], off
	s_waitcnt vmcnt(0)
	v_mul_f32_e32 v25, s20, v23
.LBB79_68:
	v_mad_i64_i32 v[22:23], s[2:3], v22, s2, 0
	v_lshl_add_u64 v[22:23], v[22:23], 2, s[0:1]
	v_add_f32_e32 v18, v18, v19
	v_add_f32_e32 v18, v18, v25
	v_lshl_add_u64 v[0:1], v[0:1], 2, v[22:23]
	s_and_b64 vcc, exec, s[4:5]
	global_store_dword v[0:1], v18, off
	s_cbranch_vccnz .LBB79_70
; %bb.69:
	v_lshl_add_u64 v[0:1], v[2:3], 2, v[20:21]
	global_load_dword v0, v[0:1], off
	s_waitcnt vmcnt(0)
	v_mul_f32_e32 v24, s20, v0
.LBB79_70:
	v_add_f32_e32 v0, v16, v17
	v_add_f32_e32 v16, v0, v24
	v_lshl_add_u64 v[0:1], v[2:3], 2, v[22:23]
	global_store_dword v[0:1], v16, off
	v_mov_b32_e32 v0, 0
	s_and_b64 vcc, exec, s[4:5]
	v_mov_b32_e32 v1, 0
	s_cbranch_vccnz .LBB79_72
; %bb.71:
	v_lshl_add_u64 v[2:3], v[60:61], 2, v[20:21]
	global_load_dword v1, v[2:3], off
	s_waitcnt vmcnt(0)
	v_mul_f32_e32 v1, s20, v1
.LBB79_72:
	v_add_f32_e32 v2, v14, v15
	v_add_f32_e32 v1, v2, v1
	v_lshl_add_u64 v[2:3], v[60:61], 2, v[22:23]
	s_and_b64 vcc, exec, s[4:5]
	global_store_dword v[2:3], v1, off
	s_cbranch_vccnz .LBB79_74
; %bb.73:
	v_lshl_add_u64 v[0:1], v[64:65], 2, v[20:21]
	global_load_dword v0, v[0:1], off
	s_waitcnt vmcnt(0)
	v_mul_f32_e32 v0, s20, v0
.LBB79_74:
	v_add_f32_e32 v1, v12, v13
	v_add_f32_e32 v2, v1, v0
	v_lshl_add_u64 v[0:1], v[64:65], 2, v[22:23]
	global_store_dword v[0:1], v2, off
	v_mov_b32_e32 v0, 0
	s_and_b64 vcc, exec, s[4:5]
	v_mov_b32_e32 v1, 0
	s_cbranch_vccnz .LBB79_76
; %bb.75:
	v_lshl_add_u64 v[2:3], v[62:63], 2, v[20:21]
	global_load_dword v1, v[2:3], off
	s_waitcnt vmcnt(0)
	v_mul_f32_e32 v1, s20, v1
.LBB79_76:
	v_add_f32_e32 v2, v10, v11
	v_add_f32_e32 v1, v2, v1
	v_lshl_add_u64 v[2:3], v[62:63], 2, v[22:23]
	s_and_b64 vcc, exec, s[4:5]
	global_store_dword v[2:3], v1, off
	s_cbranch_vccnz .LBB79_78
; %bb.77:
	v_lshl_add_u64 v[0:1], v[58:59], 2, v[20:21]
	global_load_dword v0, v[0:1], off
	s_waitcnt vmcnt(0)
	v_mul_f32_e32 v0, s20, v0
.LBB79_78:
	v_add_f32_e32 v1, v8, v9
	v_add_f32_e32 v2, v1, v0
	v_lshl_add_u64 v[0:1], v[58:59], 2, v[22:23]
	global_store_dword v[0:1], v2, off
	v_add_f32_e32 v0, v6, v7
	s_mov_b64 s[0:1], -1
	s_mov_b64 vcc, s[6:7]
	s_cbranch_vccz .LBB79_80
; %bb.79:
	v_add_f32_e32 v1, 0, v0
	v_lshl_add_u64 v[2:3], v[56:57], 2, v[22:23]
	global_store_dword v[2:3], v1, off
	s_mov_b64 s[0:1], 0
.LBB79_80:
	s_andn2_b64 vcc, exec, s[0:1]
	v_mov_b32_e32 v1, 0
	s_cbranch_vccnz .LBB79_82
; %bb.81:
	v_lshlrev_b64 v[2:3], 2, v[56:57]
	v_lshl_add_u64 v[6:7], v[20:21], 0, v[2:3]
	global_load_dword v1, v[6:7], off
	v_lshl_add_u64 v[2:3], v[22:23], 0, v[2:3]
	s_waitcnt vmcnt(0)
	v_fmac_f32_e32 v0, s20, v1
	global_store_dword v[2:3], v0, off
	v_lshl_add_u64 v[0:1], v[54:55], 2, v[20:21]
	global_load_dword v0, v[0:1], off
	s_waitcnt vmcnt(0)
	v_mul_f32_e32 v1, s20, v0
.LBB79_82:
	v_add_f32_e32 v0, v4, v5
	v_add_f32_e32 v2, v0, v1
	v_lshl_add_u64 v[0:1], v[54:55], 2, v[22:23]
	global_store_dword v[0:1], v2, off
	s_endpgm
.LBB79_83:
	s_mov_b64 s[16:17], 0
	s_andn2_b64 vcc, exec, s[8:9]
	s_mov_b64 s[4:5], -1
	s_cbranch_vccz .LBB79_2
	s_branch .LBB79_3
	.section	.rodata,"a",@progbits
	.p2align	6, 0x0
	.amdhsa_kernel _ZN12_GLOBAL__N_120geam_min_plus_kernelIf15HIP_vector_typeIfLj2EES2_Li8ELi32ELi64ELi128ELi4ELi64ELi4ELi4ELi64ELc78ELc78ELb1ELb0ELb0EfKffEEviiiT16_PT17_ilS6_ilS4_S6_ilPT18_ili26rocblas_geam_ex_operation_
		.amdhsa_group_segment_fixed_size 6144
		.amdhsa_private_segment_fixed_size 0
		.amdhsa_kernarg_size 128
		.amdhsa_user_sgpr_count 2
		.amdhsa_user_sgpr_dispatch_ptr 0
		.amdhsa_user_sgpr_queue_ptr 0
		.amdhsa_user_sgpr_kernarg_segment_ptr 1
		.amdhsa_user_sgpr_dispatch_id 0
		.amdhsa_user_sgpr_kernarg_preload_length 0
		.amdhsa_user_sgpr_kernarg_preload_offset 0
		.amdhsa_user_sgpr_private_segment_size 0
		.amdhsa_uses_dynamic_stack 0
		.amdhsa_enable_private_segment 0
		.amdhsa_system_sgpr_workgroup_id_x 1
		.amdhsa_system_sgpr_workgroup_id_y 0
		.amdhsa_system_sgpr_workgroup_id_z 1
		.amdhsa_system_sgpr_workgroup_info 0
		.amdhsa_system_vgpr_workitem_id 1
		.amdhsa_next_free_vgpr 117
		.amdhsa_next_free_sgpr 25
		.amdhsa_accum_offset 120
		.amdhsa_reserve_vcc 1
		.amdhsa_float_round_mode_32 0
		.amdhsa_float_round_mode_16_64 0
		.amdhsa_float_denorm_mode_32 3
		.amdhsa_float_denorm_mode_16_64 3
		.amdhsa_dx10_clamp 1
		.amdhsa_ieee_mode 1
		.amdhsa_fp16_overflow 0
		.amdhsa_tg_split 0
		.amdhsa_exception_fp_ieee_invalid_op 0
		.amdhsa_exception_fp_denorm_src 0
		.amdhsa_exception_fp_ieee_div_zero 0
		.amdhsa_exception_fp_ieee_overflow 0
		.amdhsa_exception_fp_ieee_underflow 0
		.amdhsa_exception_fp_ieee_inexact 0
		.amdhsa_exception_int_div_zero 0
	.end_amdhsa_kernel
	.section	.text._ZN12_GLOBAL__N_120geam_min_plus_kernelIf15HIP_vector_typeIfLj2EES2_Li8ELi32ELi64ELi128ELi4ELi64ELi4ELi4ELi64ELc78ELc78ELb1ELb0ELb0EfKffEEviiiT16_PT17_ilS6_ilS4_S6_ilPT18_ili26rocblas_geam_ex_operation_,"axG",@progbits,_ZN12_GLOBAL__N_120geam_min_plus_kernelIf15HIP_vector_typeIfLj2EES2_Li8ELi32ELi64ELi128ELi4ELi64ELi4ELi4ELi64ELc78ELc78ELb1ELb0ELb0EfKffEEviiiT16_PT17_ilS6_ilS4_S6_ilPT18_ili26rocblas_geam_ex_operation_,comdat
.Lfunc_end79:
	.size	_ZN12_GLOBAL__N_120geam_min_plus_kernelIf15HIP_vector_typeIfLj2EES2_Li8ELi32ELi64ELi128ELi4ELi64ELi4ELi4ELi64ELc78ELc78ELb1ELb0ELb0EfKffEEviiiT16_PT17_ilS6_ilS4_S6_ilPT18_ili26rocblas_geam_ex_operation_, .Lfunc_end79-_ZN12_GLOBAL__N_120geam_min_plus_kernelIf15HIP_vector_typeIfLj2EES2_Li8ELi32ELi64ELi128ELi4ELi64ELi4ELi4ELi64ELc78ELc78ELb1ELb0ELb0EfKffEEviiiT16_PT17_ilS6_ilS4_S6_ilPT18_ili26rocblas_geam_ex_operation_
                                        ; -- End function
	.set _ZN12_GLOBAL__N_120geam_min_plus_kernelIf15HIP_vector_typeIfLj2EES2_Li8ELi32ELi64ELi128ELi4ELi64ELi4ELi4ELi64ELc78ELc78ELb1ELb0ELb0EfKffEEviiiT16_PT17_ilS6_ilS4_S6_ilPT18_ili26rocblas_geam_ex_operation_.num_vgpr, 117
	.set _ZN12_GLOBAL__N_120geam_min_plus_kernelIf15HIP_vector_typeIfLj2EES2_Li8ELi32ELi64ELi128ELi4ELi64ELi4ELi4ELi64ELc78ELc78ELb1ELb0ELb0EfKffEEviiiT16_PT17_ilS6_ilS4_S6_ilPT18_ili26rocblas_geam_ex_operation_.num_agpr, 0
	.set _ZN12_GLOBAL__N_120geam_min_plus_kernelIf15HIP_vector_typeIfLj2EES2_Li8ELi32ELi64ELi128ELi4ELi64ELi4ELi4ELi64ELc78ELc78ELb1ELb0ELb0EfKffEEviiiT16_PT17_ilS6_ilS4_S6_ilPT18_ili26rocblas_geam_ex_operation_.numbered_sgpr, 25
	.set _ZN12_GLOBAL__N_120geam_min_plus_kernelIf15HIP_vector_typeIfLj2EES2_Li8ELi32ELi64ELi128ELi4ELi64ELi4ELi4ELi64ELc78ELc78ELb1ELb0ELb0EfKffEEviiiT16_PT17_ilS6_ilS4_S6_ilPT18_ili26rocblas_geam_ex_operation_.num_named_barrier, 0
	.set _ZN12_GLOBAL__N_120geam_min_plus_kernelIf15HIP_vector_typeIfLj2EES2_Li8ELi32ELi64ELi128ELi4ELi64ELi4ELi4ELi64ELc78ELc78ELb1ELb0ELb0EfKffEEviiiT16_PT17_ilS6_ilS4_S6_ilPT18_ili26rocblas_geam_ex_operation_.private_seg_size, 0
	.set _ZN12_GLOBAL__N_120geam_min_plus_kernelIf15HIP_vector_typeIfLj2EES2_Li8ELi32ELi64ELi128ELi4ELi64ELi4ELi4ELi64ELc78ELc78ELb1ELb0ELb0EfKffEEviiiT16_PT17_ilS6_ilS4_S6_ilPT18_ili26rocblas_geam_ex_operation_.uses_vcc, 1
	.set _ZN12_GLOBAL__N_120geam_min_plus_kernelIf15HIP_vector_typeIfLj2EES2_Li8ELi32ELi64ELi128ELi4ELi64ELi4ELi4ELi64ELc78ELc78ELb1ELb0ELb0EfKffEEviiiT16_PT17_ilS6_ilS4_S6_ilPT18_ili26rocblas_geam_ex_operation_.uses_flat_scratch, 0
	.set _ZN12_GLOBAL__N_120geam_min_plus_kernelIf15HIP_vector_typeIfLj2EES2_Li8ELi32ELi64ELi128ELi4ELi64ELi4ELi4ELi64ELc78ELc78ELb1ELb0ELb0EfKffEEviiiT16_PT17_ilS6_ilS4_S6_ilPT18_ili26rocblas_geam_ex_operation_.has_dyn_sized_stack, 0
	.set _ZN12_GLOBAL__N_120geam_min_plus_kernelIf15HIP_vector_typeIfLj2EES2_Li8ELi32ELi64ELi128ELi4ELi64ELi4ELi4ELi64ELc78ELc78ELb1ELb0ELb0EfKffEEviiiT16_PT17_ilS6_ilS4_S6_ilPT18_ili26rocblas_geam_ex_operation_.has_recursion, 0
	.set _ZN12_GLOBAL__N_120geam_min_plus_kernelIf15HIP_vector_typeIfLj2EES2_Li8ELi32ELi64ELi128ELi4ELi64ELi4ELi4ELi64ELc78ELc78ELb1ELb0ELb0EfKffEEviiiT16_PT17_ilS6_ilS4_S6_ilPT18_ili26rocblas_geam_ex_operation_.has_indirect_call, 0
	.section	.AMDGPU.csdata,"",@progbits
; Kernel info:
; codeLenInByte = 6412
; TotalNumSgprs: 31
; NumVgprs: 117
; NumAgprs: 0
; TotalNumVgprs: 117
; ScratchSize: 0
; MemoryBound: 0
; FloatMode: 240
; IeeeMode: 1
; LDSByteSize: 6144 bytes/workgroup (compile time only)
; SGPRBlocks: 3
; VGPRBlocks: 14
; NumSGPRsForWavesPerEU: 31
; NumVGPRsForWavesPerEU: 117
; AccumOffset: 120
; Occupancy: 4
; WaveLimiterHint : 0
; COMPUTE_PGM_RSRC2:SCRATCH_EN: 0
; COMPUTE_PGM_RSRC2:USER_SGPR: 2
; COMPUTE_PGM_RSRC2:TRAP_HANDLER: 0
; COMPUTE_PGM_RSRC2:TGID_X_EN: 1
; COMPUTE_PGM_RSRC2:TGID_Y_EN: 0
; COMPUTE_PGM_RSRC2:TGID_Z_EN: 1
; COMPUTE_PGM_RSRC2:TIDIG_COMP_CNT: 1
; COMPUTE_PGM_RSRC3_GFX90A:ACCUM_OFFSET: 29
; COMPUTE_PGM_RSRC3_GFX90A:TG_SPLIT: 0
	.section	.text._ZN12_GLOBAL__N_120geam_min_plus_kernelIf15HIP_vector_typeIfLj2EES2_Li8ELi32ELi64ELi128ELi4ELi64ELi4ELi4ELi64ELc78ELc78ELb0ELb0ELb0EfKffEEviiiT16_PT17_ilS6_ilS4_S6_ilPT18_ili26rocblas_geam_ex_operation_,"axG",@progbits,_ZN12_GLOBAL__N_120geam_min_plus_kernelIf15HIP_vector_typeIfLj2EES2_Li8ELi32ELi64ELi128ELi4ELi64ELi4ELi4ELi64ELc78ELc78ELb0ELb0ELb0EfKffEEviiiT16_PT17_ilS6_ilS4_S6_ilPT18_ili26rocblas_geam_ex_operation_,comdat
	.globl	_ZN12_GLOBAL__N_120geam_min_plus_kernelIf15HIP_vector_typeIfLj2EES2_Li8ELi32ELi64ELi128ELi4ELi64ELi4ELi4ELi64ELc78ELc78ELb0ELb0ELb0EfKffEEviiiT16_PT17_ilS6_ilS4_S6_ilPT18_ili26rocblas_geam_ex_operation_ ; -- Begin function _ZN12_GLOBAL__N_120geam_min_plus_kernelIf15HIP_vector_typeIfLj2EES2_Li8ELi32ELi64ELi128ELi4ELi64ELi4ELi4ELi64ELc78ELc78ELb0ELb0ELb0EfKffEEviiiT16_PT17_ilS6_ilS4_S6_ilPT18_ili26rocblas_geam_ex_operation_
	.p2align	8
	.type	_ZN12_GLOBAL__N_120geam_min_plus_kernelIf15HIP_vector_typeIfLj2EES2_Li8ELi32ELi64ELi128ELi4ELi64ELi4ELi4ELi64ELc78ELc78ELb0ELb0ELb0EfKffEEviiiT16_PT17_ilS6_ilS4_S6_ilPT18_ili26rocblas_geam_ex_operation_,@function
_ZN12_GLOBAL__N_120geam_min_plus_kernelIf15HIP_vector_typeIfLj2EES2_Li8ELi32ELi64ELi128ELi4ELi64ELi4ELi4ELi64ELc78ELc78ELb0ELb0ELb0EfKffEEviiiT16_PT17_ilS6_ilS4_S6_ilPT18_ili26rocblas_geam_ex_operation_: ; @_ZN12_GLOBAL__N_120geam_min_plus_kernelIf15HIP_vector_typeIfLj2EES2_Li8ELi32ELi64ELi128ELi4ELi64ELi4ELi4ELi64ELc78ELc78ELb0ELb0ELb0EfKffEEviiiT16_PT17_ilS6_ilS4_S6_ilPT18_ili26rocblas_geam_ex_operation_
; %bb.0:
	s_load_dwordx2 s[18:19], s[0:1], 0x8
	s_load_dwordx4 s[8:11], s[0:1], 0x20
	s_waitcnt lgkmcnt(0)
	v_cmp_eq_f32_e64 s[6:7], s19, 0
	s_and_b64 s[4:5], exec, s[6:7]
	s_mov_b64 vcc, s[4:5]
	s_cbranch_vccnz .LBB80_95
; %bb.1:
	s_load_dwordx2 s[12:13], s[0:1], 0x10
	s_mul_i32 s9, s9, s3
	s_mul_hi_u32 s14, s8, s3
	s_add_i32 s9, s14, s9
	s_mul_i32 s8, s8, s3
	s_lshl_b64 s[8:9], s[8:9], 2
	s_waitcnt lgkmcnt(0)
	s_add_u32 s22, s12, s8
	s_addc_u32 s23, s13, s9
	s_andn2_b64 vcc, exec, s[6:7]
	s_mov_b64 s[6:7], -1
	s_cbranch_vccnz .LBB80_3
.LBB80_2:
	s_mov_b64 s[6:7], 0
.LBB80_3:
	s_mov_b64 s[16:17], 0
	s_andn2_b64 vcc, exec, s[6:7]
	s_mov_b64 s[20:21], 0
	s_cbranch_vccnz .LBB80_5
; %bb.4:
	s_load_dwordx2 s[6:7], s[0:1], 0x38
	s_waitcnt lgkmcnt(0)
	s_mul_i32 s7, s7, s3
	s_mul_hi_u32 s8, s6, s3
	s_add_i32 s7, s8, s7
	s_mul_i32 s6, s6, s3
	s_lshl_b64 s[6:7], s[6:7], 2
	s_add_u32 s20, s10, s6
	s_addc_u32 s21, s11, s7
.LBB80_5:
	s_load_dword s24, s[0:1], 0x40
	s_load_dwordx4 s[12:15], s[0:1], 0x58
	v_cmp_neq_f32_e64 s[10:11], s19, 0
	s_waitcnt lgkmcnt(0)
	v_cmp_eq_f32_e64 s[6:7], s24, 0
	s_and_b64 s[8:9], exec, s[6:7]
	s_mov_b64 vcc, s[8:9]
	s_cbranch_vccnz .LBB80_7
; %bb.6:
	s_load_dwordx2 s[6:7], s[0:1], 0x48
	s_mul_i32 s13, s13, s3
	s_mul_hi_u32 s16, s12, s3
	s_add_i32 s13, s16, s13
	s_mul_i32 s12, s12, s3
	s_lshl_b64 s[12:13], s[12:13], 2
	s_waitcnt lgkmcnt(0)
	s_add_u32 s16, s6, s12
	s_addc_u32 s17, s7, s13
.LBB80_7:
	s_load_dword s6, s[0:1], 0x0
	s_load_dword s13, s[0:1], 0x18
	;; [unrolled: 1-line block ×3, first 2 shown]
	v_and_b32_e32 v80, 0x3ff, v0
	v_bfe_u32 v81, v0, 10, 10
	s_waitcnt lgkmcnt(0)
	s_add_i32 s6, s6, -1
	s_ashr_i32 s7, s6, 31
	s_lshr_b32 s7, s7, 26
	s_add_i32 s6, s6, s7
	s_ashr_i32 s6, s6, 6
	s_add_i32 s7, s6, 1
	v_cvt_f32_u32_e32 v1, s7
	v_and_b32_e32 v82, 3, v0
	s_not_b32 s6, s6
	s_ashr_i32 s25, s13, 31
	v_rcp_iflag_f32_e32 v0, v1
	v_lshl_add_u32 v1, v81, 3, v80
	v_and_b32_e32 v2, 63, v1
	v_lshrrev_b32_e32 v74, 2, v1
	v_mul_f32_e32 v0, 0x4f7ffffe, v0
	v_cvt_u32_f32_e32 v0, v0
	v_lshrrev_b32_e32 v83, 6, v1
	v_mov_b32_e32 v77, 0
	v_lshlrev_b32_e32 v70, 2, v82
	v_readfirstlane_b32 s12, v0
	s_mul_i32 s6, s6, s12
	s_mul_hi_u32 s6, s12, s6
	s_add_i32 s12, s12, s6
	s_mul_hi_u32 s6, s2, s12
	s_mul_i32 s12, s6, s7
	s_sub_i32 s12, s2, s12
	s_add_i32 s26, s6, 1
	s_sub_i32 s28, s12, s7
	s_cmp_ge_u32 s12, s7
	s_cselect_b32 s6, s26, s6
	s_cselect_b32 s12, s28, s12
	s_add_i32 s26, s6, 1
	s_cmp_ge_u32 s12, s7
	s_cselect_b32 s6, s26, s6
	s_mul_i32 s7, s6, s7
	s_sub_i32 s2, s2, s7
	s_lshl_b32 s2, s2, 6
	s_lshl_b32 s12, s6, 7
	v_cndmask_b32_e64 v0, 0, 1, s[10:11]
	v_or_b32_e32 v68, s2, v2
	v_add_u32_e32 v75, s12, v74
	v_cmp_ne_u32_e64 s[6:7], 1, v0
	s_andn2_b64 vcc, exec, s[10:11]
	v_ashrrev_i32_e32 v69, 31, v68
	v_add_u32_e32 v76, 64, v75
	v_mov_b32_e32 v3, 0
	v_mov_b32_e32 v0, 0
	;; [unrolled: 1-line block ×3, first 2 shown]
	s_cbranch_vccnz .LBB80_9
; %bb.8:
	v_mad_i64_i32 v[0:1], s[10:11], s13, v83, 0
	v_mov_b32_e32 v71, 0
	v_lshl_add_u64 v[0:1], v[0:1], 2, s[22:23]
	v_lshl_add_u64 v[4:5], s[20:21], 0, v[70:71]
	v_mad_i64_i32 v[6:7], s[10:11], v75, s27, 0
	v_lshl_add_u64 v[0:1], v[68:69], 2, v[0:1]
	v_lshl_add_u64 v[6:7], v[6:7], 2, v[4:5]
	v_mad_i64_i32 v[8:9], s[10:11], v76, s27, 0
	global_load_dword v0, v[0:1], off
	v_lshl_add_u64 v[4:5], v[8:9], 2, v[4:5]
	global_load_dword v3, v[6:7], off
	global_load_dword v1, v[4:5], off
	s_mov_b32 s10, s19
	s_waitcnt vmcnt(1)
	v_mul_f32_e32 v3, s19, v3
	s_waitcnt vmcnt(0)
	v_pk_mul_f32 v[0:1], s[10:11], v[0:1] op_sel_hi:[0,1]
.LBB80_9:
	s_and_b64 vcc, exec, s[6:7]
	v_add_u32_e32 v84, 4, v83
	v_mov_b32_e32 v72, 0
	v_mov_b32_e32 v73, 0
	s_cbranch_vccnz .LBB80_11
; %bb.10:
	v_mad_i64_i32 v[4:5], s[6:7], s13, v84, 0
	v_mov_b32_e32 v71, 0
	v_lshl_add_u64 v[4:5], v[4:5], 2, s[22:23]
	v_lshl_add_u64 v[6:7], s[20:21], 0, v[70:71]
	v_mad_i64_i32 v[8:9], s[6:7], v75, s27, 0
	v_lshl_add_u64 v[4:5], v[68:69], 2, v[4:5]
	v_lshl_add_u64 v[8:9], v[8:9], 2, v[6:7]
	v_mad_i64_i32 v[10:11], s[6:7], v76, s27, 0
	global_load_dword v4, v[4:5], off
	v_lshl_add_u64 v[6:7], v[10:11], 2, v[6:7]
	global_load_dword v10, v[8:9], off offset:16
	global_load_dword v5, v[6:7], off offset:16
	s_mov_b32 s6, s19
	s_waitcnt vmcnt(1)
	v_mul_f32_e32 v77, s19, v10
	s_waitcnt vmcnt(0)
	v_pk_mul_f32 v[72:73], s[6:7], v[4:5] op_sel_hi:[0,1]
.LBB80_11:
	v_lshlrev_b32_e32 v2, 4, v2
	v_lshl_add_u32 v71, v83, 2, v2
	ds_write_b32 v71, v0 offset:4096
	v_lshlrev_b32_e32 v0, 4, v74
	v_lshl_or_b32 v85, v82, 2, v0
	v_mov_b32_e32 v0, 0x1000
	v_mov_b32_e32 v66, 0
	v_cmp_neq_f32_e64 s[6:7], s24, 0
	v_lshl_add_u32 v86, v80, 4, v0
	s_mov_b32 s26, 0
	s_mov_b64 s[10:11], -1
	v_mov_b32_e32 v67, v66
	v_mov_b32_e32 v64, v66
	;; [unrolled: 1-line block ×63, first 2 shown]
	v_or_b32_e32 v87, 0x1000, v71
	v_lshlrev_b32_e32 v88, 4, v81
	ds_write2st64_b32 v85, v3, v1 offset1:4
	s_waitcnt lgkmcnt(0)
	s_barrier
.LBB80_12:                              ; =>This Inner Loop Header: Depth=1
	v_cndmask_b32_e64 v0, 0, 1, s[10:11]
	s_lshl_b32 s10, s26, 2
	v_cmp_ne_u32_e32 vcc, 1, v0
	v_add_u32_e32 v0, s10, v86
	ds_read2_b64 v[90:93], v0 offset1:16
	ds_read2_b64 v[94:97], v0 offset0:32 offset1:48
	ds_read2_b64 v[98:101], v0 offset0:64 offset1:80
	;; [unrolled: 1-line block ×3, first 2 shown]
	v_add_u32_e32 v0, s10, v88
	ds_read2st64_b64 v[106:109], v0 offset1:1
	ds_read2st64_b64 v[0:3], v0 offset0:2 offset1:3
	s_waitcnt lgkmcnt(5)
	v_max_f32_e32 v90, v90, v90
	v_max_f32_e32 v91, v91, v91
	;; [unrolled: 1-line block ×3, first 2 shown]
	s_waitcnt lgkmcnt(1)
	v_max_f32_e32 v89, v106, v106
	v_max_f32_e32 v106, v107, v107
	v_min_f32_e32 v78, v90, v89
	v_min_f32_e32 v79, v91, v106
	v_max_f32_e32 v93, v93, v93
	v_pk_add_f32 v[66:67], v[78:79], v[66:67]
	v_min_f32_e32 v78, v92, v89
	v_min_f32_e32 v79, v93, v106
	v_max_f32_e32 v94, v94, v94
	v_max_f32_e32 v95, v95, v95
	v_pk_add_f32 v[64:65], v[78:79], v[64:65]
	v_min_f32_e32 v78, v94, v89
	v_min_f32_e32 v79, v95, v106
	v_max_f32_e32 v96, v96, v96
	;; [unrolled: 5-line block ×6, first 2 shown]
	v_pk_add_f32 v[54:55], v[78:79], v[54:55]
	v_min_f32_e32 v78, v104, v89
	v_max_f32_e32 v89, v105, v105
	v_min_f32_e32 v79, v89, v106
	v_max_f32_e32 v105, v108, v108
	v_max_f32_e32 v106, v109, v109
	v_pk_add_f32 v[52:53], v[78:79], v[52:53]
	v_min_f32_e32 v78, v90, v105
	v_min_f32_e32 v79, v91, v106
	v_pk_add_f32 v[50:51], v[78:79], v[50:51]
	v_min_f32_e32 v78, v92, v105
	v_min_f32_e32 v79, v93, v106
	;; [unrolled: 3-line block ×8, first 2 shown]
	v_pk_add_f32 v[36:37], v[78:79], v[36:37]
	s_waitcnt lgkmcnt(0)
	v_max_f32_e32 v78, v0, v0
	v_max_f32_e32 v79, v1, v1
	v_min_f32_e32 v0, v90, v78
	v_min_f32_e32 v1, v91, v79
	v_pk_add_f32 v[34:35], v[0:1], v[34:35]
	v_min_f32_e32 v0, v92, v78
	v_min_f32_e32 v1, v93, v79
	v_pk_add_f32 v[32:33], v[0:1], v[32:33]
	;; [unrolled: 3-line block ×7, first 2 shown]
	v_min_f32_e32 v0, v104, v78
	v_min_f32_e32 v1, v89, v79
	v_max_f32_e32 v2, v2, v2
	v_max_f32_e32 v3, v3, v3
	v_pk_add_f32 v[20:21], v[0:1], v[20:21]
	v_min_f32_e32 v0, v90, v2
	v_min_f32_e32 v1, v91, v3
	v_pk_add_f32 v[18:19], v[0:1], v[18:19]
	v_min_f32_e32 v0, v92, v2
	v_min_f32_e32 v1, v93, v3
	;; [unrolled: 3-line block ×8, first 2 shown]
	v_pk_add_f32 v[4:5], v[0:1], v[4:5]
	s_mov_b64 s[10:11], 0
	s_mov_b32 s26, 2
	s_cbranch_vccz .LBB80_12
; %bb.13:
	v_lshl_or_b32 v0, v74, 4, v70
	s_cmp_lt_i32 s18, 9
	ds_write_b32 v71, v72 offset:5120
	ds_write2st64_b32 v0, v77, v73 offset0:8 offset1:12
	s_waitcnt lgkmcnt(0)
	s_barrier
	s_cbranch_scc1 .LBB80_28
; %bb.14:
	v_add_u32_e32 v90, 0x800, v0
	v_mov_b32_e32 v0, 0x1400
	v_lshl_add_u32 v91, v80, 4, v0
	v_mov_b32_e32 v0, 0x800
	v_add_u32_e32 v89, 0x1400, v71
	s_add_i32 s26, s18, -8
	v_lshl_add_u64 v[68:69], v[68:69], 2, s[22:23]
	v_mad_i64_i32 v[70:71], s[10:11], v75, s27, 0
	v_mad_i64_i32 v[72:73], s[10:11], v76, s27, 0
	v_lshl_add_u32 v92, v81, 4, v0
	s_mov_b32 s18, s19
	s_mov_b32 s22, 8
	s_mov_b32 s23, 0
	v_mov_b32_e32 v75, 0
.LBB80_15:                              ; =>This Loop Header: Depth=1
                                        ;     Child Loop BB80_20 Depth 2
                                        ;     Child Loop BB80_26 Depth 2
	s_mov_b64 s[10:11], -1
	s_mov_b64 vcc, s[4:5]
                                        ; implicit-def: $vgpr76_vgpr77
	s_cbranch_vccz .LBB80_17
; %bb.16:                               ;   in Loop: Header=BB80_15 Depth=1
	v_mov_b32_e32 v76, v75
	s_mov_b64 s[10:11], 0
.LBB80_17:                              ;   in Loop: Header=BB80_15 Depth=1
	v_mov_b32_e32 v78, 0
	s_andn2_b64 vcc, exec, s[10:11]
	v_mov_b32_e32 v79, 0
	s_cbranch_vccnz .LBB80_19
; %bb.18:                               ;   in Loop: Header=BB80_15 Depth=1
	v_add_u32_e32 v3, s22, v83
	v_mad_u64_u32 v[0:1], s[10:11], v3, s13, 0
	v_mov_b32_e32 v2, v1
	v_mad_u64_u32 v[2:3], s[10:11], v3, s25, v[2:3]
	v_or_b32_e32 v74, s22, v82
	v_mov_b32_e32 v1, v2
	v_lshl_add_u64 v[2:3], v[74:75], 2, s[20:21]
	v_lshl_add_u64 v[0:1], v[0:1], 2, v[68:69]
	;; [unrolled: 1-line block ×3, first 2 shown]
	global_load_dword v0, v[0:1], off
	v_lshl_add_u64 v[2:3], v[72:73], 2, v[2:3]
	global_load_dword v74, v[76:77], off
	global_load_dword v1, v[2:3], off
	s_waitcnt vmcnt(1)
	v_mul_f32_e32 v76, s19, v74
	s_waitcnt vmcnt(0)
	v_pk_mul_f32 v[78:79], s[18:19], v[0:1]
.LBB80_19:                              ;   in Loop: Header=BB80_15 Depth=1
	s_mov_b32 s27, 0
	s_mov_b64 s[10:11], -1
.LBB80_20:                              ;   Parent Loop BB80_15 Depth=1
                                        ; =>  This Inner Loop Header: Depth=2
	v_cndmask_b32_e64 v0, 0, 1, s[10:11]
	s_lshl_b32 s10, s27, 2
	v_cmp_ne_u32_e32 vcc, 1, v0
	v_add_u32_e32 v0, s10, v91
	ds_read2_b64 v[94:97], v0 offset1:16
	ds_read2_b64 v[98:101], v0 offset0:32 offset1:48
	ds_read2_b64 v[102:105], v0 offset0:64 offset1:80
	;; [unrolled: 1-line block ×3, first 2 shown]
	v_add_u32_e32 v0, s10, v92
	ds_read2st64_b64 v[110:113], v0 offset1:1
	ds_read2st64_b64 v[0:3], v0 offset0:2 offset1:3
	s_waitcnt lgkmcnt(5)
	v_max_f32_e32 v77, v94, v94
	v_max_f32_e32 v96, v96, v96
	;; [unrolled: 1-line block ×3, first 2 shown]
	s_waitcnt lgkmcnt(1)
	v_max_f32_e32 v74, v110, v110
	v_max_f32_e32 v93, v111, v111
	;; [unrolled: 1-line block ×3, first 2 shown]
	v_min_f32_e32 v94, v77, v74
	v_min_f32_e32 v95, v110, v93
	v_pk_add_f32 v[66:67], v[94:95], v[66:67]
	v_min_f32_e32 v94, v96, v74
	v_min_f32_e32 v95, v97, v93
	v_max_f32_e32 v98, v98, v98
	v_max_f32_e32 v99, v99, v99
	v_pk_add_f32 v[64:65], v[94:95], v[64:65]
	v_min_f32_e32 v94, v98, v74
	v_min_f32_e32 v95, v99, v93
	v_max_f32_e32 v100, v100, v100
	v_max_f32_e32 v101, v101, v101
	;; [unrolled: 5-line block ×5, first 2 shown]
	v_pk_add_f32 v[56:57], v[94:95], v[56:57]
	v_min_f32_e32 v94, v106, v74
	v_min_f32_e32 v95, v107, v93
	v_max_f32_e32 v108, v108, v108
	v_pk_add_f32 v[54:55], v[94:95], v[54:55]
	v_min_f32_e32 v94, v108, v74
	v_max_f32_e32 v74, v109, v109
	v_min_f32_e32 v95, v74, v93
	v_max_f32_e32 v93, v112, v112
	v_max_f32_e32 v109, v113, v113
	v_pk_add_f32 v[52:53], v[94:95], v[52:53]
	v_min_f32_e32 v94, v77, v93
	v_min_f32_e32 v95, v110, v109
	v_pk_add_f32 v[50:51], v[94:95], v[50:51]
	v_min_f32_e32 v94, v96, v93
	v_min_f32_e32 v95, v97, v109
	;; [unrolled: 3-line block ×8, first 2 shown]
	v_pk_add_f32 v[36:37], v[94:95], v[36:37]
	s_waitcnt lgkmcnt(0)
	v_max_f32_e32 v93, v0, v0
	v_max_f32_e32 v94, v1, v1
	v_min_f32_e32 v0, v77, v93
	v_min_f32_e32 v1, v110, v94
	v_pk_add_f32 v[34:35], v[0:1], v[34:35]
	v_min_f32_e32 v0, v96, v93
	v_min_f32_e32 v1, v97, v94
	v_pk_add_f32 v[32:33], v[0:1], v[32:33]
	;; [unrolled: 3-line block ×7, first 2 shown]
	v_min_f32_e32 v0, v108, v93
	v_min_f32_e32 v1, v74, v94
	v_max_f32_e32 v2, v2, v2
	v_max_f32_e32 v3, v3, v3
	v_pk_add_f32 v[20:21], v[0:1], v[20:21]
	v_min_f32_e32 v0, v77, v2
	v_min_f32_e32 v1, v110, v3
	v_pk_add_f32 v[18:19], v[0:1], v[18:19]
	v_min_f32_e32 v0, v96, v2
	v_min_f32_e32 v1, v97, v3
	;; [unrolled: 3-line block ×8, first 2 shown]
	v_pk_add_f32 v[4:5], v[0:1], v[4:5]
	s_mov_b64 s[10:11], 0
	s_mov_b32 s27, 2
	s_cbranch_vccz .LBB80_20
; %bb.21:                               ;   in Loop: Header=BB80_15 Depth=1
	s_mov_b64 s[10:11], -1
	s_mov_b64 vcc, s[4:5]
	ds_write_b32 v87, v78
	ds_write2st64_b32 v85, v76, v79 offset1:4
	s_waitcnt lgkmcnt(0)
	s_barrier
                                        ; implicit-def: $vgpr76_vgpr77
	s_cbranch_vccz .LBB80_23
; %bb.22:                               ;   in Loop: Header=BB80_15 Depth=1
	v_mov_b32_e32 v76, v75
	s_mov_b64 s[10:11], 0
.LBB80_23:                              ;   in Loop: Header=BB80_15 Depth=1
	v_mov_b32_e32 v78, 0
	s_andn2_b64 vcc, exec, s[10:11]
	v_mov_b32_e32 v79, 0
	s_cbranch_vccnz .LBB80_25
; %bb.24:                               ;   in Loop: Header=BB80_15 Depth=1
	v_add_u32_e32 v3, s22, v84
	v_mad_u64_u32 v[0:1], s[10:11], v3, s13, 0
	v_mov_b32_e32 v2, v1
	v_mad_u64_u32 v[2:3], s[10:11], v3, s25, v[2:3]
	v_or_b32_e32 v74, s22, v82
	v_mov_b32_e32 v1, v2
	v_lshl_add_u64 v[2:3], v[74:75], 2, s[20:21]
	v_lshl_add_u64 v[0:1], v[0:1], 2, v[68:69]
	;; [unrolled: 1-line block ×3, first 2 shown]
	global_load_dword v0, v[0:1], off
	v_lshl_add_u64 v[2:3], v[72:73], 2, v[2:3]
	global_load_dword v74, v[76:77], off offset:16
	global_load_dword v1, v[2:3], off offset:16
	s_waitcnt vmcnt(1)
	v_mul_f32_e32 v76, s19, v74
	s_waitcnt vmcnt(0)
	v_pk_mul_f32 v[78:79], s[18:19], v[0:1]
.LBB80_25:                              ;   in Loop: Header=BB80_15 Depth=1
	s_mov_b32 s27, 0
	s_mov_b64 s[10:11], -1
.LBB80_26:                              ;   Parent Loop BB80_15 Depth=1
                                        ; =>  This Inner Loop Header: Depth=2
	v_cndmask_b32_e64 v0, 0, 1, s[10:11]
	s_lshl_b32 s10, s27, 2
	v_cmp_ne_u32_e32 vcc, 1, v0
	v_add_u32_e32 v0, s10, v86
	ds_read2_b64 v[94:97], v0 offset1:16
	ds_read2_b64 v[98:101], v0 offset0:32 offset1:48
	ds_read2_b64 v[102:105], v0 offset0:64 offset1:80
	;; [unrolled: 1-line block ×3, first 2 shown]
	v_add_u32_e32 v0, s10, v88
	ds_read2st64_b64 v[110:113], v0 offset1:1
	ds_read2st64_b64 v[0:3], v0 offset0:2 offset1:3
	s_waitcnt lgkmcnt(5)
	v_max_f32_e32 v77, v94, v94
	v_max_f32_e32 v96, v96, v96
	;; [unrolled: 1-line block ×3, first 2 shown]
	s_waitcnt lgkmcnt(1)
	v_max_f32_e32 v74, v110, v110
	v_max_f32_e32 v93, v111, v111
	;; [unrolled: 1-line block ×3, first 2 shown]
	v_min_f32_e32 v94, v77, v74
	v_min_f32_e32 v95, v110, v93
	v_pk_add_f32 v[66:67], v[94:95], v[66:67]
	v_min_f32_e32 v94, v96, v74
	v_min_f32_e32 v95, v97, v93
	v_max_f32_e32 v98, v98, v98
	v_max_f32_e32 v99, v99, v99
	v_pk_add_f32 v[64:65], v[94:95], v[64:65]
	v_min_f32_e32 v94, v98, v74
	v_min_f32_e32 v95, v99, v93
	v_max_f32_e32 v100, v100, v100
	v_max_f32_e32 v101, v101, v101
	;; [unrolled: 5-line block ×5, first 2 shown]
	v_pk_add_f32 v[56:57], v[94:95], v[56:57]
	v_min_f32_e32 v94, v106, v74
	v_min_f32_e32 v95, v107, v93
	v_max_f32_e32 v108, v108, v108
	v_pk_add_f32 v[54:55], v[94:95], v[54:55]
	v_min_f32_e32 v94, v108, v74
	v_max_f32_e32 v74, v109, v109
	v_min_f32_e32 v95, v74, v93
	v_max_f32_e32 v93, v112, v112
	v_max_f32_e32 v109, v113, v113
	v_pk_add_f32 v[52:53], v[94:95], v[52:53]
	v_min_f32_e32 v94, v77, v93
	v_min_f32_e32 v95, v110, v109
	v_pk_add_f32 v[50:51], v[94:95], v[50:51]
	v_min_f32_e32 v94, v96, v93
	v_min_f32_e32 v95, v97, v109
	;; [unrolled: 3-line block ×8, first 2 shown]
	v_pk_add_f32 v[36:37], v[94:95], v[36:37]
	s_waitcnt lgkmcnt(0)
	v_max_f32_e32 v93, v0, v0
	v_max_f32_e32 v94, v1, v1
	v_min_f32_e32 v0, v77, v93
	v_min_f32_e32 v1, v110, v94
	v_pk_add_f32 v[34:35], v[0:1], v[34:35]
	v_min_f32_e32 v0, v96, v93
	v_min_f32_e32 v1, v97, v94
	v_pk_add_f32 v[32:33], v[0:1], v[32:33]
	;; [unrolled: 3-line block ×7, first 2 shown]
	v_min_f32_e32 v0, v108, v93
	v_min_f32_e32 v1, v74, v94
	v_max_f32_e32 v2, v2, v2
	v_max_f32_e32 v3, v3, v3
	v_pk_add_f32 v[20:21], v[0:1], v[20:21]
	v_min_f32_e32 v0, v77, v2
	v_min_f32_e32 v1, v110, v3
	v_pk_add_f32 v[18:19], v[0:1], v[18:19]
	v_min_f32_e32 v0, v96, v2
	v_min_f32_e32 v1, v97, v3
	;; [unrolled: 3-line block ×8, first 2 shown]
	v_pk_add_f32 v[4:5], v[0:1], v[4:5]
	s_mov_b64 s[10:11], 0
	s_mov_b32 s27, 2
	s_cbranch_vccz .LBB80_26
; %bb.27:                               ;   in Loop: Header=BB80_15 Depth=1
	s_add_i32 s22, s22, 8
	s_add_i32 s23, s23, 8
	s_cmp_ge_i32 s23, s26
	ds_write_b32 v89, v78
	ds_write2st64_b32 v90, v76, v79 offset1:4
	s_waitcnt lgkmcnt(0)
	s_barrier
	s_cbranch_scc0 .LBB80_15
.LBB80_28:
	v_mov_b32_e32 v0, 0x1400
	v_lshl_add_u32 v68, v80, 4, v0
	v_mov_b32_e32 v0, 0x800
	v_lshl_add_u32 v69, v81, 4, v0
	s_mov_b32 s10, 0
	s_mov_b64 s[4:5], -1
.LBB80_29:                              ; =>This Inner Loop Header: Depth=1
	v_cndmask_b32_e64 v0, 0, 1, s[4:5]
	s_lshl_b32 s4, s10, 2
	v_cmp_ne_u32_e32 vcc, 1, v0
	v_add_u32_e32 v0, s4, v68
	ds_read2_b64 v[70:73], v0 offset1:16
	ds_read2_b64 v[74:77], v0 offset0:32 offset1:48
	ds_read2_b64 v[82:85], v0 offset0:64 offset1:80
	;; [unrolled: 1-line block ×3, first 2 shown]
	v_add_u32_e32 v0, s4, v69
	ds_read2st64_b64 v[90:93], v0 offset1:1
	ds_read2st64_b64 v[0:3], v0 offset0:2 offset1:3
	s_waitcnt lgkmcnt(5)
	v_max_f32_e32 v79, v70, v70
	v_max_f32_e32 v72, v72, v72
	;; [unrolled: 1-line block ×3, first 2 shown]
	s_waitcnt lgkmcnt(1)
	v_max_f32_e32 v78, v90, v90
	v_max_f32_e32 v90, v91, v91
	;; [unrolled: 1-line block ×3, first 2 shown]
	v_min_f32_e32 v70, v79, v78
	v_min_f32_e32 v71, v91, v90
	v_pk_add_f32 v[66:67], v[70:71], v[66:67]
	v_min_f32_e32 v70, v72, v78
	v_min_f32_e32 v71, v73, v90
	v_max_f32_e32 v74, v74, v74
	v_max_f32_e32 v75, v75, v75
	v_pk_add_f32 v[64:65], v[70:71], v[64:65]
	v_min_f32_e32 v70, v74, v78
	v_min_f32_e32 v71, v75, v90
	v_max_f32_e32 v76, v76, v76
	v_max_f32_e32 v77, v77, v77
	;; [unrolled: 5-line block ×5, first 2 shown]
	v_pk_add_f32 v[56:57], v[70:71], v[56:57]
	v_min_f32_e32 v70, v86, v78
	v_min_f32_e32 v71, v87, v90
	v_max_f32_e32 v88, v88, v88
	v_pk_add_f32 v[54:55], v[70:71], v[54:55]
	v_min_f32_e32 v70, v88, v78
	v_max_f32_e32 v78, v89, v89
	v_min_f32_e32 v71, v78, v90
	v_max_f32_e32 v89, v92, v92
	v_max_f32_e32 v90, v93, v93
	v_pk_add_f32 v[52:53], v[70:71], v[52:53]
	v_min_f32_e32 v70, v79, v89
	v_min_f32_e32 v71, v91, v90
	v_pk_add_f32 v[50:51], v[70:71], v[50:51]
	v_min_f32_e32 v70, v72, v89
	v_min_f32_e32 v71, v73, v90
	;; [unrolled: 3-line block ×8, first 2 shown]
	v_pk_add_f32 v[36:37], v[70:71], v[36:37]
	s_waitcnt lgkmcnt(0)
	v_max_f32_e32 v70, v0, v0
	v_max_f32_e32 v71, v1, v1
	v_min_f32_e32 v0, v79, v70
	v_min_f32_e32 v1, v91, v71
	v_pk_add_f32 v[34:35], v[0:1], v[34:35]
	v_min_f32_e32 v0, v72, v70
	v_min_f32_e32 v1, v73, v71
	v_pk_add_f32 v[32:33], v[0:1], v[32:33]
	;; [unrolled: 3-line block ×7, first 2 shown]
	v_min_f32_e32 v0, v88, v70
	v_min_f32_e32 v1, v78, v71
	v_max_f32_e32 v2, v2, v2
	v_max_f32_e32 v3, v3, v3
	v_pk_add_f32 v[20:21], v[0:1], v[20:21]
	v_min_f32_e32 v0, v79, v2
	v_min_f32_e32 v1, v91, v3
	v_pk_add_f32 v[18:19], v[0:1], v[18:19]
	v_min_f32_e32 v0, v72, v2
	v_min_f32_e32 v1, v73, v3
	;; [unrolled: 3-line block ×8, first 2 shown]
	v_pk_add_f32 v[4:5], v[0:1], v[4:5]
	s_mov_b64 s[4:5], 0
	s_mov_b32 s10, 2
	s_cbranch_vccz .LBB80_29
; %bb.30:
	s_load_dword s10, s[0:1], 0x50
	v_add_u32_e32 v72, s12, v81
	v_add_u32_e32 v0, s2, v80
	v_ashrrev_i32_e32 v1, 31, v0
	v_mov_b32_e32 v73, 0
	s_waitcnt lgkmcnt(0)
	v_mad_i64_i32 v[2:3], s[4:5], v72, s10, 0
	v_lshl_add_u64 v[68:69], v[2:3], 2, s[16:17]
	v_cndmask_b32_e64 v2, 0, 1, s[6:7]
	v_cmp_ne_u32_e64 s[4:5], 1, v2
	s_andn2_b64 vcc, exec, s[6:7]
	v_mov_b32_e32 v74, 0
	s_cbranch_vccnz .LBB80_32
; %bb.31:
	v_lshl_add_u64 v[2:3], v[0:1], 2, v[68:69]
	global_load_dword v2, v[2:3], off
	s_waitcnt vmcnt(0)
	v_mul_f32_e32 v74, s24, v2
.LBB80_32:
	s_load_dwordx2 s[6:7], s[0:1], 0x70
	s_load_dword s2, s[0:1], 0x68
	v_add_u32_e32 v2, 8, v0
	v_add_f32_e32 v66, v66, v67
	v_ashrrev_i32_e32 v3, 31, v2
	s_waitcnt lgkmcnt(0)
	s_mul_i32 s1, s7, s3
	s_mul_hi_u32 s7, s6, s3
	s_mul_i32 s0, s6, s3
	s_add_i32 s1, s7, s1
	s_lshl_b64 s[0:1], s[0:1], 2
	s_add_u32 s0, s14, s0
	s_addc_u32 s1, s15, s1
	v_mad_i64_i32 v[70:71], s[6:7], v72, s2, 0
	v_lshl_add_u64 v[70:71], v[70:71], 2, s[0:1]
	v_add_f32_e32 v74, v66, v74
	v_lshl_add_u64 v[66:67], v[0:1], 2, v[70:71]
	s_and_b64 vcc, exec, s[4:5]
	global_store_dword v[66:67], v74, off
	s_cbranch_vccnz .LBB80_34
; %bb.33:
	v_lshl_add_u64 v[66:67], v[2:3], 2, v[68:69]
	global_load_dword v66, v[66:67], off
	s_waitcnt vmcnt(0)
	v_mul_f32_e32 v73, s24, v66
.LBB80_34:
	v_add_f32_e32 v66, v64, v65
	v_add_u32_e32 v64, 16, v0
	v_add_f32_e32 v73, v66, v73
	v_lshl_add_u64 v[66:67], v[2:3], 2, v[70:71]
	v_ashrrev_i32_e32 v65, 31, v64
	global_store_dword v[66:67], v73, off
	v_mov_b32_e32 v66, 0
	s_and_b64 vcc, exec, s[4:5]
	v_mov_b32_e32 v67, 0
	s_cbranch_vccnz .LBB80_36
; %bb.35:
	v_lshl_add_u64 v[74:75], v[64:65], 2, v[68:69]
	global_load_dword v67, v[74:75], off
	s_waitcnt vmcnt(0)
	v_mul_f32_e32 v67, s24, v67
.LBB80_36:
	v_add_f32_e32 v73, v62, v63
	v_add_u32_e32 v62, 24, v0
	v_ashrrev_i32_e32 v63, 31, v62
	v_add_f32_e32 v67, v73, v67
	v_lshl_add_u64 v[74:75], v[64:65], 2, v[70:71]
	s_and_b64 vcc, exec, s[4:5]
	global_store_dword v[74:75], v67, off
	s_cbranch_vccnz .LBB80_38
; %bb.37:
	v_lshl_add_u64 v[66:67], v[62:63], 2, v[68:69]
	global_load_dword v66, v[66:67], off
	s_waitcnt vmcnt(0)
	v_mul_f32_e32 v66, s24, v66
.LBB80_38:
	v_add_f32_e32 v67, v60, v61
	v_add_u32_e32 v60, 32, v0
	v_add_f32_e32 v73, v67, v66
	v_lshl_add_u64 v[66:67], v[62:63], 2, v[70:71]
	v_ashrrev_i32_e32 v61, 31, v60
	global_store_dword v[66:67], v73, off
	v_mov_b32_e32 v66, 0
	s_and_b64 vcc, exec, s[4:5]
	v_mov_b32_e32 v67, 0
	s_cbranch_vccnz .LBB80_40
; %bb.39:
	v_lshl_add_u64 v[74:75], v[60:61], 2, v[68:69]
	global_load_dword v67, v[74:75], off
	s_waitcnt vmcnt(0)
	v_mul_f32_e32 v67, s24, v67
.LBB80_40:
	v_add_f32_e32 v73, v58, v59
	v_add_u32_e32 v58, 40, v0
	v_ashrrev_i32_e32 v59, 31, v58
	;; [unrolled: 30-line block ×3, first 2 shown]
	v_add_f32_e32 v67, v73, v67
	v_lshl_add_u64 v[74:75], v[56:57], 2, v[70:71]
	s_and_b64 vcc, exec, s[4:5]
	global_store_dword v[74:75], v67, off
	s_cbranch_vccnz .LBB80_46
; %bb.45:
	v_lshl_add_u64 v[66:67], v[54:55], 2, v[68:69]
	global_load_dword v66, v[66:67], off
	s_waitcnt vmcnt(0)
	v_mul_f32_e32 v66, s24, v66
.LBB80_46:
	v_add_f32_e32 v52, v52, v53
	v_add_f32_e32 v66, v52, v66
	v_lshl_add_u64 v[52:53], v[54:55], 2, v[70:71]
	global_store_dword v[52:53], v66, off
	v_add_u32_e32 v66, 32, v72
	v_mad_i64_i32 v[52:53], s[6:7], v66, s10, 0
	v_lshl_add_u64 v[52:53], v[52:53], 2, s[16:17]
	v_mov_b32_e32 v68, 0
	s_and_b64 vcc, exec, s[4:5]
	v_mov_b32_e32 v69, 0
	s_cbranch_vccnz .LBB80_48
; %bb.47:
	v_lshl_add_u64 v[70:71], v[0:1], 2, v[52:53]
	global_load_dword v67, v[70:71], off
	s_waitcnt vmcnt(0)
	v_mul_f32_e32 v69, s24, v67
.LBB80_48:
	v_mad_i64_i32 v[66:67], s[6:7], v66, s2, 0
	v_lshl_add_u64 v[66:67], v[66:67], 2, s[0:1]
	v_add_f32_e32 v50, v50, v51
	v_add_f32_e32 v69, v50, v69
	v_lshl_add_u64 v[50:51], v[0:1], 2, v[66:67]
	s_and_b64 vcc, exec, s[4:5]
	global_store_dword v[50:51], v69, off
	s_cbranch_vccnz .LBB80_50
; %bb.49:
	v_lshl_add_u64 v[50:51], v[2:3], 2, v[52:53]
	global_load_dword v50, v[50:51], off
	s_waitcnt vmcnt(0)
	v_mul_f32_e32 v68, s24, v50
.LBB80_50:
	v_add_f32_e32 v48, v48, v49
	v_add_f32_e32 v50, v48, v68
	v_lshl_add_u64 v[48:49], v[2:3], 2, v[66:67]
	global_store_dword v[48:49], v50, off
	v_mov_b32_e32 v48, 0
	s_and_b64 vcc, exec, s[4:5]
	v_mov_b32_e32 v49, 0
	s_cbranch_vccnz .LBB80_52
; %bb.51:
	v_lshl_add_u64 v[50:51], v[64:65], 2, v[52:53]
	global_load_dword v49, v[50:51], off
	s_waitcnt vmcnt(0)
	v_mul_f32_e32 v49, s24, v49
.LBB80_52:
	v_add_f32_e32 v46, v46, v47
	v_add_f32_e32 v49, v46, v49
	v_lshl_add_u64 v[46:47], v[64:65], 2, v[66:67]
	s_and_b64 vcc, exec, s[4:5]
	global_store_dword v[46:47], v49, off
	s_cbranch_vccnz .LBB80_54
; %bb.53:
	v_lshl_add_u64 v[46:47], v[62:63], 2, v[52:53]
	global_load_dword v46, v[46:47], off
	s_waitcnt vmcnt(0)
	v_mul_f32_e32 v48, s24, v46
.LBB80_54:
	v_add_f32_e32 v44, v44, v45
	v_add_f32_e32 v46, v44, v48
	v_lshl_add_u64 v[44:45], v[62:63], 2, v[66:67]
	global_store_dword v[44:45], v46, off
	v_mov_b32_e32 v44, 0
	s_and_b64 vcc, exec, s[4:5]
	v_mov_b32_e32 v45, 0
	s_cbranch_vccnz .LBB80_56
; %bb.55:
	v_lshl_add_u64 v[46:47], v[60:61], 2, v[52:53]
	global_load_dword v45, v[46:47], off
	s_waitcnt vmcnt(0)
	v_mul_f32_e32 v45, s24, v45
.LBB80_56:
	;; [unrolled: 26-line block ×3, first 2 shown]
	v_add_f32_e32 v38, v38, v39
	v_add_f32_e32 v41, v38, v41
	v_lshl_add_u64 v[38:39], v[56:57], 2, v[66:67]
	s_and_b64 vcc, exec, s[4:5]
	global_store_dword v[38:39], v41, off
	s_cbranch_vccnz .LBB80_62
; %bb.61:
	v_lshl_add_u64 v[38:39], v[54:55], 2, v[52:53]
	global_load_dword v38, v[38:39], off
	s_waitcnt vmcnt(0)
	v_mul_f32_e32 v40, s24, v38
.LBB80_62:
	v_add_f32_e32 v36, v36, v37
	v_add_f32_e32 v38, v36, v40
	v_lshl_add_u64 v[36:37], v[54:55], 2, v[66:67]
	global_store_dword v[36:37], v38, off
	v_add_u32_e32 v38, 64, v72
	v_mad_i64_i32 v[36:37], s[6:7], v38, s10, 0
	v_lshl_add_u64 v[36:37], v[36:37], 2, s[16:17]
	v_mov_b32_e32 v40, 0
	s_and_b64 vcc, exec, s[4:5]
	v_mov_b32_e32 v41, 0
	s_cbranch_vccnz .LBB80_64
; %bb.63:
	v_lshl_add_u64 v[42:43], v[0:1], 2, v[36:37]
	global_load_dword v39, v[42:43], off
	s_waitcnt vmcnt(0)
	v_mul_f32_e32 v41, s24, v39
.LBB80_64:
	v_mad_i64_i32 v[38:39], s[6:7], v38, s2, 0
	v_lshl_add_u64 v[38:39], v[38:39], 2, s[0:1]
	v_add_f32_e32 v34, v34, v35
	v_add_f32_e32 v41, v34, v41
	v_lshl_add_u64 v[34:35], v[0:1], 2, v[38:39]
	s_and_b64 vcc, exec, s[4:5]
	global_store_dword v[34:35], v41, off
	s_cbranch_vccnz .LBB80_66
; %bb.65:
	v_lshl_add_u64 v[34:35], v[2:3], 2, v[36:37]
	global_load_dword v34, v[34:35], off
	s_waitcnt vmcnt(0)
	v_mul_f32_e32 v40, s24, v34
.LBB80_66:
	v_add_f32_e32 v32, v32, v33
	v_add_f32_e32 v34, v32, v40
	v_lshl_add_u64 v[32:33], v[2:3], 2, v[38:39]
	global_store_dword v[32:33], v34, off
	v_mov_b32_e32 v32, 0
	s_and_b64 vcc, exec, s[4:5]
	v_mov_b32_e32 v33, 0
	s_cbranch_vccnz .LBB80_68
; %bb.67:
	v_lshl_add_u64 v[34:35], v[64:65], 2, v[36:37]
	global_load_dword v33, v[34:35], off
	s_waitcnt vmcnt(0)
	v_mul_f32_e32 v33, s24, v33
.LBB80_68:
	v_add_f32_e32 v30, v30, v31
	v_add_f32_e32 v33, v30, v33
	v_lshl_add_u64 v[30:31], v[64:65], 2, v[38:39]
	s_and_b64 vcc, exec, s[4:5]
	global_store_dword v[30:31], v33, off
	s_cbranch_vccnz .LBB80_70
; %bb.69:
	v_lshl_add_u64 v[30:31], v[62:63], 2, v[36:37]
	global_load_dword v30, v[30:31], off
	s_waitcnt vmcnt(0)
	v_mul_f32_e32 v32, s24, v30
.LBB80_70:
	v_add_f32_e32 v28, v28, v29
	v_add_f32_e32 v30, v28, v32
	v_lshl_add_u64 v[28:29], v[62:63], 2, v[38:39]
	global_store_dword v[28:29], v30, off
	v_mov_b32_e32 v28, 0
	s_and_b64 vcc, exec, s[4:5]
	v_mov_b32_e32 v29, 0
	s_cbranch_vccnz .LBB80_72
; %bb.71:
	v_lshl_add_u64 v[30:31], v[60:61], 2, v[36:37]
	global_load_dword v29, v[30:31], off
	s_waitcnt vmcnt(0)
	v_mul_f32_e32 v29, s24, v29
.LBB80_72:
	;; [unrolled: 26-line block ×3, first 2 shown]
	v_add_f32_e32 v22, v22, v23
	v_add_f32_e32 v25, v22, v25
	v_lshl_add_u64 v[22:23], v[56:57], 2, v[38:39]
	s_and_b64 vcc, exec, s[4:5]
	global_store_dword v[22:23], v25, off
	s_cbranch_vccnz .LBB80_78
; %bb.77:
	v_lshl_add_u64 v[22:23], v[54:55], 2, v[36:37]
	global_load_dword v22, v[22:23], off
	s_waitcnt vmcnt(0)
	v_mul_f32_e32 v24, s24, v22
.LBB80_78:
	v_add_f32_e32 v20, v20, v21
	v_add_f32_e32 v22, v20, v24
	v_lshl_add_u64 v[20:21], v[54:55], 2, v[38:39]
	global_store_dword v[20:21], v22, off
	v_add_u32_e32 v22, 0x60, v72
	v_mad_i64_i32 v[20:21], s[6:7], v22, s10, 0
	v_lshl_add_u64 v[20:21], v[20:21], 2, s[16:17]
	v_mov_b32_e32 v24, 0
	s_and_b64 vcc, exec, s[4:5]
	v_mov_b32_e32 v25, 0
	s_cbranch_vccnz .LBB80_80
; %bb.79:
	v_lshl_add_u64 v[26:27], v[0:1], 2, v[20:21]
	global_load_dword v23, v[26:27], off
	s_waitcnt vmcnt(0)
	v_mul_f32_e32 v25, s24, v23
.LBB80_80:
	v_mad_i64_i32 v[22:23], s[2:3], v22, s2, 0
	v_lshl_add_u64 v[22:23], v[22:23], 2, s[0:1]
	v_add_f32_e32 v18, v18, v19
	v_add_f32_e32 v18, v18, v25
	v_lshl_add_u64 v[0:1], v[0:1], 2, v[22:23]
	s_and_b64 vcc, exec, s[4:5]
	global_store_dword v[0:1], v18, off
	s_cbranch_vccnz .LBB80_82
; %bb.81:
	v_lshl_add_u64 v[0:1], v[2:3], 2, v[20:21]
	global_load_dword v0, v[0:1], off
	s_waitcnt vmcnt(0)
	v_mul_f32_e32 v24, s24, v0
.LBB80_82:
	v_add_f32_e32 v0, v16, v17
	v_add_f32_e32 v16, v0, v24
	v_lshl_add_u64 v[0:1], v[2:3], 2, v[22:23]
	global_store_dword v[0:1], v16, off
	v_mov_b32_e32 v0, 0
	s_and_b64 vcc, exec, s[4:5]
	v_mov_b32_e32 v1, 0
	s_cbranch_vccnz .LBB80_84
; %bb.83:
	v_lshl_add_u64 v[2:3], v[64:65], 2, v[20:21]
	global_load_dword v1, v[2:3], off
	s_waitcnt vmcnt(0)
	v_mul_f32_e32 v1, s24, v1
.LBB80_84:
	v_add_f32_e32 v2, v14, v15
	v_add_f32_e32 v1, v2, v1
	v_lshl_add_u64 v[2:3], v[64:65], 2, v[22:23]
	s_and_b64 vcc, exec, s[4:5]
	global_store_dword v[2:3], v1, off
	s_cbranch_vccnz .LBB80_86
; %bb.85:
	v_lshl_add_u64 v[0:1], v[62:63], 2, v[20:21]
	global_load_dword v0, v[0:1], off
	s_waitcnt vmcnt(0)
	v_mul_f32_e32 v0, s24, v0
.LBB80_86:
	v_add_f32_e32 v1, v12, v13
	v_add_f32_e32 v2, v1, v0
	v_lshl_add_u64 v[0:1], v[62:63], 2, v[22:23]
	global_store_dword v[0:1], v2, off
	v_mov_b32_e32 v0, 0
	s_and_b64 vcc, exec, s[4:5]
	v_mov_b32_e32 v1, 0
	s_cbranch_vccnz .LBB80_88
; %bb.87:
	v_lshl_add_u64 v[2:3], v[60:61], 2, v[20:21]
	global_load_dword v1, v[2:3], off
	s_waitcnt vmcnt(0)
	v_mul_f32_e32 v1, s24, v1
.LBB80_88:
	v_add_f32_e32 v2, v10, v11
	v_add_f32_e32 v1, v2, v1
	v_lshl_add_u64 v[2:3], v[60:61], 2, v[22:23]
	s_and_b64 vcc, exec, s[4:5]
	global_store_dword v[2:3], v1, off
	s_cbranch_vccnz .LBB80_90
; %bb.89:
	v_lshl_add_u64 v[0:1], v[58:59], 2, v[20:21]
	global_load_dword v0, v[0:1], off
	s_waitcnt vmcnt(0)
	v_mul_f32_e32 v0, s24, v0
.LBB80_90:
	v_add_f32_e32 v1, v8, v9
	v_add_f32_e32 v2, v1, v0
	v_lshl_add_u64 v[0:1], v[58:59], 2, v[22:23]
	global_store_dword v[0:1], v2, off
	v_add_f32_e32 v0, v6, v7
	s_mov_b64 s[0:1], -1
	s_mov_b64 vcc, s[8:9]
	s_cbranch_vccz .LBB80_92
; %bb.91:
	v_add_f32_e32 v1, 0, v0
	v_lshl_add_u64 v[2:3], v[56:57], 2, v[22:23]
	global_store_dword v[2:3], v1, off
	s_mov_b64 s[0:1], 0
.LBB80_92:
	s_andn2_b64 vcc, exec, s[0:1]
	v_mov_b32_e32 v1, 0
	s_cbranch_vccnz .LBB80_94
; %bb.93:
	v_lshlrev_b64 v[2:3], 2, v[56:57]
	v_lshl_add_u64 v[6:7], v[20:21], 0, v[2:3]
	global_load_dword v1, v[6:7], off
	v_lshl_add_u64 v[2:3], v[22:23], 0, v[2:3]
	s_waitcnt vmcnt(0)
	v_fmac_f32_e32 v0, s24, v1
	global_store_dword v[2:3], v0, off
	v_lshl_add_u64 v[0:1], v[54:55], 2, v[20:21]
	global_load_dword v0, v[0:1], off
	s_waitcnt vmcnt(0)
	v_mul_f32_e32 v1, s24, v0
.LBB80_94:
	v_add_f32_e32 v0, v4, v5
	v_add_f32_e32 v2, v0, v1
	v_lshl_add_u64 v[0:1], v[54:55], 2, v[22:23]
	global_store_dword v[0:1], v2, off
	s_endpgm
.LBB80_95:
	s_mov_b64 s[22:23], 0
	s_andn2_b64 vcc, exec, s[6:7]
	s_mov_b64 s[6:7], -1
	s_cbranch_vccz .LBB80_2
	s_branch .LBB80_3
	.section	.rodata,"a",@progbits
	.p2align	6, 0x0
	.amdhsa_kernel _ZN12_GLOBAL__N_120geam_min_plus_kernelIf15HIP_vector_typeIfLj2EES2_Li8ELi32ELi64ELi128ELi4ELi64ELi4ELi4ELi64ELc78ELc78ELb0ELb0ELb0EfKffEEviiiT16_PT17_ilS6_ilS4_S6_ilPT18_ili26rocblas_geam_ex_operation_
		.amdhsa_group_segment_fixed_size 6144
		.amdhsa_private_segment_fixed_size 0
		.amdhsa_kernarg_size 128
		.amdhsa_user_sgpr_count 2
		.amdhsa_user_sgpr_dispatch_ptr 0
		.amdhsa_user_sgpr_queue_ptr 0
		.amdhsa_user_sgpr_kernarg_segment_ptr 1
		.amdhsa_user_sgpr_dispatch_id 0
		.amdhsa_user_sgpr_kernarg_preload_length 0
		.amdhsa_user_sgpr_kernarg_preload_offset 0
		.amdhsa_user_sgpr_private_segment_size 0
		.amdhsa_uses_dynamic_stack 0
		.amdhsa_enable_private_segment 0
		.amdhsa_system_sgpr_workgroup_id_x 1
		.amdhsa_system_sgpr_workgroup_id_y 0
		.amdhsa_system_sgpr_workgroup_id_z 1
		.amdhsa_system_sgpr_workgroup_info 0
		.amdhsa_system_vgpr_workitem_id 1
		.amdhsa_next_free_vgpr 114
		.amdhsa_next_free_sgpr 29
		.amdhsa_accum_offset 116
		.amdhsa_reserve_vcc 1
		.amdhsa_float_round_mode_32 0
		.amdhsa_float_round_mode_16_64 0
		.amdhsa_float_denorm_mode_32 3
		.amdhsa_float_denorm_mode_16_64 3
		.amdhsa_dx10_clamp 1
		.amdhsa_ieee_mode 1
		.amdhsa_fp16_overflow 0
		.amdhsa_tg_split 0
		.amdhsa_exception_fp_ieee_invalid_op 0
		.amdhsa_exception_fp_denorm_src 0
		.amdhsa_exception_fp_ieee_div_zero 0
		.amdhsa_exception_fp_ieee_overflow 0
		.amdhsa_exception_fp_ieee_underflow 0
		.amdhsa_exception_fp_ieee_inexact 0
		.amdhsa_exception_int_div_zero 0
	.end_amdhsa_kernel
	.section	.text._ZN12_GLOBAL__N_120geam_min_plus_kernelIf15HIP_vector_typeIfLj2EES2_Li8ELi32ELi64ELi128ELi4ELi64ELi4ELi4ELi64ELc78ELc78ELb0ELb0ELb0EfKffEEviiiT16_PT17_ilS6_ilS4_S6_ilPT18_ili26rocblas_geam_ex_operation_,"axG",@progbits,_ZN12_GLOBAL__N_120geam_min_plus_kernelIf15HIP_vector_typeIfLj2EES2_Li8ELi32ELi64ELi128ELi4ELi64ELi4ELi4ELi64ELc78ELc78ELb0ELb0ELb0EfKffEEviiiT16_PT17_ilS6_ilS4_S6_ilPT18_ili26rocblas_geam_ex_operation_,comdat
.Lfunc_end80:
	.size	_ZN12_GLOBAL__N_120geam_min_plus_kernelIf15HIP_vector_typeIfLj2EES2_Li8ELi32ELi64ELi128ELi4ELi64ELi4ELi4ELi64ELc78ELc78ELb0ELb0ELb0EfKffEEviiiT16_PT17_ilS6_ilS4_S6_ilPT18_ili26rocblas_geam_ex_operation_, .Lfunc_end80-_ZN12_GLOBAL__N_120geam_min_plus_kernelIf15HIP_vector_typeIfLj2EES2_Li8ELi32ELi64ELi128ELi4ELi64ELi4ELi4ELi64ELc78ELc78ELb0ELb0ELb0EfKffEEviiiT16_PT17_ilS6_ilS4_S6_ilPT18_ili26rocblas_geam_ex_operation_
                                        ; -- End function
	.set _ZN12_GLOBAL__N_120geam_min_plus_kernelIf15HIP_vector_typeIfLj2EES2_Li8ELi32ELi64ELi128ELi4ELi64ELi4ELi4ELi64ELc78ELc78ELb0ELb0ELb0EfKffEEviiiT16_PT17_ilS6_ilS4_S6_ilPT18_ili26rocblas_geam_ex_operation_.num_vgpr, 114
	.set _ZN12_GLOBAL__N_120geam_min_plus_kernelIf15HIP_vector_typeIfLj2EES2_Li8ELi32ELi64ELi128ELi4ELi64ELi4ELi4ELi64ELc78ELc78ELb0ELb0ELb0EfKffEEviiiT16_PT17_ilS6_ilS4_S6_ilPT18_ili26rocblas_geam_ex_operation_.num_agpr, 0
	.set _ZN12_GLOBAL__N_120geam_min_plus_kernelIf15HIP_vector_typeIfLj2EES2_Li8ELi32ELi64ELi128ELi4ELi64ELi4ELi4ELi64ELc78ELc78ELb0ELb0ELb0EfKffEEviiiT16_PT17_ilS6_ilS4_S6_ilPT18_ili26rocblas_geam_ex_operation_.numbered_sgpr, 29
	.set _ZN12_GLOBAL__N_120geam_min_plus_kernelIf15HIP_vector_typeIfLj2EES2_Li8ELi32ELi64ELi128ELi4ELi64ELi4ELi4ELi64ELc78ELc78ELb0ELb0ELb0EfKffEEviiiT16_PT17_ilS6_ilS4_S6_ilPT18_ili26rocblas_geam_ex_operation_.num_named_barrier, 0
	.set _ZN12_GLOBAL__N_120geam_min_plus_kernelIf15HIP_vector_typeIfLj2EES2_Li8ELi32ELi64ELi128ELi4ELi64ELi4ELi4ELi64ELc78ELc78ELb0ELb0ELb0EfKffEEviiiT16_PT17_ilS6_ilS4_S6_ilPT18_ili26rocblas_geam_ex_operation_.private_seg_size, 0
	.set _ZN12_GLOBAL__N_120geam_min_plus_kernelIf15HIP_vector_typeIfLj2EES2_Li8ELi32ELi64ELi128ELi4ELi64ELi4ELi4ELi64ELc78ELc78ELb0ELb0ELb0EfKffEEviiiT16_PT17_ilS6_ilS4_S6_ilPT18_ili26rocblas_geam_ex_operation_.uses_vcc, 1
	.set _ZN12_GLOBAL__N_120geam_min_plus_kernelIf15HIP_vector_typeIfLj2EES2_Li8ELi32ELi64ELi128ELi4ELi64ELi4ELi4ELi64ELc78ELc78ELb0ELb0ELb0EfKffEEviiiT16_PT17_ilS6_ilS4_S6_ilPT18_ili26rocblas_geam_ex_operation_.uses_flat_scratch, 0
	.set _ZN12_GLOBAL__N_120geam_min_plus_kernelIf15HIP_vector_typeIfLj2EES2_Li8ELi32ELi64ELi128ELi4ELi64ELi4ELi4ELi64ELc78ELc78ELb0ELb0ELb0EfKffEEviiiT16_PT17_ilS6_ilS4_S6_ilPT18_ili26rocblas_geam_ex_operation_.has_dyn_sized_stack, 0
	.set _ZN12_GLOBAL__N_120geam_min_plus_kernelIf15HIP_vector_typeIfLj2EES2_Li8ELi32ELi64ELi128ELi4ELi64ELi4ELi4ELi64ELc78ELc78ELb0ELb0ELb0EfKffEEviiiT16_PT17_ilS6_ilS4_S6_ilPT18_ili26rocblas_geam_ex_operation_.has_recursion, 0
	.set _ZN12_GLOBAL__N_120geam_min_plus_kernelIf15HIP_vector_typeIfLj2EES2_Li8ELi32ELi64ELi128ELi4ELi64ELi4ELi4ELi64ELc78ELc78ELb0ELb0ELb0EfKffEEviiiT16_PT17_ilS6_ilS4_S6_ilPT18_ili26rocblas_geam_ex_operation_.has_indirect_call, 0
	.section	.AMDGPU.csdata,"",@progbits
; Kernel info:
; codeLenInByte = 6712
; TotalNumSgprs: 35
; NumVgprs: 114
; NumAgprs: 0
; TotalNumVgprs: 114
; ScratchSize: 0
; MemoryBound: 0
; FloatMode: 240
; IeeeMode: 1
; LDSByteSize: 6144 bytes/workgroup (compile time only)
; SGPRBlocks: 4
; VGPRBlocks: 14
; NumSGPRsForWavesPerEU: 35
; NumVGPRsForWavesPerEU: 114
; AccumOffset: 116
; Occupancy: 4
; WaveLimiterHint : 0
; COMPUTE_PGM_RSRC2:SCRATCH_EN: 0
; COMPUTE_PGM_RSRC2:USER_SGPR: 2
; COMPUTE_PGM_RSRC2:TRAP_HANDLER: 0
; COMPUTE_PGM_RSRC2:TGID_X_EN: 1
; COMPUTE_PGM_RSRC2:TGID_Y_EN: 0
; COMPUTE_PGM_RSRC2:TGID_Z_EN: 1
; COMPUTE_PGM_RSRC2:TIDIG_COMP_CNT: 1
; COMPUTE_PGM_RSRC3_GFX90A:ACCUM_OFFSET: 28
; COMPUTE_PGM_RSRC3_GFX90A:TG_SPLIT: 0
	.section	.text._ZN12_GLOBAL__N_120geam_min_plus_kernelIf15HIP_vector_typeIfLj2EES2_Li8ELi32ELi64ELi128ELi4ELi64ELi4ELi4ELi64ELc78ELc78ELb0ELb1ELb0EPKfS3_fEEviiiT16_PT17_ilS7_ilS5_S7_ilPT18_ili26rocblas_geam_ex_operation_,"axG",@progbits,_ZN12_GLOBAL__N_120geam_min_plus_kernelIf15HIP_vector_typeIfLj2EES2_Li8ELi32ELi64ELi128ELi4ELi64ELi4ELi4ELi64ELc78ELc78ELb0ELb1ELb0EPKfS3_fEEviiiT16_PT17_ilS7_ilS5_S7_ilPT18_ili26rocblas_geam_ex_operation_,comdat
	.globl	_ZN12_GLOBAL__N_120geam_min_plus_kernelIf15HIP_vector_typeIfLj2EES2_Li8ELi32ELi64ELi128ELi4ELi64ELi4ELi4ELi64ELc78ELc78ELb0ELb1ELb0EPKfS3_fEEviiiT16_PT17_ilS7_ilS5_S7_ilPT18_ili26rocblas_geam_ex_operation_ ; -- Begin function _ZN12_GLOBAL__N_120geam_min_plus_kernelIf15HIP_vector_typeIfLj2EES2_Li8ELi32ELi64ELi128ELi4ELi64ELi4ELi4ELi64ELc78ELc78ELb0ELb1ELb0EPKfS3_fEEviiiT16_PT17_ilS7_ilS5_S7_ilPT18_ili26rocblas_geam_ex_operation_
	.p2align	8
	.type	_ZN12_GLOBAL__N_120geam_min_plus_kernelIf15HIP_vector_typeIfLj2EES2_Li8ELi32ELi64ELi128ELi4ELi64ELi4ELi4ELi64ELc78ELc78ELb0ELb1ELb0EPKfS3_fEEviiiT16_PT17_ilS7_ilS5_S7_ilPT18_ili26rocblas_geam_ex_operation_,@function
_ZN12_GLOBAL__N_120geam_min_plus_kernelIf15HIP_vector_typeIfLj2EES2_Li8ELi32ELi64ELi128ELi4ELi64ELi4ELi4ELi64ELc78ELc78ELb0ELb1ELb0EPKfS3_fEEviiiT16_PT17_ilS7_ilS5_S7_ilPT18_ili26rocblas_geam_ex_operation_: ; @_ZN12_GLOBAL__N_120geam_min_plus_kernelIf15HIP_vector_typeIfLj2EES2_Li8ELi32ELi64ELi128ELi4ELi64ELi4ELi4ELi64ELc78ELc78ELb0ELb1ELb0EPKfS3_fEEviiiT16_PT17_ilS7_ilS5_S7_ilPT18_ili26rocblas_geam_ex_operation_
; %bb.0:
	s_load_dwordx4 s[12:15], s[0:1], 0x10
	s_load_dwordx4 s[4:7], s[0:1], 0x28
	;; [unrolled: 1-line block ×3, first 2 shown]
	s_mov_b32 s16, s3
	s_mov_b32 s17, 0
	s_lshl_b64 s[18:19], s[16:17], 2
	s_waitcnt lgkmcnt(0)
	s_add_u32 s12, s12, s18
	s_addc_u32 s13, s13, s19
	s_load_dword s30, s[12:13], 0x0
	s_load_dwordx2 s[20:21], s[0:1], 0x50
	s_add_u32 s22, s10, s18
	s_addc_u32 s23, s11, s19
	s_mov_b64 s[12:13], 0
	s_waitcnt lgkmcnt(0)
	v_cmp_eq_f32_e64 s[18:19], s30, 0
	v_cmp_neq_f32_e64 s[10:11], s30, 0
	s_and_b64 vcc, exec, s[18:19]
	s_mov_b64 s[18:19], 0
	s_cbranch_vccnz .LBB81_2
; %bb.1:
	s_mul_i32 s3, s5, s16
	s_mul_hi_u32 s5, s4, s16
	s_add_i32 s5, s5, s3
	s_mul_i32 s4, s4, s16
	s_lshl_b64 s[4:5], s[4:5], 2
	s_add_u32 s18, s14, s4
	s_addc_u32 s19, s15, s5
.LBB81_2:
	s_load_dword s28, s[22:23], 0x0
	s_andn2_b64 vcc, exec, s[10:11]
	s_cbranch_vccnz .LBB81_4
; %bb.3:
	s_mul_i32 s3, s9, s16
	s_mul_hi_u32 s4, s8, s16
	s_add_i32 s5, s4, s3
	s_mul_i32 s4, s8, s16
	s_lshl_b64 s[4:5], s[4:5], 2
	s_add_u32 s12, s6, s4
	s_addc_u32 s13, s7, s5
.LBB81_4:
	s_load_dwordx4 s[4:7], s[0:1], 0x60
	s_waitcnt lgkmcnt(0)
	v_cmp_eq_f32_e64 s[14:15], s28, 0
	v_cmp_neq_f32_e64 s[8:9], s28, 0
	s_and_b64 vcc, exec, s[14:15]
	s_cbranch_vccnz .LBB81_6
; %bb.5:
	s_mul_i32 s3, s5, s16
	s_mul_hi_u32 s5, s4, s16
	s_add_i32 s5, s5, s3
	s_mul_i32 s4, s4, s16
	s_lshl_b64 s[4:5], s[4:5], 2
	s_add_u32 s24, s20, s4
	s_addc_u32 s25, s21, s5
	s_branch .LBB81_7
.LBB81_6:
	s_mov_b64 s[24:25], 0
.LBB81_7:
	s_load_dwordx4 s[20:23], s[0:1], 0x0
	s_waitcnt lgkmcnt(0)
	s_load_dword s23, s[0:1], 0x20
	v_and_b32_e32 v74, 0x3ff, v0
	v_bfe_u32 v75, v0, 10, 10
	v_lshl_add_u32 v0, v75, 3, v74
	s_add_i32 s3, s20, -1
	s_ashr_i32 s4, s3, 31
	s_lshr_b32 s4, s4, 26
	s_add_i32 s3, s3, s4
	s_ashr_i32 s3, s3, 6
	s_add_i32 s4, s3, 1
	v_cvt_f32_u32_e32 v1, s4
	s_not_b32 s3, s3
	s_waitcnt lgkmcnt(0)
	s_ashr_i32 s31, s23, 31
	v_and_b32_e32 v3, 63, v0
	v_rcp_iflag_f32_e32 v1, v1
	v_lshrrev_b32_e32 v76, 6, v0
	v_cmp_gt_i32_e32 vcc, s22, v76
	v_mov_b32_e32 v2, 0
	v_mul_f32_e32 v1, 0x4f7ffffe, v1
	v_cvt_u32_f32_e32 v1, v1
	v_mov_b32_e32 v4, 0
	v_readfirstlane_b32 s5, v1
	s_mul_i32 s3, s3, s5
	s_mul_hi_u32 s3, s5, s3
	s_add_i32 s5, s5, s3
	s_mul_hi_u32 s3, s2, s5
	s_mul_i32 s5, s3, s4
	s_sub_i32 s5, s2, s5
	s_add_i32 s14, s3, 1
	s_sub_i32 s15, s5, s4
	s_cmp_ge_u32 s5, s4
	s_cselect_b32 s3, s14, s3
	s_cselect_b32 s5, s15, s5
	s_add_i32 s14, s3, 1
	s_cmp_ge_u32 s5, s4
	s_cselect_b32 s14, s14, s3
	s_mul_i32 s3, s14, s4
	s_sub_i32 s2, s2, s3
	s_lshl_b32 s17, s2, 6
	v_or_b32_e32 v68, s17, v3
	v_cmp_gt_i32_e64 s[2:3], s20, v68
	s_and_b64 s[4:5], vcc, s[2:3]
	v_ashrrev_i32_e32 v69, 31, v68
	s_and_b64 s[26:27], s[10:11], s[4:5]
	s_and_saveexec_b64 s[4:5], s[26:27]
	s_cbranch_execz .LBB81_9
; %bb.8:
	v_mad_i64_i32 v[4:5], s[26:27], s23, v76, 0
	v_lshl_add_u64 v[4:5], v[4:5], 2, s[18:19]
	v_lshl_add_u64 v[4:5], v[68:69], 2, v[4:5]
	global_load_dword v1, v[4:5], off
	s_waitcnt vmcnt(0)
	v_mul_f32_e32 v4, s30, v1
.LBB81_9:
	s_or_b64 exec, exec, s[4:5]
	s_load_dword s34, s[0:1], 0x38
	v_lshrrev_b32_e32 v71, 2, v0
	s_lshl_b32 s29, s14, 7
	v_and_b32_e32 v77, 3, v74
	v_add_u32_e32 v70, s29, v71
	s_add_i32 s33, s22, -1
	v_min_i32_e32 v0, s33, v77
	v_cmp_le_i32_e64 s[4:5], s21, v70
	s_xor_b64 s[26:27], s[10:11], -1
	v_cmp_le_i32_e32 vcc, s22, v77
	v_ashrrev_i32_e32 v1, 31, v0
	s_or_b64 s[14:15], s[4:5], s[26:27]
	v_lshl_add_u64 v[0:1], v[0:1], 2, s[12:13]
	s_nor_b64 s[36:37], vcc, s[14:15]
	s_and_saveexec_b64 s[4:5], s[36:37]
	s_cbranch_execz .LBB81_11
; %bb.10:
	s_waitcnt lgkmcnt(0)
	v_mad_i64_i32 v[6:7], s[36:37], v70, s34, 0
	v_lshl_add_u64 v[6:7], v[6:7], 2, v[0:1]
	global_load_dword v2, v[6:7], off
	s_waitcnt vmcnt(0)
	v_mul_f32_e32 v2, s30, v2
.LBB81_11:
	s_or_b64 exec, exec, s[4:5]
	v_add_u32_e32 v72, 64, v70
	v_cmp_le_i32_e64 s[4:5], s21, v72
	s_or_b64 s[4:5], s[4:5], s[26:27]
	s_nor_b64 s[36:37], vcc, s[4:5]
	v_mov_b32_e32 v73, 0
	v_mov_b32_e32 v5, 0
	s_and_saveexec_b64 s[26:27], s[36:37]
	s_cbranch_execz .LBB81_13
; %bb.12:
	s_waitcnt lgkmcnt(0)
	v_mad_i64_i32 v[6:7], s[36:37], v72, s34, 0
	v_lshl_add_u64 v[0:1], v[6:7], 2, v[0:1]
	global_load_dword v0, v[0:1], off
	s_waitcnt vmcnt(0)
	v_mul_f32_e32 v5, s30, v0
.LBB81_13:
	s_or_b64 exec, exec, s[26:27]
	v_add_u32_e32 v0, 4, v76
	v_cmp_gt_i32_e32 vcc, s22, v0
	s_and_b64 s[26:27], s[2:3], vcc
	s_and_b64 s[36:37], s[10:11], s[26:27]
	s_and_saveexec_b64 s[26:27], s[36:37]
	s_cbranch_execz .LBB81_15
; %bb.14:
	v_mad_u64_u32 v[6:7], s[36:37], s23, v0, 0
	v_mov_b32_e32 v8, v7
	v_mad_u64_u32 v[0:1], s[36:37], s31, v0, v[8:9]
	v_mov_b32_e32 v7, v0
	v_lshl_add_u64 v[0:1], v[6:7], 2, s[18:19]
	v_lshl_add_u64 v[0:1], v[68:69], 2, v[0:1]
	global_load_dword v0, v[0:1], off
	s_waitcnt vmcnt(0)
	v_mul_f32_e32 v73, s30, v0
.LBB81_15:
	s_or_b64 exec, exec, s[26:27]
	v_or_b32_e32 v0, 4, v77
	v_cmp_le_i32_e32 vcc, s22, v0
	v_min_i32_e32 v0, s33, v0
	v_ashrrev_i32_e32 v1, 31, v0
	v_lshl_add_u64 v[0:1], v[0:1], 2, s[12:13]
	s_nor_b64 s[36:37], vcc, s[14:15]
	v_mov_b32_e32 v82, 0
	v_mov_b32_e32 v83, 0
	s_and_saveexec_b64 s[26:27], s[36:37]
	s_cbranch_execz .LBB81_17
; %bb.16:
	s_waitcnt lgkmcnt(0)
	v_mad_i64_i32 v[6:7], s[36:37], v70, s34, 0
	v_lshl_add_u64 v[6:7], v[6:7], 2, v[0:1]
	global_load_dword v6, v[6:7], off
	s_waitcnt vmcnt(0)
	v_mul_f32_e32 v83, s30, v6
.LBB81_17:
	s_or_b64 exec, exec, s[26:27]
	s_nor_b64 s[36:37], vcc, s[4:5]
	s_and_saveexec_b64 s[26:27], s[36:37]
	s_cbranch_execz .LBB81_19
; %bb.18:
	s_waitcnt lgkmcnt(0)
	v_mad_i64_i32 v[6:7], s[36:37], v72, s34, 0
	v_lshl_add_u64 v[0:1], v[6:7], 2, v[0:1]
	global_load_dword v0, v[0:1], off
	s_waitcnt vmcnt(0)
	v_mul_f32_e32 v82, s30, v0
.LBB81_19:
	s_or_b64 exec, exec, s[26:27]
	v_lshlrev_b32_e32 v0, 4, v3
	v_lshl_add_u32 v84, v76, 2, v0
	v_lshlrev_b32_e32 v0, 4, v71
	v_lshl_or_b32 v78, v77, 2, v0
	v_mov_b32_e32 v0, 0x1000
	v_mov_b32_e32 v66, 0
	ds_write_b32 v84, v4 offset:4096
	ds_write2st64_b32 v78, v2, v5 offset1:4
	v_lshl_add_u32 v79, v74, 4, v0
	s_mov_b32 s35, 0
	s_mov_b64 s[26:27], -1
	v_mov_b32_e32 v67, v66
	v_mov_b32_e32 v64, v66
	;; [unrolled: 1-line block ×63, first 2 shown]
	v_or_b32_e32 v80, 0x1000, v84
	v_lshlrev_b32_e32 v81, 4, v75
	s_waitcnt lgkmcnt(0)
	s_barrier
.LBB81_20:                              ; =>This Inner Loop Header: Depth=1
	v_cndmask_b32_e64 v0, 0, 1, s[26:27]
	s_lshl_b32 s26, s35, 2
	v_cmp_ne_u32_e32 vcc, 1, v0
	v_add_u32_e32 v0, s26, v79
	ds_read2_b64 v[86:89], v0 offset1:16
	ds_read2_b64 v[90:93], v0 offset0:32 offset1:48
	ds_read2_b64 v[94:97], v0 offset0:64 offset1:80
	;; [unrolled: 1-line block ×3, first 2 shown]
	v_add_u32_e32 v0, s26, v81
	ds_read2st64_b64 v[102:105], v0 offset1:1
	ds_read2st64_b64 v[0:3], v0 offset0:2 offset1:3
	s_waitcnt lgkmcnt(5)
	v_max_f32_e32 v106, v87, v87
	v_max_f32_e32 v88, v88, v88
	;; [unrolled: 1-line block ×3, first 2 shown]
	s_waitcnt lgkmcnt(1)
	v_max_f32_e32 v85, v102, v102
	v_max_f32_e32 v102, v86, v86
	;; [unrolled: 1-line block ×3, first 2 shown]
	v_min_f32_e32 v86, v102, v85
	v_min_f32_e32 v87, v106, v103
	v_pk_add_f32 v[66:67], v[66:67], v[86:87]
	v_min_f32_e32 v86, v88, v85
	v_min_f32_e32 v87, v89, v103
	v_max_f32_e32 v90, v90, v90
	v_max_f32_e32 v91, v91, v91
	v_pk_add_f32 v[64:65], v[64:65], v[86:87]
	v_min_f32_e32 v86, v90, v85
	v_min_f32_e32 v87, v91, v103
	v_max_f32_e32 v92, v92, v92
	v_max_f32_e32 v93, v93, v93
	;; [unrolled: 5-line block ×5, first 2 shown]
	v_pk_add_f32 v[56:57], v[56:57], v[86:87]
	v_min_f32_e32 v86, v98, v85
	v_min_f32_e32 v87, v99, v103
	v_max_f32_e32 v100, v100, v100
	v_pk_add_f32 v[54:55], v[54:55], v[86:87]
	v_min_f32_e32 v86, v100, v85
	v_max_f32_e32 v85, v101, v101
	v_min_f32_e32 v87, v85, v103
	v_max_f32_e32 v101, v104, v104
	v_max_f32_e32 v103, v105, v105
	v_pk_add_f32 v[52:53], v[52:53], v[86:87]
	v_min_f32_e32 v86, v102, v101
	v_min_f32_e32 v87, v106, v103
	v_pk_add_f32 v[50:51], v[50:51], v[86:87]
	v_min_f32_e32 v86, v88, v101
	v_min_f32_e32 v87, v89, v103
	v_pk_add_f32 v[48:49], v[48:49], v[86:87]
	v_min_f32_e32 v86, v90, v101
	v_min_f32_e32 v87, v91, v103
	v_pk_add_f32 v[46:47], v[46:47], v[86:87]
	v_min_f32_e32 v86, v92, v101
	v_min_f32_e32 v87, v93, v103
	v_pk_add_f32 v[44:45], v[44:45], v[86:87]
	v_min_f32_e32 v86, v94, v101
	v_min_f32_e32 v87, v95, v103
	v_pk_add_f32 v[42:43], v[42:43], v[86:87]
	v_min_f32_e32 v86, v96, v101
	v_min_f32_e32 v87, v97, v103
	v_pk_add_f32 v[40:41], v[40:41], v[86:87]
	v_min_f32_e32 v86, v98, v101
	v_min_f32_e32 v87, v99, v103
	v_pk_add_f32 v[38:39], v[38:39], v[86:87]
	v_min_f32_e32 v86, v100, v101
	v_min_f32_e32 v87, v85, v103
	v_pk_add_f32 v[36:37], v[36:37], v[86:87]
	s_waitcnt lgkmcnt(0)
	v_max_f32_e32 v86, v0, v0
	v_max_f32_e32 v87, v1, v1
	v_min_f32_e32 v0, v102, v86
	v_min_f32_e32 v1, v106, v87
	v_pk_add_f32 v[34:35], v[34:35], v[0:1]
	v_min_f32_e32 v0, v88, v86
	v_min_f32_e32 v1, v89, v87
	v_pk_add_f32 v[32:33], v[32:33], v[0:1]
	;; [unrolled: 3-line block ×7, first 2 shown]
	v_min_f32_e32 v0, v100, v86
	v_min_f32_e32 v1, v85, v87
	v_max_f32_e32 v2, v2, v2
	v_max_f32_e32 v3, v3, v3
	v_pk_add_f32 v[20:21], v[20:21], v[0:1]
	v_min_f32_e32 v0, v102, v2
	v_min_f32_e32 v1, v106, v3
	v_pk_add_f32 v[18:19], v[18:19], v[0:1]
	v_min_f32_e32 v0, v88, v2
	v_min_f32_e32 v1, v89, v3
	;; [unrolled: 3-line block ×8, first 2 shown]
	v_pk_add_f32 v[4:5], v[4:5], v[0:1]
	s_mov_b64 s[26:27], 0
	s_mov_b32 s35, 2
	s_cbranch_vccz .LBB81_20
; %bb.21:
	v_lshlrev_b32_e32 v0, 2, v77
	v_lshl_or_b32 v0, v71, 4, v0
	s_cmp_lt_i32 s22, 9
	ds_write_b32 v84, v73 offset:5120
	ds_write2st64_b32 v0, v83, v82 offset0:8 offset1:12
	s_waitcnt lgkmcnt(0)
	s_barrier
	s_cbranch_scc1 .LBB81_40
; %bb.22:
	v_add_u32_e32 v83, 0x800, v0
	v_mov_b32_e32 v0, 0x1400
	v_add_u32_e32 v82, 0x1400, v84
	v_lshl_add_u32 v84, v74, 4, v0
	v_mov_b32_e32 v0, 0x800
	s_add_i32 s26, s22, -8
	v_lshl_add_u64 v[68:69], v[68:69], 2, s[18:19]
	v_mad_i64_i32 v[70:71], s[18:19], v70, s34, 0
	v_mad_i64_i32 v[72:73], s[18:19], v72, s34, 0
	v_lshl_add_u32 v85, v75, 4, v0
	s_mov_b32 s27, 8
	s_mov_b32 s34, 0
.LBB81_23:                              ; =>This Loop Header: Depth=1
                                        ;     Child Loop BB81_30 Depth 2
                                        ;     Child Loop BB81_38 Depth 2
	v_add_u32_e32 v0, s27, v76
	v_cmp_gt_i32_e32 vcc, s22, v0
	s_and_b64 s[18:19], s[2:3], vcc
	s_and_b64 s[36:37], s[10:11], s[18:19]
	v_mov_b32_e32 v87, 0
	v_mov_b32_e32 v88, 0
	s_and_saveexec_b64 s[18:19], s[36:37]
	s_cbranch_execz .LBB81_25
; %bb.24:                               ;   in Loop: Header=BB81_23 Depth=1
	v_mad_u64_u32 v[2:3], s[36:37], v0, s23, 0
	v_mov_b32_e32 v86, v3
	v_mad_u64_u32 v[0:1], s[36:37], v0, s31, v[86:87]
	v_mov_b32_e32 v3, v0
	v_lshl_add_u64 v[0:1], v[2:3], 2, v[68:69]
	global_load_dword v0, v[0:1], off
	s_waitcnt vmcnt(0)
	v_mul_f32_e32 v88, s30, v0
.LBB81_25:                              ;   in Loop: Header=BB81_23 Depth=1
	s_or_b64 exec, exec, s[18:19]
	v_or_b32_e32 v86, s27, v77
	v_min_i32_e32 v0, s33, v86
	v_cmp_le_i32_e32 vcc, s22, v86
	v_ashrrev_i32_e32 v1, 31, v0
	v_lshl_add_u64 v[0:1], v[0:1], 2, s[12:13]
	s_nor_b64 s[36:37], s[14:15], vcc
	s_and_saveexec_b64 s[18:19], s[36:37]
	s_cbranch_execz .LBB81_27
; %bb.26:                               ;   in Loop: Header=BB81_23 Depth=1
	v_lshl_add_u64 v[2:3], v[70:71], 2, v[0:1]
	global_load_dword v2, v[2:3], off
	s_waitcnt vmcnt(0)
	v_mul_f32_e32 v87, s30, v2
.LBB81_27:                              ;   in Loop: Header=BB81_23 Depth=1
	s_or_b64 exec, exec, s[18:19]
	s_nor_b64 s[36:37], s[4:5], vcc
	v_mov_b32_e32 v89, 0
	s_and_saveexec_b64 s[18:19], s[36:37]
	s_cbranch_execz .LBB81_29
; %bb.28:                               ;   in Loop: Header=BB81_23 Depth=1
	v_lshl_add_u64 v[0:1], v[72:73], 2, v[0:1]
	global_load_dword v0, v[0:1], off
	s_waitcnt vmcnt(0)
	v_mul_f32_e32 v89, s30, v0
.LBB81_29:                              ;   in Loop: Header=BB81_23 Depth=1
	s_or_b64 exec, exec, s[18:19]
	s_mov_b32 s35, 0
	s_mov_b64 s[18:19], -1
.LBB81_30:                              ;   Parent Loop BB81_23 Depth=1
                                        ; =>  This Inner Loop Header: Depth=2
	v_cndmask_b32_e64 v0, 0, 1, s[18:19]
	s_lshl_b32 s18, s35, 2
	v_cmp_ne_u32_e32 vcc, 1, v0
	v_add_u32_e32 v0, s18, v84
	ds_read2_b64 v[90:93], v0 offset1:16
	ds_read2_b64 v[94:97], v0 offset0:32 offset1:48
	ds_read2_b64 v[98:101], v0 offset0:64 offset1:80
	;; [unrolled: 1-line block ×3, first 2 shown]
	v_add_u32_e32 v0, s18, v85
	ds_read2st64_b64 v[106:109], v0 offset1:1
	ds_read2st64_b64 v[0:3], v0 offset0:2 offset1:3
	s_waitcnt lgkmcnt(5)
	v_max_f32_e32 v110, v90, v90
	v_max_f32_e32 v111, v91, v91
	;; [unrolled: 1-line block ×3, first 2 shown]
	s_waitcnt lgkmcnt(1)
	v_max_f32_e32 v106, v106, v106
	v_max_f32_e32 v107, v107, v107
	v_min_f32_e32 v90, v110, v106
	v_min_f32_e32 v91, v111, v107
	v_max_f32_e32 v93, v93, v93
	v_pk_add_f32 v[66:67], v[66:67], v[90:91]
	v_min_f32_e32 v90, v92, v106
	v_min_f32_e32 v91, v93, v107
	v_max_f32_e32 v94, v94, v94
	v_max_f32_e32 v95, v95, v95
	v_pk_add_f32 v[64:65], v[64:65], v[90:91]
	v_min_f32_e32 v90, v94, v106
	v_min_f32_e32 v91, v95, v107
	v_max_f32_e32 v96, v96, v96
	v_max_f32_e32 v97, v97, v97
	v_pk_add_f32 v[62:63], v[62:63], v[90:91]
	v_min_f32_e32 v90, v96, v106
	v_min_f32_e32 v91, v97, v107
	v_max_f32_e32 v98, v98, v98
	v_max_f32_e32 v99, v99, v99
	v_pk_add_f32 v[60:61], v[60:61], v[90:91]
	v_min_f32_e32 v90, v98, v106
	v_min_f32_e32 v91, v99, v107
	v_max_f32_e32 v100, v100, v100
	v_max_f32_e32 v101, v101, v101
	v_pk_add_f32 v[58:59], v[58:59], v[90:91]
	v_min_f32_e32 v90, v100, v106
	v_min_f32_e32 v91, v101, v107
	v_max_f32_e32 v102, v102, v102
	v_max_f32_e32 v103, v103, v103
	v_pk_add_f32 v[56:57], v[56:57], v[90:91]
	v_min_f32_e32 v90, v102, v106
	v_min_f32_e32 v91, v103, v107
	v_max_f32_e32 v104, v104, v104
	v_max_f32_e32 v105, v105, v105
	v_pk_add_f32 v[54:55], v[54:55], v[90:91]
	v_min_f32_e32 v90, v104, v106
	v_min_f32_e32 v91, v105, v107
	v_max_f32_e32 v106, v108, v108
	v_max_f32_e32 v107, v109, v109
	v_pk_add_f32 v[52:53], v[52:53], v[90:91]
	v_min_f32_e32 v90, v110, v106
	v_min_f32_e32 v91, v111, v107
	v_pk_add_f32 v[50:51], v[50:51], v[90:91]
	v_min_f32_e32 v90, v92, v106
	v_min_f32_e32 v91, v93, v107
	v_pk_add_f32 v[48:49], v[48:49], v[90:91]
	v_min_f32_e32 v90, v94, v106
	v_min_f32_e32 v91, v95, v107
	v_pk_add_f32 v[46:47], v[46:47], v[90:91]
	v_min_f32_e32 v90, v96, v106
	v_min_f32_e32 v91, v97, v107
	v_pk_add_f32 v[44:45], v[44:45], v[90:91]
	v_min_f32_e32 v90, v98, v106
	v_min_f32_e32 v91, v99, v107
	v_pk_add_f32 v[42:43], v[42:43], v[90:91]
	v_min_f32_e32 v90, v100, v106
	v_min_f32_e32 v91, v101, v107
	v_pk_add_f32 v[40:41], v[40:41], v[90:91]
	v_min_f32_e32 v90, v102, v106
	v_min_f32_e32 v91, v103, v107
	v_pk_add_f32 v[38:39], v[38:39], v[90:91]
	v_min_f32_e32 v90, v104, v106
	v_min_f32_e32 v91, v105, v107
	v_pk_add_f32 v[36:37], v[36:37], v[90:91]
	s_waitcnt lgkmcnt(0)
	v_max_f32_e32 v90, v0, v0
	v_max_f32_e32 v91, v1, v1
	v_min_f32_e32 v0, v110, v90
	v_min_f32_e32 v1, v111, v91
	v_pk_add_f32 v[34:35], v[34:35], v[0:1]
	v_min_f32_e32 v0, v92, v90
	v_min_f32_e32 v1, v93, v91
	v_pk_add_f32 v[32:33], v[32:33], v[0:1]
	;; [unrolled: 3-line block ×7, first 2 shown]
	v_min_f32_e32 v0, v104, v90
	v_min_f32_e32 v1, v105, v91
	v_max_f32_e32 v2, v2, v2
	v_max_f32_e32 v3, v3, v3
	v_pk_add_f32 v[20:21], v[20:21], v[0:1]
	v_min_f32_e32 v0, v110, v2
	v_min_f32_e32 v1, v111, v3
	v_pk_add_f32 v[18:19], v[18:19], v[0:1]
	v_min_f32_e32 v0, v92, v2
	v_min_f32_e32 v1, v93, v3
	v_pk_add_f32 v[16:17], v[16:17], v[0:1]
	v_min_f32_e32 v0, v94, v2
	v_min_f32_e32 v1, v95, v3
	v_pk_add_f32 v[14:15], v[14:15], v[0:1]
	v_min_f32_e32 v0, v96, v2
	v_min_f32_e32 v1, v97, v3
	v_pk_add_f32 v[12:13], v[12:13], v[0:1]
	v_min_f32_e32 v0, v98, v2
	v_min_f32_e32 v1, v99, v3
	v_pk_add_f32 v[10:11], v[10:11], v[0:1]
	v_min_f32_e32 v0, v100, v2
	v_min_f32_e32 v1, v101, v3
	v_pk_add_f32 v[8:9], v[8:9], v[0:1]
	v_min_f32_e32 v0, v102, v2
	v_min_f32_e32 v1, v103, v3
	v_pk_add_f32 v[6:7], v[6:7], v[0:1]
	v_min_f32_e32 v0, v104, v2
	v_min_f32_e32 v1, v105, v3
	v_pk_add_f32 v[4:5], v[4:5], v[0:1]
	s_mov_b64 s[18:19], 0
	s_mov_b32 s35, 2
	s_cbranch_vccz .LBB81_30
; %bb.31:                               ;   in Loop: Header=BB81_23 Depth=1
	v_add3_u32 v0, v76, s27, 4
	v_cmp_gt_i32_e32 vcc, s22, v0
	s_and_b64 s[18:19], s[2:3], vcc
	ds_write_b32 v80, v88
	ds_write2st64_b32 v78, v87, v89 offset1:4
	s_and_b64 s[36:37], s[10:11], s[18:19]
	v_mov_b32_e32 v87, 0
	v_mov_b32_e32 v88, 0
	s_waitcnt lgkmcnt(0)
	s_barrier
	s_and_saveexec_b64 s[18:19], s[36:37]
	s_cbranch_execz .LBB81_33
; %bb.32:                               ;   in Loop: Header=BB81_23 Depth=1
	v_mad_u64_u32 v[2:3], s[36:37], v0, s23, 0
	v_mov_b32_e32 v88, v3
	v_mad_u64_u32 v[0:1], s[36:37], v0, s31, v[88:89]
	v_mov_b32_e32 v3, v0
	v_lshl_add_u64 v[0:1], v[2:3], 2, v[68:69]
	global_load_dword v0, v[0:1], off
	s_waitcnt vmcnt(0)
	v_mul_f32_e32 v88, s30, v0
.LBB81_33:                              ;   in Loop: Header=BB81_23 Depth=1
	s_or_b64 exec, exec, s[18:19]
	v_or_b32_e32 v0, 4, v86
	v_cmp_le_i32_e32 vcc, s22, v0
	v_min_i32_e32 v0, s33, v0
	v_ashrrev_i32_e32 v1, 31, v0
	v_lshl_add_u64 v[0:1], v[0:1], 2, s[12:13]
	s_nor_b64 s[36:37], s[14:15], vcc
	s_and_saveexec_b64 s[18:19], s[36:37]
	s_cbranch_execz .LBB81_35
; %bb.34:                               ;   in Loop: Header=BB81_23 Depth=1
	v_lshl_add_u64 v[2:3], v[70:71], 2, v[0:1]
	global_load_dword v2, v[2:3], off
	s_waitcnt vmcnt(0)
	v_mul_f32_e32 v87, s30, v2
.LBB81_35:                              ;   in Loop: Header=BB81_23 Depth=1
	s_or_b64 exec, exec, s[18:19]
	s_nor_b64 s[36:37], s[4:5], vcc
	v_mov_b32_e32 v86, 0
	s_and_saveexec_b64 s[18:19], s[36:37]
	s_cbranch_execz .LBB81_37
; %bb.36:                               ;   in Loop: Header=BB81_23 Depth=1
	v_lshl_add_u64 v[0:1], v[72:73], 2, v[0:1]
	global_load_dword v0, v[0:1], off
	s_waitcnt vmcnt(0)
	v_mul_f32_e32 v86, s30, v0
.LBB81_37:                              ;   in Loop: Header=BB81_23 Depth=1
	s_or_b64 exec, exec, s[18:19]
	s_mov_b32 s35, 0
	s_mov_b64 s[18:19], -1
.LBB81_38:                              ;   Parent Loop BB81_23 Depth=1
                                        ; =>  This Inner Loop Header: Depth=2
	v_cndmask_b32_e64 v0, 0, 1, s[18:19]
	s_lshl_b32 s18, s35, 2
	v_cmp_ne_u32_e32 vcc, 1, v0
	v_add_u32_e32 v0, s18, v79
	ds_read2_b64 v[90:93], v0 offset1:16
	ds_read2_b64 v[94:97], v0 offset0:32 offset1:48
	ds_read2_b64 v[98:101], v0 offset0:64 offset1:80
	;; [unrolled: 1-line block ×3, first 2 shown]
	v_add_u32_e32 v0, s18, v81
	ds_read2st64_b64 v[106:109], v0 offset1:1
	ds_read2st64_b64 v[0:3], v0 offset0:2 offset1:3
	s_waitcnt lgkmcnt(5)
	v_max_f32_e32 v110, v91, v91
	v_max_f32_e32 v92, v92, v92
	;; [unrolled: 1-line block ×3, first 2 shown]
	s_waitcnt lgkmcnt(1)
	v_max_f32_e32 v89, v106, v106
	v_max_f32_e32 v106, v90, v90
	;; [unrolled: 1-line block ×3, first 2 shown]
	v_min_f32_e32 v90, v106, v89
	v_min_f32_e32 v91, v110, v107
	v_pk_add_f32 v[66:67], v[66:67], v[90:91]
	v_min_f32_e32 v90, v92, v89
	v_min_f32_e32 v91, v93, v107
	v_max_f32_e32 v94, v94, v94
	v_max_f32_e32 v95, v95, v95
	v_pk_add_f32 v[64:65], v[64:65], v[90:91]
	v_min_f32_e32 v90, v94, v89
	v_min_f32_e32 v91, v95, v107
	v_max_f32_e32 v96, v96, v96
	v_max_f32_e32 v97, v97, v97
	;; [unrolled: 5-line block ×5, first 2 shown]
	v_pk_add_f32 v[56:57], v[56:57], v[90:91]
	v_min_f32_e32 v90, v102, v89
	v_min_f32_e32 v91, v103, v107
	v_max_f32_e32 v104, v104, v104
	v_pk_add_f32 v[54:55], v[54:55], v[90:91]
	v_min_f32_e32 v90, v104, v89
	v_max_f32_e32 v89, v105, v105
	v_min_f32_e32 v91, v89, v107
	v_max_f32_e32 v105, v108, v108
	v_max_f32_e32 v107, v109, v109
	v_pk_add_f32 v[52:53], v[52:53], v[90:91]
	v_min_f32_e32 v90, v106, v105
	v_min_f32_e32 v91, v110, v107
	v_pk_add_f32 v[50:51], v[50:51], v[90:91]
	v_min_f32_e32 v90, v92, v105
	v_min_f32_e32 v91, v93, v107
	;; [unrolled: 3-line block ×8, first 2 shown]
	v_pk_add_f32 v[36:37], v[36:37], v[90:91]
	s_waitcnt lgkmcnt(0)
	v_max_f32_e32 v90, v0, v0
	v_max_f32_e32 v91, v1, v1
	v_min_f32_e32 v0, v106, v90
	v_min_f32_e32 v1, v110, v91
	v_pk_add_f32 v[34:35], v[34:35], v[0:1]
	v_min_f32_e32 v0, v92, v90
	v_min_f32_e32 v1, v93, v91
	v_pk_add_f32 v[32:33], v[32:33], v[0:1]
	;; [unrolled: 3-line block ×7, first 2 shown]
	v_min_f32_e32 v0, v104, v90
	v_min_f32_e32 v1, v89, v91
	v_max_f32_e32 v2, v2, v2
	v_max_f32_e32 v3, v3, v3
	v_pk_add_f32 v[20:21], v[20:21], v[0:1]
	v_min_f32_e32 v0, v106, v2
	v_min_f32_e32 v1, v110, v3
	v_pk_add_f32 v[18:19], v[18:19], v[0:1]
	v_min_f32_e32 v0, v92, v2
	v_min_f32_e32 v1, v93, v3
	;; [unrolled: 3-line block ×8, first 2 shown]
	v_pk_add_f32 v[4:5], v[4:5], v[0:1]
	s_mov_b64 s[18:19], 0
	s_mov_b32 s35, 2
	s_cbranch_vccz .LBB81_38
; %bb.39:                               ;   in Loop: Header=BB81_23 Depth=1
	s_add_i32 s27, s27, 8
	s_add_i32 s34, s34, 8
	s_cmp_ge_i32 s34, s26
	ds_write_b32 v82, v88
	ds_write2st64_b32 v83, v87, v86 offset1:4
	s_waitcnt lgkmcnt(0)
	s_barrier
	s_cbranch_scc0 .LBB81_23
.LBB81_40:
	v_mov_b32_e32 v0, 0x1400
	v_lshl_add_u32 v68, v74, 4, v0
	v_mov_b32_e32 v0, 0x800
	v_lshl_add_u32 v69, v75, 4, v0
	s_mov_b32 s4, 0
	s_mov_b64 s[2:3], -1
.LBB81_41:                              ; =>This Inner Loop Header: Depth=1
	v_cndmask_b32_e64 v0, 0, 1, s[2:3]
	s_lshl_b32 s2, s4, 2
	v_cmp_ne_u32_e32 vcc, 1, v0
	v_add_u32_e32 v0, s2, v68
	ds_read2_b64 v[70:73], v0 offset1:16
	ds_read2_b64 v[76:79], v0 offset0:32 offset1:48
	ds_read2_b64 v[80:83], v0 offset0:64 offset1:80
	;; [unrolled: 1-line block ×3, first 2 shown]
	v_add_u32_e32 v0, s2, v69
	ds_read2st64_b64 v[88:91], v0 offset1:1
	ds_read2st64_b64 v[0:3], v0 offset0:2 offset1:3
	s_waitcnt lgkmcnt(5)
	v_max_f32_e32 v92, v70, v70
	v_max_f32_e32 v93, v71, v71
	v_max_f32_e32 v72, v72, v72
	s_waitcnt lgkmcnt(1)
	v_max_f32_e32 v88, v88, v88
	v_max_f32_e32 v89, v89, v89
	v_min_f32_e32 v70, v92, v88
	v_min_f32_e32 v71, v93, v89
	v_max_f32_e32 v73, v73, v73
	v_pk_add_f32 v[66:67], v[66:67], v[70:71]
	v_min_f32_e32 v70, v72, v88
	v_min_f32_e32 v71, v73, v89
	v_max_f32_e32 v76, v76, v76
	v_max_f32_e32 v77, v77, v77
	v_pk_add_f32 v[64:65], v[64:65], v[70:71]
	v_min_f32_e32 v70, v76, v88
	v_min_f32_e32 v71, v77, v89
	v_max_f32_e32 v78, v78, v78
	;; [unrolled: 5-line block ×7, first 2 shown]
	v_max_f32_e32 v89, v91, v91
	v_pk_add_f32 v[52:53], v[52:53], v[70:71]
	v_min_f32_e32 v70, v92, v88
	v_min_f32_e32 v71, v93, v89
	v_pk_add_f32 v[50:51], v[50:51], v[70:71]
	v_min_f32_e32 v70, v72, v88
	v_min_f32_e32 v71, v73, v89
	;; [unrolled: 3-line block ×8, first 2 shown]
	v_pk_add_f32 v[36:37], v[36:37], v[70:71]
	s_waitcnt lgkmcnt(0)
	v_max_f32_e32 v70, v0, v0
	v_max_f32_e32 v71, v1, v1
	v_min_f32_e32 v0, v92, v70
	v_min_f32_e32 v1, v93, v71
	v_pk_add_f32 v[34:35], v[34:35], v[0:1]
	v_min_f32_e32 v0, v72, v70
	v_min_f32_e32 v1, v73, v71
	v_pk_add_f32 v[32:33], v[32:33], v[0:1]
	;; [unrolled: 3-line block ×7, first 2 shown]
	v_min_f32_e32 v0, v86, v70
	v_min_f32_e32 v1, v87, v71
	v_max_f32_e32 v2, v2, v2
	v_max_f32_e32 v3, v3, v3
	v_pk_add_f32 v[20:21], v[20:21], v[0:1]
	v_min_f32_e32 v0, v92, v2
	v_min_f32_e32 v1, v93, v3
	v_pk_add_f32 v[18:19], v[18:19], v[0:1]
	v_min_f32_e32 v0, v72, v2
	v_min_f32_e32 v1, v73, v3
	;; [unrolled: 3-line block ×8, first 2 shown]
	v_pk_add_f32 v[4:5], v[4:5], v[0:1]
	s_mov_b64 s[2:3], 0
	s_mov_b32 s4, 2
	s_cbranch_vccz .LBB81_41
; %bb.42:
	s_load_dwordx2 s[2:3], s[0:1], 0x78
	s_load_dword s31, s[0:1], 0x58
	s_load_dword s30, s[0:1], 0x70
	v_add_u32_e32 v72, s29, v75
	v_add_u32_e32 v0, s17, v74
	s_waitcnt lgkmcnt(0)
	s_mul_i32 s1, s3, s16
	s_mul_hi_u32 s3, s2, s16
	s_mul_i32 s0, s2, s16
	s_add_i32 s1, s3, s1
	s_lshl_b64 s[0:1], s[0:1], 2
	s_add_u32 s22, s6, s0
	s_addc_u32 s23, s7, s1
	v_mad_i64_i32 v[2:3], s[0:1], v72, s31, 0
	v_lshl_add_u64 v[70:71], v[2:3], 2, s[24:25]
	v_mad_i64_i32 v[2:3], s[0:1], v72, s30, 0
	v_cmp_gt_i32_e64 s[18:19], s21, v72
	v_lshl_add_u64 v[68:69], v[2:3], 2, s[22:23]
	v_cmp_gt_i32_e64 s[2:3], s20, v0
	v_cndmask_b32_e64 v2, 0, 1, s[8:9]
	s_and_b64 s[6:7], s[2:3], s[18:19]
	v_ashrrev_i32_e32 v1, 31, v0
	v_cmp_ne_u32_e64 s[0:1], 1, v2
	s_and_saveexec_b64 s[4:5], s[6:7]
	s_cbranch_execz .LBB81_47
; %bb.43:
	s_and_b64 vcc, exec, s[0:1]
	s_cbranch_vccnz .LBB81_45
; %bb.44:
	v_lshl_add_u64 v[2:3], v[0:1], 2, v[70:71]
	global_load_dword v2, v[2:3], off
	s_waitcnt vmcnt(0)
	v_mul_f32_e32 v2, s28, v2
	s_branch .LBB81_46
.LBB81_45:
	v_mov_b32_e32 v2, 0
.LBB81_46:
	v_add_f32_e32 v3, v66, v67
	v_add_f32_e32 v66, v3, v2
	v_lshl_add_u64 v[2:3], v[0:1], 2, v[68:69]
	global_store_dword v[2:3], v66, off
.LBB81_47:
	s_or_b64 exec, exec, s[4:5]
	v_add_u32_e32 v2, 8, v0
	v_cmp_gt_i32_e64 s[4:5], s20, v2
	s_and_b64 s[8:9], s[4:5], s[18:19]
	v_ashrrev_i32_e32 v3, 31, v2
	s_and_saveexec_b64 s[6:7], s[8:9]
	s_cbranch_execz .LBB81_52
; %bb.48:
	s_and_b64 vcc, exec, s[0:1]
	s_cbranch_vccnz .LBB81_50
; %bb.49:
	v_lshl_add_u64 v[66:67], v[2:3], 2, v[70:71]
	global_load_dword v66, v[66:67], off
	s_waitcnt vmcnt(0)
	v_mul_f32_e32 v66, s28, v66
	s_branch .LBB81_51
.LBB81_50:
	v_mov_b32_e32 v66, 0
.LBB81_51:
	v_add_f32_e32 v64, v64, v65
	v_add_f32_e32 v66, v64, v66
	v_lshl_add_u64 v[64:65], v[2:3], 2, v[68:69]
	global_store_dword v[64:65], v66, off
.LBB81_52:
	s_or_b64 exec, exec, s[6:7]
	v_add_u32_e32 v64, 16, v0
	v_cmp_gt_i32_e64 s[6:7], s20, v64
	s_and_b64 s[10:11], s[6:7], s[18:19]
	v_ashrrev_i32_e32 v65, 31, v64
	;; [unrolled: 24-line block ×7, first 2 shown]
	s_and_saveexec_b64 s[18:19], s[26:27]
	s_cbranch_execz .LBB81_82
; %bb.78:
	s_and_b64 vcc, exec, s[0:1]
	s_cbranch_vccnz .LBB81_80
; %bb.79:
	v_lshl_add_u64 v[66:67], v[54:55], 2, v[70:71]
	global_load_dword v66, v[66:67], off
	s_waitcnt vmcnt(0)
	v_mul_f32_e32 v66, s28, v66
	s_branch .LBB81_81
.LBB81_80:
	v_mov_b32_e32 v66, 0
.LBB81_81:
	v_add_f32_e32 v52, v52, v53
	v_add_f32_e32 v66, v52, v66
	v_lshl_add_u64 v[52:53], v[54:55], 2, v[68:69]
	global_store_dword v[52:53], v66, off
.LBB81_82:
	s_or_b64 exec, exec, s[18:19]
	v_add_u32_e32 v68, 32, v72
	v_mad_i64_i32 v[52:53], s[26:27], v68, s31, 0
	v_cmp_gt_i32_e64 s[18:19], s21, v68
	v_lshl_add_u64 v[66:67], v[52:53], 2, s[24:25]
	v_mad_i64_i32 v[52:53], s[26:27], v68, s30, 0
	v_lshl_add_u64 v[52:53], v[52:53], 2, s[22:23]
	s_and_b64 s[34:35], s[2:3], s[18:19]
	s_and_saveexec_b64 s[26:27], s[34:35]
	s_cbranch_execnz .LBB81_90
; %bb.83:
	s_or_b64 exec, exec, s[26:27]
	s_and_b64 s[34:35], s[4:5], s[18:19]
	s_and_saveexec_b64 s[26:27], s[34:35]
	s_cbranch_execnz .LBB81_94
.LBB81_84:
	s_or_b64 exec, exec, s[26:27]
	s_and_b64 s[34:35], s[6:7], s[18:19]
	s_and_saveexec_b64 s[26:27], s[34:35]
	s_cbranch_execnz .LBB81_98
.LBB81_85:
	s_or_b64 exec, exec, s[26:27]
	s_and_b64 s[34:35], s[8:9], s[18:19]
	s_and_saveexec_b64 s[26:27], s[34:35]
	s_cbranch_execnz .LBB81_102
.LBB81_86:
	s_or_b64 exec, exec, s[26:27]
	s_and_b64 s[34:35], s[10:11], s[18:19]
	s_and_saveexec_b64 s[26:27], s[34:35]
	s_cbranch_execnz .LBB81_106
.LBB81_87:
	s_or_b64 exec, exec, s[26:27]
	s_and_b64 s[34:35], s[12:13], s[18:19]
	s_and_saveexec_b64 s[26:27], s[34:35]
	s_cbranch_execnz .LBB81_110
.LBB81_88:
	s_or_b64 exec, exec, s[26:27]
	s_and_b64 s[34:35], s[14:15], s[18:19]
	s_and_saveexec_b64 s[26:27], s[34:35]
	s_cbranch_execnz .LBB81_114
.LBB81_89:
	s_or_b64 exec, exec, s[26:27]
	s_and_b64 s[26:27], s[16:17], s[18:19]
	s_and_saveexec_b64 s[18:19], s[26:27]
	s_cbranch_execnz .LBB81_118
	s_branch .LBB81_122
.LBB81_90:
	s_and_b64 vcc, exec, s[0:1]
	s_cbranch_vccnz .LBB81_92
; %bb.91:
	v_lshl_add_u64 v[68:69], v[0:1], 2, v[66:67]
	global_load_dword v68, v[68:69], off
	s_waitcnt vmcnt(0)
	v_mul_f32_e32 v68, s28, v68
	s_branch .LBB81_93
.LBB81_92:
	v_mov_b32_e32 v68, 0
.LBB81_93:
	v_add_f32_e32 v50, v50, v51
	v_add_f32_e32 v68, v50, v68
	v_lshl_add_u64 v[50:51], v[0:1], 2, v[52:53]
	global_store_dword v[50:51], v68, off
	s_or_b64 exec, exec, s[26:27]
	s_and_b64 s[34:35], s[4:5], s[18:19]
	s_and_saveexec_b64 s[26:27], s[34:35]
	s_cbranch_execz .LBB81_84
.LBB81_94:
	s_and_b64 vcc, exec, s[0:1]
	s_cbranch_vccnz .LBB81_96
; %bb.95:
	v_lshl_add_u64 v[50:51], v[2:3], 2, v[66:67]
	global_load_dword v50, v[50:51], off
	s_waitcnt vmcnt(0)
	v_mul_f32_e32 v50, s28, v50
	s_branch .LBB81_97
.LBB81_96:
	v_mov_b32_e32 v50, 0
.LBB81_97:
	v_add_f32_e32 v48, v48, v49
	v_add_f32_e32 v50, v48, v50
	v_lshl_add_u64 v[48:49], v[2:3], 2, v[52:53]
	global_store_dword v[48:49], v50, off
	s_or_b64 exec, exec, s[26:27]
	s_and_b64 s[34:35], s[6:7], s[18:19]
	s_and_saveexec_b64 s[26:27], s[34:35]
	s_cbranch_execz .LBB81_85
.LBB81_98:
	s_and_b64 vcc, exec, s[0:1]
	s_cbranch_vccnz .LBB81_100
; %bb.99:
	v_lshl_add_u64 v[48:49], v[64:65], 2, v[66:67]
	global_load_dword v48, v[48:49], off
	s_waitcnt vmcnt(0)
	v_mul_f32_e32 v48, s28, v48
	s_branch .LBB81_101
.LBB81_100:
	v_mov_b32_e32 v48, 0
.LBB81_101:
	v_add_f32_e32 v46, v46, v47
	v_add_f32_e32 v48, v46, v48
	v_lshl_add_u64 v[46:47], v[64:65], 2, v[52:53]
	global_store_dword v[46:47], v48, off
	s_or_b64 exec, exec, s[26:27]
	s_and_b64 s[34:35], s[8:9], s[18:19]
	s_and_saveexec_b64 s[26:27], s[34:35]
	s_cbranch_execz .LBB81_86
.LBB81_102:
	s_and_b64 vcc, exec, s[0:1]
	s_cbranch_vccnz .LBB81_104
; %bb.103:
	v_lshl_add_u64 v[46:47], v[62:63], 2, v[66:67]
	global_load_dword v46, v[46:47], off
	s_waitcnt vmcnt(0)
	v_mul_f32_e32 v46, s28, v46
	s_branch .LBB81_105
.LBB81_104:
	v_mov_b32_e32 v46, 0
.LBB81_105:
	v_add_f32_e32 v44, v44, v45
	v_add_f32_e32 v46, v44, v46
	v_lshl_add_u64 v[44:45], v[62:63], 2, v[52:53]
	global_store_dword v[44:45], v46, off
	s_or_b64 exec, exec, s[26:27]
	s_and_b64 s[34:35], s[10:11], s[18:19]
	s_and_saveexec_b64 s[26:27], s[34:35]
	s_cbranch_execz .LBB81_87
.LBB81_106:
	s_and_b64 vcc, exec, s[0:1]
	s_cbranch_vccnz .LBB81_108
; %bb.107:
	v_lshl_add_u64 v[44:45], v[60:61], 2, v[66:67]
	global_load_dword v44, v[44:45], off
	s_waitcnt vmcnt(0)
	v_mul_f32_e32 v44, s28, v44
	s_branch .LBB81_109
.LBB81_108:
	v_mov_b32_e32 v44, 0
.LBB81_109:
	v_add_f32_e32 v42, v42, v43
	v_add_f32_e32 v44, v42, v44
	v_lshl_add_u64 v[42:43], v[60:61], 2, v[52:53]
	global_store_dword v[42:43], v44, off
	s_or_b64 exec, exec, s[26:27]
	s_and_b64 s[34:35], s[12:13], s[18:19]
	s_and_saveexec_b64 s[26:27], s[34:35]
	s_cbranch_execz .LBB81_88
.LBB81_110:
	s_and_b64 vcc, exec, s[0:1]
	s_cbranch_vccnz .LBB81_112
; %bb.111:
	v_lshl_add_u64 v[42:43], v[58:59], 2, v[66:67]
	global_load_dword v42, v[42:43], off
	s_waitcnt vmcnt(0)
	v_mul_f32_e32 v42, s28, v42
	s_branch .LBB81_113
.LBB81_112:
	v_mov_b32_e32 v42, 0
.LBB81_113:
	v_add_f32_e32 v40, v40, v41
	v_add_f32_e32 v42, v40, v42
	v_lshl_add_u64 v[40:41], v[58:59], 2, v[52:53]
	global_store_dword v[40:41], v42, off
	s_or_b64 exec, exec, s[26:27]
	s_and_b64 s[34:35], s[14:15], s[18:19]
	s_and_saveexec_b64 s[26:27], s[34:35]
	s_cbranch_execz .LBB81_89
.LBB81_114:
	s_and_b64 vcc, exec, s[0:1]
	s_cbranch_vccnz .LBB81_116
; %bb.115:
	v_lshl_add_u64 v[40:41], v[56:57], 2, v[66:67]
	global_load_dword v40, v[40:41], off
	s_waitcnt vmcnt(0)
	v_mul_f32_e32 v40, s28, v40
	s_branch .LBB81_117
.LBB81_116:
	v_mov_b32_e32 v40, 0
.LBB81_117:
	v_add_f32_e32 v38, v38, v39
	v_add_f32_e32 v40, v38, v40
	v_lshl_add_u64 v[38:39], v[56:57], 2, v[52:53]
	global_store_dword v[38:39], v40, off
	s_or_b64 exec, exec, s[26:27]
	s_and_b64 s[26:27], s[16:17], s[18:19]
	s_and_saveexec_b64 s[18:19], s[26:27]
	s_cbranch_execz .LBB81_122
.LBB81_118:
	s_and_b64 vcc, exec, s[0:1]
	s_cbranch_vccnz .LBB81_120
; %bb.119:
	v_lshl_add_u64 v[38:39], v[54:55], 2, v[66:67]
	global_load_dword v38, v[38:39], off
	s_waitcnt vmcnt(0)
	v_mul_f32_e32 v38, s28, v38
	s_branch .LBB81_121
.LBB81_120:
	v_mov_b32_e32 v38, 0
.LBB81_121:
	v_add_f32_e32 v36, v36, v37
	v_add_f32_e32 v38, v36, v38
	v_lshl_add_u64 v[36:37], v[54:55], 2, v[52:53]
	global_store_dword v[36:37], v38, off
.LBB81_122:
	s_or_b64 exec, exec, s[18:19]
	v_add_u32_e32 v40, 64, v72
	v_mad_i64_i32 v[36:37], s[26:27], v40, s31, 0
	v_cmp_gt_i32_e64 s[18:19], s21, v40
	v_lshl_add_u64 v[38:39], v[36:37], 2, s[24:25]
	v_mad_i64_i32 v[36:37], s[26:27], v40, s30, 0
	v_lshl_add_u64 v[36:37], v[36:37], 2, s[22:23]
	s_and_b64 s[34:35], s[2:3], s[18:19]
	s_and_saveexec_b64 s[26:27], s[34:35]
	s_cbranch_execnz .LBB81_130
; %bb.123:
	s_or_b64 exec, exec, s[26:27]
	s_and_b64 s[34:35], s[4:5], s[18:19]
	s_and_saveexec_b64 s[26:27], s[34:35]
	s_cbranch_execnz .LBB81_134
.LBB81_124:
	s_or_b64 exec, exec, s[26:27]
	s_and_b64 s[34:35], s[6:7], s[18:19]
	s_and_saveexec_b64 s[26:27], s[34:35]
	s_cbranch_execnz .LBB81_138
.LBB81_125:
	s_or_b64 exec, exec, s[26:27]
	s_and_b64 s[34:35], s[8:9], s[18:19]
	s_and_saveexec_b64 s[26:27], s[34:35]
	s_cbranch_execnz .LBB81_142
.LBB81_126:
	s_or_b64 exec, exec, s[26:27]
	s_and_b64 s[34:35], s[10:11], s[18:19]
	s_and_saveexec_b64 s[26:27], s[34:35]
	s_cbranch_execnz .LBB81_146
.LBB81_127:
	s_or_b64 exec, exec, s[26:27]
	s_and_b64 s[34:35], s[12:13], s[18:19]
	s_and_saveexec_b64 s[26:27], s[34:35]
	s_cbranch_execnz .LBB81_150
.LBB81_128:
	s_or_b64 exec, exec, s[26:27]
	s_and_b64 s[34:35], s[14:15], s[18:19]
	s_and_saveexec_b64 s[26:27], s[34:35]
	s_cbranch_execnz .LBB81_154
.LBB81_129:
	s_or_b64 exec, exec, s[26:27]
	s_and_b64 s[26:27], s[16:17], s[18:19]
	s_and_saveexec_b64 s[18:19], s[26:27]
	s_cbranch_execnz .LBB81_158
	s_branch .LBB81_162
.LBB81_130:
	s_and_b64 vcc, exec, s[0:1]
	s_cbranch_vccnz .LBB81_132
; %bb.131:
	v_lshl_add_u64 v[40:41], v[0:1], 2, v[38:39]
	global_load_dword v40, v[40:41], off
	s_waitcnt vmcnt(0)
	v_mul_f32_e32 v40, s28, v40
	s_branch .LBB81_133
.LBB81_132:
	v_mov_b32_e32 v40, 0
.LBB81_133:
	v_add_f32_e32 v34, v34, v35
	v_add_f32_e32 v40, v34, v40
	v_lshl_add_u64 v[34:35], v[0:1], 2, v[36:37]
	global_store_dword v[34:35], v40, off
	s_or_b64 exec, exec, s[26:27]
	s_and_b64 s[34:35], s[4:5], s[18:19]
	s_and_saveexec_b64 s[26:27], s[34:35]
	s_cbranch_execz .LBB81_124
.LBB81_134:
	s_and_b64 vcc, exec, s[0:1]
	s_cbranch_vccnz .LBB81_136
; %bb.135:
	v_lshl_add_u64 v[34:35], v[2:3], 2, v[38:39]
	global_load_dword v34, v[34:35], off
	s_waitcnt vmcnt(0)
	v_mul_f32_e32 v34, s28, v34
	s_branch .LBB81_137
.LBB81_136:
	v_mov_b32_e32 v34, 0
.LBB81_137:
	v_add_f32_e32 v32, v32, v33
	v_add_f32_e32 v34, v32, v34
	v_lshl_add_u64 v[32:33], v[2:3], 2, v[36:37]
	global_store_dword v[32:33], v34, off
	s_or_b64 exec, exec, s[26:27]
	s_and_b64 s[34:35], s[6:7], s[18:19]
	s_and_saveexec_b64 s[26:27], s[34:35]
	s_cbranch_execz .LBB81_125
.LBB81_138:
	s_and_b64 vcc, exec, s[0:1]
	s_cbranch_vccnz .LBB81_140
; %bb.139:
	v_lshl_add_u64 v[32:33], v[64:65], 2, v[38:39]
	global_load_dword v32, v[32:33], off
	s_waitcnt vmcnt(0)
	v_mul_f32_e32 v32, s28, v32
	s_branch .LBB81_141
.LBB81_140:
	v_mov_b32_e32 v32, 0
.LBB81_141:
	v_add_f32_e32 v30, v30, v31
	v_add_f32_e32 v32, v30, v32
	v_lshl_add_u64 v[30:31], v[64:65], 2, v[36:37]
	global_store_dword v[30:31], v32, off
	s_or_b64 exec, exec, s[26:27]
	s_and_b64 s[34:35], s[8:9], s[18:19]
	s_and_saveexec_b64 s[26:27], s[34:35]
	s_cbranch_execz .LBB81_126
.LBB81_142:
	s_and_b64 vcc, exec, s[0:1]
	s_cbranch_vccnz .LBB81_144
; %bb.143:
	v_lshl_add_u64 v[30:31], v[62:63], 2, v[38:39]
	global_load_dword v30, v[30:31], off
	s_waitcnt vmcnt(0)
	v_mul_f32_e32 v30, s28, v30
	s_branch .LBB81_145
.LBB81_144:
	v_mov_b32_e32 v30, 0
.LBB81_145:
	v_add_f32_e32 v28, v28, v29
	v_add_f32_e32 v30, v28, v30
	v_lshl_add_u64 v[28:29], v[62:63], 2, v[36:37]
	global_store_dword v[28:29], v30, off
	s_or_b64 exec, exec, s[26:27]
	s_and_b64 s[34:35], s[10:11], s[18:19]
	s_and_saveexec_b64 s[26:27], s[34:35]
	s_cbranch_execz .LBB81_127
.LBB81_146:
	s_and_b64 vcc, exec, s[0:1]
	s_cbranch_vccnz .LBB81_148
; %bb.147:
	v_lshl_add_u64 v[28:29], v[60:61], 2, v[38:39]
	global_load_dword v28, v[28:29], off
	s_waitcnt vmcnt(0)
	v_mul_f32_e32 v28, s28, v28
	s_branch .LBB81_149
.LBB81_148:
	v_mov_b32_e32 v28, 0
.LBB81_149:
	v_add_f32_e32 v26, v26, v27
	v_add_f32_e32 v28, v26, v28
	v_lshl_add_u64 v[26:27], v[60:61], 2, v[36:37]
	global_store_dword v[26:27], v28, off
	s_or_b64 exec, exec, s[26:27]
	s_and_b64 s[34:35], s[12:13], s[18:19]
	s_and_saveexec_b64 s[26:27], s[34:35]
	s_cbranch_execz .LBB81_128
.LBB81_150:
	s_and_b64 vcc, exec, s[0:1]
	s_cbranch_vccnz .LBB81_152
; %bb.151:
	v_lshl_add_u64 v[26:27], v[58:59], 2, v[38:39]
	global_load_dword v26, v[26:27], off
	s_waitcnt vmcnt(0)
	v_mul_f32_e32 v26, s28, v26
	s_branch .LBB81_153
.LBB81_152:
	v_mov_b32_e32 v26, 0
.LBB81_153:
	v_add_f32_e32 v24, v24, v25
	v_add_f32_e32 v26, v24, v26
	v_lshl_add_u64 v[24:25], v[58:59], 2, v[36:37]
	global_store_dword v[24:25], v26, off
	s_or_b64 exec, exec, s[26:27]
	s_and_b64 s[34:35], s[14:15], s[18:19]
	s_and_saveexec_b64 s[26:27], s[34:35]
	s_cbranch_execz .LBB81_129
.LBB81_154:
	s_and_b64 vcc, exec, s[0:1]
	s_cbranch_vccnz .LBB81_156
; %bb.155:
	v_lshl_add_u64 v[24:25], v[56:57], 2, v[38:39]
	global_load_dword v24, v[24:25], off
	s_waitcnt vmcnt(0)
	v_mul_f32_e32 v24, s28, v24
	s_branch .LBB81_157
.LBB81_156:
	v_mov_b32_e32 v24, 0
.LBB81_157:
	v_add_f32_e32 v22, v22, v23
	v_add_f32_e32 v24, v22, v24
	v_lshl_add_u64 v[22:23], v[56:57], 2, v[36:37]
	global_store_dword v[22:23], v24, off
	s_or_b64 exec, exec, s[26:27]
	s_and_b64 s[26:27], s[16:17], s[18:19]
	s_and_saveexec_b64 s[18:19], s[26:27]
	s_cbranch_execz .LBB81_162
.LBB81_158:
	s_and_b64 vcc, exec, s[0:1]
	s_cbranch_vccnz .LBB81_160
; %bb.159:
	v_lshl_add_u64 v[22:23], v[54:55], 2, v[38:39]
	global_load_dword v22, v[22:23], off
	s_waitcnt vmcnt(0)
	v_mul_f32_e32 v22, s28, v22
	s_branch .LBB81_161
.LBB81_160:
	v_mov_b32_e32 v22, 0
.LBB81_161:
	v_add_f32_e32 v20, v20, v21
	v_add_f32_e32 v22, v20, v22
	v_lshl_add_u64 v[20:21], v[54:55], 2, v[36:37]
	global_store_dword v[20:21], v22, off
.LBB81_162:
	s_or_b64 exec, exec, s[18:19]
	v_add_u32_e32 v24, 0x60, v72
	v_cmp_gt_i32_e64 s[18:19], s21, v24
	v_mad_i64_i32 v[20:21], s[20:21], v24, s31, 0
	v_lshl_add_u64 v[22:23], v[20:21], 2, s[24:25]
	v_mad_i64_i32 v[20:21], s[20:21], v24, s30, 0
	v_lshl_add_u64 v[20:21], v[20:21], 2, s[22:23]
	s_and_b64 s[20:21], s[2:3], s[18:19]
	s_and_saveexec_b64 s[2:3], s[20:21]
	s_cbranch_execnz .LBB81_171
; %bb.163:
	s_or_b64 exec, exec, s[2:3]
	s_and_b64 s[4:5], s[4:5], s[18:19]
	s_and_saveexec_b64 s[2:3], s[4:5]
	s_cbranch_execnz .LBB81_175
.LBB81_164:
	s_or_b64 exec, exec, s[2:3]
	s_and_b64 s[4:5], s[6:7], s[18:19]
	s_and_saveexec_b64 s[2:3], s[4:5]
	s_cbranch_execnz .LBB81_179
.LBB81_165:
	s_or_b64 exec, exec, s[2:3]
	s_and_b64 s[4:5], s[8:9], s[18:19]
	s_and_saveexec_b64 s[2:3], s[4:5]
	s_cbranch_execnz .LBB81_183
.LBB81_166:
	s_or_b64 exec, exec, s[2:3]
	s_and_b64 s[4:5], s[10:11], s[18:19]
	s_and_saveexec_b64 s[2:3], s[4:5]
	s_cbranch_execnz .LBB81_187
.LBB81_167:
	s_or_b64 exec, exec, s[2:3]
	s_and_b64 s[4:5], s[12:13], s[18:19]
	s_and_saveexec_b64 s[2:3], s[4:5]
	s_cbranch_execnz .LBB81_191
.LBB81_168:
	s_or_b64 exec, exec, s[2:3]
	s_and_b64 s[4:5], s[14:15], s[18:19]
	s_and_saveexec_b64 s[2:3], s[4:5]
	s_cbranch_execnz .LBB81_195
.LBB81_169:
	s_or_b64 exec, exec, s[2:3]
	s_and_b64 s[2:3], s[16:17], s[18:19]
	s_and_saveexec_b64 s[4:5], s[2:3]
	s_cbranch_execnz .LBB81_199
.LBB81_170:
	s_endpgm
.LBB81_171:
	s_and_b64 vcc, exec, s[0:1]
	s_cbranch_vccnz .LBB81_173
; %bb.172:
	v_lshl_add_u64 v[24:25], v[0:1], 2, v[22:23]
	global_load_dword v24, v[24:25], off
	s_waitcnt vmcnt(0)
	v_mul_f32_e32 v24, s28, v24
	s_branch .LBB81_174
.LBB81_173:
	v_mov_b32_e32 v24, 0
.LBB81_174:
	v_add_f32_e32 v18, v18, v19
	v_add_f32_e32 v18, v18, v24
	v_lshl_add_u64 v[0:1], v[0:1], 2, v[20:21]
	global_store_dword v[0:1], v18, off
	s_or_b64 exec, exec, s[2:3]
	s_and_b64 s[4:5], s[4:5], s[18:19]
	s_and_saveexec_b64 s[2:3], s[4:5]
	s_cbranch_execz .LBB81_164
.LBB81_175:
	s_and_b64 vcc, exec, s[0:1]
	s_cbranch_vccnz .LBB81_177
; %bb.176:
	v_lshl_add_u64 v[0:1], v[2:3], 2, v[22:23]
	global_load_dword v0, v[0:1], off
	s_waitcnt vmcnt(0)
	v_mul_f32_e32 v0, s28, v0
	s_branch .LBB81_178
.LBB81_177:
	v_mov_b32_e32 v0, 0
.LBB81_178:
	v_add_f32_e32 v1, v16, v17
	v_add_f32_e32 v16, v1, v0
	v_lshl_add_u64 v[0:1], v[2:3], 2, v[20:21]
	global_store_dword v[0:1], v16, off
	s_or_b64 exec, exec, s[2:3]
	s_and_b64 s[4:5], s[6:7], s[18:19]
	s_and_saveexec_b64 s[2:3], s[4:5]
	s_cbranch_execz .LBB81_165
.LBB81_179:
	s_and_b64 vcc, exec, s[0:1]
	s_cbranch_vccnz .LBB81_181
; %bb.180:
	v_lshl_add_u64 v[0:1], v[64:65], 2, v[22:23]
	global_load_dword v0, v[0:1], off
	s_waitcnt vmcnt(0)
	v_mul_f32_e32 v0, s28, v0
	s_branch .LBB81_182
.LBB81_181:
	v_mov_b32_e32 v0, 0
.LBB81_182:
	v_add_f32_e32 v1, v14, v15
	v_add_f32_e32 v2, v1, v0
	v_lshl_add_u64 v[0:1], v[64:65], 2, v[20:21]
	global_store_dword v[0:1], v2, off
	s_or_b64 exec, exec, s[2:3]
	s_and_b64 s[4:5], s[8:9], s[18:19]
	s_and_saveexec_b64 s[2:3], s[4:5]
	s_cbranch_execz .LBB81_166
.LBB81_183:
	s_and_b64 vcc, exec, s[0:1]
	s_cbranch_vccnz .LBB81_185
; %bb.184:
	v_lshl_add_u64 v[0:1], v[62:63], 2, v[22:23]
	global_load_dword v0, v[0:1], off
	s_waitcnt vmcnt(0)
	v_mul_f32_e32 v0, s28, v0
	s_branch .LBB81_186
.LBB81_185:
	v_mov_b32_e32 v0, 0
.LBB81_186:
	v_add_f32_e32 v1, v12, v13
	v_add_f32_e32 v2, v1, v0
	v_lshl_add_u64 v[0:1], v[62:63], 2, v[20:21]
	global_store_dword v[0:1], v2, off
	s_or_b64 exec, exec, s[2:3]
	s_and_b64 s[4:5], s[10:11], s[18:19]
	s_and_saveexec_b64 s[2:3], s[4:5]
	s_cbranch_execz .LBB81_167
.LBB81_187:
	s_and_b64 vcc, exec, s[0:1]
	s_cbranch_vccnz .LBB81_189
; %bb.188:
	v_lshl_add_u64 v[0:1], v[60:61], 2, v[22:23]
	global_load_dword v0, v[0:1], off
	s_waitcnt vmcnt(0)
	v_mul_f32_e32 v0, s28, v0
	s_branch .LBB81_190
.LBB81_189:
	v_mov_b32_e32 v0, 0
.LBB81_190:
	v_add_f32_e32 v1, v10, v11
	v_add_f32_e32 v2, v1, v0
	v_lshl_add_u64 v[0:1], v[60:61], 2, v[20:21]
	global_store_dword v[0:1], v2, off
	s_or_b64 exec, exec, s[2:3]
	s_and_b64 s[4:5], s[12:13], s[18:19]
	s_and_saveexec_b64 s[2:3], s[4:5]
	s_cbranch_execz .LBB81_168
.LBB81_191:
	s_and_b64 vcc, exec, s[0:1]
	s_cbranch_vccnz .LBB81_193
; %bb.192:
	v_lshl_add_u64 v[0:1], v[58:59], 2, v[22:23]
	global_load_dword v0, v[0:1], off
	s_waitcnt vmcnt(0)
	v_mul_f32_e32 v0, s28, v0
	s_branch .LBB81_194
.LBB81_193:
	v_mov_b32_e32 v0, 0
.LBB81_194:
	v_add_f32_e32 v1, v8, v9
	v_add_f32_e32 v2, v1, v0
	v_lshl_add_u64 v[0:1], v[58:59], 2, v[20:21]
	global_store_dword v[0:1], v2, off
	s_or_b64 exec, exec, s[2:3]
	s_and_b64 s[4:5], s[14:15], s[18:19]
	s_and_saveexec_b64 s[2:3], s[4:5]
	s_cbranch_execz .LBB81_169
.LBB81_195:
	s_and_b64 vcc, exec, s[0:1]
	s_cbranch_vccnz .LBB81_197
; %bb.196:
	v_lshl_add_u64 v[0:1], v[56:57], 2, v[22:23]
	global_load_dword v0, v[0:1], off
	s_waitcnt vmcnt(0)
	v_mul_f32_e32 v0, s28, v0
	s_branch .LBB81_198
.LBB81_197:
	v_mov_b32_e32 v0, 0
.LBB81_198:
	v_add_f32_e32 v1, v6, v7
	v_add_f32_e32 v2, v1, v0
	v_lshl_add_u64 v[0:1], v[56:57], 2, v[20:21]
	global_store_dword v[0:1], v2, off
	s_or_b64 exec, exec, s[2:3]
	s_and_b64 s[2:3], s[16:17], s[18:19]
	s_and_saveexec_b64 s[4:5], s[2:3]
	s_cbranch_execz .LBB81_170
.LBB81_199:
	s_and_b64 vcc, exec, s[0:1]
	s_cbranch_vccnz .LBB81_201
; %bb.200:
	v_lshl_add_u64 v[0:1], v[54:55], 2, v[22:23]
	global_load_dword v0, v[0:1], off
	s_waitcnt vmcnt(0)
	v_mul_f32_e32 v0, s28, v0
	s_branch .LBB81_202
.LBB81_201:
	v_mov_b32_e32 v0, 0
.LBB81_202:
	v_add_f32_e32 v1, v4, v5
	v_add_f32_e32 v2, v1, v0
	v_lshl_add_u64 v[0:1], v[54:55], 2, v[20:21]
	global_store_dword v[0:1], v2, off
	s_endpgm
	.section	.rodata,"a",@progbits
	.p2align	6, 0x0
	.amdhsa_kernel _ZN12_GLOBAL__N_120geam_min_plus_kernelIf15HIP_vector_typeIfLj2EES2_Li8ELi32ELi64ELi128ELi4ELi64ELi4ELi4ELi64ELc78ELc78ELb0ELb1ELb0EPKfS3_fEEviiiT16_PT17_ilS7_ilS5_S7_ilPT18_ili26rocblas_geam_ex_operation_
		.amdhsa_group_segment_fixed_size 6144
		.amdhsa_private_segment_fixed_size 0
		.amdhsa_kernarg_size 136
		.amdhsa_user_sgpr_count 2
		.amdhsa_user_sgpr_dispatch_ptr 0
		.amdhsa_user_sgpr_queue_ptr 0
		.amdhsa_user_sgpr_kernarg_segment_ptr 1
		.amdhsa_user_sgpr_dispatch_id 0
		.amdhsa_user_sgpr_kernarg_preload_length 0
		.amdhsa_user_sgpr_kernarg_preload_offset 0
		.amdhsa_user_sgpr_private_segment_size 0
		.amdhsa_uses_dynamic_stack 0
		.amdhsa_enable_private_segment 0
		.amdhsa_system_sgpr_workgroup_id_x 1
		.amdhsa_system_sgpr_workgroup_id_y 0
		.amdhsa_system_sgpr_workgroup_id_z 1
		.amdhsa_system_sgpr_workgroup_info 0
		.amdhsa_system_vgpr_workitem_id 1
		.amdhsa_next_free_vgpr 112
		.amdhsa_next_free_sgpr 38
		.amdhsa_accum_offset 112
		.amdhsa_reserve_vcc 1
		.amdhsa_float_round_mode_32 0
		.amdhsa_float_round_mode_16_64 0
		.amdhsa_float_denorm_mode_32 3
		.amdhsa_float_denorm_mode_16_64 3
		.amdhsa_dx10_clamp 1
		.amdhsa_ieee_mode 1
		.amdhsa_fp16_overflow 0
		.amdhsa_tg_split 0
		.amdhsa_exception_fp_ieee_invalid_op 0
		.amdhsa_exception_fp_denorm_src 0
		.amdhsa_exception_fp_ieee_div_zero 0
		.amdhsa_exception_fp_ieee_overflow 0
		.amdhsa_exception_fp_ieee_underflow 0
		.amdhsa_exception_fp_ieee_inexact 0
		.amdhsa_exception_int_div_zero 0
	.end_amdhsa_kernel
	.section	.text._ZN12_GLOBAL__N_120geam_min_plus_kernelIf15HIP_vector_typeIfLj2EES2_Li8ELi32ELi64ELi128ELi4ELi64ELi4ELi4ELi64ELc78ELc78ELb0ELb1ELb0EPKfS3_fEEviiiT16_PT17_ilS7_ilS5_S7_ilPT18_ili26rocblas_geam_ex_operation_,"axG",@progbits,_ZN12_GLOBAL__N_120geam_min_plus_kernelIf15HIP_vector_typeIfLj2EES2_Li8ELi32ELi64ELi128ELi4ELi64ELi4ELi4ELi64ELc78ELc78ELb0ELb1ELb0EPKfS3_fEEviiiT16_PT17_ilS7_ilS5_S7_ilPT18_ili26rocblas_geam_ex_operation_,comdat
.Lfunc_end81:
	.size	_ZN12_GLOBAL__N_120geam_min_plus_kernelIf15HIP_vector_typeIfLj2EES2_Li8ELi32ELi64ELi128ELi4ELi64ELi4ELi4ELi64ELc78ELc78ELb0ELb1ELb0EPKfS3_fEEviiiT16_PT17_ilS7_ilS5_S7_ilPT18_ili26rocblas_geam_ex_operation_, .Lfunc_end81-_ZN12_GLOBAL__N_120geam_min_plus_kernelIf15HIP_vector_typeIfLj2EES2_Li8ELi32ELi64ELi128ELi4ELi64ELi4ELi4ELi64ELc78ELc78ELb0ELb1ELb0EPKfS3_fEEviiiT16_PT17_ilS7_ilS5_S7_ilPT18_ili26rocblas_geam_ex_operation_
                                        ; -- End function
	.set _ZN12_GLOBAL__N_120geam_min_plus_kernelIf15HIP_vector_typeIfLj2EES2_Li8ELi32ELi64ELi128ELi4ELi64ELi4ELi4ELi64ELc78ELc78ELb0ELb1ELb0EPKfS3_fEEviiiT16_PT17_ilS7_ilS5_S7_ilPT18_ili26rocblas_geam_ex_operation_.num_vgpr, 112
	.set _ZN12_GLOBAL__N_120geam_min_plus_kernelIf15HIP_vector_typeIfLj2EES2_Li8ELi32ELi64ELi128ELi4ELi64ELi4ELi4ELi64ELc78ELc78ELb0ELb1ELb0EPKfS3_fEEviiiT16_PT17_ilS7_ilS5_S7_ilPT18_ili26rocblas_geam_ex_operation_.num_agpr, 0
	.set _ZN12_GLOBAL__N_120geam_min_plus_kernelIf15HIP_vector_typeIfLj2EES2_Li8ELi32ELi64ELi128ELi4ELi64ELi4ELi4ELi64ELc78ELc78ELb0ELb1ELb0EPKfS3_fEEviiiT16_PT17_ilS7_ilS5_S7_ilPT18_ili26rocblas_geam_ex_operation_.numbered_sgpr, 38
	.set _ZN12_GLOBAL__N_120geam_min_plus_kernelIf15HIP_vector_typeIfLj2EES2_Li8ELi32ELi64ELi128ELi4ELi64ELi4ELi4ELi64ELc78ELc78ELb0ELb1ELb0EPKfS3_fEEviiiT16_PT17_ilS7_ilS5_S7_ilPT18_ili26rocblas_geam_ex_operation_.num_named_barrier, 0
	.set _ZN12_GLOBAL__N_120geam_min_plus_kernelIf15HIP_vector_typeIfLj2EES2_Li8ELi32ELi64ELi128ELi4ELi64ELi4ELi4ELi64ELc78ELc78ELb0ELb1ELb0EPKfS3_fEEviiiT16_PT17_ilS7_ilS5_S7_ilPT18_ili26rocblas_geam_ex_operation_.private_seg_size, 0
	.set _ZN12_GLOBAL__N_120geam_min_plus_kernelIf15HIP_vector_typeIfLj2EES2_Li8ELi32ELi64ELi128ELi4ELi64ELi4ELi4ELi64ELc78ELc78ELb0ELb1ELb0EPKfS3_fEEviiiT16_PT17_ilS7_ilS5_S7_ilPT18_ili26rocblas_geam_ex_operation_.uses_vcc, 1
	.set _ZN12_GLOBAL__N_120geam_min_plus_kernelIf15HIP_vector_typeIfLj2EES2_Li8ELi32ELi64ELi128ELi4ELi64ELi4ELi4ELi64ELc78ELc78ELb0ELb1ELb0EPKfS3_fEEviiiT16_PT17_ilS7_ilS5_S7_ilPT18_ili26rocblas_geam_ex_operation_.uses_flat_scratch, 0
	.set _ZN12_GLOBAL__N_120geam_min_plus_kernelIf15HIP_vector_typeIfLj2EES2_Li8ELi32ELi64ELi128ELi4ELi64ELi4ELi4ELi64ELc78ELc78ELb0ELb1ELb0EPKfS3_fEEviiiT16_PT17_ilS7_ilS5_S7_ilPT18_ili26rocblas_geam_ex_operation_.has_dyn_sized_stack, 0
	.set _ZN12_GLOBAL__N_120geam_min_plus_kernelIf15HIP_vector_typeIfLj2EES2_Li8ELi32ELi64ELi128ELi4ELi64ELi4ELi4ELi64ELc78ELc78ELb0ELb1ELb0EPKfS3_fEEviiiT16_PT17_ilS7_ilS5_S7_ilPT18_ili26rocblas_geam_ex_operation_.has_recursion, 0
	.set _ZN12_GLOBAL__N_120geam_min_plus_kernelIf15HIP_vector_typeIfLj2EES2_Li8ELi32ELi64ELi128ELi4ELi64ELi4ELi4ELi64ELc78ELc78ELb0ELb1ELb0EPKfS3_fEEviiiT16_PT17_ilS7_ilS5_S7_ilPT18_ili26rocblas_geam_ex_operation_.has_indirect_call, 0
	.section	.AMDGPU.csdata,"",@progbits
; Kernel info:
; codeLenInByte = 8012
; TotalNumSgprs: 44
; NumVgprs: 112
; NumAgprs: 0
; TotalNumVgprs: 112
; ScratchSize: 0
; MemoryBound: 0
; FloatMode: 240
; IeeeMode: 1
; LDSByteSize: 6144 bytes/workgroup (compile time only)
; SGPRBlocks: 5
; VGPRBlocks: 13
; NumSGPRsForWavesPerEU: 44
; NumVGPRsForWavesPerEU: 112
; AccumOffset: 112
; Occupancy: 4
; WaveLimiterHint : 0
; COMPUTE_PGM_RSRC2:SCRATCH_EN: 0
; COMPUTE_PGM_RSRC2:USER_SGPR: 2
; COMPUTE_PGM_RSRC2:TRAP_HANDLER: 0
; COMPUTE_PGM_RSRC2:TGID_X_EN: 1
; COMPUTE_PGM_RSRC2:TGID_Y_EN: 0
; COMPUTE_PGM_RSRC2:TGID_Z_EN: 1
; COMPUTE_PGM_RSRC2:TIDIG_COMP_CNT: 1
; COMPUTE_PGM_RSRC3_GFX90A:ACCUM_OFFSET: 27
; COMPUTE_PGM_RSRC3_GFX90A:TG_SPLIT: 0
	.section	.text._ZN12_GLOBAL__N_120geam_min_plus_kernelIf15HIP_vector_typeIfLj2EES2_Li8ELi32ELi64ELi128ELi4ELi64ELi4ELi4ELi64ELc78ELc78ELb1ELb1ELb0EfKffEEviiiT16_PT17_ilS6_ilS4_S6_ilPT18_ili26rocblas_geam_ex_operation_,"axG",@progbits,_ZN12_GLOBAL__N_120geam_min_plus_kernelIf15HIP_vector_typeIfLj2EES2_Li8ELi32ELi64ELi128ELi4ELi64ELi4ELi4ELi64ELc78ELc78ELb1ELb1ELb0EfKffEEviiiT16_PT17_ilS6_ilS4_S6_ilPT18_ili26rocblas_geam_ex_operation_,comdat
	.globl	_ZN12_GLOBAL__N_120geam_min_plus_kernelIf15HIP_vector_typeIfLj2EES2_Li8ELi32ELi64ELi128ELi4ELi64ELi4ELi4ELi64ELc78ELc78ELb1ELb1ELb0EfKffEEviiiT16_PT17_ilS6_ilS4_S6_ilPT18_ili26rocblas_geam_ex_operation_ ; -- Begin function _ZN12_GLOBAL__N_120geam_min_plus_kernelIf15HIP_vector_typeIfLj2EES2_Li8ELi32ELi64ELi128ELi4ELi64ELi4ELi4ELi64ELc78ELc78ELb1ELb1ELb0EfKffEEviiiT16_PT17_ilS6_ilS4_S6_ilPT18_ili26rocblas_geam_ex_operation_
	.p2align	8
	.type	_ZN12_GLOBAL__N_120geam_min_plus_kernelIf15HIP_vector_typeIfLj2EES2_Li8ELi32ELi64ELi128ELi4ELi64ELi4ELi4ELi64ELc78ELc78ELb1ELb1ELb0EfKffEEviiiT16_PT17_ilS6_ilS4_S6_ilPT18_ili26rocblas_geam_ex_operation_,@function
_ZN12_GLOBAL__N_120geam_min_plus_kernelIf15HIP_vector_typeIfLj2EES2_Li8ELi32ELi64ELi128ELi4ELi64ELi4ELi4ELi64ELc78ELc78ELb1ELb1ELb0EfKffEEviiiT16_PT17_ilS6_ilS4_S6_ilPT18_ili26rocblas_geam_ex_operation_: ; @_ZN12_GLOBAL__N_120geam_min_plus_kernelIf15HIP_vector_typeIfLj2EES2_Li8ELi32ELi64ELi128ELi4ELi64ELi4ELi4ELi64ELc78ELc78ELb1ELb1ELb0EfKffEEviiiT16_PT17_ilS6_ilS4_S6_ilPT18_ili26rocblas_geam_ex_operation_
; %bb.0:
	s_load_dwordx4 s[20:23], s[0:1], 0x0
	s_load_dwordx4 s[4:7], s[0:1], 0x20
	s_waitcnt lgkmcnt(0)
	v_cmp_eq_f32_e64 s[8:9], s23, 0
	s_and_b64 vcc, exec, s[8:9]
	s_cbranch_vccnz .LBB82_45
; %bb.1:
	s_load_dwordx2 s[10:11], s[0:1], 0x10
	s_mul_i32 s5, s5, s3
	s_mul_hi_u32 s12, s4, s3
	s_add_i32 s5, s12, s5
	s_mul_i32 s4, s4, s3
	s_lshl_b64 s[4:5], s[4:5], 2
	s_waitcnt lgkmcnt(0)
	s_add_u32 s18, s10, s4
	s_addc_u32 s19, s11, s5
	s_andn2_b64 vcc, exec, s[8:9]
	s_mov_b64 s[4:5], -1
	s_cbranch_vccnz .LBB82_3
.LBB82_2:
	s_mov_b64 s[4:5], 0
.LBB82_3:
	s_mov_b64 s[24:25], 0
	s_andn2_b64 vcc, exec, s[4:5]
	s_mov_b64 s[14:15], 0
	s_cbranch_vccnz .LBB82_5
; %bb.4:
	s_load_dwordx2 s[4:5], s[0:1], 0x38
	s_waitcnt lgkmcnt(0)
	s_mul_i32 s5, s5, s3
	s_mul_hi_u32 s8, s4, s3
	s_add_i32 s5, s8, s5
	s_mul_i32 s4, s4, s3
	s_lshl_b64 s[4:5], s[4:5], 2
	s_add_u32 s14, s6, s4
	s_addc_u32 s15, s7, s5
.LBB82_5:
	s_load_dword s28, s[0:1], 0x40
	s_load_dwordx4 s[8:11], s[0:1], 0x58
	s_waitcnt lgkmcnt(0)
	v_cmp_eq_f32_e64 s[4:5], s28, 0
	v_cmp_neq_f32_e64 s[12:13], s28, 0
	s_and_b64 vcc, exec, s[4:5]
	s_cbranch_vccnz .LBB82_7
; %bb.6:
	s_load_dwordx2 s[4:5], s[0:1], 0x48
	s_mul_i32 s6, s9, s3
	s_mul_hi_u32 s7, s8, s3
	s_add_i32 s7, s7, s6
	s_mul_i32 s6, s8, s3
	s_lshl_b64 s[6:7], s[6:7], 2
	s_waitcnt lgkmcnt(0)
	s_add_u32 s24, s4, s6
	s_addc_u32 s25, s5, s7
.LBB82_7:
	s_add_i32 s4, s20, -1
	s_ashr_i32 s5, s4, 31
	s_lshr_b32 s5, s5, 26
	s_add_i32 s4, s4, s5
	s_ashr_i32 s4, s4, 6
	s_add_i32 s5, s4, 1
	v_cvt_f32_u32_e32 v1, s5
	s_not_b32 s4, s4
	s_load_dword s23, s[0:1], 0x18
	v_and_b32_e32 v80, 0x3ff, v0
	v_rcp_iflag_f32_e32 v1, v1
	v_bfe_u32 v81, v0, 10, 10
	v_lshl_add_u32 v0, v81, 3, v80
	s_waitcnt lgkmcnt(0)
	s_ashr_i32 s27, s23, 31
	v_mul_f32_e32 v1, 0x4f7ffffe, v1
	v_cvt_u32_f32_e32 v1, v1
	v_and_b32_e32 v2, 63, v0
	v_lshrrev_b32_e32 v82, 6, v0
	v_mov_b32_e32 v71, 0
	v_readfirstlane_b32 s6, v1
	s_mul_i32 s4, s4, s6
	s_mul_hi_u32 s4, s6, s4
	s_add_i32 s6, s6, s4
	s_mul_hi_u32 s4, s2, s6
	s_mul_i32 s6, s4, s5
	s_sub_i32 s6, s2, s6
	s_add_i32 s7, s4, 1
	s_sub_i32 s8, s6, s5
	s_cmp_ge_u32 s6, s5
	s_cselect_b32 s4, s7, s4
	s_cselect_b32 s6, s8, s6
	s_add_i32 s7, s4, 1
	s_cmp_ge_u32 s6, s5
	s_cselect_b32 s8, s7, s4
	s_mul_i32 s4, s8, s5
	s_sub_i32 s2, s2, s4
	s_lshl_b32 s2, s2, 6
	v_or_b32_e32 v68, s2, v2
	v_cmp_gt_i32_e64 s[4:5], s20, v68
	v_cmp_gt_i32_e64 s[6:7], s22, v82
	v_cmp_le_i32_e32 vcc, s20, v68
	s_and_b64 s[6:7], s[6:7], s[4:5]
	v_ashrrev_i32_e32 v69, 31, v68
	v_mov_b32_e32 v5, 0
	s_and_saveexec_b64 s[4:5], s[6:7]
	s_cbranch_execz .LBB82_9
; %bb.8:
	v_mad_i64_i32 v[4:5], s[6:7], s23, v82, 0
	v_lshl_add_u64 v[4:5], v[4:5], 2, s[18:19]
	v_lshl_add_u64 v[4:5], v[68:69], 2, v[4:5]
	global_load_dword v5, v[4:5], off
.LBB82_9:
	s_or_b64 exec, exec, s[4:5]
	s_load_dword s30, s[0:1], 0x30
	v_lshrrev_b32_e32 v73, 2, v0
	s_lshl_b32 s26, s8, 7
	v_and_b32_e32 v83, 3, v80
	v_add_u32_e32 v72, s26, v73
	v_cmp_le_i32_e64 s[6:7], s22, v83
	v_lshlrev_b32_e32 v70, 2, v83
	v_cmp_le_i32_e64 s[8:9], s21, v72
	v_lshl_add_u64 v[0:1], s[14:15], 0, v[70:71]
	s_nor_b64 s[16:17], s[6:7], s[8:9]
	s_and_saveexec_b64 s[4:5], s[16:17]
	s_cbranch_execz .LBB82_11
; %bb.10:
	s_waitcnt lgkmcnt(0)
	v_mad_i64_i32 v[6:7], s[16:17], v72, s30, 0
	v_lshl_add_u64 v[6:7], v[6:7], 2, v[0:1]
	global_load_dword v71, v[6:7], off
.LBB82_11:
	s_or_b64 exec, exec, s[4:5]
	v_add_u32_e32 v74, 64, v72
	v_cmp_le_i32_e64 s[4:5], s21, v74
	s_nor_b64 s[16:17], s[6:7], s[4:5]
	v_mov_b32_e32 v78, 0
	v_mov_b32_e32 v3, 0
	s_and_saveexec_b64 s[6:7], s[16:17]
	s_cbranch_execz .LBB82_13
; %bb.12:
	s_waitcnt lgkmcnt(0)
	v_mad_i64_i32 v[6:7], s[16:17], v74, s30, 0
	v_lshl_add_u64 v[6:7], v[6:7], 2, v[0:1]
	global_load_dword v3, v[6:7], off
.LBB82_13:
	s_or_b64 exec, exec, s[6:7]
	v_add_u32_e32 v4, 4, v82
	v_cmp_gt_i32_e64 s[6:7], s22, v4
	s_xor_b64 s[16:17], vcc, -1
	s_and_b64 s[34:35], s[16:17], s[6:7]
	s_and_saveexec_b64 s[6:7], s[34:35]
	s_cbranch_execz .LBB82_15
; %bb.14:
	v_mad_u64_u32 v[6:7], s[34:35], s23, v4, 0
	v_mov_b32_e32 v8, v7
	v_mad_u64_u32 v[8:9], s[34:35], s27, v4, v[8:9]
	v_mov_b32_e32 v7, v8
	v_lshl_add_u64 v[6:7], v[6:7], 2, s[18:19]
	v_lshl_add_u64 v[6:7], v[68:69], 2, v[6:7]
	global_load_dword v78, v[6:7], off
.LBB82_15:
	s_or_b64 exec, exec, s[6:7]
	v_or_b32_e32 v4, 4, v83
	v_cmp_le_i32_e32 vcc, s22, v4
	s_nor_b64 s[34:35], vcc, s[8:9]
	v_mov_b32_e32 v75, 0
	v_mov_b32_e32 v76, 0
	s_and_saveexec_b64 s[6:7], s[34:35]
	s_cbranch_execz .LBB82_17
; %bb.16:
	s_waitcnt lgkmcnt(0)
	v_mad_i64_i32 v[6:7], s[34:35], v72, s30, 0
	v_lshl_add_u64 v[6:7], v[6:7], 2, v[0:1]
	global_load_dword v76, v[6:7], off offset:16
.LBB82_17:
	s_or_b64 exec, exec, s[6:7]
	s_nor_b64 s[34:35], vcc, s[4:5]
	s_and_saveexec_b64 s[6:7], s[34:35]
	s_cbranch_execz .LBB82_19
; %bb.18:
	s_waitcnt lgkmcnt(0)
	v_mad_i64_i32 v[6:7], s[34:35], v74, s30, 0
	v_lshl_add_u64 v[0:1], v[6:7], 2, v[0:1]
	global_load_dword v75, v[0:1], off offset:16
.LBB82_19:
	s_or_b64 exec, exec, s[6:7]
	v_lshlrev_b32_e32 v0, 4, v2
	v_lshl_add_u32 v77, v82, 2, v0
	v_lshlrev_b32_e32 v0, 4, v73
	v_lshl_or_b32 v84, v83, 2, v0
	v_mov_b32_e32 v0, 0x1000
	v_mov_b32_e32 v66, 0
	s_waitcnt vmcnt(0)
	ds_write_b32 v77, v5 offset:4096
	v_lshl_add_u32 v85, v80, 4, v0
	s_mov_b32 s29, 0
	s_mov_b64 s[6:7], -1
	v_mov_b32_e32 v67, v66
	v_mov_b32_e32 v64, v66
	;; [unrolled: 1-line block ×63, first 2 shown]
	v_or_b32_e32 v86, 0x1000, v77
	v_lshlrev_b32_e32 v87, 4, v81
	ds_write2st64_b32 v84, v71, v3 offset1:4
	s_waitcnt lgkmcnt(0)
	s_barrier
.LBB82_20:                              ; =>This Inner Loop Header: Depth=1
	v_cndmask_b32_e64 v0, 0, 1, s[6:7]
	s_lshl_b32 s6, s29, 2
	v_cmp_ne_u32_e32 vcc, 1, v0
	v_add_u32_e32 v0, s6, v85
	ds_read2_b64 v[88:91], v0 offset1:16
	ds_read2_b64 v[92:95], v0 offset0:32 offset1:48
	ds_read2_b64 v[96:99], v0 offset0:64 offset1:80
	;; [unrolled: 1-line block ×3, first 2 shown]
	v_add_u32_e32 v0, s6, v87
	ds_read2st64_b64 v[104:107], v0 offset1:1
	ds_read2st64_b64 v[0:3], v0 offset0:2 offset1:3
	s_waitcnt lgkmcnt(5)
	v_max_f32_e32 v79, v88, v88
	v_max_f32_e32 v90, v90, v90
	;; [unrolled: 1-line block ×3, first 2 shown]
	s_waitcnt lgkmcnt(1)
	v_max_f32_e32 v71, v104, v104
	v_max_f32_e32 v104, v105, v105
	;; [unrolled: 1-line block ×3, first 2 shown]
	v_min_f32_e32 v88, v79, v71
	v_min_f32_e32 v89, v105, v104
	v_pk_add_f32 v[66:67], v[66:67], v[88:89]
	v_min_f32_e32 v88, v90, v71
	v_min_f32_e32 v89, v91, v104
	v_max_f32_e32 v92, v92, v92
	v_max_f32_e32 v93, v93, v93
	v_pk_add_f32 v[64:65], v[64:65], v[88:89]
	v_min_f32_e32 v88, v92, v71
	v_min_f32_e32 v89, v93, v104
	v_max_f32_e32 v94, v94, v94
	v_max_f32_e32 v95, v95, v95
	;; [unrolled: 5-line block ×5, first 2 shown]
	v_pk_add_f32 v[56:57], v[56:57], v[88:89]
	v_min_f32_e32 v88, v100, v71
	v_min_f32_e32 v89, v101, v104
	v_max_f32_e32 v102, v102, v102
	v_pk_add_f32 v[54:55], v[54:55], v[88:89]
	v_min_f32_e32 v88, v102, v71
	v_max_f32_e32 v71, v103, v103
	v_min_f32_e32 v89, v71, v104
	v_max_f32_e32 v103, v106, v106
	v_max_f32_e32 v104, v107, v107
	v_pk_add_f32 v[52:53], v[52:53], v[88:89]
	v_min_f32_e32 v88, v79, v103
	v_min_f32_e32 v89, v105, v104
	v_pk_add_f32 v[50:51], v[50:51], v[88:89]
	v_min_f32_e32 v88, v90, v103
	v_min_f32_e32 v89, v91, v104
	;; [unrolled: 3-line block ×8, first 2 shown]
	v_pk_add_f32 v[36:37], v[36:37], v[88:89]
	s_waitcnt lgkmcnt(0)
	v_max_f32_e32 v88, v0, v0
	v_max_f32_e32 v89, v1, v1
	v_min_f32_e32 v0, v79, v88
	v_min_f32_e32 v1, v105, v89
	v_pk_add_f32 v[34:35], v[34:35], v[0:1]
	v_min_f32_e32 v0, v90, v88
	v_min_f32_e32 v1, v91, v89
	v_pk_add_f32 v[32:33], v[32:33], v[0:1]
	;; [unrolled: 3-line block ×7, first 2 shown]
	v_min_f32_e32 v0, v102, v88
	v_min_f32_e32 v1, v71, v89
	v_max_f32_e32 v2, v2, v2
	v_max_f32_e32 v3, v3, v3
	v_pk_add_f32 v[20:21], v[20:21], v[0:1]
	v_min_f32_e32 v0, v79, v2
	v_min_f32_e32 v1, v105, v3
	v_pk_add_f32 v[18:19], v[18:19], v[0:1]
	v_min_f32_e32 v0, v90, v2
	v_min_f32_e32 v1, v91, v3
	;; [unrolled: 3-line block ×8, first 2 shown]
	v_pk_add_f32 v[4:5], v[4:5], v[0:1]
	s_mov_b64 s[6:7], 0
	s_mov_b32 s29, 2
	s_cbranch_vccz .LBB82_20
; %bb.21:
	v_lshl_or_b32 v0, v73, 4, v70
	s_cmp_lt_i32 s22, 9
	ds_write_b32 v77, v78 offset:5120
	ds_write2st64_b32 v0, v76, v75 offset0:8 offset1:12
	s_waitcnt lgkmcnt(0)
	s_barrier
	s_cbranch_scc1 .LBB82_40
; %bb.22:
	v_add_u32_e32 v89, 0x800, v0
	v_mov_b32_e32 v0, 0x1400
	v_lshl_add_u32 v90, v80, 4, v0
	v_mov_b32_e32 v0, 0x800
	v_add_u32_e32 v88, 0x1400, v77
	s_add_i32 s29, s22, -8
	v_lshl_add_u64 v[68:69], v[68:69], 2, s[18:19]
	v_mad_i64_i32 v[70:71], s[6:7], v72, s30, 0
	v_mad_i64_i32 v[72:73], s[6:7], v74, s30, 0
	v_lshl_add_u32 v91, v81, 4, v0
	s_mov_b32 s18, 8
	s_mov_b32 s19, 0
	v_mov_b32_e32 v75, 0
.LBB82_23:                              ; =>This Loop Header: Depth=1
                                        ;     Child Loop BB82_30 Depth 2
                                        ;     Child Loop BB82_38 Depth 2
	v_add_u32_e32 v0, s18, v82
	v_cmp_gt_i32_e32 vcc, s22, v0
	s_and_b64 s[30:31], s[16:17], vcc
	v_mov_b32_e32 v94, 0
	s_and_saveexec_b64 s[6:7], s[30:31]
	s_cbranch_execz .LBB82_25
; %bb.24:                               ;   in Loop: Header=BB82_23 Depth=1
	v_mad_u64_u32 v[2:3], s[30:31], v0, s23, 0
	v_mov_b32_e32 v74, v3
	v_mad_u64_u32 v[0:1], s[30:31], v0, s27, v[74:75]
	v_mov_b32_e32 v3, v0
	v_lshl_add_u64 v[0:1], v[2:3], 2, v[68:69]
	global_load_dword v94, v[0:1], off
.LBB82_25:                              ;   in Loop: Header=BB82_23 Depth=1
	s_or_b64 exec, exec, s[6:7]
	v_or_b32_e32 v74, s18, v83
	v_cmp_le_i32_e32 vcc, s22, v74
	v_lshl_add_u64 v[0:1], v[74:75], 2, s[14:15]
	s_nor_b64 s[30:31], s[8:9], vcc
	v_mov_b32_e32 v92, 0
	v_lshl_add_u64 v[78:79], v[70:71], 2, v[0:1]
	v_mov_b32_e32 v93, 0
	s_and_saveexec_b64 s[6:7], s[30:31]
	s_cbranch_execz .LBB82_27
; %bb.26:                               ;   in Loop: Header=BB82_23 Depth=1
	global_load_dword v93, v[78:79], off
.LBB82_27:                              ;   in Loop: Header=BB82_23 Depth=1
	s_or_b64 exec, exec, s[6:7]
	s_nor_b64 s[30:31], s[4:5], vcc
	v_lshl_add_u64 v[76:77], v[72:73], 2, v[0:1]
	s_and_saveexec_b64 s[6:7], s[30:31]
	s_cbranch_execz .LBB82_29
; %bb.28:                               ;   in Loop: Header=BB82_23 Depth=1
	global_load_dword v92, v[76:77], off
.LBB82_29:                              ;   in Loop: Header=BB82_23 Depth=1
	s_or_b64 exec, exec, s[6:7]
	s_mov_b32 s30, 0
	s_mov_b64 s[6:7], -1
.LBB82_30:                              ;   Parent Loop BB82_23 Depth=1
                                        ; =>  This Inner Loop Header: Depth=2
	v_cndmask_b32_e64 v0, 0, 1, s[6:7]
	s_lshl_b32 s6, s30, 2
	v_cmp_ne_u32_e32 vcc, 1, v0
	v_add_u32_e32 v0, s6, v90
	ds_read2_b64 v[96:99], v0 offset1:16
	ds_read2_b64 v[100:103], v0 offset0:32 offset1:48
	ds_read2_b64 v[104:107], v0 offset0:64 offset1:80
	;; [unrolled: 1-line block ×3, first 2 shown]
	v_add_u32_e32 v0, s6, v91
	ds_read2st64_b64 v[112:115], v0 offset1:1
	ds_read2st64_b64 v[0:3], v0 offset0:2 offset1:3
	s_waitcnt lgkmcnt(5)
	v_max_f32_e32 v116, v97, v97
	v_max_f32_e32 v98, v98, v98
	;; [unrolled: 1-line block ×3, first 2 shown]
	s_waitcnt lgkmcnt(1)
	v_max_f32_e32 v95, v112, v112
	v_max_f32_e32 v112, v96, v96
	;; [unrolled: 1-line block ×3, first 2 shown]
	v_min_f32_e32 v96, v112, v95
	v_min_f32_e32 v97, v116, v113
	v_pk_add_f32 v[66:67], v[66:67], v[96:97]
	v_min_f32_e32 v96, v98, v95
	v_min_f32_e32 v97, v99, v113
	v_max_f32_e32 v100, v100, v100
	v_max_f32_e32 v101, v101, v101
	v_pk_add_f32 v[64:65], v[64:65], v[96:97]
	v_min_f32_e32 v96, v100, v95
	v_min_f32_e32 v97, v101, v113
	v_max_f32_e32 v102, v102, v102
	v_max_f32_e32 v103, v103, v103
	;; [unrolled: 5-line block ×5, first 2 shown]
	v_pk_add_f32 v[56:57], v[56:57], v[96:97]
	v_min_f32_e32 v96, v108, v95
	v_min_f32_e32 v97, v109, v113
	v_max_f32_e32 v110, v110, v110
	v_pk_add_f32 v[54:55], v[54:55], v[96:97]
	v_min_f32_e32 v96, v110, v95
	v_max_f32_e32 v95, v111, v111
	v_min_f32_e32 v97, v95, v113
	v_max_f32_e32 v111, v114, v114
	v_max_f32_e32 v113, v115, v115
	v_pk_add_f32 v[52:53], v[52:53], v[96:97]
	v_min_f32_e32 v96, v112, v111
	v_min_f32_e32 v97, v116, v113
	v_pk_add_f32 v[50:51], v[50:51], v[96:97]
	v_min_f32_e32 v96, v98, v111
	v_min_f32_e32 v97, v99, v113
	v_pk_add_f32 v[48:49], v[48:49], v[96:97]
	v_min_f32_e32 v96, v100, v111
	v_min_f32_e32 v97, v101, v113
	v_pk_add_f32 v[46:47], v[46:47], v[96:97]
	v_min_f32_e32 v96, v102, v111
	v_min_f32_e32 v97, v103, v113
	v_pk_add_f32 v[44:45], v[44:45], v[96:97]
	v_min_f32_e32 v96, v104, v111
	v_min_f32_e32 v97, v105, v113
	v_pk_add_f32 v[42:43], v[42:43], v[96:97]
	v_min_f32_e32 v96, v106, v111
	v_min_f32_e32 v97, v107, v113
	v_pk_add_f32 v[40:41], v[40:41], v[96:97]
	v_min_f32_e32 v96, v108, v111
	v_min_f32_e32 v97, v109, v113
	v_pk_add_f32 v[38:39], v[38:39], v[96:97]
	v_min_f32_e32 v96, v110, v111
	v_min_f32_e32 v97, v95, v113
	v_pk_add_f32 v[36:37], v[36:37], v[96:97]
	s_waitcnt lgkmcnt(0)
	v_max_f32_e32 v96, v0, v0
	v_max_f32_e32 v97, v1, v1
	v_min_f32_e32 v0, v112, v96
	v_min_f32_e32 v1, v116, v97
	v_pk_add_f32 v[34:35], v[34:35], v[0:1]
	v_min_f32_e32 v0, v98, v96
	v_min_f32_e32 v1, v99, v97
	v_pk_add_f32 v[32:33], v[32:33], v[0:1]
	v_min_f32_e32 v0, v100, v96
	v_min_f32_e32 v1, v101, v97
	v_pk_add_f32 v[30:31], v[30:31], v[0:1]
	v_min_f32_e32 v0, v102, v96
	v_min_f32_e32 v1, v103, v97
	v_pk_add_f32 v[28:29], v[28:29], v[0:1]
	v_min_f32_e32 v0, v104, v96
	v_min_f32_e32 v1, v105, v97
	v_pk_add_f32 v[26:27], v[26:27], v[0:1]
	v_min_f32_e32 v0, v106, v96
	v_min_f32_e32 v1, v107, v97
	v_pk_add_f32 v[24:25], v[24:25], v[0:1]
	v_min_f32_e32 v0, v108, v96
	v_min_f32_e32 v1, v109, v97
	v_pk_add_f32 v[22:23], v[22:23], v[0:1]
	v_min_f32_e32 v0, v110, v96
	v_min_f32_e32 v1, v95, v97
	v_max_f32_e32 v2, v2, v2
	v_max_f32_e32 v3, v3, v3
	v_pk_add_f32 v[20:21], v[20:21], v[0:1]
	v_min_f32_e32 v0, v112, v2
	v_min_f32_e32 v1, v116, v3
	v_pk_add_f32 v[18:19], v[18:19], v[0:1]
	v_min_f32_e32 v0, v98, v2
	v_min_f32_e32 v1, v99, v3
	;; [unrolled: 3-line block ×8, first 2 shown]
	v_pk_add_f32 v[4:5], v[4:5], v[0:1]
	s_mov_b64 s[6:7], 0
	s_mov_b32 s30, 2
	s_cbranch_vccz .LBB82_30
; %bb.31:                               ;   in Loop: Header=BB82_23 Depth=1
	v_add3_u32 v0, v82, s18, 4
	v_cmp_gt_i32_e32 vcc, s22, v0
	s_waitcnt vmcnt(0)
	ds_write_b32 v86, v94
	ds_write2st64_b32 v84, v93, v92 offset1:4
	s_and_b64 s[30:31], s[16:17], vcc
	v_mov_b32_e32 v92, 0
	v_mov_b32_e32 v93, 0
	s_waitcnt lgkmcnt(0)
	s_barrier
	s_and_saveexec_b64 s[6:7], s[30:31]
	s_cbranch_execz .LBB82_33
; %bb.32:                               ;   in Loop: Header=BB82_23 Depth=1
	v_mad_u64_u32 v[2:3], s[30:31], v0, s23, 0
	v_mov_b32_e32 v94, v3
	v_mad_u64_u32 v[0:1], s[30:31], v0, s27, v[94:95]
	v_mov_b32_e32 v3, v0
	v_lshl_add_u64 v[0:1], v[2:3], 2, v[68:69]
	global_load_dword v93, v[0:1], off
.LBB82_33:                              ;   in Loop: Header=BB82_23 Depth=1
	s_or_b64 exec, exec, s[6:7]
	v_or_b32_e32 v0, 4, v74
	v_cmp_le_i32_e32 vcc, s22, v0
	s_nor_b64 s[30:31], s[8:9], vcc
	s_and_saveexec_b64 s[6:7], s[30:31]
	s_cbranch_execz .LBB82_35
; %bb.34:                               ;   in Loop: Header=BB82_23 Depth=1
	global_load_dword v92, v[78:79], off offset:16
.LBB82_35:                              ;   in Loop: Header=BB82_23 Depth=1
	s_or_b64 exec, exec, s[6:7]
	s_nor_b64 s[30:31], s[4:5], vcc
	v_mov_b32_e32 v74, 0
	s_and_saveexec_b64 s[6:7], s[30:31]
	s_cbranch_execz .LBB82_37
; %bb.36:                               ;   in Loop: Header=BB82_23 Depth=1
	global_load_dword v74, v[76:77], off offset:16
.LBB82_37:                              ;   in Loop: Header=BB82_23 Depth=1
	s_or_b64 exec, exec, s[6:7]
	s_mov_b32 s30, 0
	s_mov_b64 s[6:7], -1
.LBB82_38:                              ;   Parent Loop BB82_23 Depth=1
                                        ; =>  This Inner Loop Header: Depth=2
	v_cndmask_b32_e64 v0, 0, 1, s[6:7]
	s_lshl_b32 s6, s30, 2
	v_cmp_ne_u32_e32 vcc, 1, v0
	v_add_u32_e32 v0, s6, v85
	ds_read2_b64 v[76:79], v0 offset1:16
	ds_read2_b64 v[94:97], v0 offset0:32 offset1:48
	ds_read2_b64 v[98:101], v0 offset0:64 offset1:80
	ds_read2_b64 v[102:105], v0 offset0:96 offset1:112
	v_add_u32_e32 v0, s6, v87
	ds_read2st64_b64 v[106:109], v0 offset1:1
	ds_read2st64_b64 v[0:3], v0 offset0:2 offset1:3
	s_waitcnt lgkmcnt(5)
	v_max_f32_e32 v110, v76, v76
	v_max_f32_e32 v111, v77, v77
	;; [unrolled: 1-line block ×3, first 2 shown]
	s_waitcnt lgkmcnt(1)
	v_max_f32_e32 v106, v106, v106
	v_max_f32_e32 v107, v107, v107
	v_min_f32_e32 v76, v110, v106
	v_min_f32_e32 v77, v111, v107
	v_max_f32_e32 v79, v79, v79
	v_pk_add_f32 v[66:67], v[66:67], v[76:77]
	v_min_f32_e32 v76, v78, v106
	v_min_f32_e32 v77, v79, v107
	v_max_f32_e32 v94, v94, v94
	v_max_f32_e32 v95, v95, v95
	v_pk_add_f32 v[64:65], v[64:65], v[76:77]
	v_min_f32_e32 v76, v94, v106
	v_min_f32_e32 v77, v95, v107
	v_max_f32_e32 v96, v96, v96
	;; [unrolled: 5-line block ×7, first 2 shown]
	v_max_f32_e32 v107, v109, v109
	v_pk_add_f32 v[52:53], v[52:53], v[76:77]
	v_min_f32_e32 v76, v110, v106
	v_min_f32_e32 v77, v111, v107
	v_pk_add_f32 v[50:51], v[50:51], v[76:77]
	v_min_f32_e32 v76, v78, v106
	v_min_f32_e32 v77, v79, v107
	;; [unrolled: 3-line block ×8, first 2 shown]
	v_pk_add_f32 v[36:37], v[36:37], v[76:77]
	s_waitcnt lgkmcnt(0)
	v_max_f32_e32 v76, v0, v0
	v_max_f32_e32 v77, v1, v1
	v_min_f32_e32 v0, v110, v76
	v_min_f32_e32 v1, v111, v77
	v_pk_add_f32 v[34:35], v[34:35], v[0:1]
	v_min_f32_e32 v0, v78, v76
	v_min_f32_e32 v1, v79, v77
	v_pk_add_f32 v[32:33], v[32:33], v[0:1]
	;; [unrolled: 3-line block ×7, first 2 shown]
	v_min_f32_e32 v0, v104, v76
	v_min_f32_e32 v1, v105, v77
	v_max_f32_e32 v2, v2, v2
	v_max_f32_e32 v3, v3, v3
	v_pk_add_f32 v[20:21], v[20:21], v[0:1]
	v_min_f32_e32 v0, v110, v2
	v_min_f32_e32 v1, v111, v3
	v_pk_add_f32 v[18:19], v[18:19], v[0:1]
	v_min_f32_e32 v0, v78, v2
	v_min_f32_e32 v1, v79, v3
	;; [unrolled: 3-line block ×8, first 2 shown]
	v_pk_add_f32 v[4:5], v[4:5], v[0:1]
	s_mov_b64 s[6:7], 0
	s_mov_b32 s30, 2
	s_cbranch_vccz .LBB82_38
; %bb.39:                               ;   in Loop: Header=BB82_23 Depth=1
	s_add_i32 s18, s18, 8
	s_add_i32 s19, s19, 8
	s_cmp_ge_i32 s19, s29
	s_waitcnt vmcnt(0)
	ds_write_b32 v88, v93
	ds_write2st64_b32 v89, v92, v74 offset1:4
	s_waitcnt lgkmcnt(0)
	s_barrier
	s_cbranch_scc0 .LBB82_23
.LBB82_40:
	v_mov_b32_e32 v0, 0x1400
	v_lshl_add_u32 v68, v80, 4, v0
	v_mov_b32_e32 v0, 0x800
	v_lshl_add_u32 v69, v81, 4, v0
	s_mov_b32 s6, 0
	s_mov_b64 s[4:5], -1
.LBB82_41:                              ; =>This Inner Loop Header: Depth=1
	v_cndmask_b32_e64 v0, 0, 1, s[4:5]
	s_lshl_b32 s4, s6, 2
	v_cmp_ne_u32_e32 vcc, 1, v0
	v_add_u32_e32 v0, s4, v68
	ds_read2_b64 v[70:73], v0 offset1:16
	ds_read2_b64 v[74:77], v0 offset0:32 offset1:48
	ds_read2_b64 v[82:85], v0 offset0:64 offset1:80
	;; [unrolled: 1-line block ×3, first 2 shown]
	v_add_u32_e32 v0, s4, v69
	ds_read2st64_b64 v[90:93], v0 offset1:1
	ds_read2st64_b64 v[0:3], v0 offset0:2 offset1:3
	s_waitcnt lgkmcnt(5)
	v_max_f32_e32 v79, v70, v70
	v_max_f32_e32 v72, v72, v72
	;; [unrolled: 1-line block ×3, first 2 shown]
	s_waitcnt lgkmcnt(1)
	v_max_f32_e32 v78, v90, v90
	v_max_f32_e32 v90, v91, v91
	;; [unrolled: 1-line block ×3, first 2 shown]
	v_min_f32_e32 v70, v79, v78
	v_min_f32_e32 v71, v91, v90
	v_pk_add_f32 v[66:67], v[66:67], v[70:71]
	v_min_f32_e32 v70, v72, v78
	v_min_f32_e32 v71, v73, v90
	v_max_f32_e32 v74, v74, v74
	v_max_f32_e32 v75, v75, v75
	v_pk_add_f32 v[64:65], v[64:65], v[70:71]
	v_min_f32_e32 v70, v74, v78
	v_min_f32_e32 v71, v75, v90
	v_max_f32_e32 v76, v76, v76
	v_max_f32_e32 v77, v77, v77
	;; [unrolled: 5-line block ×5, first 2 shown]
	v_pk_add_f32 v[56:57], v[56:57], v[70:71]
	v_min_f32_e32 v70, v86, v78
	v_min_f32_e32 v71, v87, v90
	v_max_f32_e32 v88, v88, v88
	v_pk_add_f32 v[54:55], v[54:55], v[70:71]
	v_min_f32_e32 v70, v88, v78
	v_max_f32_e32 v78, v89, v89
	v_min_f32_e32 v71, v78, v90
	v_max_f32_e32 v89, v92, v92
	v_max_f32_e32 v90, v93, v93
	v_pk_add_f32 v[52:53], v[52:53], v[70:71]
	v_min_f32_e32 v70, v79, v89
	v_min_f32_e32 v71, v91, v90
	v_pk_add_f32 v[50:51], v[50:51], v[70:71]
	v_min_f32_e32 v70, v72, v89
	v_min_f32_e32 v71, v73, v90
	;; [unrolled: 3-line block ×8, first 2 shown]
	v_pk_add_f32 v[36:37], v[36:37], v[70:71]
	s_waitcnt lgkmcnt(0)
	v_max_f32_e32 v70, v0, v0
	v_max_f32_e32 v71, v1, v1
	v_min_f32_e32 v0, v79, v70
	v_min_f32_e32 v1, v91, v71
	v_pk_add_f32 v[34:35], v[34:35], v[0:1]
	v_min_f32_e32 v0, v72, v70
	v_min_f32_e32 v1, v73, v71
	v_pk_add_f32 v[32:33], v[32:33], v[0:1]
	;; [unrolled: 3-line block ×7, first 2 shown]
	v_min_f32_e32 v0, v88, v70
	v_min_f32_e32 v1, v78, v71
	v_max_f32_e32 v2, v2, v2
	v_max_f32_e32 v3, v3, v3
	v_pk_add_f32 v[20:21], v[20:21], v[0:1]
	v_min_f32_e32 v0, v79, v2
	v_min_f32_e32 v1, v91, v3
	v_pk_add_f32 v[18:19], v[18:19], v[0:1]
	v_min_f32_e32 v0, v72, v2
	v_min_f32_e32 v1, v73, v3
	;; [unrolled: 3-line block ×8, first 2 shown]
	v_pk_add_f32 v[4:5], v[4:5], v[0:1]
	s_mov_b64 s[4:5], 0
	s_mov_b32 s6, 2
	s_cbranch_vccz .LBB82_41
; %bb.42:
	s_load_dwordx2 s[4:5], s[0:1], 0x70
	s_load_dword s30, s[0:1], 0x50
	s_load_dword s29, s[0:1], 0x68
	v_add_u32_e32 v72, s26, v81
	v_add_u32_e32 v0, s2, v80
	s_waitcnt lgkmcnt(0)
	s_mul_i32 s1, s5, s3
	s_mul_hi_u32 s5, s4, s3
	s_mul_i32 s0, s4, s3
	s_add_i32 s1, s5, s1
	s_lshl_b64 s[0:1], s[0:1], 2
	s_add_u32 s22, s10, s0
	s_addc_u32 s23, s11, s1
	v_mad_i64_i32 v[2:3], s[0:1], v72, s30, 0
	v_lshl_add_u64 v[70:71], v[2:3], 2, s[24:25]
	v_mad_i64_i32 v[2:3], s[0:1], v72, s29, 0
	v_cmp_gt_i32_e64 s[18:19], s21, v72
	v_lshl_add_u64 v[68:69], v[2:3], 2, s[22:23]
	v_cmp_gt_i32_e64 s[2:3], s20, v0
	v_cndmask_b32_e64 v2, 0, 1, s[12:13]
	s_and_b64 s[6:7], s[2:3], s[18:19]
	v_ashrrev_i32_e32 v1, 31, v0
	v_cmp_ne_u32_e64 s[0:1], 1, v2
	s_and_saveexec_b64 s[4:5], s[6:7]
	s_cbranch_execz .LBB82_48
; %bb.43:
	s_and_b64 vcc, exec, s[0:1]
	s_cbranch_vccnz .LBB82_46
; %bb.44:
	v_lshl_add_u64 v[2:3], v[0:1], 2, v[70:71]
	global_load_dword v2, v[2:3], off
	s_waitcnt vmcnt(0)
	v_mul_f32_e32 v2, s28, v2
	s_branch .LBB82_47
.LBB82_45:
	s_mov_b64 s[18:19], 0
	s_andn2_b64 vcc, exec, s[8:9]
	s_mov_b64 s[4:5], -1
	s_cbranch_vccz .LBB82_2
	s_branch .LBB82_3
.LBB82_46:
	v_mov_b32_e32 v2, 0
.LBB82_47:
	v_add_f32_e32 v3, v66, v67
	v_add_f32_e32 v66, v3, v2
	v_lshl_add_u64 v[2:3], v[0:1], 2, v[68:69]
	global_store_dword v[2:3], v66, off
.LBB82_48:
	s_or_b64 exec, exec, s[4:5]
	v_add_u32_e32 v2, 8, v0
	v_cmp_gt_i32_e64 s[4:5], s20, v2
	s_and_b64 s[8:9], s[4:5], s[18:19]
	v_ashrrev_i32_e32 v3, 31, v2
	s_and_saveexec_b64 s[6:7], s[8:9]
	s_cbranch_execz .LBB82_53
; %bb.49:
	s_and_b64 vcc, exec, s[0:1]
	s_cbranch_vccnz .LBB82_51
; %bb.50:
	v_lshl_add_u64 v[66:67], v[2:3], 2, v[70:71]
	global_load_dword v66, v[66:67], off
	s_waitcnt vmcnt(0)
	v_mul_f32_e32 v66, s28, v66
	s_branch .LBB82_52
.LBB82_51:
	v_mov_b32_e32 v66, 0
.LBB82_52:
	v_add_f32_e32 v64, v64, v65
	v_add_f32_e32 v66, v64, v66
	v_lshl_add_u64 v[64:65], v[2:3], 2, v[68:69]
	global_store_dword v[64:65], v66, off
.LBB82_53:
	s_or_b64 exec, exec, s[6:7]
	v_add_u32_e32 v64, 16, v0
	v_cmp_gt_i32_e64 s[6:7], s20, v64
	s_and_b64 s[10:11], s[6:7], s[18:19]
	v_ashrrev_i32_e32 v65, 31, v64
	s_and_saveexec_b64 s[8:9], s[10:11]
	s_cbranch_execz .LBB82_58
; %bb.54:
	s_and_b64 vcc, exec, s[0:1]
	s_cbranch_vccnz .LBB82_56
; %bb.55:
	v_lshl_add_u64 v[66:67], v[64:65], 2, v[70:71]
	global_load_dword v66, v[66:67], off
	s_waitcnt vmcnt(0)
	v_mul_f32_e32 v66, s28, v66
	s_branch .LBB82_57
.LBB82_56:
	v_mov_b32_e32 v66, 0
.LBB82_57:
	v_add_f32_e32 v62, v62, v63
	v_add_f32_e32 v66, v62, v66
	v_lshl_add_u64 v[62:63], v[64:65], 2, v[68:69]
	global_store_dword v[62:63], v66, off
.LBB82_58:
	;; [unrolled: 24-line block ×7, first 2 shown]
	s_or_b64 exec, exec, s[18:19]
	v_add_u32_e32 v68, 32, v72
	v_mad_i64_i32 v[52:53], s[26:27], v68, s30, 0
	v_cmp_gt_i32_e64 s[18:19], s21, v68
	v_lshl_add_u64 v[66:67], v[52:53], 2, s[24:25]
	v_mad_i64_i32 v[52:53], s[26:27], v68, s29, 0
	v_lshl_add_u64 v[52:53], v[52:53], 2, s[22:23]
	s_and_b64 s[34:35], s[2:3], s[18:19]
	s_and_saveexec_b64 s[26:27], s[34:35]
	s_cbranch_execnz .LBB82_91
; %bb.84:
	s_or_b64 exec, exec, s[26:27]
	s_and_b64 s[34:35], s[4:5], s[18:19]
	s_and_saveexec_b64 s[26:27], s[34:35]
	s_cbranch_execnz .LBB82_95
.LBB82_85:
	s_or_b64 exec, exec, s[26:27]
	s_and_b64 s[34:35], s[6:7], s[18:19]
	s_and_saveexec_b64 s[26:27], s[34:35]
	s_cbranch_execnz .LBB82_99
.LBB82_86:
	s_or_b64 exec, exec, s[26:27]
	s_and_b64 s[34:35], s[8:9], s[18:19]
	s_and_saveexec_b64 s[26:27], s[34:35]
	s_cbranch_execnz .LBB82_103
.LBB82_87:
	s_or_b64 exec, exec, s[26:27]
	s_and_b64 s[34:35], s[10:11], s[18:19]
	s_and_saveexec_b64 s[26:27], s[34:35]
	s_cbranch_execnz .LBB82_107
.LBB82_88:
	s_or_b64 exec, exec, s[26:27]
	s_and_b64 s[34:35], s[12:13], s[18:19]
	s_and_saveexec_b64 s[26:27], s[34:35]
	s_cbranch_execnz .LBB82_111
.LBB82_89:
	s_or_b64 exec, exec, s[26:27]
	s_and_b64 s[34:35], s[14:15], s[18:19]
	s_and_saveexec_b64 s[26:27], s[34:35]
	s_cbranch_execnz .LBB82_115
.LBB82_90:
	s_or_b64 exec, exec, s[26:27]
	s_and_b64 s[26:27], s[16:17], s[18:19]
	s_and_saveexec_b64 s[18:19], s[26:27]
	s_cbranch_execnz .LBB82_119
	s_branch .LBB82_123
.LBB82_91:
	s_and_b64 vcc, exec, s[0:1]
	s_cbranch_vccnz .LBB82_93
; %bb.92:
	v_lshl_add_u64 v[68:69], v[0:1], 2, v[66:67]
	global_load_dword v68, v[68:69], off
	s_waitcnt vmcnt(0)
	v_mul_f32_e32 v68, s28, v68
	s_branch .LBB82_94
.LBB82_93:
	v_mov_b32_e32 v68, 0
.LBB82_94:
	v_add_f32_e32 v50, v50, v51
	v_add_f32_e32 v68, v50, v68
	v_lshl_add_u64 v[50:51], v[0:1], 2, v[52:53]
	global_store_dword v[50:51], v68, off
	s_or_b64 exec, exec, s[26:27]
	s_and_b64 s[34:35], s[4:5], s[18:19]
	s_and_saveexec_b64 s[26:27], s[34:35]
	s_cbranch_execz .LBB82_85
.LBB82_95:
	s_and_b64 vcc, exec, s[0:1]
	s_cbranch_vccnz .LBB82_97
; %bb.96:
	v_lshl_add_u64 v[50:51], v[2:3], 2, v[66:67]
	global_load_dword v50, v[50:51], off
	s_waitcnt vmcnt(0)
	v_mul_f32_e32 v50, s28, v50
	s_branch .LBB82_98
.LBB82_97:
	v_mov_b32_e32 v50, 0
.LBB82_98:
	v_add_f32_e32 v48, v48, v49
	v_add_f32_e32 v50, v48, v50
	v_lshl_add_u64 v[48:49], v[2:3], 2, v[52:53]
	global_store_dword v[48:49], v50, off
	s_or_b64 exec, exec, s[26:27]
	s_and_b64 s[34:35], s[6:7], s[18:19]
	s_and_saveexec_b64 s[26:27], s[34:35]
	s_cbranch_execz .LBB82_86
.LBB82_99:
	s_and_b64 vcc, exec, s[0:1]
	s_cbranch_vccnz .LBB82_101
; %bb.100:
	v_lshl_add_u64 v[48:49], v[64:65], 2, v[66:67]
	global_load_dword v48, v[48:49], off
	s_waitcnt vmcnt(0)
	v_mul_f32_e32 v48, s28, v48
	s_branch .LBB82_102
.LBB82_101:
	v_mov_b32_e32 v48, 0
.LBB82_102:
	v_add_f32_e32 v46, v46, v47
	v_add_f32_e32 v48, v46, v48
	v_lshl_add_u64 v[46:47], v[64:65], 2, v[52:53]
	global_store_dword v[46:47], v48, off
	s_or_b64 exec, exec, s[26:27]
	s_and_b64 s[34:35], s[8:9], s[18:19]
	s_and_saveexec_b64 s[26:27], s[34:35]
	s_cbranch_execz .LBB82_87
.LBB82_103:
	s_and_b64 vcc, exec, s[0:1]
	s_cbranch_vccnz .LBB82_105
; %bb.104:
	v_lshl_add_u64 v[46:47], v[62:63], 2, v[66:67]
	global_load_dword v46, v[46:47], off
	s_waitcnt vmcnt(0)
	v_mul_f32_e32 v46, s28, v46
	s_branch .LBB82_106
.LBB82_105:
	v_mov_b32_e32 v46, 0
.LBB82_106:
	v_add_f32_e32 v44, v44, v45
	v_add_f32_e32 v46, v44, v46
	v_lshl_add_u64 v[44:45], v[62:63], 2, v[52:53]
	global_store_dword v[44:45], v46, off
	s_or_b64 exec, exec, s[26:27]
	s_and_b64 s[34:35], s[10:11], s[18:19]
	s_and_saveexec_b64 s[26:27], s[34:35]
	s_cbranch_execz .LBB82_88
.LBB82_107:
	s_and_b64 vcc, exec, s[0:1]
	s_cbranch_vccnz .LBB82_109
; %bb.108:
	v_lshl_add_u64 v[44:45], v[60:61], 2, v[66:67]
	global_load_dword v44, v[44:45], off
	s_waitcnt vmcnt(0)
	v_mul_f32_e32 v44, s28, v44
	s_branch .LBB82_110
.LBB82_109:
	v_mov_b32_e32 v44, 0
.LBB82_110:
	v_add_f32_e32 v42, v42, v43
	v_add_f32_e32 v44, v42, v44
	v_lshl_add_u64 v[42:43], v[60:61], 2, v[52:53]
	global_store_dword v[42:43], v44, off
	s_or_b64 exec, exec, s[26:27]
	s_and_b64 s[34:35], s[12:13], s[18:19]
	s_and_saveexec_b64 s[26:27], s[34:35]
	s_cbranch_execz .LBB82_89
.LBB82_111:
	s_and_b64 vcc, exec, s[0:1]
	s_cbranch_vccnz .LBB82_113
; %bb.112:
	v_lshl_add_u64 v[42:43], v[58:59], 2, v[66:67]
	global_load_dword v42, v[42:43], off
	s_waitcnt vmcnt(0)
	v_mul_f32_e32 v42, s28, v42
	s_branch .LBB82_114
.LBB82_113:
	v_mov_b32_e32 v42, 0
.LBB82_114:
	v_add_f32_e32 v40, v40, v41
	v_add_f32_e32 v42, v40, v42
	v_lshl_add_u64 v[40:41], v[58:59], 2, v[52:53]
	global_store_dword v[40:41], v42, off
	s_or_b64 exec, exec, s[26:27]
	s_and_b64 s[34:35], s[14:15], s[18:19]
	s_and_saveexec_b64 s[26:27], s[34:35]
	s_cbranch_execz .LBB82_90
.LBB82_115:
	s_and_b64 vcc, exec, s[0:1]
	s_cbranch_vccnz .LBB82_117
; %bb.116:
	v_lshl_add_u64 v[40:41], v[56:57], 2, v[66:67]
	global_load_dword v40, v[40:41], off
	s_waitcnt vmcnt(0)
	v_mul_f32_e32 v40, s28, v40
	s_branch .LBB82_118
.LBB82_117:
	v_mov_b32_e32 v40, 0
.LBB82_118:
	v_add_f32_e32 v38, v38, v39
	v_add_f32_e32 v40, v38, v40
	v_lshl_add_u64 v[38:39], v[56:57], 2, v[52:53]
	global_store_dword v[38:39], v40, off
	s_or_b64 exec, exec, s[26:27]
	s_and_b64 s[26:27], s[16:17], s[18:19]
	s_and_saveexec_b64 s[18:19], s[26:27]
	s_cbranch_execz .LBB82_123
.LBB82_119:
	s_and_b64 vcc, exec, s[0:1]
	s_cbranch_vccnz .LBB82_121
; %bb.120:
	v_lshl_add_u64 v[38:39], v[54:55], 2, v[66:67]
	global_load_dword v38, v[38:39], off
	s_waitcnt vmcnt(0)
	v_mul_f32_e32 v38, s28, v38
	s_branch .LBB82_122
.LBB82_121:
	v_mov_b32_e32 v38, 0
.LBB82_122:
	v_add_f32_e32 v36, v36, v37
	v_add_f32_e32 v38, v36, v38
	v_lshl_add_u64 v[36:37], v[54:55], 2, v[52:53]
	global_store_dword v[36:37], v38, off
.LBB82_123:
	s_or_b64 exec, exec, s[18:19]
	v_add_u32_e32 v40, 64, v72
	v_mad_i64_i32 v[36:37], s[26:27], v40, s30, 0
	v_cmp_gt_i32_e64 s[18:19], s21, v40
	v_lshl_add_u64 v[38:39], v[36:37], 2, s[24:25]
	v_mad_i64_i32 v[36:37], s[26:27], v40, s29, 0
	v_lshl_add_u64 v[36:37], v[36:37], 2, s[22:23]
	s_and_b64 s[34:35], s[2:3], s[18:19]
	s_and_saveexec_b64 s[26:27], s[34:35]
	s_cbranch_execnz .LBB82_131
; %bb.124:
	s_or_b64 exec, exec, s[26:27]
	s_and_b64 s[34:35], s[4:5], s[18:19]
	s_and_saveexec_b64 s[26:27], s[34:35]
	s_cbranch_execnz .LBB82_135
.LBB82_125:
	s_or_b64 exec, exec, s[26:27]
	s_and_b64 s[34:35], s[6:7], s[18:19]
	s_and_saveexec_b64 s[26:27], s[34:35]
	s_cbranch_execnz .LBB82_139
.LBB82_126:
	s_or_b64 exec, exec, s[26:27]
	s_and_b64 s[34:35], s[8:9], s[18:19]
	s_and_saveexec_b64 s[26:27], s[34:35]
	s_cbranch_execnz .LBB82_143
.LBB82_127:
	s_or_b64 exec, exec, s[26:27]
	s_and_b64 s[34:35], s[10:11], s[18:19]
	s_and_saveexec_b64 s[26:27], s[34:35]
	s_cbranch_execnz .LBB82_147
.LBB82_128:
	s_or_b64 exec, exec, s[26:27]
	s_and_b64 s[34:35], s[12:13], s[18:19]
	s_and_saveexec_b64 s[26:27], s[34:35]
	s_cbranch_execnz .LBB82_151
.LBB82_129:
	s_or_b64 exec, exec, s[26:27]
	s_and_b64 s[34:35], s[14:15], s[18:19]
	s_and_saveexec_b64 s[26:27], s[34:35]
	s_cbranch_execnz .LBB82_155
.LBB82_130:
	s_or_b64 exec, exec, s[26:27]
	s_and_b64 s[26:27], s[16:17], s[18:19]
	s_and_saveexec_b64 s[18:19], s[26:27]
	s_cbranch_execnz .LBB82_159
	s_branch .LBB82_163
.LBB82_131:
	s_and_b64 vcc, exec, s[0:1]
	s_cbranch_vccnz .LBB82_133
; %bb.132:
	v_lshl_add_u64 v[40:41], v[0:1], 2, v[38:39]
	global_load_dword v40, v[40:41], off
	s_waitcnt vmcnt(0)
	v_mul_f32_e32 v40, s28, v40
	s_branch .LBB82_134
.LBB82_133:
	v_mov_b32_e32 v40, 0
.LBB82_134:
	v_add_f32_e32 v34, v34, v35
	v_add_f32_e32 v40, v34, v40
	v_lshl_add_u64 v[34:35], v[0:1], 2, v[36:37]
	global_store_dword v[34:35], v40, off
	s_or_b64 exec, exec, s[26:27]
	s_and_b64 s[34:35], s[4:5], s[18:19]
	s_and_saveexec_b64 s[26:27], s[34:35]
	s_cbranch_execz .LBB82_125
.LBB82_135:
	s_and_b64 vcc, exec, s[0:1]
	s_cbranch_vccnz .LBB82_137
; %bb.136:
	v_lshl_add_u64 v[34:35], v[2:3], 2, v[38:39]
	global_load_dword v34, v[34:35], off
	s_waitcnt vmcnt(0)
	v_mul_f32_e32 v34, s28, v34
	s_branch .LBB82_138
.LBB82_137:
	v_mov_b32_e32 v34, 0
.LBB82_138:
	v_add_f32_e32 v32, v32, v33
	v_add_f32_e32 v34, v32, v34
	v_lshl_add_u64 v[32:33], v[2:3], 2, v[36:37]
	global_store_dword v[32:33], v34, off
	s_or_b64 exec, exec, s[26:27]
	s_and_b64 s[34:35], s[6:7], s[18:19]
	s_and_saveexec_b64 s[26:27], s[34:35]
	s_cbranch_execz .LBB82_126
.LBB82_139:
	s_and_b64 vcc, exec, s[0:1]
	s_cbranch_vccnz .LBB82_141
; %bb.140:
	v_lshl_add_u64 v[32:33], v[64:65], 2, v[38:39]
	global_load_dword v32, v[32:33], off
	s_waitcnt vmcnt(0)
	v_mul_f32_e32 v32, s28, v32
	s_branch .LBB82_142
.LBB82_141:
	v_mov_b32_e32 v32, 0
.LBB82_142:
	v_add_f32_e32 v30, v30, v31
	v_add_f32_e32 v32, v30, v32
	v_lshl_add_u64 v[30:31], v[64:65], 2, v[36:37]
	global_store_dword v[30:31], v32, off
	s_or_b64 exec, exec, s[26:27]
	s_and_b64 s[34:35], s[8:9], s[18:19]
	s_and_saveexec_b64 s[26:27], s[34:35]
	s_cbranch_execz .LBB82_127
.LBB82_143:
	s_and_b64 vcc, exec, s[0:1]
	s_cbranch_vccnz .LBB82_145
; %bb.144:
	v_lshl_add_u64 v[30:31], v[62:63], 2, v[38:39]
	global_load_dword v30, v[30:31], off
	s_waitcnt vmcnt(0)
	v_mul_f32_e32 v30, s28, v30
	s_branch .LBB82_146
.LBB82_145:
	v_mov_b32_e32 v30, 0
.LBB82_146:
	v_add_f32_e32 v28, v28, v29
	v_add_f32_e32 v30, v28, v30
	v_lshl_add_u64 v[28:29], v[62:63], 2, v[36:37]
	global_store_dword v[28:29], v30, off
	s_or_b64 exec, exec, s[26:27]
	s_and_b64 s[34:35], s[10:11], s[18:19]
	s_and_saveexec_b64 s[26:27], s[34:35]
	s_cbranch_execz .LBB82_128
.LBB82_147:
	s_and_b64 vcc, exec, s[0:1]
	s_cbranch_vccnz .LBB82_149
; %bb.148:
	v_lshl_add_u64 v[28:29], v[60:61], 2, v[38:39]
	global_load_dword v28, v[28:29], off
	s_waitcnt vmcnt(0)
	v_mul_f32_e32 v28, s28, v28
	s_branch .LBB82_150
.LBB82_149:
	v_mov_b32_e32 v28, 0
.LBB82_150:
	v_add_f32_e32 v26, v26, v27
	v_add_f32_e32 v28, v26, v28
	v_lshl_add_u64 v[26:27], v[60:61], 2, v[36:37]
	global_store_dword v[26:27], v28, off
	s_or_b64 exec, exec, s[26:27]
	s_and_b64 s[34:35], s[12:13], s[18:19]
	s_and_saveexec_b64 s[26:27], s[34:35]
	s_cbranch_execz .LBB82_129
.LBB82_151:
	s_and_b64 vcc, exec, s[0:1]
	s_cbranch_vccnz .LBB82_153
; %bb.152:
	v_lshl_add_u64 v[26:27], v[58:59], 2, v[38:39]
	global_load_dword v26, v[26:27], off
	s_waitcnt vmcnt(0)
	v_mul_f32_e32 v26, s28, v26
	s_branch .LBB82_154
.LBB82_153:
	v_mov_b32_e32 v26, 0
.LBB82_154:
	v_add_f32_e32 v24, v24, v25
	v_add_f32_e32 v26, v24, v26
	v_lshl_add_u64 v[24:25], v[58:59], 2, v[36:37]
	global_store_dword v[24:25], v26, off
	s_or_b64 exec, exec, s[26:27]
	s_and_b64 s[34:35], s[14:15], s[18:19]
	s_and_saveexec_b64 s[26:27], s[34:35]
	s_cbranch_execz .LBB82_130
.LBB82_155:
	s_and_b64 vcc, exec, s[0:1]
	s_cbranch_vccnz .LBB82_157
; %bb.156:
	v_lshl_add_u64 v[24:25], v[56:57], 2, v[38:39]
	global_load_dword v24, v[24:25], off
	s_waitcnt vmcnt(0)
	v_mul_f32_e32 v24, s28, v24
	s_branch .LBB82_158
.LBB82_157:
	v_mov_b32_e32 v24, 0
.LBB82_158:
	v_add_f32_e32 v22, v22, v23
	v_add_f32_e32 v24, v22, v24
	v_lshl_add_u64 v[22:23], v[56:57], 2, v[36:37]
	global_store_dword v[22:23], v24, off
	s_or_b64 exec, exec, s[26:27]
	s_and_b64 s[26:27], s[16:17], s[18:19]
	s_and_saveexec_b64 s[18:19], s[26:27]
	s_cbranch_execz .LBB82_163
.LBB82_159:
	s_and_b64 vcc, exec, s[0:1]
	s_cbranch_vccnz .LBB82_161
; %bb.160:
	v_lshl_add_u64 v[22:23], v[54:55], 2, v[38:39]
	global_load_dword v22, v[22:23], off
	s_waitcnt vmcnt(0)
	v_mul_f32_e32 v22, s28, v22
	s_branch .LBB82_162
.LBB82_161:
	v_mov_b32_e32 v22, 0
.LBB82_162:
	v_add_f32_e32 v20, v20, v21
	v_add_f32_e32 v22, v20, v22
	v_lshl_add_u64 v[20:21], v[54:55], 2, v[36:37]
	global_store_dword v[20:21], v22, off
.LBB82_163:
	s_or_b64 exec, exec, s[18:19]
	v_add_u32_e32 v24, 0x60, v72
	v_cmp_gt_i32_e64 s[18:19], s21, v24
	v_mad_i64_i32 v[20:21], s[20:21], v24, s30, 0
	v_lshl_add_u64 v[22:23], v[20:21], 2, s[24:25]
	v_mad_i64_i32 v[20:21], s[20:21], v24, s29, 0
	v_lshl_add_u64 v[20:21], v[20:21], 2, s[22:23]
	s_and_b64 s[20:21], s[2:3], s[18:19]
	s_and_saveexec_b64 s[2:3], s[20:21]
	s_cbranch_execnz .LBB82_172
; %bb.164:
	s_or_b64 exec, exec, s[2:3]
	s_and_b64 s[4:5], s[4:5], s[18:19]
	s_and_saveexec_b64 s[2:3], s[4:5]
	s_cbranch_execnz .LBB82_176
.LBB82_165:
	s_or_b64 exec, exec, s[2:3]
	s_and_b64 s[4:5], s[6:7], s[18:19]
	s_and_saveexec_b64 s[2:3], s[4:5]
	s_cbranch_execnz .LBB82_180
.LBB82_166:
	s_or_b64 exec, exec, s[2:3]
	s_and_b64 s[4:5], s[8:9], s[18:19]
	s_and_saveexec_b64 s[2:3], s[4:5]
	s_cbranch_execnz .LBB82_184
.LBB82_167:
	s_or_b64 exec, exec, s[2:3]
	s_and_b64 s[4:5], s[10:11], s[18:19]
	s_and_saveexec_b64 s[2:3], s[4:5]
	s_cbranch_execnz .LBB82_188
.LBB82_168:
	s_or_b64 exec, exec, s[2:3]
	s_and_b64 s[4:5], s[12:13], s[18:19]
	s_and_saveexec_b64 s[2:3], s[4:5]
	s_cbranch_execnz .LBB82_192
.LBB82_169:
	s_or_b64 exec, exec, s[2:3]
	s_and_b64 s[4:5], s[14:15], s[18:19]
	s_and_saveexec_b64 s[2:3], s[4:5]
	s_cbranch_execnz .LBB82_196
.LBB82_170:
	s_or_b64 exec, exec, s[2:3]
	s_and_b64 s[2:3], s[16:17], s[18:19]
	s_and_saveexec_b64 s[4:5], s[2:3]
	s_cbranch_execnz .LBB82_200
.LBB82_171:
	s_endpgm
.LBB82_172:
	s_and_b64 vcc, exec, s[0:1]
	s_cbranch_vccnz .LBB82_174
; %bb.173:
	v_lshl_add_u64 v[24:25], v[0:1], 2, v[22:23]
	global_load_dword v24, v[24:25], off
	s_waitcnt vmcnt(0)
	v_mul_f32_e32 v24, s28, v24
	s_branch .LBB82_175
.LBB82_174:
	v_mov_b32_e32 v24, 0
.LBB82_175:
	v_add_f32_e32 v18, v18, v19
	v_add_f32_e32 v18, v18, v24
	v_lshl_add_u64 v[0:1], v[0:1], 2, v[20:21]
	global_store_dword v[0:1], v18, off
	s_or_b64 exec, exec, s[2:3]
	s_and_b64 s[4:5], s[4:5], s[18:19]
	s_and_saveexec_b64 s[2:3], s[4:5]
	s_cbranch_execz .LBB82_165
.LBB82_176:
	s_and_b64 vcc, exec, s[0:1]
	s_cbranch_vccnz .LBB82_178
; %bb.177:
	v_lshl_add_u64 v[0:1], v[2:3], 2, v[22:23]
	global_load_dword v0, v[0:1], off
	s_waitcnt vmcnt(0)
	v_mul_f32_e32 v0, s28, v0
	s_branch .LBB82_179
.LBB82_178:
	v_mov_b32_e32 v0, 0
.LBB82_179:
	v_add_f32_e32 v1, v16, v17
	v_add_f32_e32 v16, v1, v0
	v_lshl_add_u64 v[0:1], v[2:3], 2, v[20:21]
	global_store_dword v[0:1], v16, off
	s_or_b64 exec, exec, s[2:3]
	s_and_b64 s[4:5], s[6:7], s[18:19]
	s_and_saveexec_b64 s[2:3], s[4:5]
	s_cbranch_execz .LBB82_166
.LBB82_180:
	s_and_b64 vcc, exec, s[0:1]
	s_cbranch_vccnz .LBB82_182
; %bb.181:
	v_lshl_add_u64 v[0:1], v[64:65], 2, v[22:23]
	global_load_dword v0, v[0:1], off
	s_waitcnt vmcnt(0)
	v_mul_f32_e32 v0, s28, v0
	s_branch .LBB82_183
.LBB82_182:
	v_mov_b32_e32 v0, 0
.LBB82_183:
	v_add_f32_e32 v1, v14, v15
	v_add_f32_e32 v2, v1, v0
	v_lshl_add_u64 v[0:1], v[64:65], 2, v[20:21]
	global_store_dword v[0:1], v2, off
	s_or_b64 exec, exec, s[2:3]
	s_and_b64 s[4:5], s[8:9], s[18:19]
	s_and_saveexec_b64 s[2:3], s[4:5]
	s_cbranch_execz .LBB82_167
.LBB82_184:
	s_and_b64 vcc, exec, s[0:1]
	s_cbranch_vccnz .LBB82_186
; %bb.185:
	v_lshl_add_u64 v[0:1], v[62:63], 2, v[22:23]
	global_load_dword v0, v[0:1], off
	s_waitcnt vmcnt(0)
	v_mul_f32_e32 v0, s28, v0
	s_branch .LBB82_187
.LBB82_186:
	v_mov_b32_e32 v0, 0
.LBB82_187:
	v_add_f32_e32 v1, v12, v13
	v_add_f32_e32 v2, v1, v0
	v_lshl_add_u64 v[0:1], v[62:63], 2, v[20:21]
	global_store_dword v[0:1], v2, off
	s_or_b64 exec, exec, s[2:3]
	s_and_b64 s[4:5], s[10:11], s[18:19]
	s_and_saveexec_b64 s[2:3], s[4:5]
	s_cbranch_execz .LBB82_168
.LBB82_188:
	s_and_b64 vcc, exec, s[0:1]
	s_cbranch_vccnz .LBB82_190
; %bb.189:
	v_lshl_add_u64 v[0:1], v[60:61], 2, v[22:23]
	global_load_dword v0, v[0:1], off
	s_waitcnt vmcnt(0)
	v_mul_f32_e32 v0, s28, v0
	s_branch .LBB82_191
.LBB82_190:
	v_mov_b32_e32 v0, 0
.LBB82_191:
	v_add_f32_e32 v1, v10, v11
	v_add_f32_e32 v2, v1, v0
	v_lshl_add_u64 v[0:1], v[60:61], 2, v[20:21]
	global_store_dword v[0:1], v2, off
	s_or_b64 exec, exec, s[2:3]
	s_and_b64 s[4:5], s[12:13], s[18:19]
	s_and_saveexec_b64 s[2:3], s[4:5]
	s_cbranch_execz .LBB82_169
.LBB82_192:
	s_and_b64 vcc, exec, s[0:1]
	s_cbranch_vccnz .LBB82_194
; %bb.193:
	v_lshl_add_u64 v[0:1], v[58:59], 2, v[22:23]
	global_load_dword v0, v[0:1], off
	s_waitcnt vmcnt(0)
	v_mul_f32_e32 v0, s28, v0
	s_branch .LBB82_195
.LBB82_194:
	v_mov_b32_e32 v0, 0
.LBB82_195:
	v_add_f32_e32 v1, v8, v9
	v_add_f32_e32 v2, v1, v0
	v_lshl_add_u64 v[0:1], v[58:59], 2, v[20:21]
	global_store_dword v[0:1], v2, off
	s_or_b64 exec, exec, s[2:3]
	s_and_b64 s[4:5], s[14:15], s[18:19]
	s_and_saveexec_b64 s[2:3], s[4:5]
	s_cbranch_execz .LBB82_170
.LBB82_196:
	s_and_b64 vcc, exec, s[0:1]
	s_cbranch_vccnz .LBB82_198
; %bb.197:
	v_lshl_add_u64 v[0:1], v[56:57], 2, v[22:23]
	global_load_dword v0, v[0:1], off
	s_waitcnt vmcnt(0)
	v_mul_f32_e32 v0, s28, v0
	s_branch .LBB82_199
.LBB82_198:
	v_mov_b32_e32 v0, 0
.LBB82_199:
	v_add_f32_e32 v1, v6, v7
	v_add_f32_e32 v2, v1, v0
	v_lshl_add_u64 v[0:1], v[56:57], 2, v[20:21]
	global_store_dword v[0:1], v2, off
	s_or_b64 exec, exec, s[2:3]
	s_and_b64 s[2:3], s[16:17], s[18:19]
	s_and_saveexec_b64 s[4:5], s[2:3]
	s_cbranch_execz .LBB82_171
.LBB82_200:
	s_and_b64 vcc, exec, s[0:1]
	s_cbranch_vccnz .LBB82_202
; %bb.201:
	v_lshl_add_u64 v[0:1], v[54:55], 2, v[22:23]
	global_load_dword v0, v[0:1], off
	s_waitcnt vmcnt(0)
	v_mul_f32_e32 v0, s28, v0
	s_branch .LBB82_203
.LBB82_202:
	v_mov_b32_e32 v0, 0
.LBB82_203:
	v_add_f32_e32 v1, v4, v5
	v_add_f32_e32 v2, v1, v0
	v_lshl_add_u64 v[0:1], v[54:55], 2, v[20:21]
	global_store_dword v[0:1], v2, off
	s_endpgm
	.section	.rodata,"a",@progbits
	.p2align	6, 0x0
	.amdhsa_kernel _ZN12_GLOBAL__N_120geam_min_plus_kernelIf15HIP_vector_typeIfLj2EES2_Li8ELi32ELi64ELi128ELi4ELi64ELi4ELi4ELi64ELc78ELc78ELb1ELb1ELb0EfKffEEviiiT16_PT17_ilS6_ilS4_S6_ilPT18_ili26rocblas_geam_ex_operation_
		.amdhsa_group_segment_fixed_size 6144
		.amdhsa_private_segment_fixed_size 0
		.amdhsa_kernarg_size 128
		.amdhsa_user_sgpr_count 2
		.amdhsa_user_sgpr_dispatch_ptr 0
		.amdhsa_user_sgpr_queue_ptr 0
		.amdhsa_user_sgpr_kernarg_segment_ptr 1
		.amdhsa_user_sgpr_dispatch_id 0
		.amdhsa_user_sgpr_kernarg_preload_length 0
		.amdhsa_user_sgpr_kernarg_preload_offset 0
		.amdhsa_user_sgpr_private_segment_size 0
		.amdhsa_uses_dynamic_stack 0
		.amdhsa_enable_private_segment 0
		.amdhsa_system_sgpr_workgroup_id_x 1
		.amdhsa_system_sgpr_workgroup_id_y 0
		.amdhsa_system_sgpr_workgroup_id_z 1
		.amdhsa_system_sgpr_workgroup_info 0
		.amdhsa_system_vgpr_workitem_id 1
		.amdhsa_next_free_vgpr 117
		.amdhsa_next_free_sgpr 36
		.amdhsa_accum_offset 120
		.amdhsa_reserve_vcc 1
		.amdhsa_float_round_mode_32 0
		.amdhsa_float_round_mode_16_64 0
		.amdhsa_float_denorm_mode_32 3
		.amdhsa_float_denorm_mode_16_64 3
		.amdhsa_dx10_clamp 1
		.amdhsa_ieee_mode 1
		.amdhsa_fp16_overflow 0
		.amdhsa_tg_split 0
		.amdhsa_exception_fp_ieee_invalid_op 0
		.amdhsa_exception_fp_denorm_src 0
		.amdhsa_exception_fp_ieee_div_zero 0
		.amdhsa_exception_fp_ieee_overflow 0
		.amdhsa_exception_fp_ieee_underflow 0
		.amdhsa_exception_fp_ieee_inexact 0
		.amdhsa_exception_int_div_zero 0
	.end_amdhsa_kernel
	.section	.text._ZN12_GLOBAL__N_120geam_min_plus_kernelIf15HIP_vector_typeIfLj2EES2_Li8ELi32ELi64ELi128ELi4ELi64ELi4ELi4ELi64ELc78ELc78ELb1ELb1ELb0EfKffEEviiiT16_PT17_ilS6_ilS4_S6_ilPT18_ili26rocblas_geam_ex_operation_,"axG",@progbits,_ZN12_GLOBAL__N_120geam_min_plus_kernelIf15HIP_vector_typeIfLj2EES2_Li8ELi32ELi64ELi128ELi4ELi64ELi4ELi4ELi64ELc78ELc78ELb1ELb1ELb0EfKffEEviiiT16_PT17_ilS6_ilS4_S6_ilPT18_ili26rocblas_geam_ex_operation_,comdat
.Lfunc_end82:
	.size	_ZN12_GLOBAL__N_120geam_min_plus_kernelIf15HIP_vector_typeIfLj2EES2_Li8ELi32ELi64ELi128ELi4ELi64ELi4ELi4ELi64ELc78ELc78ELb1ELb1ELb0EfKffEEviiiT16_PT17_ilS6_ilS4_S6_ilPT18_ili26rocblas_geam_ex_operation_, .Lfunc_end82-_ZN12_GLOBAL__N_120geam_min_plus_kernelIf15HIP_vector_typeIfLj2EES2_Li8ELi32ELi64ELi128ELi4ELi64ELi4ELi4ELi64ELc78ELc78ELb1ELb1ELb0EfKffEEviiiT16_PT17_ilS6_ilS4_S6_ilPT18_ili26rocblas_geam_ex_operation_
                                        ; -- End function
	.set _ZN12_GLOBAL__N_120geam_min_plus_kernelIf15HIP_vector_typeIfLj2EES2_Li8ELi32ELi64ELi128ELi4ELi64ELi4ELi4ELi64ELc78ELc78ELb1ELb1ELb0EfKffEEviiiT16_PT17_ilS6_ilS4_S6_ilPT18_ili26rocblas_geam_ex_operation_.num_vgpr, 117
	.set _ZN12_GLOBAL__N_120geam_min_plus_kernelIf15HIP_vector_typeIfLj2EES2_Li8ELi32ELi64ELi128ELi4ELi64ELi4ELi4ELi64ELc78ELc78ELb1ELb1ELb0EfKffEEviiiT16_PT17_ilS6_ilS4_S6_ilPT18_ili26rocblas_geam_ex_operation_.num_agpr, 0
	.set _ZN12_GLOBAL__N_120geam_min_plus_kernelIf15HIP_vector_typeIfLj2EES2_Li8ELi32ELi64ELi128ELi4ELi64ELi4ELi4ELi64ELc78ELc78ELb1ELb1ELb0EfKffEEviiiT16_PT17_ilS6_ilS4_S6_ilPT18_ili26rocblas_geam_ex_operation_.numbered_sgpr, 36
	.set _ZN12_GLOBAL__N_120geam_min_plus_kernelIf15HIP_vector_typeIfLj2EES2_Li8ELi32ELi64ELi128ELi4ELi64ELi4ELi4ELi64ELc78ELc78ELb1ELb1ELb0EfKffEEviiiT16_PT17_ilS6_ilS4_S6_ilPT18_ili26rocblas_geam_ex_operation_.num_named_barrier, 0
	.set _ZN12_GLOBAL__N_120geam_min_plus_kernelIf15HIP_vector_typeIfLj2EES2_Li8ELi32ELi64ELi128ELi4ELi64ELi4ELi4ELi64ELc78ELc78ELb1ELb1ELb0EfKffEEviiiT16_PT17_ilS6_ilS4_S6_ilPT18_ili26rocblas_geam_ex_operation_.private_seg_size, 0
	.set _ZN12_GLOBAL__N_120geam_min_plus_kernelIf15HIP_vector_typeIfLj2EES2_Li8ELi32ELi64ELi128ELi4ELi64ELi4ELi4ELi64ELc78ELc78ELb1ELb1ELb0EfKffEEviiiT16_PT17_ilS6_ilS4_S6_ilPT18_ili26rocblas_geam_ex_operation_.uses_vcc, 1
	.set _ZN12_GLOBAL__N_120geam_min_plus_kernelIf15HIP_vector_typeIfLj2EES2_Li8ELi32ELi64ELi128ELi4ELi64ELi4ELi4ELi64ELc78ELc78ELb1ELb1ELb0EfKffEEviiiT16_PT17_ilS6_ilS4_S6_ilPT18_ili26rocblas_geam_ex_operation_.uses_flat_scratch, 0
	.set _ZN12_GLOBAL__N_120geam_min_plus_kernelIf15HIP_vector_typeIfLj2EES2_Li8ELi32ELi64ELi128ELi4ELi64ELi4ELi4ELi64ELc78ELc78ELb1ELb1ELb0EfKffEEviiiT16_PT17_ilS6_ilS4_S6_ilPT18_ili26rocblas_geam_ex_operation_.has_dyn_sized_stack, 0
	.set _ZN12_GLOBAL__N_120geam_min_plus_kernelIf15HIP_vector_typeIfLj2EES2_Li8ELi32ELi64ELi128ELi4ELi64ELi4ELi4ELi64ELc78ELc78ELb1ELb1ELb0EfKffEEviiiT16_PT17_ilS6_ilS4_S6_ilPT18_ili26rocblas_geam_ex_operation_.has_recursion, 0
	.set _ZN12_GLOBAL__N_120geam_min_plus_kernelIf15HIP_vector_typeIfLj2EES2_Li8ELi32ELi64ELi128ELi4ELi64ELi4ELi4ELi64ELc78ELc78ELb1ELb1ELb0EfKffEEviiiT16_PT17_ilS6_ilS4_S6_ilPT18_ili26rocblas_geam_ex_operation_.has_indirect_call, 0
	.section	.AMDGPU.csdata,"",@progbits
; Kernel info:
; codeLenInByte = 7844
; TotalNumSgprs: 42
; NumVgprs: 117
; NumAgprs: 0
; TotalNumVgprs: 117
; ScratchSize: 0
; MemoryBound: 0
; FloatMode: 240
; IeeeMode: 1
; LDSByteSize: 6144 bytes/workgroup (compile time only)
; SGPRBlocks: 5
; VGPRBlocks: 14
; NumSGPRsForWavesPerEU: 42
; NumVGPRsForWavesPerEU: 117
; AccumOffset: 120
; Occupancy: 4
; WaveLimiterHint : 0
; COMPUTE_PGM_RSRC2:SCRATCH_EN: 0
; COMPUTE_PGM_RSRC2:USER_SGPR: 2
; COMPUTE_PGM_RSRC2:TRAP_HANDLER: 0
; COMPUTE_PGM_RSRC2:TGID_X_EN: 1
; COMPUTE_PGM_RSRC2:TGID_Y_EN: 0
; COMPUTE_PGM_RSRC2:TGID_Z_EN: 1
; COMPUTE_PGM_RSRC2:TIDIG_COMP_CNT: 1
; COMPUTE_PGM_RSRC3_GFX90A:ACCUM_OFFSET: 29
; COMPUTE_PGM_RSRC3_GFX90A:TG_SPLIT: 0
	.section	.text._ZN12_GLOBAL__N_120geam_min_plus_kernelIf15HIP_vector_typeIfLj2EES2_Li8ELi32ELi64ELi128ELi4ELi64ELi4ELi4ELi64ELc78ELc78ELb0ELb1ELb0EfKffEEviiiT16_PT17_ilS6_ilS4_S6_ilPT18_ili26rocblas_geam_ex_operation_,"axG",@progbits,_ZN12_GLOBAL__N_120geam_min_plus_kernelIf15HIP_vector_typeIfLj2EES2_Li8ELi32ELi64ELi128ELi4ELi64ELi4ELi4ELi64ELc78ELc78ELb0ELb1ELb0EfKffEEviiiT16_PT17_ilS6_ilS4_S6_ilPT18_ili26rocblas_geam_ex_operation_,comdat
	.globl	_ZN12_GLOBAL__N_120geam_min_plus_kernelIf15HIP_vector_typeIfLj2EES2_Li8ELi32ELi64ELi128ELi4ELi64ELi4ELi4ELi64ELc78ELc78ELb0ELb1ELb0EfKffEEviiiT16_PT17_ilS6_ilS4_S6_ilPT18_ili26rocblas_geam_ex_operation_ ; -- Begin function _ZN12_GLOBAL__N_120geam_min_plus_kernelIf15HIP_vector_typeIfLj2EES2_Li8ELi32ELi64ELi128ELi4ELi64ELi4ELi4ELi64ELc78ELc78ELb0ELb1ELb0EfKffEEviiiT16_PT17_ilS6_ilS4_S6_ilPT18_ili26rocblas_geam_ex_operation_
	.p2align	8
	.type	_ZN12_GLOBAL__N_120geam_min_plus_kernelIf15HIP_vector_typeIfLj2EES2_Li8ELi32ELi64ELi128ELi4ELi64ELi4ELi4ELi64ELc78ELc78ELb0ELb1ELb0EfKffEEviiiT16_PT17_ilS6_ilS4_S6_ilPT18_ili26rocblas_geam_ex_operation_,@function
_ZN12_GLOBAL__N_120geam_min_plus_kernelIf15HIP_vector_typeIfLj2EES2_Li8ELi32ELi64ELi128ELi4ELi64ELi4ELi4ELi64ELc78ELc78ELb0ELb1ELb0EfKffEEviiiT16_PT17_ilS6_ilS4_S6_ilPT18_ili26rocblas_geam_ex_operation_: ; @_ZN12_GLOBAL__N_120geam_min_plus_kernelIf15HIP_vector_typeIfLj2EES2_Li8ELi32ELi64ELi128ELi4ELi64ELi4ELi4ELi64ELc78ELc78ELb0ELb1ELb0EfKffEEviiiT16_PT17_ilS6_ilS4_S6_ilPT18_ili26rocblas_geam_ex_operation_
; %bb.0:
	s_load_dwordx4 s[20:23], s[0:1], 0x0
	s_load_dwordx4 s[4:7], s[0:1], 0x20
	s_waitcnt lgkmcnt(0)
	v_cmp_eq_f32_e64 s[8:9], s23, 0
	v_cmp_neq_f32_e64 s[14:15], s23, 0
	s_and_b64 vcc, exec, s[8:9]
	s_cbranch_vccnz .LBB83_45
; %bb.1:
	s_load_dwordx2 s[10:11], s[0:1], 0x10
	s_mul_i32 s5, s5, s3
	s_mul_hi_u32 s12, s4, s3
	s_add_i32 s5, s12, s5
	s_mul_i32 s4, s4, s3
	s_lshl_b64 s[4:5], s[4:5], 2
	s_waitcnt lgkmcnt(0)
	s_add_u32 s18, s10, s4
	s_addc_u32 s19, s11, s5
	s_andn2_b64 vcc, exec, s[8:9]
	s_mov_b64 s[4:5], -1
	s_cbranch_vccnz .LBB83_3
.LBB83_2:
	s_mov_b64 s[4:5], 0
.LBB83_3:
	s_mov_b64 s[24:25], 0
	s_andn2_b64 vcc, exec, s[4:5]
	s_mov_b64 s[16:17], 0
	s_cbranch_vccnz .LBB83_5
; %bb.4:
	s_load_dwordx2 s[4:5], s[0:1], 0x38
	s_waitcnt lgkmcnt(0)
	s_mul_i32 s5, s5, s3
	s_mul_hi_u32 s8, s4, s3
	s_add_i32 s5, s8, s5
	s_mul_i32 s4, s4, s3
	s_lshl_b64 s[4:5], s[4:5], 2
	s_add_u32 s16, s6, s4
	s_addc_u32 s17, s7, s5
.LBB83_5:
	s_load_dword s28, s[0:1], 0x40
	s_load_dwordx4 s[8:11], s[0:1], 0x58
	s_waitcnt lgkmcnt(0)
	v_cmp_eq_f32_e64 s[4:5], s28, 0
	v_cmp_neq_f32_e64 s[12:13], s28, 0
	s_and_b64 vcc, exec, s[4:5]
	s_cbranch_vccnz .LBB83_7
; %bb.6:
	s_load_dwordx2 s[4:5], s[0:1], 0x48
	s_mul_i32 s6, s9, s3
	s_mul_hi_u32 s7, s8, s3
	s_add_i32 s7, s7, s6
	s_mul_i32 s6, s8, s3
	s_lshl_b64 s[6:7], s[6:7], 2
	s_waitcnt lgkmcnt(0)
	s_add_u32 s24, s4, s6
	s_addc_u32 s25, s5, s7
.LBB83_7:
	s_add_i32 s4, s20, -1
	s_ashr_i32 s5, s4, 31
	s_lshr_b32 s5, s5, 26
	s_add_i32 s4, s4, s5
	s_ashr_i32 s4, s4, 6
	s_add_i32 s5, s4, 1
	v_cvt_f32_u32_e32 v1, s5
	s_not_b32 s4, s4
	s_load_dword s30, s[0:1], 0x18
	v_and_b32_e32 v74, 0x3ff, v0
	v_rcp_iflag_f32_e32 v1, v1
	v_bfe_u32 v75, v0, 10, 10
	v_lshl_add_u32 v0, v75, 3, v74
	s_waitcnt lgkmcnt(0)
	s_ashr_i32 s31, s30, 31
	v_mul_f32_e32 v1, 0x4f7ffffe, v1
	v_cvt_u32_f32_e32 v1, v1
	v_and_b32_e32 v2, 63, v0
	v_lshrrev_b32_e32 v76, 6, v0
	v_cmp_gt_i32_e32 vcc, s22, v76
	v_readfirstlane_b32 s6, v1
	s_mul_i32 s4, s4, s6
	s_mul_hi_u32 s4, s6, s4
	s_add_i32 s6, s6, s4
	s_mul_hi_u32 s4, s2, s6
	s_mul_i32 s6, s4, s5
	s_sub_i32 s6, s2, s6
	s_add_i32 s7, s4, 1
	s_sub_i32 s8, s6, s5
	s_cmp_ge_u32 s6, s5
	s_cselect_b32 s4, s7, s4
	s_cselect_b32 s6, s8, s6
	s_add_i32 s7, s4, 1
	s_cmp_ge_u32 s6, s5
	s_cselect_b32 s8, s7, s4
	s_mul_i32 s4, s8, s5
	s_sub_i32 s2, s2, s4
	s_lshl_b32 s2, s2, 6
	v_or_b32_e32 v68, s2, v2
	v_cmp_gt_i32_e64 s[4:5], s20, v68
	s_and_b64 s[6:7], vcc, s[4:5]
	s_and_b64 s[26:27], s[14:15], s[6:7]
	v_mov_b32_e32 v3, 0
	v_ashrrev_i32_e32 v69, 31, v68
	v_mov_b32_e32 v4, 0
	s_and_saveexec_b64 s[6:7], s[26:27]
	s_cbranch_execz .LBB83_9
; %bb.8:
	v_mad_i64_i32 v[4:5], s[26:27], s30, v76, 0
	v_lshl_add_u64 v[4:5], v[4:5], 2, s[18:19]
	v_lshl_add_u64 v[4:5], v[68:69], 2, v[4:5]
	global_load_dword v1, v[4:5], off
	s_waitcnt vmcnt(0)
	v_mul_f32_e32 v4, s23, v1
.LBB83_9:
	s_or_b64 exec, exec, s[6:7]
	s_load_dword s34, s[0:1], 0x30
	v_lshrrev_b32_e32 v71, 2, v0
	s_lshl_b32 s29, s8, 7
	v_and_b32_e32 v77, 3, v74
	v_add_u32_e32 v70, s29, v71
	s_add_i32 s33, s22, -1
	v_min_i32_e32 v0, s33, v77
	v_cmp_le_i32_e64 s[6:7], s21, v70
	s_xor_b64 s[26:27], s[14:15], -1
	v_cmp_le_i32_e32 vcc, s22, v77
	v_ashrrev_i32_e32 v1, 31, v0
	s_or_b64 s[8:9], s[6:7], s[26:27]
	v_lshl_add_u64 v[0:1], v[0:1], 2, s[16:17]
	s_nor_b64 s[36:37], vcc, s[8:9]
	s_and_saveexec_b64 s[6:7], s[36:37]
	s_cbranch_execz .LBB83_11
; %bb.10:
	s_waitcnt lgkmcnt(0)
	v_mad_i64_i32 v[6:7], s[36:37], v70, s34, 0
	v_lshl_add_u64 v[6:7], v[6:7], 2, v[0:1]
	global_load_dword v3, v[6:7], off
	s_waitcnt vmcnt(0)
	v_mul_f32_e32 v3, s23, v3
.LBB83_11:
	s_or_b64 exec, exec, s[6:7]
	v_add_u32_e32 v72, 64, v70
	v_cmp_le_i32_e64 s[6:7], s21, v72
	s_or_b64 s[6:7], s[6:7], s[26:27]
	s_nor_b64 s[36:37], vcc, s[6:7]
	v_mov_b32_e32 v73, 0
	v_mov_b32_e32 v5, 0
	s_and_saveexec_b64 s[26:27], s[36:37]
	s_cbranch_execz .LBB83_13
; %bb.12:
	s_waitcnt lgkmcnt(0)
	v_mad_i64_i32 v[6:7], s[36:37], v72, s34, 0
	v_lshl_add_u64 v[0:1], v[6:7], 2, v[0:1]
	global_load_dword v0, v[0:1], off
	s_waitcnt vmcnt(0)
	v_mul_f32_e32 v5, s23, v0
.LBB83_13:
	s_or_b64 exec, exec, s[26:27]
	v_add_u32_e32 v0, 4, v76
	v_cmp_gt_i32_e32 vcc, s22, v0
	s_and_b64 s[26:27], s[4:5], vcc
	s_and_b64 s[36:37], s[14:15], s[26:27]
	s_and_saveexec_b64 s[26:27], s[36:37]
	s_cbranch_execz .LBB83_15
; %bb.14:
	v_mad_u64_u32 v[6:7], s[36:37], s30, v0, 0
	v_mov_b32_e32 v8, v7
	v_mad_u64_u32 v[0:1], s[36:37], s31, v0, v[8:9]
	v_mov_b32_e32 v7, v0
	v_lshl_add_u64 v[0:1], v[6:7], 2, s[18:19]
	v_lshl_add_u64 v[0:1], v[68:69], 2, v[0:1]
	global_load_dword v0, v[0:1], off
	s_waitcnt vmcnt(0)
	v_mul_f32_e32 v73, s23, v0
.LBB83_15:
	s_or_b64 exec, exec, s[26:27]
	v_or_b32_e32 v0, 4, v77
	v_cmp_le_i32_e32 vcc, s22, v0
	v_min_i32_e32 v0, s33, v0
	v_ashrrev_i32_e32 v1, 31, v0
	v_lshl_add_u64 v[0:1], v[0:1], 2, s[16:17]
	s_nor_b64 s[36:37], vcc, s[8:9]
	v_mov_b32_e32 v82, 0
	v_mov_b32_e32 v83, 0
	s_and_saveexec_b64 s[26:27], s[36:37]
	s_cbranch_execz .LBB83_17
; %bb.16:
	s_waitcnt lgkmcnt(0)
	v_mad_i64_i32 v[6:7], s[36:37], v70, s34, 0
	v_lshl_add_u64 v[6:7], v[6:7], 2, v[0:1]
	global_load_dword v6, v[6:7], off
	s_waitcnt vmcnt(0)
	v_mul_f32_e32 v83, s23, v6
.LBB83_17:
	s_or_b64 exec, exec, s[26:27]
	s_nor_b64 s[36:37], vcc, s[6:7]
	s_and_saveexec_b64 s[26:27], s[36:37]
	s_cbranch_execz .LBB83_19
; %bb.18:
	s_waitcnt lgkmcnt(0)
	v_mad_i64_i32 v[6:7], s[36:37], v72, s34, 0
	v_lshl_add_u64 v[0:1], v[6:7], 2, v[0:1]
	global_load_dword v0, v[0:1], off
	s_waitcnt vmcnt(0)
	v_mul_f32_e32 v82, s23, v0
.LBB83_19:
	s_or_b64 exec, exec, s[26:27]
	v_lshlrev_b32_e32 v0, 4, v2
	v_lshl_add_u32 v84, v76, 2, v0
	v_lshlrev_b32_e32 v0, 4, v71
	v_lshl_or_b32 v78, v77, 2, v0
	v_mov_b32_e32 v0, 0x1000
	v_mov_b32_e32 v66, 0
	ds_write_b32 v84, v4 offset:4096
	ds_write2st64_b32 v78, v3, v5 offset1:4
	v_lshl_add_u32 v79, v74, 4, v0
	s_mov_b32 s35, 0
	s_mov_b64 s[26:27], -1
	v_mov_b32_e32 v67, v66
	v_mov_b32_e32 v64, v66
	;; [unrolled: 1-line block ×63, first 2 shown]
	v_or_b32_e32 v80, 0x1000, v84
	v_lshlrev_b32_e32 v81, 4, v75
	s_waitcnt lgkmcnt(0)
	s_barrier
.LBB83_20:                              ; =>This Inner Loop Header: Depth=1
	v_cndmask_b32_e64 v0, 0, 1, s[26:27]
	s_lshl_b32 s26, s35, 2
	v_cmp_ne_u32_e32 vcc, 1, v0
	v_add_u32_e32 v0, s26, v79
	ds_read2_b64 v[86:89], v0 offset1:16
	ds_read2_b64 v[90:93], v0 offset0:32 offset1:48
	ds_read2_b64 v[94:97], v0 offset0:64 offset1:80
	ds_read2_b64 v[98:101], v0 offset0:96 offset1:112
	v_add_u32_e32 v0, s26, v81
	ds_read2st64_b64 v[102:105], v0 offset1:1
	ds_read2st64_b64 v[0:3], v0 offset0:2 offset1:3
	s_waitcnt lgkmcnt(5)
	v_max_f32_e32 v106, v87, v87
	v_max_f32_e32 v88, v88, v88
	;; [unrolled: 1-line block ×3, first 2 shown]
	s_waitcnt lgkmcnt(1)
	v_max_f32_e32 v85, v102, v102
	v_max_f32_e32 v102, v86, v86
	;; [unrolled: 1-line block ×3, first 2 shown]
	v_min_f32_e32 v86, v102, v85
	v_min_f32_e32 v87, v106, v103
	v_pk_add_f32 v[66:67], v[66:67], v[86:87]
	v_min_f32_e32 v86, v88, v85
	v_min_f32_e32 v87, v89, v103
	v_max_f32_e32 v90, v90, v90
	v_max_f32_e32 v91, v91, v91
	v_pk_add_f32 v[64:65], v[64:65], v[86:87]
	v_min_f32_e32 v86, v90, v85
	v_min_f32_e32 v87, v91, v103
	v_max_f32_e32 v92, v92, v92
	v_max_f32_e32 v93, v93, v93
	v_pk_add_f32 v[62:63], v[62:63], v[86:87]
	v_min_f32_e32 v86, v92, v85
	v_min_f32_e32 v87, v93, v103
	v_max_f32_e32 v94, v94, v94
	v_max_f32_e32 v95, v95, v95
	v_pk_add_f32 v[60:61], v[60:61], v[86:87]
	v_min_f32_e32 v86, v94, v85
	v_min_f32_e32 v87, v95, v103
	v_max_f32_e32 v96, v96, v96
	v_max_f32_e32 v97, v97, v97
	v_pk_add_f32 v[58:59], v[58:59], v[86:87]
	v_min_f32_e32 v86, v96, v85
	v_min_f32_e32 v87, v97, v103
	v_max_f32_e32 v98, v98, v98
	v_max_f32_e32 v99, v99, v99
	v_pk_add_f32 v[56:57], v[56:57], v[86:87]
	v_min_f32_e32 v86, v98, v85
	v_min_f32_e32 v87, v99, v103
	v_max_f32_e32 v100, v100, v100
	v_pk_add_f32 v[54:55], v[54:55], v[86:87]
	v_min_f32_e32 v86, v100, v85
	v_max_f32_e32 v85, v101, v101
	v_min_f32_e32 v87, v85, v103
	v_max_f32_e32 v101, v104, v104
	v_max_f32_e32 v103, v105, v105
	v_pk_add_f32 v[52:53], v[52:53], v[86:87]
	v_min_f32_e32 v86, v102, v101
	v_min_f32_e32 v87, v106, v103
	v_pk_add_f32 v[50:51], v[50:51], v[86:87]
	v_min_f32_e32 v86, v88, v101
	v_min_f32_e32 v87, v89, v103
	v_pk_add_f32 v[48:49], v[48:49], v[86:87]
	v_min_f32_e32 v86, v90, v101
	v_min_f32_e32 v87, v91, v103
	v_pk_add_f32 v[46:47], v[46:47], v[86:87]
	v_min_f32_e32 v86, v92, v101
	v_min_f32_e32 v87, v93, v103
	v_pk_add_f32 v[44:45], v[44:45], v[86:87]
	v_min_f32_e32 v86, v94, v101
	v_min_f32_e32 v87, v95, v103
	v_pk_add_f32 v[42:43], v[42:43], v[86:87]
	v_min_f32_e32 v86, v96, v101
	v_min_f32_e32 v87, v97, v103
	v_pk_add_f32 v[40:41], v[40:41], v[86:87]
	v_min_f32_e32 v86, v98, v101
	v_min_f32_e32 v87, v99, v103
	v_pk_add_f32 v[38:39], v[38:39], v[86:87]
	v_min_f32_e32 v86, v100, v101
	v_min_f32_e32 v87, v85, v103
	v_pk_add_f32 v[36:37], v[36:37], v[86:87]
	s_waitcnt lgkmcnt(0)
	v_max_f32_e32 v86, v0, v0
	v_max_f32_e32 v87, v1, v1
	v_min_f32_e32 v0, v102, v86
	v_min_f32_e32 v1, v106, v87
	v_pk_add_f32 v[34:35], v[34:35], v[0:1]
	v_min_f32_e32 v0, v88, v86
	v_min_f32_e32 v1, v89, v87
	v_pk_add_f32 v[32:33], v[32:33], v[0:1]
	;; [unrolled: 3-line block ×7, first 2 shown]
	v_min_f32_e32 v0, v100, v86
	v_min_f32_e32 v1, v85, v87
	v_max_f32_e32 v2, v2, v2
	v_max_f32_e32 v3, v3, v3
	v_pk_add_f32 v[20:21], v[20:21], v[0:1]
	v_min_f32_e32 v0, v102, v2
	v_min_f32_e32 v1, v106, v3
	v_pk_add_f32 v[18:19], v[18:19], v[0:1]
	v_min_f32_e32 v0, v88, v2
	v_min_f32_e32 v1, v89, v3
	;; [unrolled: 3-line block ×8, first 2 shown]
	v_pk_add_f32 v[4:5], v[4:5], v[0:1]
	s_mov_b64 s[26:27], 0
	s_mov_b32 s35, 2
	s_cbranch_vccz .LBB83_20
; %bb.21:
	v_lshlrev_b32_e32 v0, 2, v77
	v_lshl_or_b32 v0, v71, 4, v0
	s_cmp_lt_i32 s22, 9
	ds_write_b32 v84, v73 offset:5120
	ds_write2st64_b32 v0, v83, v82 offset0:8 offset1:12
	s_waitcnt lgkmcnt(0)
	s_barrier
	s_cbranch_scc1 .LBB83_40
; %bb.22:
	v_add_u32_e32 v83, 0x800, v0
	v_mov_b32_e32 v0, 0x1400
	v_add_u32_e32 v82, 0x1400, v84
	v_lshl_add_u32 v84, v74, 4, v0
	v_mov_b32_e32 v0, 0x800
	s_add_i32 s26, s22, -8
	v_lshl_add_u64 v[68:69], v[68:69], 2, s[18:19]
	v_mad_i64_i32 v[70:71], s[18:19], v70, s34, 0
	v_mad_i64_i32 v[72:73], s[18:19], v72, s34, 0
	v_lshl_add_u32 v85, v75, 4, v0
	s_mov_b32 s27, 8
	s_mov_b32 s34, 0
.LBB83_23:                              ; =>This Loop Header: Depth=1
                                        ;     Child Loop BB83_30 Depth 2
                                        ;     Child Loop BB83_38 Depth 2
	v_add_u32_e32 v0, s27, v76
	v_cmp_gt_i32_e32 vcc, s22, v0
	s_and_b64 s[18:19], s[4:5], vcc
	s_and_b64 s[36:37], s[14:15], s[18:19]
	v_mov_b32_e32 v87, 0
	v_mov_b32_e32 v88, 0
	s_and_saveexec_b64 s[18:19], s[36:37]
	s_cbranch_execz .LBB83_25
; %bb.24:                               ;   in Loop: Header=BB83_23 Depth=1
	v_mad_u64_u32 v[2:3], s[36:37], v0, s30, 0
	v_mov_b32_e32 v86, v3
	v_mad_u64_u32 v[0:1], s[36:37], v0, s31, v[86:87]
	v_mov_b32_e32 v3, v0
	v_lshl_add_u64 v[0:1], v[2:3], 2, v[68:69]
	global_load_dword v0, v[0:1], off
	s_waitcnt vmcnt(0)
	v_mul_f32_e32 v88, s23, v0
.LBB83_25:                              ;   in Loop: Header=BB83_23 Depth=1
	s_or_b64 exec, exec, s[18:19]
	v_or_b32_e32 v86, s27, v77
	v_min_i32_e32 v0, s33, v86
	v_cmp_le_i32_e32 vcc, s22, v86
	v_ashrrev_i32_e32 v1, 31, v0
	v_lshl_add_u64 v[0:1], v[0:1], 2, s[16:17]
	s_nor_b64 s[36:37], s[8:9], vcc
	s_and_saveexec_b64 s[18:19], s[36:37]
	s_cbranch_execz .LBB83_27
; %bb.26:                               ;   in Loop: Header=BB83_23 Depth=1
	v_lshl_add_u64 v[2:3], v[70:71], 2, v[0:1]
	global_load_dword v2, v[2:3], off
	s_waitcnt vmcnt(0)
	v_mul_f32_e32 v87, s23, v2
.LBB83_27:                              ;   in Loop: Header=BB83_23 Depth=1
	s_or_b64 exec, exec, s[18:19]
	s_nor_b64 s[36:37], s[6:7], vcc
	v_mov_b32_e32 v89, 0
	s_and_saveexec_b64 s[18:19], s[36:37]
	s_cbranch_execz .LBB83_29
; %bb.28:                               ;   in Loop: Header=BB83_23 Depth=1
	v_lshl_add_u64 v[0:1], v[72:73], 2, v[0:1]
	global_load_dword v0, v[0:1], off
	s_waitcnt vmcnt(0)
	v_mul_f32_e32 v89, s23, v0
.LBB83_29:                              ;   in Loop: Header=BB83_23 Depth=1
	s_or_b64 exec, exec, s[18:19]
	s_mov_b32 s35, 0
	s_mov_b64 s[18:19], -1
.LBB83_30:                              ;   Parent Loop BB83_23 Depth=1
                                        ; =>  This Inner Loop Header: Depth=2
	v_cndmask_b32_e64 v0, 0, 1, s[18:19]
	s_lshl_b32 s18, s35, 2
	v_cmp_ne_u32_e32 vcc, 1, v0
	v_add_u32_e32 v0, s18, v84
	ds_read2_b64 v[90:93], v0 offset1:16
	ds_read2_b64 v[94:97], v0 offset0:32 offset1:48
	ds_read2_b64 v[98:101], v0 offset0:64 offset1:80
	;; [unrolled: 1-line block ×3, first 2 shown]
	v_add_u32_e32 v0, s18, v85
	ds_read2st64_b64 v[106:109], v0 offset1:1
	ds_read2st64_b64 v[0:3], v0 offset0:2 offset1:3
	s_waitcnt lgkmcnt(5)
	v_max_f32_e32 v110, v90, v90
	v_max_f32_e32 v111, v91, v91
	;; [unrolled: 1-line block ×3, first 2 shown]
	s_waitcnt lgkmcnt(1)
	v_max_f32_e32 v106, v106, v106
	v_max_f32_e32 v107, v107, v107
	v_min_f32_e32 v90, v110, v106
	v_min_f32_e32 v91, v111, v107
	v_max_f32_e32 v93, v93, v93
	v_pk_add_f32 v[66:67], v[66:67], v[90:91]
	v_min_f32_e32 v90, v92, v106
	v_min_f32_e32 v91, v93, v107
	v_max_f32_e32 v94, v94, v94
	v_max_f32_e32 v95, v95, v95
	v_pk_add_f32 v[64:65], v[64:65], v[90:91]
	v_min_f32_e32 v90, v94, v106
	v_min_f32_e32 v91, v95, v107
	v_max_f32_e32 v96, v96, v96
	v_max_f32_e32 v97, v97, v97
	v_pk_add_f32 v[62:63], v[62:63], v[90:91]
	v_min_f32_e32 v90, v96, v106
	v_min_f32_e32 v91, v97, v107
	v_max_f32_e32 v98, v98, v98
	v_max_f32_e32 v99, v99, v99
	v_pk_add_f32 v[60:61], v[60:61], v[90:91]
	v_min_f32_e32 v90, v98, v106
	v_min_f32_e32 v91, v99, v107
	v_max_f32_e32 v100, v100, v100
	v_max_f32_e32 v101, v101, v101
	v_pk_add_f32 v[58:59], v[58:59], v[90:91]
	v_min_f32_e32 v90, v100, v106
	v_min_f32_e32 v91, v101, v107
	v_max_f32_e32 v102, v102, v102
	v_max_f32_e32 v103, v103, v103
	v_pk_add_f32 v[56:57], v[56:57], v[90:91]
	v_min_f32_e32 v90, v102, v106
	v_min_f32_e32 v91, v103, v107
	v_max_f32_e32 v104, v104, v104
	v_max_f32_e32 v105, v105, v105
	v_pk_add_f32 v[54:55], v[54:55], v[90:91]
	v_min_f32_e32 v90, v104, v106
	v_min_f32_e32 v91, v105, v107
	v_max_f32_e32 v106, v108, v108
	v_max_f32_e32 v107, v109, v109
	v_pk_add_f32 v[52:53], v[52:53], v[90:91]
	v_min_f32_e32 v90, v110, v106
	v_min_f32_e32 v91, v111, v107
	v_pk_add_f32 v[50:51], v[50:51], v[90:91]
	v_min_f32_e32 v90, v92, v106
	v_min_f32_e32 v91, v93, v107
	;; [unrolled: 3-line block ×8, first 2 shown]
	v_pk_add_f32 v[36:37], v[36:37], v[90:91]
	s_waitcnt lgkmcnt(0)
	v_max_f32_e32 v90, v0, v0
	v_max_f32_e32 v91, v1, v1
	v_min_f32_e32 v0, v110, v90
	v_min_f32_e32 v1, v111, v91
	v_pk_add_f32 v[34:35], v[34:35], v[0:1]
	v_min_f32_e32 v0, v92, v90
	v_min_f32_e32 v1, v93, v91
	v_pk_add_f32 v[32:33], v[32:33], v[0:1]
	;; [unrolled: 3-line block ×7, first 2 shown]
	v_min_f32_e32 v0, v104, v90
	v_min_f32_e32 v1, v105, v91
	v_max_f32_e32 v2, v2, v2
	v_max_f32_e32 v3, v3, v3
	v_pk_add_f32 v[20:21], v[20:21], v[0:1]
	v_min_f32_e32 v0, v110, v2
	v_min_f32_e32 v1, v111, v3
	v_pk_add_f32 v[18:19], v[18:19], v[0:1]
	v_min_f32_e32 v0, v92, v2
	v_min_f32_e32 v1, v93, v3
	;; [unrolled: 3-line block ×8, first 2 shown]
	v_pk_add_f32 v[4:5], v[4:5], v[0:1]
	s_mov_b64 s[18:19], 0
	s_mov_b32 s35, 2
	s_cbranch_vccz .LBB83_30
; %bb.31:                               ;   in Loop: Header=BB83_23 Depth=1
	v_add3_u32 v0, v76, s27, 4
	v_cmp_gt_i32_e32 vcc, s22, v0
	s_and_b64 s[18:19], s[4:5], vcc
	ds_write_b32 v80, v88
	ds_write2st64_b32 v78, v87, v89 offset1:4
	s_and_b64 s[36:37], s[14:15], s[18:19]
	v_mov_b32_e32 v87, 0
	v_mov_b32_e32 v88, 0
	s_waitcnt lgkmcnt(0)
	s_barrier
	s_and_saveexec_b64 s[18:19], s[36:37]
	s_cbranch_execz .LBB83_33
; %bb.32:                               ;   in Loop: Header=BB83_23 Depth=1
	v_mad_u64_u32 v[2:3], s[36:37], v0, s30, 0
	v_mov_b32_e32 v88, v3
	v_mad_u64_u32 v[0:1], s[36:37], v0, s31, v[88:89]
	v_mov_b32_e32 v3, v0
	v_lshl_add_u64 v[0:1], v[2:3], 2, v[68:69]
	global_load_dword v0, v[0:1], off
	s_waitcnt vmcnt(0)
	v_mul_f32_e32 v88, s23, v0
.LBB83_33:                              ;   in Loop: Header=BB83_23 Depth=1
	s_or_b64 exec, exec, s[18:19]
	v_or_b32_e32 v0, 4, v86
	v_cmp_le_i32_e32 vcc, s22, v0
	v_min_i32_e32 v0, s33, v0
	v_ashrrev_i32_e32 v1, 31, v0
	v_lshl_add_u64 v[0:1], v[0:1], 2, s[16:17]
	s_nor_b64 s[36:37], s[8:9], vcc
	s_and_saveexec_b64 s[18:19], s[36:37]
	s_cbranch_execz .LBB83_35
; %bb.34:                               ;   in Loop: Header=BB83_23 Depth=1
	v_lshl_add_u64 v[2:3], v[70:71], 2, v[0:1]
	global_load_dword v2, v[2:3], off
	s_waitcnt vmcnt(0)
	v_mul_f32_e32 v87, s23, v2
.LBB83_35:                              ;   in Loop: Header=BB83_23 Depth=1
	s_or_b64 exec, exec, s[18:19]
	s_nor_b64 s[36:37], s[6:7], vcc
	v_mov_b32_e32 v86, 0
	s_and_saveexec_b64 s[18:19], s[36:37]
	s_cbranch_execz .LBB83_37
; %bb.36:                               ;   in Loop: Header=BB83_23 Depth=1
	v_lshl_add_u64 v[0:1], v[72:73], 2, v[0:1]
	global_load_dword v0, v[0:1], off
	s_waitcnt vmcnt(0)
	v_mul_f32_e32 v86, s23, v0
.LBB83_37:                              ;   in Loop: Header=BB83_23 Depth=1
	s_or_b64 exec, exec, s[18:19]
	s_mov_b32 s35, 0
	s_mov_b64 s[18:19], -1
.LBB83_38:                              ;   Parent Loop BB83_23 Depth=1
                                        ; =>  This Inner Loop Header: Depth=2
	v_cndmask_b32_e64 v0, 0, 1, s[18:19]
	s_lshl_b32 s18, s35, 2
	v_cmp_ne_u32_e32 vcc, 1, v0
	v_add_u32_e32 v0, s18, v79
	ds_read2_b64 v[90:93], v0 offset1:16
	ds_read2_b64 v[94:97], v0 offset0:32 offset1:48
	ds_read2_b64 v[98:101], v0 offset0:64 offset1:80
	;; [unrolled: 1-line block ×3, first 2 shown]
	v_add_u32_e32 v0, s18, v81
	ds_read2st64_b64 v[106:109], v0 offset1:1
	ds_read2st64_b64 v[0:3], v0 offset0:2 offset1:3
	s_waitcnt lgkmcnt(5)
	v_max_f32_e32 v110, v91, v91
	v_max_f32_e32 v92, v92, v92
	;; [unrolled: 1-line block ×3, first 2 shown]
	s_waitcnt lgkmcnt(1)
	v_max_f32_e32 v89, v106, v106
	v_max_f32_e32 v106, v90, v90
	;; [unrolled: 1-line block ×3, first 2 shown]
	v_min_f32_e32 v90, v106, v89
	v_min_f32_e32 v91, v110, v107
	v_pk_add_f32 v[66:67], v[66:67], v[90:91]
	v_min_f32_e32 v90, v92, v89
	v_min_f32_e32 v91, v93, v107
	v_max_f32_e32 v94, v94, v94
	v_max_f32_e32 v95, v95, v95
	v_pk_add_f32 v[64:65], v[64:65], v[90:91]
	v_min_f32_e32 v90, v94, v89
	v_min_f32_e32 v91, v95, v107
	v_max_f32_e32 v96, v96, v96
	v_max_f32_e32 v97, v97, v97
	;; [unrolled: 5-line block ×5, first 2 shown]
	v_pk_add_f32 v[56:57], v[56:57], v[90:91]
	v_min_f32_e32 v90, v102, v89
	v_min_f32_e32 v91, v103, v107
	v_max_f32_e32 v104, v104, v104
	v_pk_add_f32 v[54:55], v[54:55], v[90:91]
	v_min_f32_e32 v90, v104, v89
	v_max_f32_e32 v89, v105, v105
	v_min_f32_e32 v91, v89, v107
	v_max_f32_e32 v105, v108, v108
	v_max_f32_e32 v107, v109, v109
	v_pk_add_f32 v[52:53], v[52:53], v[90:91]
	v_min_f32_e32 v90, v106, v105
	v_min_f32_e32 v91, v110, v107
	v_pk_add_f32 v[50:51], v[50:51], v[90:91]
	v_min_f32_e32 v90, v92, v105
	v_min_f32_e32 v91, v93, v107
	;; [unrolled: 3-line block ×8, first 2 shown]
	v_pk_add_f32 v[36:37], v[36:37], v[90:91]
	s_waitcnt lgkmcnt(0)
	v_max_f32_e32 v90, v0, v0
	v_max_f32_e32 v91, v1, v1
	v_min_f32_e32 v0, v106, v90
	v_min_f32_e32 v1, v110, v91
	v_pk_add_f32 v[34:35], v[34:35], v[0:1]
	v_min_f32_e32 v0, v92, v90
	v_min_f32_e32 v1, v93, v91
	v_pk_add_f32 v[32:33], v[32:33], v[0:1]
	;; [unrolled: 3-line block ×7, first 2 shown]
	v_min_f32_e32 v0, v104, v90
	v_min_f32_e32 v1, v89, v91
	v_max_f32_e32 v2, v2, v2
	v_max_f32_e32 v3, v3, v3
	v_pk_add_f32 v[20:21], v[20:21], v[0:1]
	v_min_f32_e32 v0, v106, v2
	v_min_f32_e32 v1, v110, v3
	v_pk_add_f32 v[18:19], v[18:19], v[0:1]
	v_min_f32_e32 v0, v92, v2
	v_min_f32_e32 v1, v93, v3
	;; [unrolled: 3-line block ×8, first 2 shown]
	v_pk_add_f32 v[4:5], v[4:5], v[0:1]
	s_mov_b64 s[18:19], 0
	s_mov_b32 s35, 2
	s_cbranch_vccz .LBB83_38
; %bb.39:                               ;   in Loop: Header=BB83_23 Depth=1
	s_add_i32 s27, s27, 8
	s_add_i32 s34, s34, 8
	s_cmp_ge_i32 s34, s26
	ds_write_b32 v82, v88
	ds_write2st64_b32 v83, v87, v86 offset1:4
	s_waitcnt lgkmcnt(0)
	s_barrier
	s_cbranch_scc0 .LBB83_23
.LBB83_40:
	v_mov_b32_e32 v0, 0x1400
	v_lshl_add_u32 v68, v74, 4, v0
	v_mov_b32_e32 v0, 0x800
	v_lshl_add_u32 v69, v75, 4, v0
	s_mov_b32 s6, 0
	s_mov_b64 s[4:5], -1
.LBB83_41:                              ; =>This Inner Loop Header: Depth=1
	v_cndmask_b32_e64 v0, 0, 1, s[4:5]
	s_lshl_b32 s4, s6, 2
	v_cmp_ne_u32_e32 vcc, 1, v0
	v_add_u32_e32 v0, s4, v68
	ds_read2_b64 v[70:73], v0 offset1:16
	ds_read2_b64 v[76:79], v0 offset0:32 offset1:48
	ds_read2_b64 v[80:83], v0 offset0:64 offset1:80
	;; [unrolled: 1-line block ×3, first 2 shown]
	v_add_u32_e32 v0, s4, v69
	ds_read2st64_b64 v[88:91], v0 offset1:1
	ds_read2st64_b64 v[0:3], v0 offset0:2 offset1:3
	s_waitcnt lgkmcnt(5)
	v_max_f32_e32 v92, v70, v70
	v_max_f32_e32 v93, v71, v71
	;; [unrolled: 1-line block ×3, first 2 shown]
	s_waitcnt lgkmcnt(1)
	v_max_f32_e32 v88, v88, v88
	v_max_f32_e32 v89, v89, v89
	v_min_f32_e32 v70, v92, v88
	v_min_f32_e32 v71, v93, v89
	v_max_f32_e32 v73, v73, v73
	v_pk_add_f32 v[66:67], v[66:67], v[70:71]
	v_min_f32_e32 v70, v72, v88
	v_min_f32_e32 v71, v73, v89
	v_max_f32_e32 v76, v76, v76
	v_max_f32_e32 v77, v77, v77
	v_pk_add_f32 v[64:65], v[64:65], v[70:71]
	v_min_f32_e32 v70, v76, v88
	v_min_f32_e32 v71, v77, v89
	v_max_f32_e32 v78, v78, v78
	;; [unrolled: 5-line block ×7, first 2 shown]
	v_max_f32_e32 v89, v91, v91
	v_pk_add_f32 v[52:53], v[52:53], v[70:71]
	v_min_f32_e32 v70, v92, v88
	v_min_f32_e32 v71, v93, v89
	v_pk_add_f32 v[50:51], v[50:51], v[70:71]
	v_min_f32_e32 v70, v72, v88
	v_min_f32_e32 v71, v73, v89
	;; [unrolled: 3-line block ×8, first 2 shown]
	v_pk_add_f32 v[36:37], v[36:37], v[70:71]
	s_waitcnt lgkmcnt(0)
	v_max_f32_e32 v70, v0, v0
	v_max_f32_e32 v71, v1, v1
	v_min_f32_e32 v0, v92, v70
	v_min_f32_e32 v1, v93, v71
	v_pk_add_f32 v[34:35], v[34:35], v[0:1]
	v_min_f32_e32 v0, v72, v70
	v_min_f32_e32 v1, v73, v71
	v_pk_add_f32 v[32:33], v[32:33], v[0:1]
	;; [unrolled: 3-line block ×7, first 2 shown]
	v_min_f32_e32 v0, v86, v70
	v_min_f32_e32 v1, v87, v71
	v_max_f32_e32 v2, v2, v2
	v_max_f32_e32 v3, v3, v3
	v_pk_add_f32 v[20:21], v[20:21], v[0:1]
	v_min_f32_e32 v0, v92, v2
	v_min_f32_e32 v1, v93, v3
	v_pk_add_f32 v[18:19], v[18:19], v[0:1]
	v_min_f32_e32 v0, v72, v2
	v_min_f32_e32 v1, v73, v3
	;; [unrolled: 3-line block ×8, first 2 shown]
	v_pk_add_f32 v[4:5], v[4:5], v[0:1]
	s_mov_b64 s[4:5], 0
	s_mov_b32 s6, 2
	s_cbranch_vccz .LBB83_41
; %bb.42:
	s_load_dwordx2 s[4:5], s[0:1], 0x70
	s_load_dword s31, s[0:1], 0x50
	s_load_dword s30, s[0:1], 0x68
	v_add_u32_e32 v72, s29, v75
	v_add_u32_e32 v0, s2, v74
	s_waitcnt lgkmcnt(0)
	s_mul_i32 s1, s5, s3
	s_mul_hi_u32 s5, s4, s3
	s_mul_i32 s0, s4, s3
	s_add_i32 s1, s5, s1
	s_lshl_b64 s[0:1], s[0:1], 2
	s_add_u32 s22, s10, s0
	s_addc_u32 s23, s11, s1
	v_mad_i64_i32 v[2:3], s[0:1], v72, s31, 0
	v_lshl_add_u64 v[70:71], v[2:3], 2, s[24:25]
	v_mad_i64_i32 v[2:3], s[0:1], v72, s30, 0
	v_cmp_gt_i32_e64 s[18:19], s21, v72
	v_lshl_add_u64 v[68:69], v[2:3], 2, s[22:23]
	v_cmp_gt_i32_e64 s[2:3], s20, v0
	v_cndmask_b32_e64 v2, 0, 1, s[12:13]
	s_and_b64 s[6:7], s[2:3], s[18:19]
	v_ashrrev_i32_e32 v1, 31, v0
	v_cmp_ne_u32_e64 s[0:1], 1, v2
	s_and_saveexec_b64 s[4:5], s[6:7]
	s_cbranch_execz .LBB83_48
; %bb.43:
	s_and_b64 vcc, exec, s[0:1]
	s_cbranch_vccnz .LBB83_46
; %bb.44:
	v_lshl_add_u64 v[2:3], v[0:1], 2, v[70:71]
	global_load_dword v2, v[2:3], off
	s_waitcnt vmcnt(0)
	v_mul_f32_e32 v2, s28, v2
	s_branch .LBB83_47
.LBB83_45:
	s_mov_b64 s[18:19], 0
	s_andn2_b64 vcc, exec, s[8:9]
	s_mov_b64 s[4:5], -1
	s_cbranch_vccz .LBB83_2
	s_branch .LBB83_3
.LBB83_46:
	v_mov_b32_e32 v2, 0
.LBB83_47:
	v_add_f32_e32 v3, v66, v67
	v_add_f32_e32 v66, v3, v2
	v_lshl_add_u64 v[2:3], v[0:1], 2, v[68:69]
	global_store_dword v[2:3], v66, off
.LBB83_48:
	s_or_b64 exec, exec, s[4:5]
	v_add_u32_e32 v2, 8, v0
	v_cmp_gt_i32_e64 s[4:5], s20, v2
	s_and_b64 s[8:9], s[4:5], s[18:19]
	v_ashrrev_i32_e32 v3, 31, v2
	s_and_saveexec_b64 s[6:7], s[8:9]
	s_cbranch_execz .LBB83_53
; %bb.49:
	s_and_b64 vcc, exec, s[0:1]
	s_cbranch_vccnz .LBB83_51
; %bb.50:
	v_lshl_add_u64 v[66:67], v[2:3], 2, v[70:71]
	global_load_dword v66, v[66:67], off
	s_waitcnt vmcnt(0)
	v_mul_f32_e32 v66, s28, v66
	s_branch .LBB83_52
.LBB83_51:
	v_mov_b32_e32 v66, 0
.LBB83_52:
	v_add_f32_e32 v64, v64, v65
	v_add_f32_e32 v66, v64, v66
	v_lshl_add_u64 v[64:65], v[2:3], 2, v[68:69]
	global_store_dword v[64:65], v66, off
.LBB83_53:
	s_or_b64 exec, exec, s[6:7]
	v_add_u32_e32 v64, 16, v0
	v_cmp_gt_i32_e64 s[6:7], s20, v64
	s_and_b64 s[10:11], s[6:7], s[18:19]
	v_ashrrev_i32_e32 v65, 31, v64
	s_and_saveexec_b64 s[8:9], s[10:11]
	s_cbranch_execz .LBB83_58
; %bb.54:
	s_and_b64 vcc, exec, s[0:1]
	s_cbranch_vccnz .LBB83_56
; %bb.55:
	v_lshl_add_u64 v[66:67], v[64:65], 2, v[70:71]
	global_load_dword v66, v[66:67], off
	s_waitcnt vmcnt(0)
	v_mul_f32_e32 v66, s28, v66
	s_branch .LBB83_57
.LBB83_56:
	v_mov_b32_e32 v66, 0
.LBB83_57:
	v_add_f32_e32 v62, v62, v63
	v_add_f32_e32 v66, v62, v66
	v_lshl_add_u64 v[62:63], v[64:65], 2, v[68:69]
	global_store_dword v[62:63], v66, off
.LBB83_58:
	;; [unrolled: 24-line block ×7, first 2 shown]
	s_or_b64 exec, exec, s[18:19]
	v_add_u32_e32 v68, 32, v72
	v_mad_i64_i32 v[52:53], s[26:27], v68, s31, 0
	v_cmp_gt_i32_e64 s[18:19], s21, v68
	v_lshl_add_u64 v[66:67], v[52:53], 2, s[24:25]
	v_mad_i64_i32 v[52:53], s[26:27], v68, s30, 0
	v_lshl_add_u64 v[52:53], v[52:53], 2, s[22:23]
	s_and_b64 s[34:35], s[2:3], s[18:19]
	s_and_saveexec_b64 s[26:27], s[34:35]
	s_cbranch_execnz .LBB83_91
; %bb.84:
	s_or_b64 exec, exec, s[26:27]
	s_and_b64 s[34:35], s[4:5], s[18:19]
	s_and_saveexec_b64 s[26:27], s[34:35]
	s_cbranch_execnz .LBB83_95
.LBB83_85:
	s_or_b64 exec, exec, s[26:27]
	s_and_b64 s[34:35], s[6:7], s[18:19]
	s_and_saveexec_b64 s[26:27], s[34:35]
	s_cbranch_execnz .LBB83_99
.LBB83_86:
	s_or_b64 exec, exec, s[26:27]
	s_and_b64 s[34:35], s[8:9], s[18:19]
	s_and_saveexec_b64 s[26:27], s[34:35]
	s_cbranch_execnz .LBB83_103
.LBB83_87:
	s_or_b64 exec, exec, s[26:27]
	s_and_b64 s[34:35], s[10:11], s[18:19]
	s_and_saveexec_b64 s[26:27], s[34:35]
	s_cbranch_execnz .LBB83_107
.LBB83_88:
	s_or_b64 exec, exec, s[26:27]
	s_and_b64 s[34:35], s[12:13], s[18:19]
	s_and_saveexec_b64 s[26:27], s[34:35]
	s_cbranch_execnz .LBB83_111
.LBB83_89:
	s_or_b64 exec, exec, s[26:27]
	s_and_b64 s[34:35], s[14:15], s[18:19]
	s_and_saveexec_b64 s[26:27], s[34:35]
	s_cbranch_execnz .LBB83_115
.LBB83_90:
	s_or_b64 exec, exec, s[26:27]
	s_and_b64 s[26:27], s[16:17], s[18:19]
	s_and_saveexec_b64 s[18:19], s[26:27]
	s_cbranch_execnz .LBB83_119
	s_branch .LBB83_123
.LBB83_91:
	s_and_b64 vcc, exec, s[0:1]
	s_cbranch_vccnz .LBB83_93
; %bb.92:
	v_lshl_add_u64 v[68:69], v[0:1], 2, v[66:67]
	global_load_dword v68, v[68:69], off
	s_waitcnt vmcnt(0)
	v_mul_f32_e32 v68, s28, v68
	s_branch .LBB83_94
.LBB83_93:
	v_mov_b32_e32 v68, 0
.LBB83_94:
	v_add_f32_e32 v50, v50, v51
	v_add_f32_e32 v68, v50, v68
	v_lshl_add_u64 v[50:51], v[0:1], 2, v[52:53]
	global_store_dword v[50:51], v68, off
	s_or_b64 exec, exec, s[26:27]
	s_and_b64 s[34:35], s[4:5], s[18:19]
	s_and_saveexec_b64 s[26:27], s[34:35]
	s_cbranch_execz .LBB83_85
.LBB83_95:
	s_and_b64 vcc, exec, s[0:1]
	s_cbranch_vccnz .LBB83_97
; %bb.96:
	v_lshl_add_u64 v[50:51], v[2:3], 2, v[66:67]
	global_load_dword v50, v[50:51], off
	s_waitcnt vmcnt(0)
	v_mul_f32_e32 v50, s28, v50
	s_branch .LBB83_98
.LBB83_97:
	v_mov_b32_e32 v50, 0
.LBB83_98:
	v_add_f32_e32 v48, v48, v49
	v_add_f32_e32 v50, v48, v50
	v_lshl_add_u64 v[48:49], v[2:3], 2, v[52:53]
	global_store_dword v[48:49], v50, off
	s_or_b64 exec, exec, s[26:27]
	s_and_b64 s[34:35], s[6:7], s[18:19]
	s_and_saveexec_b64 s[26:27], s[34:35]
	s_cbranch_execz .LBB83_86
.LBB83_99:
	s_and_b64 vcc, exec, s[0:1]
	s_cbranch_vccnz .LBB83_101
; %bb.100:
	v_lshl_add_u64 v[48:49], v[64:65], 2, v[66:67]
	global_load_dword v48, v[48:49], off
	s_waitcnt vmcnt(0)
	v_mul_f32_e32 v48, s28, v48
	s_branch .LBB83_102
.LBB83_101:
	v_mov_b32_e32 v48, 0
.LBB83_102:
	v_add_f32_e32 v46, v46, v47
	v_add_f32_e32 v48, v46, v48
	v_lshl_add_u64 v[46:47], v[64:65], 2, v[52:53]
	global_store_dword v[46:47], v48, off
	s_or_b64 exec, exec, s[26:27]
	s_and_b64 s[34:35], s[8:9], s[18:19]
	s_and_saveexec_b64 s[26:27], s[34:35]
	s_cbranch_execz .LBB83_87
.LBB83_103:
	s_and_b64 vcc, exec, s[0:1]
	s_cbranch_vccnz .LBB83_105
; %bb.104:
	v_lshl_add_u64 v[46:47], v[62:63], 2, v[66:67]
	global_load_dword v46, v[46:47], off
	s_waitcnt vmcnt(0)
	v_mul_f32_e32 v46, s28, v46
	s_branch .LBB83_106
.LBB83_105:
	v_mov_b32_e32 v46, 0
.LBB83_106:
	v_add_f32_e32 v44, v44, v45
	v_add_f32_e32 v46, v44, v46
	v_lshl_add_u64 v[44:45], v[62:63], 2, v[52:53]
	global_store_dword v[44:45], v46, off
	s_or_b64 exec, exec, s[26:27]
	s_and_b64 s[34:35], s[10:11], s[18:19]
	s_and_saveexec_b64 s[26:27], s[34:35]
	s_cbranch_execz .LBB83_88
.LBB83_107:
	s_and_b64 vcc, exec, s[0:1]
	s_cbranch_vccnz .LBB83_109
; %bb.108:
	v_lshl_add_u64 v[44:45], v[60:61], 2, v[66:67]
	global_load_dword v44, v[44:45], off
	s_waitcnt vmcnt(0)
	v_mul_f32_e32 v44, s28, v44
	s_branch .LBB83_110
.LBB83_109:
	v_mov_b32_e32 v44, 0
.LBB83_110:
	v_add_f32_e32 v42, v42, v43
	v_add_f32_e32 v44, v42, v44
	v_lshl_add_u64 v[42:43], v[60:61], 2, v[52:53]
	global_store_dword v[42:43], v44, off
	s_or_b64 exec, exec, s[26:27]
	s_and_b64 s[34:35], s[12:13], s[18:19]
	s_and_saveexec_b64 s[26:27], s[34:35]
	s_cbranch_execz .LBB83_89
.LBB83_111:
	s_and_b64 vcc, exec, s[0:1]
	s_cbranch_vccnz .LBB83_113
; %bb.112:
	v_lshl_add_u64 v[42:43], v[58:59], 2, v[66:67]
	global_load_dword v42, v[42:43], off
	s_waitcnt vmcnt(0)
	v_mul_f32_e32 v42, s28, v42
	s_branch .LBB83_114
.LBB83_113:
	v_mov_b32_e32 v42, 0
.LBB83_114:
	v_add_f32_e32 v40, v40, v41
	v_add_f32_e32 v42, v40, v42
	v_lshl_add_u64 v[40:41], v[58:59], 2, v[52:53]
	global_store_dword v[40:41], v42, off
	s_or_b64 exec, exec, s[26:27]
	s_and_b64 s[34:35], s[14:15], s[18:19]
	s_and_saveexec_b64 s[26:27], s[34:35]
	s_cbranch_execz .LBB83_90
.LBB83_115:
	s_and_b64 vcc, exec, s[0:1]
	s_cbranch_vccnz .LBB83_117
; %bb.116:
	v_lshl_add_u64 v[40:41], v[56:57], 2, v[66:67]
	global_load_dword v40, v[40:41], off
	s_waitcnt vmcnt(0)
	v_mul_f32_e32 v40, s28, v40
	s_branch .LBB83_118
.LBB83_117:
	v_mov_b32_e32 v40, 0
.LBB83_118:
	v_add_f32_e32 v38, v38, v39
	v_add_f32_e32 v40, v38, v40
	v_lshl_add_u64 v[38:39], v[56:57], 2, v[52:53]
	global_store_dword v[38:39], v40, off
	s_or_b64 exec, exec, s[26:27]
	s_and_b64 s[26:27], s[16:17], s[18:19]
	s_and_saveexec_b64 s[18:19], s[26:27]
	s_cbranch_execz .LBB83_123
.LBB83_119:
	s_and_b64 vcc, exec, s[0:1]
	s_cbranch_vccnz .LBB83_121
; %bb.120:
	v_lshl_add_u64 v[38:39], v[54:55], 2, v[66:67]
	global_load_dword v38, v[38:39], off
	s_waitcnt vmcnt(0)
	v_mul_f32_e32 v38, s28, v38
	s_branch .LBB83_122
.LBB83_121:
	v_mov_b32_e32 v38, 0
.LBB83_122:
	v_add_f32_e32 v36, v36, v37
	v_add_f32_e32 v38, v36, v38
	v_lshl_add_u64 v[36:37], v[54:55], 2, v[52:53]
	global_store_dword v[36:37], v38, off
.LBB83_123:
	s_or_b64 exec, exec, s[18:19]
	v_add_u32_e32 v40, 64, v72
	v_mad_i64_i32 v[36:37], s[26:27], v40, s31, 0
	v_cmp_gt_i32_e64 s[18:19], s21, v40
	v_lshl_add_u64 v[38:39], v[36:37], 2, s[24:25]
	v_mad_i64_i32 v[36:37], s[26:27], v40, s30, 0
	v_lshl_add_u64 v[36:37], v[36:37], 2, s[22:23]
	s_and_b64 s[34:35], s[2:3], s[18:19]
	s_and_saveexec_b64 s[26:27], s[34:35]
	s_cbranch_execnz .LBB83_131
; %bb.124:
	s_or_b64 exec, exec, s[26:27]
	s_and_b64 s[34:35], s[4:5], s[18:19]
	s_and_saveexec_b64 s[26:27], s[34:35]
	s_cbranch_execnz .LBB83_135
.LBB83_125:
	s_or_b64 exec, exec, s[26:27]
	s_and_b64 s[34:35], s[6:7], s[18:19]
	s_and_saveexec_b64 s[26:27], s[34:35]
	s_cbranch_execnz .LBB83_139
.LBB83_126:
	s_or_b64 exec, exec, s[26:27]
	s_and_b64 s[34:35], s[8:9], s[18:19]
	s_and_saveexec_b64 s[26:27], s[34:35]
	s_cbranch_execnz .LBB83_143
.LBB83_127:
	s_or_b64 exec, exec, s[26:27]
	s_and_b64 s[34:35], s[10:11], s[18:19]
	s_and_saveexec_b64 s[26:27], s[34:35]
	s_cbranch_execnz .LBB83_147
.LBB83_128:
	s_or_b64 exec, exec, s[26:27]
	s_and_b64 s[34:35], s[12:13], s[18:19]
	s_and_saveexec_b64 s[26:27], s[34:35]
	s_cbranch_execnz .LBB83_151
.LBB83_129:
	s_or_b64 exec, exec, s[26:27]
	s_and_b64 s[34:35], s[14:15], s[18:19]
	s_and_saveexec_b64 s[26:27], s[34:35]
	s_cbranch_execnz .LBB83_155
.LBB83_130:
	s_or_b64 exec, exec, s[26:27]
	s_and_b64 s[26:27], s[16:17], s[18:19]
	s_and_saveexec_b64 s[18:19], s[26:27]
	s_cbranch_execnz .LBB83_159
	s_branch .LBB83_163
.LBB83_131:
	s_and_b64 vcc, exec, s[0:1]
	s_cbranch_vccnz .LBB83_133
; %bb.132:
	v_lshl_add_u64 v[40:41], v[0:1], 2, v[38:39]
	global_load_dword v40, v[40:41], off
	s_waitcnt vmcnt(0)
	v_mul_f32_e32 v40, s28, v40
	s_branch .LBB83_134
.LBB83_133:
	v_mov_b32_e32 v40, 0
.LBB83_134:
	v_add_f32_e32 v34, v34, v35
	v_add_f32_e32 v40, v34, v40
	v_lshl_add_u64 v[34:35], v[0:1], 2, v[36:37]
	global_store_dword v[34:35], v40, off
	s_or_b64 exec, exec, s[26:27]
	s_and_b64 s[34:35], s[4:5], s[18:19]
	s_and_saveexec_b64 s[26:27], s[34:35]
	s_cbranch_execz .LBB83_125
.LBB83_135:
	s_and_b64 vcc, exec, s[0:1]
	s_cbranch_vccnz .LBB83_137
; %bb.136:
	v_lshl_add_u64 v[34:35], v[2:3], 2, v[38:39]
	global_load_dword v34, v[34:35], off
	s_waitcnt vmcnt(0)
	v_mul_f32_e32 v34, s28, v34
	s_branch .LBB83_138
.LBB83_137:
	v_mov_b32_e32 v34, 0
.LBB83_138:
	v_add_f32_e32 v32, v32, v33
	v_add_f32_e32 v34, v32, v34
	v_lshl_add_u64 v[32:33], v[2:3], 2, v[36:37]
	global_store_dword v[32:33], v34, off
	s_or_b64 exec, exec, s[26:27]
	s_and_b64 s[34:35], s[6:7], s[18:19]
	s_and_saveexec_b64 s[26:27], s[34:35]
	s_cbranch_execz .LBB83_126
.LBB83_139:
	s_and_b64 vcc, exec, s[0:1]
	s_cbranch_vccnz .LBB83_141
; %bb.140:
	v_lshl_add_u64 v[32:33], v[64:65], 2, v[38:39]
	global_load_dword v32, v[32:33], off
	s_waitcnt vmcnt(0)
	v_mul_f32_e32 v32, s28, v32
	s_branch .LBB83_142
.LBB83_141:
	v_mov_b32_e32 v32, 0
.LBB83_142:
	v_add_f32_e32 v30, v30, v31
	v_add_f32_e32 v32, v30, v32
	v_lshl_add_u64 v[30:31], v[64:65], 2, v[36:37]
	global_store_dword v[30:31], v32, off
	s_or_b64 exec, exec, s[26:27]
	s_and_b64 s[34:35], s[8:9], s[18:19]
	s_and_saveexec_b64 s[26:27], s[34:35]
	s_cbranch_execz .LBB83_127
.LBB83_143:
	s_and_b64 vcc, exec, s[0:1]
	s_cbranch_vccnz .LBB83_145
; %bb.144:
	v_lshl_add_u64 v[30:31], v[62:63], 2, v[38:39]
	global_load_dword v30, v[30:31], off
	s_waitcnt vmcnt(0)
	v_mul_f32_e32 v30, s28, v30
	s_branch .LBB83_146
.LBB83_145:
	v_mov_b32_e32 v30, 0
.LBB83_146:
	v_add_f32_e32 v28, v28, v29
	v_add_f32_e32 v30, v28, v30
	v_lshl_add_u64 v[28:29], v[62:63], 2, v[36:37]
	global_store_dword v[28:29], v30, off
	s_or_b64 exec, exec, s[26:27]
	s_and_b64 s[34:35], s[10:11], s[18:19]
	s_and_saveexec_b64 s[26:27], s[34:35]
	s_cbranch_execz .LBB83_128
.LBB83_147:
	s_and_b64 vcc, exec, s[0:1]
	s_cbranch_vccnz .LBB83_149
; %bb.148:
	v_lshl_add_u64 v[28:29], v[60:61], 2, v[38:39]
	global_load_dword v28, v[28:29], off
	s_waitcnt vmcnt(0)
	v_mul_f32_e32 v28, s28, v28
	s_branch .LBB83_150
.LBB83_149:
	v_mov_b32_e32 v28, 0
.LBB83_150:
	v_add_f32_e32 v26, v26, v27
	v_add_f32_e32 v28, v26, v28
	v_lshl_add_u64 v[26:27], v[60:61], 2, v[36:37]
	global_store_dword v[26:27], v28, off
	s_or_b64 exec, exec, s[26:27]
	s_and_b64 s[34:35], s[12:13], s[18:19]
	s_and_saveexec_b64 s[26:27], s[34:35]
	s_cbranch_execz .LBB83_129
.LBB83_151:
	s_and_b64 vcc, exec, s[0:1]
	s_cbranch_vccnz .LBB83_153
; %bb.152:
	v_lshl_add_u64 v[26:27], v[58:59], 2, v[38:39]
	global_load_dword v26, v[26:27], off
	s_waitcnt vmcnt(0)
	v_mul_f32_e32 v26, s28, v26
	s_branch .LBB83_154
.LBB83_153:
	v_mov_b32_e32 v26, 0
.LBB83_154:
	v_add_f32_e32 v24, v24, v25
	v_add_f32_e32 v26, v24, v26
	v_lshl_add_u64 v[24:25], v[58:59], 2, v[36:37]
	global_store_dword v[24:25], v26, off
	s_or_b64 exec, exec, s[26:27]
	s_and_b64 s[34:35], s[14:15], s[18:19]
	s_and_saveexec_b64 s[26:27], s[34:35]
	s_cbranch_execz .LBB83_130
.LBB83_155:
	s_and_b64 vcc, exec, s[0:1]
	s_cbranch_vccnz .LBB83_157
; %bb.156:
	v_lshl_add_u64 v[24:25], v[56:57], 2, v[38:39]
	global_load_dword v24, v[24:25], off
	s_waitcnt vmcnt(0)
	v_mul_f32_e32 v24, s28, v24
	s_branch .LBB83_158
.LBB83_157:
	v_mov_b32_e32 v24, 0
.LBB83_158:
	v_add_f32_e32 v22, v22, v23
	v_add_f32_e32 v24, v22, v24
	v_lshl_add_u64 v[22:23], v[56:57], 2, v[36:37]
	global_store_dword v[22:23], v24, off
	s_or_b64 exec, exec, s[26:27]
	s_and_b64 s[26:27], s[16:17], s[18:19]
	s_and_saveexec_b64 s[18:19], s[26:27]
	s_cbranch_execz .LBB83_163
.LBB83_159:
	s_and_b64 vcc, exec, s[0:1]
	s_cbranch_vccnz .LBB83_161
; %bb.160:
	v_lshl_add_u64 v[22:23], v[54:55], 2, v[38:39]
	global_load_dword v22, v[22:23], off
	s_waitcnt vmcnt(0)
	v_mul_f32_e32 v22, s28, v22
	s_branch .LBB83_162
.LBB83_161:
	v_mov_b32_e32 v22, 0
.LBB83_162:
	v_add_f32_e32 v20, v20, v21
	v_add_f32_e32 v22, v20, v22
	v_lshl_add_u64 v[20:21], v[54:55], 2, v[36:37]
	global_store_dword v[20:21], v22, off
.LBB83_163:
	s_or_b64 exec, exec, s[18:19]
	v_add_u32_e32 v24, 0x60, v72
	v_cmp_gt_i32_e64 s[18:19], s21, v24
	v_mad_i64_i32 v[20:21], s[20:21], v24, s31, 0
	v_lshl_add_u64 v[22:23], v[20:21], 2, s[24:25]
	v_mad_i64_i32 v[20:21], s[20:21], v24, s30, 0
	v_lshl_add_u64 v[20:21], v[20:21], 2, s[22:23]
	s_and_b64 s[20:21], s[2:3], s[18:19]
	s_and_saveexec_b64 s[2:3], s[20:21]
	s_cbranch_execnz .LBB83_172
; %bb.164:
	s_or_b64 exec, exec, s[2:3]
	s_and_b64 s[4:5], s[4:5], s[18:19]
	s_and_saveexec_b64 s[2:3], s[4:5]
	s_cbranch_execnz .LBB83_176
.LBB83_165:
	s_or_b64 exec, exec, s[2:3]
	s_and_b64 s[4:5], s[6:7], s[18:19]
	s_and_saveexec_b64 s[2:3], s[4:5]
	s_cbranch_execnz .LBB83_180
.LBB83_166:
	s_or_b64 exec, exec, s[2:3]
	s_and_b64 s[4:5], s[8:9], s[18:19]
	s_and_saveexec_b64 s[2:3], s[4:5]
	s_cbranch_execnz .LBB83_184
.LBB83_167:
	s_or_b64 exec, exec, s[2:3]
	s_and_b64 s[4:5], s[10:11], s[18:19]
	s_and_saveexec_b64 s[2:3], s[4:5]
	s_cbranch_execnz .LBB83_188
.LBB83_168:
	s_or_b64 exec, exec, s[2:3]
	s_and_b64 s[4:5], s[12:13], s[18:19]
	s_and_saveexec_b64 s[2:3], s[4:5]
	s_cbranch_execnz .LBB83_192
.LBB83_169:
	s_or_b64 exec, exec, s[2:3]
	s_and_b64 s[4:5], s[14:15], s[18:19]
	s_and_saveexec_b64 s[2:3], s[4:5]
	s_cbranch_execnz .LBB83_196
.LBB83_170:
	s_or_b64 exec, exec, s[2:3]
	s_and_b64 s[2:3], s[16:17], s[18:19]
	s_and_saveexec_b64 s[4:5], s[2:3]
	s_cbranch_execnz .LBB83_200
.LBB83_171:
	s_endpgm
.LBB83_172:
	s_and_b64 vcc, exec, s[0:1]
	s_cbranch_vccnz .LBB83_174
; %bb.173:
	v_lshl_add_u64 v[24:25], v[0:1], 2, v[22:23]
	global_load_dword v24, v[24:25], off
	s_waitcnt vmcnt(0)
	v_mul_f32_e32 v24, s28, v24
	s_branch .LBB83_175
.LBB83_174:
	v_mov_b32_e32 v24, 0
.LBB83_175:
	v_add_f32_e32 v18, v18, v19
	v_add_f32_e32 v18, v18, v24
	v_lshl_add_u64 v[0:1], v[0:1], 2, v[20:21]
	global_store_dword v[0:1], v18, off
	s_or_b64 exec, exec, s[2:3]
	s_and_b64 s[4:5], s[4:5], s[18:19]
	s_and_saveexec_b64 s[2:3], s[4:5]
	s_cbranch_execz .LBB83_165
.LBB83_176:
	s_and_b64 vcc, exec, s[0:1]
	s_cbranch_vccnz .LBB83_178
; %bb.177:
	v_lshl_add_u64 v[0:1], v[2:3], 2, v[22:23]
	global_load_dword v0, v[0:1], off
	s_waitcnt vmcnt(0)
	v_mul_f32_e32 v0, s28, v0
	s_branch .LBB83_179
.LBB83_178:
	v_mov_b32_e32 v0, 0
.LBB83_179:
	v_add_f32_e32 v1, v16, v17
	v_add_f32_e32 v16, v1, v0
	v_lshl_add_u64 v[0:1], v[2:3], 2, v[20:21]
	global_store_dword v[0:1], v16, off
	s_or_b64 exec, exec, s[2:3]
	s_and_b64 s[4:5], s[6:7], s[18:19]
	s_and_saveexec_b64 s[2:3], s[4:5]
	s_cbranch_execz .LBB83_166
.LBB83_180:
	s_and_b64 vcc, exec, s[0:1]
	s_cbranch_vccnz .LBB83_182
; %bb.181:
	v_lshl_add_u64 v[0:1], v[64:65], 2, v[22:23]
	global_load_dword v0, v[0:1], off
	s_waitcnt vmcnt(0)
	v_mul_f32_e32 v0, s28, v0
	s_branch .LBB83_183
.LBB83_182:
	v_mov_b32_e32 v0, 0
.LBB83_183:
	v_add_f32_e32 v1, v14, v15
	v_add_f32_e32 v2, v1, v0
	v_lshl_add_u64 v[0:1], v[64:65], 2, v[20:21]
	global_store_dword v[0:1], v2, off
	s_or_b64 exec, exec, s[2:3]
	s_and_b64 s[4:5], s[8:9], s[18:19]
	s_and_saveexec_b64 s[2:3], s[4:5]
	s_cbranch_execz .LBB83_167
.LBB83_184:
	s_and_b64 vcc, exec, s[0:1]
	s_cbranch_vccnz .LBB83_186
; %bb.185:
	v_lshl_add_u64 v[0:1], v[62:63], 2, v[22:23]
	global_load_dword v0, v[0:1], off
	s_waitcnt vmcnt(0)
	v_mul_f32_e32 v0, s28, v0
	s_branch .LBB83_187
.LBB83_186:
	v_mov_b32_e32 v0, 0
.LBB83_187:
	v_add_f32_e32 v1, v12, v13
	v_add_f32_e32 v2, v1, v0
	v_lshl_add_u64 v[0:1], v[62:63], 2, v[20:21]
	global_store_dword v[0:1], v2, off
	s_or_b64 exec, exec, s[2:3]
	s_and_b64 s[4:5], s[10:11], s[18:19]
	s_and_saveexec_b64 s[2:3], s[4:5]
	s_cbranch_execz .LBB83_168
.LBB83_188:
	s_and_b64 vcc, exec, s[0:1]
	s_cbranch_vccnz .LBB83_190
; %bb.189:
	v_lshl_add_u64 v[0:1], v[60:61], 2, v[22:23]
	global_load_dword v0, v[0:1], off
	s_waitcnt vmcnt(0)
	v_mul_f32_e32 v0, s28, v0
	s_branch .LBB83_191
.LBB83_190:
	v_mov_b32_e32 v0, 0
.LBB83_191:
	v_add_f32_e32 v1, v10, v11
	v_add_f32_e32 v2, v1, v0
	v_lshl_add_u64 v[0:1], v[60:61], 2, v[20:21]
	global_store_dword v[0:1], v2, off
	s_or_b64 exec, exec, s[2:3]
	s_and_b64 s[4:5], s[12:13], s[18:19]
	s_and_saveexec_b64 s[2:3], s[4:5]
	s_cbranch_execz .LBB83_169
.LBB83_192:
	s_and_b64 vcc, exec, s[0:1]
	s_cbranch_vccnz .LBB83_194
; %bb.193:
	v_lshl_add_u64 v[0:1], v[58:59], 2, v[22:23]
	global_load_dword v0, v[0:1], off
	s_waitcnt vmcnt(0)
	v_mul_f32_e32 v0, s28, v0
	s_branch .LBB83_195
.LBB83_194:
	v_mov_b32_e32 v0, 0
.LBB83_195:
	v_add_f32_e32 v1, v8, v9
	v_add_f32_e32 v2, v1, v0
	v_lshl_add_u64 v[0:1], v[58:59], 2, v[20:21]
	global_store_dword v[0:1], v2, off
	s_or_b64 exec, exec, s[2:3]
	s_and_b64 s[4:5], s[14:15], s[18:19]
	s_and_saveexec_b64 s[2:3], s[4:5]
	s_cbranch_execz .LBB83_170
.LBB83_196:
	s_and_b64 vcc, exec, s[0:1]
	s_cbranch_vccnz .LBB83_198
; %bb.197:
	v_lshl_add_u64 v[0:1], v[56:57], 2, v[22:23]
	global_load_dword v0, v[0:1], off
	s_waitcnt vmcnt(0)
	v_mul_f32_e32 v0, s28, v0
	s_branch .LBB83_199
.LBB83_198:
	v_mov_b32_e32 v0, 0
.LBB83_199:
	v_add_f32_e32 v1, v6, v7
	v_add_f32_e32 v2, v1, v0
	v_lshl_add_u64 v[0:1], v[56:57], 2, v[20:21]
	global_store_dword v[0:1], v2, off
	s_or_b64 exec, exec, s[2:3]
	s_and_b64 s[2:3], s[16:17], s[18:19]
	s_and_saveexec_b64 s[4:5], s[2:3]
	s_cbranch_execz .LBB83_171
.LBB83_200:
	s_and_b64 vcc, exec, s[0:1]
	s_cbranch_vccnz .LBB83_202
; %bb.201:
	v_lshl_add_u64 v[0:1], v[54:55], 2, v[22:23]
	global_load_dword v0, v[0:1], off
	s_waitcnt vmcnt(0)
	v_mul_f32_e32 v0, s28, v0
	s_branch .LBB83_203
.LBB83_202:
	v_mov_b32_e32 v0, 0
.LBB83_203:
	v_add_f32_e32 v1, v4, v5
	v_add_f32_e32 v2, v1, v0
	v_lshl_add_u64 v[0:1], v[54:55], 2, v[20:21]
	global_store_dword v[0:1], v2, off
	s_endpgm
	.section	.rodata,"a",@progbits
	.p2align	6, 0x0
	.amdhsa_kernel _ZN12_GLOBAL__N_120geam_min_plus_kernelIf15HIP_vector_typeIfLj2EES2_Li8ELi32ELi64ELi128ELi4ELi64ELi4ELi4ELi64ELc78ELc78ELb0ELb1ELb0EfKffEEviiiT16_PT17_ilS6_ilS4_S6_ilPT18_ili26rocblas_geam_ex_operation_
		.amdhsa_group_segment_fixed_size 6144
		.amdhsa_private_segment_fixed_size 0
		.amdhsa_kernarg_size 128
		.amdhsa_user_sgpr_count 2
		.amdhsa_user_sgpr_dispatch_ptr 0
		.amdhsa_user_sgpr_queue_ptr 0
		.amdhsa_user_sgpr_kernarg_segment_ptr 1
		.amdhsa_user_sgpr_dispatch_id 0
		.amdhsa_user_sgpr_kernarg_preload_length 0
		.amdhsa_user_sgpr_kernarg_preload_offset 0
		.amdhsa_user_sgpr_private_segment_size 0
		.amdhsa_uses_dynamic_stack 0
		.amdhsa_enable_private_segment 0
		.amdhsa_system_sgpr_workgroup_id_x 1
		.amdhsa_system_sgpr_workgroup_id_y 0
		.amdhsa_system_sgpr_workgroup_id_z 1
		.amdhsa_system_sgpr_workgroup_info 0
		.amdhsa_system_vgpr_workitem_id 1
		.amdhsa_next_free_vgpr 112
		.amdhsa_next_free_sgpr 38
		.amdhsa_accum_offset 112
		.amdhsa_reserve_vcc 1
		.amdhsa_float_round_mode_32 0
		.amdhsa_float_round_mode_16_64 0
		.amdhsa_float_denorm_mode_32 3
		.amdhsa_float_denorm_mode_16_64 3
		.amdhsa_dx10_clamp 1
		.amdhsa_ieee_mode 1
		.amdhsa_fp16_overflow 0
		.amdhsa_tg_split 0
		.amdhsa_exception_fp_ieee_invalid_op 0
		.amdhsa_exception_fp_denorm_src 0
		.amdhsa_exception_fp_ieee_div_zero 0
		.amdhsa_exception_fp_ieee_overflow 0
		.amdhsa_exception_fp_ieee_underflow 0
		.amdhsa_exception_fp_ieee_inexact 0
		.amdhsa_exception_int_div_zero 0
	.end_amdhsa_kernel
	.section	.text._ZN12_GLOBAL__N_120geam_min_plus_kernelIf15HIP_vector_typeIfLj2EES2_Li8ELi32ELi64ELi128ELi4ELi64ELi4ELi4ELi64ELc78ELc78ELb0ELb1ELb0EfKffEEviiiT16_PT17_ilS6_ilS4_S6_ilPT18_ili26rocblas_geam_ex_operation_,"axG",@progbits,_ZN12_GLOBAL__N_120geam_min_plus_kernelIf15HIP_vector_typeIfLj2EES2_Li8ELi32ELi64ELi128ELi4ELi64ELi4ELi4ELi64ELc78ELc78ELb0ELb1ELb0EfKffEEviiiT16_PT17_ilS6_ilS4_S6_ilPT18_ili26rocblas_geam_ex_operation_,comdat
.Lfunc_end83:
	.size	_ZN12_GLOBAL__N_120geam_min_plus_kernelIf15HIP_vector_typeIfLj2EES2_Li8ELi32ELi64ELi128ELi4ELi64ELi4ELi4ELi64ELc78ELc78ELb0ELb1ELb0EfKffEEviiiT16_PT17_ilS6_ilS4_S6_ilPT18_ili26rocblas_geam_ex_operation_, .Lfunc_end83-_ZN12_GLOBAL__N_120geam_min_plus_kernelIf15HIP_vector_typeIfLj2EES2_Li8ELi32ELi64ELi128ELi4ELi64ELi4ELi4ELi64ELc78ELc78ELb0ELb1ELb0EfKffEEviiiT16_PT17_ilS6_ilS4_S6_ilPT18_ili26rocblas_geam_ex_operation_
                                        ; -- End function
	.set _ZN12_GLOBAL__N_120geam_min_plus_kernelIf15HIP_vector_typeIfLj2EES2_Li8ELi32ELi64ELi128ELi4ELi64ELi4ELi4ELi64ELc78ELc78ELb0ELb1ELb0EfKffEEviiiT16_PT17_ilS6_ilS4_S6_ilPT18_ili26rocblas_geam_ex_operation_.num_vgpr, 112
	.set _ZN12_GLOBAL__N_120geam_min_plus_kernelIf15HIP_vector_typeIfLj2EES2_Li8ELi32ELi64ELi128ELi4ELi64ELi4ELi4ELi64ELc78ELc78ELb0ELb1ELb0EfKffEEviiiT16_PT17_ilS6_ilS4_S6_ilPT18_ili26rocblas_geam_ex_operation_.num_agpr, 0
	.set _ZN12_GLOBAL__N_120geam_min_plus_kernelIf15HIP_vector_typeIfLj2EES2_Li8ELi32ELi64ELi128ELi4ELi64ELi4ELi4ELi64ELc78ELc78ELb0ELb1ELb0EfKffEEviiiT16_PT17_ilS6_ilS4_S6_ilPT18_ili26rocblas_geam_ex_operation_.numbered_sgpr, 38
	.set _ZN12_GLOBAL__N_120geam_min_plus_kernelIf15HIP_vector_typeIfLj2EES2_Li8ELi32ELi64ELi128ELi4ELi64ELi4ELi4ELi64ELc78ELc78ELb0ELb1ELb0EfKffEEviiiT16_PT17_ilS6_ilS4_S6_ilPT18_ili26rocblas_geam_ex_operation_.num_named_barrier, 0
	.set _ZN12_GLOBAL__N_120geam_min_plus_kernelIf15HIP_vector_typeIfLj2EES2_Li8ELi32ELi64ELi128ELi4ELi64ELi4ELi4ELi64ELc78ELc78ELb0ELb1ELb0EfKffEEviiiT16_PT17_ilS6_ilS4_S6_ilPT18_ili26rocblas_geam_ex_operation_.private_seg_size, 0
	.set _ZN12_GLOBAL__N_120geam_min_plus_kernelIf15HIP_vector_typeIfLj2EES2_Li8ELi32ELi64ELi128ELi4ELi64ELi4ELi4ELi64ELc78ELc78ELb0ELb1ELb0EfKffEEviiiT16_PT17_ilS6_ilS4_S6_ilPT18_ili26rocblas_geam_ex_operation_.uses_vcc, 1
	.set _ZN12_GLOBAL__N_120geam_min_plus_kernelIf15HIP_vector_typeIfLj2EES2_Li8ELi32ELi64ELi128ELi4ELi64ELi4ELi4ELi64ELc78ELc78ELb0ELb1ELb0EfKffEEviiiT16_PT17_ilS6_ilS4_S6_ilPT18_ili26rocblas_geam_ex_operation_.uses_flat_scratch, 0
	.set _ZN12_GLOBAL__N_120geam_min_plus_kernelIf15HIP_vector_typeIfLj2EES2_Li8ELi32ELi64ELi128ELi4ELi64ELi4ELi4ELi64ELc78ELc78ELb0ELb1ELb0EfKffEEviiiT16_PT17_ilS6_ilS4_S6_ilPT18_ili26rocblas_geam_ex_operation_.has_dyn_sized_stack, 0
	.set _ZN12_GLOBAL__N_120geam_min_plus_kernelIf15HIP_vector_typeIfLj2EES2_Li8ELi32ELi64ELi128ELi4ELi64ELi4ELi4ELi64ELc78ELc78ELb0ELb1ELb0EfKffEEviiiT16_PT17_ilS6_ilS4_S6_ilPT18_ili26rocblas_geam_ex_operation_.has_recursion, 0
	.set _ZN12_GLOBAL__N_120geam_min_plus_kernelIf15HIP_vector_typeIfLj2EES2_Li8ELi32ELi64ELi128ELi4ELi64ELi4ELi4ELi64ELc78ELc78ELb0ELb1ELb0EfKffEEviiiT16_PT17_ilS6_ilS4_S6_ilPT18_ili26rocblas_geam_ex_operation_.has_indirect_call, 0
	.section	.AMDGPU.csdata,"",@progbits
; Kernel info:
; codeLenInByte = 8008
; TotalNumSgprs: 44
; NumVgprs: 112
; NumAgprs: 0
; TotalNumVgprs: 112
; ScratchSize: 0
; MemoryBound: 0
; FloatMode: 240
; IeeeMode: 1
; LDSByteSize: 6144 bytes/workgroup (compile time only)
; SGPRBlocks: 5
; VGPRBlocks: 13
; NumSGPRsForWavesPerEU: 44
; NumVGPRsForWavesPerEU: 112
; AccumOffset: 112
; Occupancy: 4
; WaveLimiterHint : 0
; COMPUTE_PGM_RSRC2:SCRATCH_EN: 0
; COMPUTE_PGM_RSRC2:USER_SGPR: 2
; COMPUTE_PGM_RSRC2:TRAP_HANDLER: 0
; COMPUTE_PGM_RSRC2:TGID_X_EN: 1
; COMPUTE_PGM_RSRC2:TGID_Y_EN: 0
; COMPUTE_PGM_RSRC2:TGID_Z_EN: 1
; COMPUTE_PGM_RSRC2:TIDIG_COMP_CNT: 1
; COMPUTE_PGM_RSRC3_GFX90A:ACCUM_OFFSET: 27
; COMPUTE_PGM_RSRC3_GFX90A:TG_SPLIT: 0
	.section	.text._ZN12_GLOBAL__N_120geam_min_plus_kernelIf15HIP_vector_typeIfLj2EES2_Li8ELi32ELi64ELi128ELi4ELi4ELi64ELi4ELi64ELc84ELc78ELb0ELb0ELb0EPKfS3_fEEviiiT16_PT17_ilS7_ilS5_S7_ilPT18_ili26rocblas_geam_ex_operation_,"axG",@progbits,_ZN12_GLOBAL__N_120geam_min_plus_kernelIf15HIP_vector_typeIfLj2EES2_Li8ELi32ELi64ELi128ELi4ELi4ELi64ELi4ELi64ELc84ELc78ELb0ELb0ELb0EPKfS3_fEEviiiT16_PT17_ilS7_ilS5_S7_ilPT18_ili26rocblas_geam_ex_operation_,comdat
	.globl	_ZN12_GLOBAL__N_120geam_min_plus_kernelIf15HIP_vector_typeIfLj2EES2_Li8ELi32ELi64ELi128ELi4ELi4ELi64ELi4ELi64ELc84ELc78ELb0ELb0ELb0EPKfS3_fEEviiiT16_PT17_ilS7_ilS5_S7_ilPT18_ili26rocblas_geam_ex_operation_ ; -- Begin function _ZN12_GLOBAL__N_120geam_min_plus_kernelIf15HIP_vector_typeIfLj2EES2_Li8ELi32ELi64ELi128ELi4ELi4ELi64ELi4ELi64ELc84ELc78ELb0ELb0ELb0EPKfS3_fEEviiiT16_PT17_ilS7_ilS5_S7_ilPT18_ili26rocblas_geam_ex_operation_
	.p2align	8
	.type	_ZN12_GLOBAL__N_120geam_min_plus_kernelIf15HIP_vector_typeIfLj2EES2_Li8ELi32ELi64ELi128ELi4ELi4ELi64ELi4ELi64ELc84ELc78ELb0ELb0ELb0EPKfS3_fEEviiiT16_PT17_ilS7_ilS5_S7_ilPT18_ili26rocblas_geam_ex_operation_,@function
_ZN12_GLOBAL__N_120geam_min_plus_kernelIf15HIP_vector_typeIfLj2EES2_Li8ELi32ELi64ELi128ELi4ELi4ELi64ELi4ELi64ELc84ELc78ELb0ELb0ELb0EPKfS3_fEEviiiT16_PT17_ilS7_ilS5_S7_ilPT18_ili26rocblas_geam_ex_operation_: ; @_ZN12_GLOBAL__N_120geam_min_plus_kernelIf15HIP_vector_typeIfLj2EES2_Li8ELi32ELi64ELi128ELi4ELi4ELi64ELi4ELi64ELc84ELc78ELb0ELb0ELb0EPKfS3_fEEviiiT16_PT17_ilS7_ilS5_S7_ilPT18_ili26rocblas_geam_ex_operation_
; %bb.0:
	s_load_dwordx4 s[4:7], s[0:1], 0x10
	s_load_dwordx4 s[8:11], s[0:1], 0x28
	;; [unrolled: 1-line block ×3, first 2 shown]
	s_mov_b32 s16, s3
	s_mov_b32 s17, 0
	s_lshl_b64 s[20:21], s[16:17], 2
	s_waitcnt lgkmcnt(0)
	s_add_u32 s4, s4, s20
	s_addc_u32 s5, s5, s21
	s_load_dword s18, s[4:5], 0x0
	s_load_dwordx2 s[24:25], s[0:1], 0x50
	s_add_u32 s14, s14, s20
	s_addc_u32 s15, s15, s21
	s_mov_b64 s[20:21], 0
	s_waitcnt lgkmcnt(0)
	v_cmp_eq_f32_e64 s[4:5], s18, 0
	s_and_b64 s[4:5], exec, s[4:5]
	v_cmp_neq_f32_e64 s[26:27], s18, 0
	s_mov_b64 s[22:23], 0
	s_mov_b64 vcc, s[4:5]
	s_cbranch_vccnz .LBB84_2
; %bb.1:
	s_mul_i32 s3, s9, s16
	s_mul_hi_u32 s9, s8, s16
	s_add_i32 s9, s9, s3
	s_mul_i32 s8, s8, s16
	s_lshl_b64 s[8:9], s[8:9], 2
	s_add_u32 s22, s6, s8
	s_addc_u32 s23, s7, s9
.LBB84_2:
	s_load_dword s17, s[14:15], 0x0
	v_cndmask_b32_e64 v1, 0, 1, s[26:27]
	v_cmp_ne_u32_e64 s[6:7], 1, v1
	s_andn2_b64 vcc, exec, s[26:27]
	s_cbranch_vccnz .LBB84_4
; %bb.3:
	s_mul_i32 s3, s13, s16
	s_mul_hi_u32 s8, s12, s16
	s_add_i32 s9, s8, s3
	s_mul_i32 s8, s12, s16
	s_lshl_b64 s[8:9], s[8:9], 2
	s_add_u32 s20, s10, s8
	s_addc_u32 s21, s11, s9
.LBB84_4:
	s_load_dwordx4 s[12:15], s[0:1], 0x60
	s_waitcnt lgkmcnt(0)
	v_cmp_eq_f32_e64 s[8:9], s17, 0
	s_and_b64 s[8:9], exec, s[8:9]
	s_mov_b64 vcc, s[8:9]
	s_cbranch_vccnz .LBB84_6
; %bb.5:
	s_mul_i32 s3, s13, s16
	s_mul_hi_u32 s10, s12, s16
	s_add_i32 s11, s10, s3
	s_mul_i32 s10, s12, s16
	s_lshl_b64 s[10:11], s[10:11], 2
	s_add_u32 s10, s24, s10
	s_addc_u32 s11, s25, s11
	s_branch .LBB84_7
.LBB84_6:
	s_mov_b64 s[10:11], 0
.LBB84_7:
	s_load_dword s3, s[0:1], 0x0
	s_load_dword s25, s[0:1], 0x20
	;; [unrolled: 1-line block ×3, first 2 shown]
	v_and_b32_e32 v80, 0x3ff, v0
	v_bfe_u32 v81, v0, 10, 10
	s_waitcnt lgkmcnt(0)
	s_add_i32 s3, s3, -1
	s_ashr_i32 s12, s3, 31
	s_lshr_b32 s12, s12, 26
	s_add_i32 s3, s3, s12
	s_ashr_i32 s3, s3, 6
	s_add_i32 s12, s3, 1
	v_cvt_f32_u32_e32 v1, s12
	v_and_b32_e32 v82, 3, v0
	s_not_b32 s3, s3
	v_mov_b32_e32 v76, 0
	v_rcp_iflag_f32_e32 v1, v1
	v_lshlrev_b32_e32 v68, 2, v82
	v_mov_b32_e32 v2, 0
	v_mul_f32_e32 v0, 0x4f7ffffe, v1
	v_cvt_u32_f32_e32 v0, v0
	v_lshl_add_u32 v1, v81, 3, v80
	v_lshrrev_b32_e32 v72, 2, v1
	v_mov_b32_e32 v1, 0
	v_readfirstlane_b32 s13, v0
	s_mul_i32 s3, s3, s13
	s_mul_hi_u32 s3, s13, s3
	s_add_i32 s13, s13, s3
	s_mul_hi_u32 s3, s2, s13
	s_mul_i32 s13, s3, s12
	s_sub_i32 s13, s2, s13
	s_add_i32 s24, s3, 1
	s_sub_i32 s26, s13, s12
	s_cmp_ge_u32 s13, s12
	s_cselect_b32 s3, s24, s3
	s_cselect_b32 s13, s26, s13
	s_add_i32 s24, s3, 1
	s_cmp_ge_u32 s13, s12
	s_cselect_b32 s3, s24, s3
	s_mul_i32 s13, s3, s12
	s_lshl_b32 s12, s3, 7
	s_sub_i32 s2, s2, s13
	s_lshl_b32 s13, s2, 6
	v_add_u32_e32 v74, s12, v72
	s_and_b64 vcc, exec, s[6:7]
	v_add_u32_e32 v75, s13, v72
	v_add_u32_e32 v73, 64, v74
	v_mov_b32_e32 v0, 0
	s_cbranch_vccnz .LBB84_9
; %bb.8:
	v_mad_i64_i32 v[0:1], s[2:3], v75, s25, 0
	v_mov_b32_e32 v69, 0
	v_lshl_add_u64 v[0:1], v[0:1], 2, s[22:23]
	v_lshl_add_u64 v[2:3], s[20:21], 0, v[68:69]
	v_mad_i64_i32 v[4:5], s[2:3], v74, s19, 0
	v_lshl_add_u64 v[0:1], v[0:1], 0, v[68:69]
	v_lshl_add_u64 v[4:5], v[4:5], 2, v[2:3]
	v_mad_i64_i32 v[6:7], s[2:3], v73, s19, 0
	global_load_dword v0, v[0:1], off
	v_lshl_add_u64 v[2:3], v[6:7], 2, v[2:3]
	global_load_dword v6, v[4:5], off
	global_load_dword v1, v[2:3], off
	s_waitcnt vmcnt(1)
	v_mul_f32_e32 v2, s18, v6
	s_waitcnt vmcnt(0)
	v_pk_mul_f32 v[0:1], s[18:19], v[0:1] op_sel_hi:[0,1]
.LBB84_9:
	s_and_b64 vcc, exec, s[6:7]
	v_mov_b32_e32 v70, 0
	v_mov_b32_e32 v71, 0
	s_cbranch_vccnz .LBB84_11
; %bb.10:
	v_mad_i64_i32 v[4:5], s[2:3], v75, s25, 0
	v_mov_b32_e32 v69, 0
	v_lshl_add_u64 v[4:5], v[4:5], 2, s[22:23]
	v_lshl_add_u64 v[6:7], s[20:21], 0, v[68:69]
	v_mad_i64_i32 v[8:9], s[2:3], v74, s19, 0
	v_lshl_add_u64 v[4:5], v[4:5], 0, v[68:69]
	v_lshl_add_u64 v[8:9], v[8:9], 2, v[6:7]
	v_mad_i64_i32 v[10:11], s[2:3], v73, s19, 0
	global_load_dword v4, v[4:5], off offset:16
	v_lshl_add_u64 v[6:7], v[10:11], 2, v[6:7]
	global_load_dword v3, v[8:9], off offset:16
	global_load_dword v5, v[6:7], off offset:16
	s_waitcnt vmcnt(1)
	v_mul_f32_e32 v76, s18, v3
	s_waitcnt vmcnt(0)
	v_pk_mul_f32 v[70:71], s[18:19], v[4:5] op_sel_hi:[0,1]
.LBB84_11:
	v_lshlrev_b32_e32 v3, 4, v72
	v_lshl_or_b32 v83, v82, 2, v3
	ds_write_b32 v83, v0 offset:4096
	ds_write2st64_b32 v83, v2, v1 offset1:4
	v_mov_b32_e32 v0, 0x1000
	v_mov_b32_e32 v66, 0
	v_cmp_neq_f32_e64 s[2:3], s17, 0
	v_lshl_add_u32 v84, v80, 4, v0
	s_mov_b32 s24, 0
	s_mov_b64 s[6:7], -1
	v_mov_b32_e32 v67, v66
	v_mov_b32_e32 v64, v66
	;; [unrolled: 1-line block ×63, first 2 shown]
	v_add_u32_e32 v85, 0x1000, v83
	v_lshlrev_b32_e32 v86, 4, v81
	s_waitcnt lgkmcnt(0)
	s_barrier
.LBB84_12:                              ; =>This Inner Loop Header: Depth=1
	v_cndmask_b32_e64 v0, 0, 1, s[6:7]
	s_lshl_b32 s6, s24, 2
	v_cmp_ne_u32_e32 vcc, 1, v0
	v_add_u32_e32 v0, s6, v84
	ds_read2_b64 v[88:91], v0 offset1:16
	ds_read2_b64 v[92:95], v0 offset0:32 offset1:48
	ds_read2_b64 v[96:99], v0 offset0:64 offset1:80
	ds_read2_b64 v[100:103], v0 offset0:96 offset1:112
	v_add_u32_e32 v0, s6, v86
	ds_read2st64_b64 v[104:107], v0 offset1:1
	ds_read2st64_b64 v[0:3], v0 offset0:2 offset1:3
	s_waitcnt lgkmcnt(5)
	v_max_f32_e32 v77, v88, v88
	v_max_f32_e32 v88, v89, v89
	;; [unrolled: 1-line block ×3, first 2 shown]
	s_waitcnt lgkmcnt(1)
	v_max_f32_e32 v69, v104, v104
	v_max_f32_e32 v87, v105, v105
	v_min_f32_e32 v78, v77, v69
	v_min_f32_e32 v79, v88, v87
	v_max_f32_e32 v90, v91, v91
	v_pk_add_f32 v[66:67], v[78:79], v[66:67]
	v_min_f32_e32 v78, v89, v69
	v_min_f32_e32 v79, v90, v87
	v_max_f32_e32 v91, v92, v92
	v_max_f32_e32 v92, v93, v93
	v_pk_add_f32 v[64:65], v[78:79], v[64:65]
	v_min_f32_e32 v78, v91, v69
	v_min_f32_e32 v79, v92, v87
	v_max_f32_e32 v93, v94, v94
	;; [unrolled: 5-line block ×6, first 2 shown]
	v_pk_add_f32 v[54:55], v[78:79], v[54:55]
	v_min_f32_e32 v78, v101, v69
	v_max_f32_e32 v69, v103, v103
	v_min_f32_e32 v79, v69, v87
	v_max_f32_e32 v87, v106, v106
	v_max_f32_e32 v102, v107, v107
	v_pk_add_f32 v[52:53], v[78:79], v[52:53]
	v_min_f32_e32 v78, v77, v87
	v_min_f32_e32 v79, v88, v102
	v_pk_add_f32 v[50:51], v[78:79], v[50:51]
	v_min_f32_e32 v78, v89, v87
	v_min_f32_e32 v79, v90, v102
	;; [unrolled: 3-line block ×8, first 2 shown]
	v_pk_add_f32 v[36:37], v[78:79], v[36:37]
	s_waitcnt lgkmcnt(0)
	v_max_f32_e32 v78, v0, v0
	v_max_f32_e32 v79, v1, v1
	v_min_f32_e32 v0, v77, v78
	v_min_f32_e32 v1, v88, v79
	v_pk_add_f32 v[34:35], v[0:1], v[34:35]
	v_min_f32_e32 v0, v89, v78
	v_min_f32_e32 v1, v90, v79
	v_pk_add_f32 v[32:33], v[0:1], v[32:33]
	v_min_f32_e32 v0, v91, v78
	v_min_f32_e32 v1, v92, v79
	v_pk_add_f32 v[30:31], v[0:1], v[30:31]
	v_min_f32_e32 v0, v93, v78
	v_min_f32_e32 v1, v94, v79
	v_pk_add_f32 v[28:29], v[0:1], v[28:29]
	v_min_f32_e32 v0, v95, v78
	v_min_f32_e32 v1, v96, v79
	v_pk_add_f32 v[26:27], v[0:1], v[26:27]
	v_min_f32_e32 v0, v97, v78
	v_min_f32_e32 v1, v98, v79
	v_pk_add_f32 v[24:25], v[0:1], v[24:25]
	v_min_f32_e32 v0, v99, v78
	v_min_f32_e32 v1, v100, v79
	v_pk_add_f32 v[22:23], v[0:1], v[22:23]
	v_min_f32_e32 v0, v101, v78
	v_min_f32_e32 v1, v69, v79
	v_max_f32_e32 v2, v2, v2
	v_max_f32_e32 v3, v3, v3
	v_pk_add_f32 v[20:21], v[0:1], v[20:21]
	v_min_f32_e32 v0, v77, v2
	v_min_f32_e32 v1, v88, v3
	v_pk_add_f32 v[18:19], v[0:1], v[18:19]
	v_min_f32_e32 v0, v89, v2
	v_min_f32_e32 v1, v90, v3
	;; [unrolled: 3-line block ×8, first 2 shown]
	v_pk_add_f32 v[4:5], v[0:1], v[4:5]
	s_mov_b64 s[6:7], 0
	s_mov_b32 s24, 2
	s_cbranch_vccz .LBB84_12
; %bb.13:
	s_load_dword s24, s[0:1], 0x8
	v_lshl_or_b32 v0, v72, 4, v68
	ds_write_b32 v0, v70 offset:5120
	ds_write2st64_b32 v0, v76, v71 offset0:8 offset1:12
	s_waitcnt lgkmcnt(0)
	s_barrier
	s_cmp_lt_i32 s24, 9
	s_cbranch_scc1 .LBB84_28
; %bb.14:
	v_add_u32_e32 v87, 0x1400, v0
	v_add_u32_e32 v88, 0x800, v0
	v_mad_i64_i32 v[0:1], s[6:7], v75, s25, 0
	v_lshl_add_u64 v[68:69], v[0:1], 2, s[22:23]
	v_mov_b32_e32 v0, 0x1400
	v_lshl_add_u32 v89, v80, 4, v0
	v_mov_b32_e32 v0, 0x800
	s_add_i32 s24, s24, -8
	v_mad_i64_i32 v[70:71], s[6:7], v74, s19, 0
	v_mad_i64_i32 v[72:73], s[6:7], v73, s19, 0
	v_lshl_add_u32 v90, v81, 4, v0
	s_mov_b32 s19, s18
	s_mov_b32 s22, 8
	;; [unrolled: 1-line block ×3, first 2 shown]
	v_mov_b32_e32 v75, 0
.LBB84_15:                              ; =>This Loop Header: Depth=1
                                        ;     Child Loop BB84_20 Depth 2
                                        ;     Child Loop BB84_26 Depth 2
	s_mov_b64 s[6:7], -1
	s_mov_b64 vcc, s[4:5]
                                        ; implicit-def: $vgpr76_vgpr77
	s_cbranch_vccz .LBB84_17
; %bb.16:                               ;   in Loop: Header=BB84_15 Depth=1
	v_mov_b32_e32 v76, v75
	s_mov_b64 s[6:7], 0
.LBB84_17:                              ;   in Loop: Header=BB84_15 Depth=1
	v_mov_b32_e32 v78, 0
	s_andn2_b64 vcc, exec, s[6:7]
	v_mov_b32_e32 v79, 0
	s_cbranch_vccnz .LBB84_19
; %bb.18:                               ;   in Loop: Header=BB84_15 Depth=1
	v_or_b32_e32 v74, s22, v82
	v_lshlrev_b64 v[0:1], 2, v[74:75]
	v_lshl_add_u64 v[2:3], v[68:69], 0, v[0:1]
	v_lshl_add_u64 v[0:1], s[20:21], 0, v[0:1]
	;; [unrolled: 1-line block ×3, first 2 shown]
	global_load_dword v2, v[2:3], off
	v_lshl_add_u64 v[0:1], v[72:73], 2, v[0:1]
	global_load_dword v74, v[76:77], off
	global_load_dword v3, v[0:1], off
	s_waitcnt vmcnt(1)
	v_mul_f32_e32 v76, s18, v74
	s_waitcnt vmcnt(0)
	v_pk_mul_f32 v[78:79], s[18:19], v[2:3]
.LBB84_19:                              ;   in Loop: Header=BB84_15 Depth=1
	s_mov_b32 s25, 0
	s_mov_b64 s[6:7], -1
.LBB84_20:                              ;   Parent Loop BB84_15 Depth=1
                                        ; =>  This Inner Loop Header: Depth=2
	v_cndmask_b32_e64 v0, 0, 1, s[6:7]
	s_lshl_b32 s6, s25, 2
	v_cmp_ne_u32_e32 vcc, 1, v0
	v_add_u32_e32 v0, s6, v89
	ds_read2_b64 v[92:95], v0 offset1:16
	ds_read2_b64 v[96:99], v0 offset0:32 offset1:48
	ds_read2_b64 v[100:103], v0 offset0:64 offset1:80
	;; [unrolled: 1-line block ×3, first 2 shown]
	v_add_u32_e32 v0, s6, v90
	ds_read2st64_b64 v[108:111], v0 offset1:1
	ds_read2st64_b64 v[0:3], v0 offset0:2 offset1:3
	s_waitcnt lgkmcnt(5)
	v_max_f32_e32 v77, v92, v92
	v_max_f32_e32 v94, v94, v94
	;; [unrolled: 1-line block ×3, first 2 shown]
	s_waitcnt lgkmcnt(1)
	v_max_f32_e32 v74, v108, v108
	v_max_f32_e32 v91, v109, v109
	v_max_f32_e32 v108, v93, v93
	v_min_f32_e32 v92, v77, v74
	v_min_f32_e32 v93, v108, v91
	v_pk_add_f32 v[66:67], v[92:93], v[66:67]
	v_min_f32_e32 v92, v94, v74
	v_min_f32_e32 v93, v95, v91
	v_max_f32_e32 v96, v96, v96
	v_max_f32_e32 v97, v97, v97
	v_pk_add_f32 v[64:65], v[92:93], v[64:65]
	v_min_f32_e32 v92, v96, v74
	v_min_f32_e32 v93, v97, v91
	v_max_f32_e32 v98, v98, v98
	v_max_f32_e32 v99, v99, v99
	;; [unrolled: 5-line block ×5, first 2 shown]
	v_pk_add_f32 v[56:57], v[92:93], v[56:57]
	v_min_f32_e32 v92, v104, v74
	v_min_f32_e32 v93, v105, v91
	v_max_f32_e32 v106, v106, v106
	v_pk_add_f32 v[54:55], v[92:93], v[54:55]
	v_min_f32_e32 v92, v106, v74
	v_max_f32_e32 v74, v107, v107
	v_min_f32_e32 v93, v74, v91
	v_max_f32_e32 v91, v110, v110
	v_max_f32_e32 v107, v111, v111
	v_pk_add_f32 v[52:53], v[92:93], v[52:53]
	v_min_f32_e32 v92, v77, v91
	v_min_f32_e32 v93, v108, v107
	v_pk_add_f32 v[50:51], v[92:93], v[50:51]
	v_min_f32_e32 v92, v94, v91
	v_min_f32_e32 v93, v95, v107
	;; [unrolled: 3-line block ×8, first 2 shown]
	v_pk_add_f32 v[36:37], v[92:93], v[36:37]
	s_waitcnt lgkmcnt(0)
	v_max_f32_e32 v91, v0, v0
	v_max_f32_e32 v92, v1, v1
	v_min_f32_e32 v0, v77, v91
	v_min_f32_e32 v1, v108, v92
	v_pk_add_f32 v[34:35], v[0:1], v[34:35]
	v_min_f32_e32 v0, v94, v91
	v_min_f32_e32 v1, v95, v92
	v_pk_add_f32 v[32:33], v[0:1], v[32:33]
	;; [unrolled: 3-line block ×7, first 2 shown]
	v_min_f32_e32 v0, v106, v91
	v_min_f32_e32 v1, v74, v92
	v_max_f32_e32 v2, v2, v2
	v_max_f32_e32 v3, v3, v3
	v_pk_add_f32 v[20:21], v[0:1], v[20:21]
	v_min_f32_e32 v0, v77, v2
	v_min_f32_e32 v1, v108, v3
	v_pk_add_f32 v[18:19], v[0:1], v[18:19]
	v_min_f32_e32 v0, v94, v2
	v_min_f32_e32 v1, v95, v3
	;; [unrolled: 3-line block ×8, first 2 shown]
	v_pk_add_f32 v[4:5], v[0:1], v[4:5]
	s_mov_b64 s[6:7], 0
	s_mov_b32 s25, 2
	s_cbranch_vccz .LBB84_20
; %bb.21:                               ;   in Loop: Header=BB84_15 Depth=1
	s_mov_b64 s[6:7], -1
	s_mov_b64 vcc, s[4:5]
	ds_write_b32 v85, v78
	ds_write2st64_b32 v83, v76, v79 offset1:4
	s_waitcnt lgkmcnt(0)
	s_barrier
                                        ; implicit-def: $vgpr76_vgpr77
	s_cbranch_vccz .LBB84_23
; %bb.22:                               ;   in Loop: Header=BB84_15 Depth=1
	v_mov_b32_e32 v76, v75
	s_mov_b64 s[6:7], 0
.LBB84_23:                              ;   in Loop: Header=BB84_15 Depth=1
	v_mov_b32_e32 v78, 0
	s_andn2_b64 vcc, exec, s[6:7]
	v_mov_b32_e32 v79, 0
	s_cbranch_vccnz .LBB84_25
; %bb.24:                               ;   in Loop: Header=BB84_15 Depth=1
	v_or_b32_e32 v74, s22, v82
	v_lshlrev_b64 v[0:1], 2, v[74:75]
	v_lshl_add_u64 v[2:3], v[68:69], 0, v[0:1]
	v_lshl_add_u64 v[0:1], s[20:21], 0, v[0:1]
	v_lshl_add_u64 v[76:77], v[70:71], 2, v[0:1]
	global_load_dword v2, v[2:3], off offset:16
	v_lshl_add_u64 v[0:1], v[72:73], 2, v[0:1]
	global_load_dword v74, v[76:77], off offset:16
	global_load_dword v3, v[0:1], off offset:16
	s_waitcnt vmcnt(1)
	v_mul_f32_e32 v76, s18, v74
	s_waitcnt vmcnt(0)
	v_pk_mul_f32 v[78:79], s[18:19], v[2:3]
.LBB84_25:                              ;   in Loop: Header=BB84_15 Depth=1
	s_mov_b32 s25, 0
	s_mov_b64 s[6:7], -1
.LBB84_26:                              ;   Parent Loop BB84_15 Depth=1
                                        ; =>  This Inner Loop Header: Depth=2
	v_cndmask_b32_e64 v0, 0, 1, s[6:7]
	s_lshl_b32 s6, s25, 2
	v_cmp_ne_u32_e32 vcc, 1, v0
	v_add_u32_e32 v0, s6, v84
	ds_read2_b64 v[92:95], v0 offset1:16
	ds_read2_b64 v[96:99], v0 offset0:32 offset1:48
	ds_read2_b64 v[100:103], v0 offset0:64 offset1:80
	;; [unrolled: 1-line block ×3, first 2 shown]
	v_add_u32_e32 v0, s6, v86
	ds_read2st64_b64 v[108:111], v0 offset1:1
	ds_read2st64_b64 v[0:3], v0 offset0:2 offset1:3
	s_waitcnt lgkmcnt(5)
	v_max_f32_e32 v77, v92, v92
	v_max_f32_e32 v94, v94, v94
	;; [unrolled: 1-line block ×3, first 2 shown]
	s_waitcnt lgkmcnt(1)
	v_max_f32_e32 v74, v108, v108
	v_max_f32_e32 v91, v109, v109
	;; [unrolled: 1-line block ×3, first 2 shown]
	v_min_f32_e32 v92, v77, v74
	v_min_f32_e32 v93, v108, v91
	v_pk_add_f32 v[66:67], v[92:93], v[66:67]
	v_min_f32_e32 v92, v94, v74
	v_min_f32_e32 v93, v95, v91
	v_max_f32_e32 v96, v96, v96
	v_max_f32_e32 v97, v97, v97
	v_pk_add_f32 v[64:65], v[92:93], v[64:65]
	v_min_f32_e32 v92, v96, v74
	v_min_f32_e32 v93, v97, v91
	v_max_f32_e32 v98, v98, v98
	v_max_f32_e32 v99, v99, v99
	;; [unrolled: 5-line block ×5, first 2 shown]
	v_pk_add_f32 v[56:57], v[92:93], v[56:57]
	v_min_f32_e32 v92, v104, v74
	v_min_f32_e32 v93, v105, v91
	v_max_f32_e32 v106, v106, v106
	v_pk_add_f32 v[54:55], v[92:93], v[54:55]
	v_min_f32_e32 v92, v106, v74
	v_max_f32_e32 v74, v107, v107
	v_min_f32_e32 v93, v74, v91
	v_max_f32_e32 v91, v110, v110
	v_max_f32_e32 v107, v111, v111
	v_pk_add_f32 v[52:53], v[92:93], v[52:53]
	v_min_f32_e32 v92, v77, v91
	v_min_f32_e32 v93, v108, v107
	v_pk_add_f32 v[50:51], v[92:93], v[50:51]
	v_min_f32_e32 v92, v94, v91
	v_min_f32_e32 v93, v95, v107
	;; [unrolled: 3-line block ×8, first 2 shown]
	v_pk_add_f32 v[36:37], v[92:93], v[36:37]
	s_waitcnt lgkmcnt(0)
	v_max_f32_e32 v91, v0, v0
	v_max_f32_e32 v92, v1, v1
	v_min_f32_e32 v0, v77, v91
	v_min_f32_e32 v1, v108, v92
	v_pk_add_f32 v[34:35], v[0:1], v[34:35]
	v_min_f32_e32 v0, v94, v91
	v_min_f32_e32 v1, v95, v92
	v_pk_add_f32 v[32:33], v[0:1], v[32:33]
	;; [unrolled: 3-line block ×7, first 2 shown]
	v_min_f32_e32 v0, v106, v91
	v_min_f32_e32 v1, v74, v92
	v_max_f32_e32 v2, v2, v2
	v_max_f32_e32 v3, v3, v3
	v_pk_add_f32 v[20:21], v[0:1], v[20:21]
	v_min_f32_e32 v0, v77, v2
	v_min_f32_e32 v1, v108, v3
	v_pk_add_f32 v[18:19], v[0:1], v[18:19]
	v_min_f32_e32 v0, v94, v2
	v_min_f32_e32 v1, v95, v3
	;; [unrolled: 3-line block ×8, first 2 shown]
	v_pk_add_f32 v[4:5], v[0:1], v[4:5]
	s_mov_b64 s[6:7], 0
	s_mov_b32 s25, 2
	s_cbranch_vccz .LBB84_26
; %bb.27:                               ;   in Loop: Header=BB84_15 Depth=1
	s_add_i32 s22, s22, 8
	s_add_i32 s23, s23, 8
	s_cmp_ge_i32 s23, s24
	ds_write_b32 v87, v78
	ds_write2st64_b32 v88, v76, v79 offset1:4
	s_waitcnt lgkmcnt(0)
	s_barrier
	s_cbranch_scc0 .LBB84_15
.LBB84_28:
	v_mov_b32_e32 v0, 0x1400
	v_lshl_add_u32 v68, v80, 4, v0
	v_mov_b32_e32 v0, 0x800
	v_lshl_add_u32 v69, v81, 4, v0
	s_mov_b32 s6, 0
	s_mov_b64 s[4:5], -1
.LBB84_29:                              ; =>This Inner Loop Header: Depth=1
	v_cndmask_b32_e64 v0, 0, 1, s[4:5]
	s_lshl_b32 s4, s6, 2
	v_cmp_ne_u32_e32 vcc, 1, v0
	v_add_u32_e32 v0, s4, v68
	ds_read2_b64 v[70:73], v0 offset1:16
	ds_read2_b64 v[74:77], v0 offset0:32 offset1:48
	ds_read2_b64 v[82:85], v0 offset0:64 offset1:80
	;; [unrolled: 1-line block ×3, first 2 shown]
	v_add_u32_e32 v0, s4, v69
	ds_read2st64_b64 v[90:93], v0 offset1:1
	ds_read2st64_b64 v[0:3], v0 offset0:2 offset1:3
	s_waitcnt lgkmcnt(5)
	v_max_f32_e32 v79, v70, v70
	v_max_f32_e32 v72, v72, v72
	;; [unrolled: 1-line block ×3, first 2 shown]
	s_waitcnt lgkmcnt(1)
	v_max_f32_e32 v78, v90, v90
	v_max_f32_e32 v90, v91, v91
	v_max_f32_e32 v91, v71, v71
	v_min_f32_e32 v70, v79, v78
	v_min_f32_e32 v71, v91, v90
	v_pk_add_f32 v[66:67], v[70:71], v[66:67]
	v_min_f32_e32 v70, v72, v78
	v_min_f32_e32 v71, v73, v90
	v_max_f32_e32 v74, v74, v74
	v_max_f32_e32 v75, v75, v75
	v_pk_add_f32 v[64:65], v[70:71], v[64:65]
	v_min_f32_e32 v70, v74, v78
	v_min_f32_e32 v71, v75, v90
	v_max_f32_e32 v76, v76, v76
	v_max_f32_e32 v77, v77, v77
	;; [unrolled: 5-line block ×5, first 2 shown]
	v_pk_add_f32 v[56:57], v[70:71], v[56:57]
	v_min_f32_e32 v70, v86, v78
	v_min_f32_e32 v71, v87, v90
	v_max_f32_e32 v88, v88, v88
	v_pk_add_f32 v[54:55], v[70:71], v[54:55]
	v_min_f32_e32 v70, v88, v78
	v_max_f32_e32 v78, v89, v89
	v_min_f32_e32 v71, v78, v90
	v_max_f32_e32 v89, v92, v92
	v_max_f32_e32 v90, v93, v93
	v_pk_add_f32 v[52:53], v[70:71], v[52:53]
	v_min_f32_e32 v70, v79, v89
	v_min_f32_e32 v71, v91, v90
	v_pk_add_f32 v[50:51], v[70:71], v[50:51]
	v_min_f32_e32 v70, v72, v89
	v_min_f32_e32 v71, v73, v90
	;; [unrolled: 3-line block ×8, first 2 shown]
	v_pk_add_f32 v[36:37], v[70:71], v[36:37]
	s_waitcnt lgkmcnt(0)
	v_max_f32_e32 v70, v0, v0
	v_max_f32_e32 v71, v1, v1
	v_min_f32_e32 v0, v79, v70
	v_min_f32_e32 v1, v91, v71
	v_pk_add_f32 v[34:35], v[0:1], v[34:35]
	v_min_f32_e32 v0, v72, v70
	v_min_f32_e32 v1, v73, v71
	v_pk_add_f32 v[32:33], v[0:1], v[32:33]
	;; [unrolled: 3-line block ×7, first 2 shown]
	v_min_f32_e32 v0, v88, v70
	v_min_f32_e32 v1, v78, v71
	v_max_f32_e32 v2, v2, v2
	v_max_f32_e32 v3, v3, v3
	v_pk_add_f32 v[20:21], v[0:1], v[20:21]
	v_min_f32_e32 v0, v79, v2
	v_min_f32_e32 v1, v91, v3
	v_pk_add_f32 v[18:19], v[0:1], v[18:19]
	v_min_f32_e32 v0, v72, v2
	v_min_f32_e32 v1, v73, v3
	;; [unrolled: 3-line block ×8, first 2 shown]
	v_pk_add_f32 v[4:5], v[0:1], v[4:5]
	s_mov_b64 s[4:5], 0
	s_mov_b32 s6, 2
	s_cbranch_vccz .LBB84_29
; %bb.30:
	s_load_dword s6, s[0:1], 0x58
	v_add_u32_e32 v72, s12, v81
	v_add_u32_e32 v0, s13, v80
	v_ashrrev_i32_e32 v1, 31, v0
	v_mov_b32_e32 v73, 0
	s_waitcnt lgkmcnt(0)
	v_mad_i64_i32 v[2:3], s[4:5], v72, s6, 0
	v_lshl_add_u64 v[68:69], v[2:3], 2, s[10:11]
	v_cndmask_b32_e64 v2, 0, 1, s[2:3]
	v_cmp_ne_u32_e64 s[4:5], 1, v2
	s_andn2_b64 vcc, exec, s[2:3]
	v_mov_b32_e32 v74, 0
	s_cbranch_vccnz .LBB84_32
; %bb.31:
	v_lshl_add_u64 v[2:3], v[0:1], 2, v[68:69]
	global_load_dword v2, v[2:3], off
	s_waitcnt vmcnt(0)
	v_mul_f32_e32 v74, s17, v2
.LBB84_32:
	s_load_dwordx2 s[12:13], s[0:1], 0x78
	s_load_dword s2, s[0:1], 0x70
	v_add_u32_e32 v2, 8, v0
	v_add_f32_e32 v66, v66, v67
	v_ashrrev_i32_e32 v3, 31, v2
	s_waitcnt lgkmcnt(0)
	s_mul_i32 s1, s13, s16
	s_mul_hi_u32 s3, s12, s16
	s_mul_i32 s0, s12, s16
	s_add_i32 s1, s3, s1
	s_lshl_b64 s[0:1], s[0:1], 2
	s_add_u32 s0, s14, s0
	s_addc_u32 s1, s15, s1
	v_mad_i64_i32 v[70:71], s[12:13], v72, s2, 0
	v_lshl_add_u64 v[70:71], v[70:71], 2, s[0:1]
	v_add_f32_e32 v74, v66, v74
	v_lshl_add_u64 v[66:67], v[0:1], 2, v[70:71]
	s_and_b64 vcc, exec, s[4:5]
	global_store_dword v[66:67], v74, off
	s_cbranch_vccnz .LBB84_34
; %bb.33:
	v_lshl_add_u64 v[66:67], v[2:3], 2, v[68:69]
	global_load_dword v66, v[66:67], off
	s_waitcnt vmcnt(0)
	v_mul_f32_e32 v73, s17, v66
.LBB84_34:
	v_add_f32_e32 v66, v64, v65
	v_add_u32_e32 v64, 16, v0
	v_add_f32_e32 v73, v66, v73
	v_lshl_add_u64 v[66:67], v[2:3], 2, v[70:71]
	v_ashrrev_i32_e32 v65, 31, v64
	global_store_dword v[66:67], v73, off
	v_mov_b32_e32 v66, 0
	s_and_b64 vcc, exec, s[4:5]
	v_mov_b32_e32 v67, 0
	s_cbranch_vccnz .LBB84_36
; %bb.35:
	v_lshl_add_u64 v[74:75], v[64:65], 2, v[68:69]
	global_load_dword v67, v[74:75], off
	s_waitcnt vmcnt(0)
	v_mul_f32_e32 v67, s17, v67
.LBB84_36:
	v_add_f32_e32 v73, v62, v63
	v_add_u32_e32 v62, 24, v0
	v_ashrrev_i32_e32 v63, 31, v62
	v_add_f32_e32 v67, v73, v67
	v_lshl_add_u64 v[74:75], v[64:65], 2, v[70:71]
	s_and_b64 vcc, exec, s[4:5]
	global_store_dword v[74:75], v67, off
	s_cbranch_vccnz .LBB84_38
; %bb.37:
	v_lshl_add_u64 v[66:67], v[62:63], 2, v[68:69]
	global_load_dword v66, v[66:67], off
	s_waitcnt vmcnt(0)
	v_mul_f32_e32 v66, s17, v66
.LBB84_38:
	v_add_f32_e32 v67, v60, v61
	v_add_u32_e32 v60, 32, v0
	v_add_f32_e32 v73, v67, v66
	v_lshl_add_u64 v[66:67], v[62:63], 2, v[70:71]
	v_ashrrev_i32_e32 v61, 31, v60
	global_store_dword v[66:67], v73, off
	v_mov_b32_e32 v66, 0
	s_and_b64 vcc, exec, s[4:5]
	v_mov_b32_e32 v67, 0
	s_cbranch_vccnz .LBB84_40
; %bb.39:
	v_lshl_add_u64 v[74:75], v[60:61], 2, v[68:69]
	global_load_dword v67, v[74:75], off
	s_waitcnt vmcnt(0)
	v_mul_f32_e32 v67, s17, v67
.LBB84_40:
	v_add_f32_e32 v73, v58, v59
	v_add_u32_e32 v58, 40, v0
	v_ashrrev_i32_e32 v59, 31, v58
	;; [unrolled: 30-line block ×3, first 2 shown]
	v_add_f32_e32 v67, v73, v67
	v_lshl_add_u64 v[74:75], v[56:57], 2, v[70:71]
	s_and_b64 vcc, exec, s[4:5]
	global_store_dword v[74:75], v67, off
	s_cbranch_vccnz .LBB84_46
; %bb.45:
	v_lshl_add_u64 v[66:67], v[54:55], 2, v[68:69]
	global_load_dword v66, v[66:67], off
	s_waitcnt vmcnt(0)
	v_mul_f32_e32 v66, s17, v66
.LBB84_46:
	v_add_f32_e32 v52, v52, v53
	v_add_f32_e32 v66, v52, v66
	v_lshl_add_u64 v[52:53], v[54:55], 2, v[70:71]
	global_store_dword v[52:53], v66, off
	v_add_u32_e32 v66, 32, v72
	v_mad_i64_i32 v[52:53], s[12:13], v66, s6, 0
	v_lshl_add_u64 v[52:53], v[52:53], 2, s[10:11]
	v_mov_b32_e32 v68, 0
	s_and_b64 vcc, exec, s[4:5]
	v_mov_b32_e32 v69, 0
	s_cbranch_vccnz .LBB84_48
; %bb.47:
	v_lshl_add_u64 v[70:71], v[0:1], 2, v[52:53]
	global_load_dword v67, v[70:71], off
	s_waitcnt vmcnt(0)
	v_mul_f32_e32 v69, s17, v67
.LBB84_48:
	v_mad_i64_i32 v[66:67], s[12:13], v66, s2, 0
	v_lshl_add_u64 v[66:67], v[66:67], 2, s[0:1]
	v_add_f32_e32 v50, v50, v51
	v_add_f32_e32 v69, v50, v69
	v_lshl_add_u64 v[50:51], v[0:1], 2, v[66:67]
	s_and_b64 vcc, exec, s[4:5]
	global_store_dword v[50:51], v69, off
	s_cbranch_vccnz .LBB84_50
; %bb.49:
	v_lshl_add_u64 v[50:51], v[2:3], 2, v[52:53]
	global_load_dword v50, v[50:51], off
	s_waitcnt vmcnt(0)
	v_mul_f32_e32 v68, s17, v50
.LBB84_50:
	v_add_f32_e32 v48, v48, v49
	v_add_f32_e32 v50, v48, v68
	v_lshl_add_u64 v[48:49], v[2:3], 2, v[66:67]
	global_store_dword v[48:49], v50, off
	v_mov_b32_e32 v48, 0
	s_and_b64 vcc, exec, s[4:5]
	v_mov_b32_e32 v49, 0
	s_cbranch_vccnz .LBB84_52
; %bb.51:
	v_lshl_add_u64 v[50:51], v[64:65], 2, v[52:53]
	global_load_dword v49, v[50:51], off
	s_waitcnt vmcnt(0)
	v_mul_f32_e32 v49, s17, v49
.LBB84_52:
	v_add_f32_e32 v46, v46, v47
	v_add_f32_e32 v49, v46, v49
	v_lshl_add_u64 v[46:47], v[64:65], 2, v[66:67]
	s_and_b64 vcc, exec, s[4:5]
	global_store_dword v[46:47], v49, off
	s_cbranch_vccnz .LBB84_54
; %bb.53:
	v_lshl_add_u64 v[46:47], v[62:63], 2, v[52:53]
	global_load_dword v46, v[46:47], off
	s_waitcnt vmcnt(0)
	v_mul_f32_e32 v48, s17, v46
.LBB84_54:
	v_add_f32_e32 v44, v44, v45
	v_add_f32_e32 v46, v44, v48
	v_lshl_add_u64 v[44:45], v[62:63], 2, v[66:67]
	global_store_dword v[44:45], v46, off
	v_mov_b32_e32 v44, 0
	s_and_b64 vcc, exec, s[4:5]
	v_mov_b32_e32 v45, 0
	s_cbranch_vccnz .LBB84_56
; %bb.55:
	v_lshl_add_u64 v[46:47], v[60:61], 2, v[52:53]
	global_load_dword v45, v[46:47], off
	s_waitcnt vmcnt(0)
	v_mul_f32_e32 v45, s17, v45
.LBB84_56:
	;; [unrolled: 26-line block ×3, first 2 shown]
	v_add_f32_e32 v38, v38, v39
	v_add_f32_e32 v41, v38, v41
	v_lshl_add_u64 v[38:39], v[56:57], 2, v[66:67]
	s_and_b64 vcc, exec, s[4:5]
	global_store_dword v[38:39], v41, off
	s_cbranch_vccnz .LBB84_62
; %bb.61:
	v_lshl_add_u64 v[38:39], v[54:55], 2, v[52:53]
	global_load_dword v38, v[38:39], off
	s_waitcnt vmcnt(0)
	v_mul_f32_e32 v40, s17, v38
.LBB84_62:
	v_add_f32_e32 v36, v36, v37
	v_add_f32_e32 v38, v36, v40
	v_lshl_add_u64 v[36:37], v[54:55], 2, v[66:67]
	global_store_dword v[36:37], v38, off
	v_add_u32_e32 v38, 64, v72
	v_mad_i64_i32 v[36:37], s[12:13], v38, s6, 0
	v_lshl_add_u64 v[36:37], v[36:37], 2, s[10:11]
	v_mov_b32_e32 v40, 0
	s_and_b64 vcc, exec, s[4:5]
	v_mov_b32_e32 v41, 0
	s_cbranch_vccnz .LBB84_64
; %bb.63:
	v_lshl_add_u64 v[42:43], v[0:1], 2, v[36:37]
	global_load_dword v39, v[42:43], off
	s_waitcnt vmcnt(0)
	v_mul_f32_e32 v41, s17, v39
.LBB84_64:
	v_mad_i64_i32 v[38:39], s[12:13], v38, s2, 0
	v_lshl_add_u64 v[38:39], v[38:39], 2, s[0:1]
	v_add_f32_e32 v34, v34, v35
	v_add_f32_e32 v41, v34, v41
	v_lshl_add_u64 v[34:35], v[0:1], 2, v[38:39]
	s_and_b64 vcc, exec, s[4:5]
	global_store_dword v[34:35], v41, off
	s_cbranch_vccnz .LBB84_66
; %bb.65:
	v_lshl_add_u64 v[34:35], v[2:3], 2, v[36:37]
	global_load_dword v34, v[34:35], off
	s_waitcnt vmcnt(0)
	v_mul_f32_e32 v40, s17, v34
.LBB84_66:
	v_add_f32_e32 v32, v32, v33
	v_add_f32_e32 v34, v32, v40
	v_lshl_add_u64 v[32:33], v[2:3], 2, v[38:39]
	global_store_dword v[32:33], v34, off
	v_mov_b32_e32 v32, 0
	s_and_b64 vcc, exec, s[4:5]
	v_mov_b32_e32 v33, 0
	s_cbranch_vccnz .LBB84_68
; %bb.67:
	v_lshl_add_u64 v[34:35], v[64:65], 2, v[36:37]
	global_load_dword v33, v[34:35], off
	s_waitcnt vmcnt(0)
	v_mul_f32_e32 v33, s17, v33
.LBB84_68:
	v_add_f32_e32 v30, v30, v31
	v_add_f32_e32 v33, v30, v33
	v_lshl_add_u64 v[30:31], v[64:65], 2, v[38:39]
	s_and_b64 vcc, exec, s[4:5]
	global_store_dword v[30:31], v33, off
	s_cbranch_vccnz .LBB84_70
; %bb.69:
	v_lshl_add_u64 v[30:31], v[62:63], 2, v[36:37]
	global_load_dword v30, v[30:31], off
	s_waitcnt vmcnt(0)
	v_mul_f32_e32 v32, s17, v30
.LBB84_70:
	v_add_f32_e32 v28, v28, v29
	v_add_f32_e32 v30, v28, v32
	v_lshl_add_u64 v[28:29], v[62:63], 2, v[38:39]
	global_store_dword v[28:29], v30, off
	v_mov_b32_e32 v28, 0
	s_and_b64 vcc, exec, s[4:5]
	v_mov_b32_e32 v29, 0
	s_cbranch_vccnz .LBB84_72
; %bb.71:
	v_lshl_add_u64 v[30:31], v[60:61], 2, v[36:37]
	global_load_dword v29, v[30:31], off
	s_waitcnt vmcnt(0)
	v_mul_f32_e32 v29, s17, v29
.LBB84_72:
	;; [unrolled: 26-line block ×3, first 2 shown]
	v_add_f32_e32 v22, v22, v23
	v_add_f32_e32 v25, v22, v25
	v_lshl_add_u64 v[22:23], v[56:57], 2, v[38:39]
	s_and_b64 vcc, exec, s[4:5]
	global_store_dword v[22:23], v25, off
	s_cbranch_vccnz .LBB84_78
; %bb.77:
	v_lshl_add_u64 v[22:23], v[54:55], 2, v[36:37]
	global_load_dword v22, v[22:23], off
	s_waitcnt vmcnt(0)
	v_mul_f32_e32 v24, s17, v22
.LBB84_78:
	v_add_f32_e32 v20, v20, v21
	v_add_f32_e32 v22, v20, v24
	v_lshl_add_u64 v[20:21], v[54:55], 2, v[38:39]
	global_store_dword v[20:21], v22, off
	v_add_u32_e32 v22, 0x60, v72
	v_mad_i64_i32 v[20:21], s[6:7], v22, s6, 0
	v_lshl_add_u64 v[20:21], v[20:21], 2, s[10:11]
	v_mov_b32_e32 v24, 0
	s_and_b64 vcc, exec, s[4:5]
	v_mov_b32_e32 v25, 0
	s_cbranch_vccnz .LBB84_80
; %bb.79:
	v_lshl_add_u64 v[26:27], v[0:1], 2, v[20:21]
	global_load_dword v23, v[26:27], off
	s_waitcnt vmcnt(0)
	v_mul_f32_e32 v25, s17, v23
.LBB84_80:
	v_mad_i64_i32 v[22:23], s[2:3], v22, s2, 0
	v_lshl_add_u64 v[22:23], v[22:23], 2, s[0:1]
	v_add_f32_e32 v18, v18, v19
	v_add_f32_e32 v18, v18, v25
	v_lshl_add_u64 v[0:1], v[0:1], 2, v[22:23]
	s_and_b64 vcc, exec, s[4:5]
	global_store_dword v[0:1], v18, off
	s_cbranch_vccnz .LBB84_82
; %bb.81:
	v_lshl_add_u64 v[0:1], v[2:3], 2, v[20:21]
	global_load_dword v0, v[0:1], off
	s_waitcnt vmcnt(0)
	v_mul_f32_e32 v24, s17, v0
.LBB84_82:
	v_add_f32_e32 v0, v16, v17
	v_add_f32_e32 v16, v0, v24
	v_lshl_add_u64 v[0:1], v[2:3], 2, v[22:23]
	global_store_dword v[0:1], v16, off
	v_mov_b32_e32 v0, 0
	s_and_b64 vcc, exec, s[4:5]
	v_mov_b32_e32 v1, 0
	s_cbranch_vccnz .LBB84_84
; %bb.83:
	v_lshl_add_u64 v[2:3], v[64:65], 2, v[20:21]
	global_load_dword v1, v[2:3], off
	s_waitcnt vmcnt(0)
	v_mul_f32_e32 v1, s17, v1
.LBB84_84:
	v_add_f32_e32 v2, v14, v15
	v_add_f32_e32 v1, v2, v1
	v_lshl_add_u64 v[2:3], v[64:65], 2, v[22:23]
	s_and_b64 vcc, exec, s[4:5]
	global_store_dword v[2:3], v1, off
	s_cbranch_vccnz .LBB84_86
; %bb.85:
	v_lshl_add_u64 v[0:1], v[62:63], 2, v[20:21]
	global_load_dword v0, v[0:1], off
	s_waitcnt vmcnt(0)
	v_mul_f32_e32 v0, s17, v0
.LBB84_86:
	v_add_f32_e32 v1, v12, v13
	v_add_f32_e32 v2, v1, v0
	v_lshl_add_u64 v[0:1], v[62:63], 2, v[22:23]
	global_store_dword v[0:1], v2, off
	v_mov_b32_e32 v0, 0
	s_and_b64 vcc, exec, s[4:5]
	v_mov_b32_e32 v1, 0
	s_cbranch_vccnz .LBB84_88
; %bb.87:
	v_lshl_add_u64 v[2:3], v[60:61], 2, v[20:21]
	global_load_dword v1, v[2:3], off
	s_waitcnt vmcnt(0)
	v_mul_f32_e32 v1, s17, v1
.LBB84_88:
	v_add_f32_e32 v2, v10, v11
	v_add_f32_e32 v1, v2, v1
	v_lshl_add_u64 v[2:3], v[60:61], 2, v[22:23]
	s_and_b64 vcc, exec, s[4:5]
	global_store_dword v[2:3], v1, off
	s_cbranch_vccnz .LBB84_90
; %bb.89:
	v_lshl_add_u64 v[0:1], v[58:59], 2, v[20:21]
	global_load_dword v0, v[0:1], off
	s_waitcnt vmcnt(0)
	v_mul_f32_e32 v0, s17, v0
.LBB84_90:
	v_add_f32_e32 v1, v8, v9
	v_add_f32_e32 v2, v1, v0
	v_lshl_add_u64 v[0:1], v[58:59], 2, v[22:23]
	global_store_dword v[0:1], v2, off
	v_add_f32_e32 v0, v6, v7
	s_mov_b64 s[0:1], -1
	s_mov_b64 vcc, s[8:9]
	s_cbranch_vccz .LBB84_92
; %bb.91:
	v_add_f32_e32 v1, 0, v0
	v_lshl_add_u64 v[2:3], v[56:57], 2, v[22:23]
	global_store_dword v[2:3], v1, off
	s_mov_b64 s[0:1], 0
.LBB84_92:
	s_andn2_b64 vcc, exec, s[0:1]
	v_mov_b32_e32 v1, 0
	s_cbranch_vccnz .LBB84_94
; %bb.93:
	v_lshlrev_b64 v[2:3], 2, v[56:57]
	v_lshl_add_u64 v[6:7], v[20:21], 0, v[2:3]
	global_load_dword v1, v[6:7], off
	v_lshl_add_u64 v[2:3], v[22:23], 0, v[2:3]
	s_waitcnt vmcnt(0)
	v_fmac_f32_e32 v0, s17, v1
	global_store_dword v[2:3], v0, off
	v_lshl_add_u64 v[0:1], v[54:55], 2, v[20:21]
	global_load_dword v0, v[0:1], off
	s_waitcnt vmcnt(0)
	v_mul_f32_e32 v1, s17, v0
.LBB84_94:
	v_add_f32_e32 v0, v4, v5
	v_add_f32_e32 v2, v0, v1
	v_lshl_add_u64 v[0:1], v[54:55], 2, v[22:23]
	global_store_dword v[0:1], v2, off
	s_endpgm
	.section	.rodata,"a",@progbits
	.p2align	6, 0x0
	.amdhsa_kernel _ZN12_GLOBAL__N_120geam_min_plus_kernelIf15HIP_vector_typeIfLj2EES2_Li8ELi32ELi64ELi128ELi4ELi4ELi64ELi4ELi64ELc84ELc78ELb0ELb0ELb0EPKfS3_fEEviiiT16_PT17_ilS7_ilS5_S7_ilPT18_ili26rocblas_geam_ex_operation_
		.amdhsa_group_segment_fixed_size 6144
		.amdhsa_private_segment_fixed_size 0
		.amdhsa_kernarg_size 136
		.amdhsa_user_sgpr_count 2
		.amdhsa_user_sgpr_dispatch_ptr 0
		.amdhsa_user_sgpr_queue_ptr 0
		.amdhsa_user_sgpr_kernarg_segment_ptr 1
		.amdhsa_user_sgpr_dispatch_id 0
		.amdhsa_user_sgpr_kernarg_preload_length 0
		.amdhsa_user_sgpr_kernarg_preload_offset 0
		.amdhsa_user_sgpr_private_segment_size 0
		.amdhsa_uses_dynamic_stack 0
		.amdhsa_enable_private_segment 0
		.amdhsa_system_sgpr_workgroup_id_x 1
		.amdhsa_system_sgpr_workgroup_id_y 0
		.amdhsa_system_sgpr_workgroup_id_z 1
		.amdhsa_system_sgpr_workgroup_info 0
		.amdhsa_system_vgpr_workitem_id 1
		.amdhsa_next_free_vgpr 112
		.amdhsa_next_free_sgpr 28
		.amdhsa_accum_offset 112
		.amdhsa_reserve_vcc 1
		.amdhsa_float_round_mode_32 0
		.amdhsa_float_round_mode_16_64 0
		.amdhsa_float_denorm_mode_32 3
		.amdhsa_float_denorm_mode_16_64 3
		.amdhsa_dx10_clamp 1
		.amdhsa_ieee_mode 1
		.amdhsa_fp16_overflow 0
		.amdhsa_tg_split 0
		.amdhsa_exception_fp_ieee_invalid_op 0
		.amdhsa_exception_fp_denorm_src 0
		.amdhsa_exception_fp_ieee_div_zero 0
		.amdhsa_exception_fp_ieee_overflow 0
		.amdhsa_exception_fp_ieee_underflow 0
		.amdhsa_exception_fp_ieee_inexact 0
		.amdhsa_exception_int_div_zero 0
	.end_amdhsa_kernel
	.section	.text._ZN12_GLOBAL__N_120geam_min_plus_kernelIf15HIP_vector_typeIfLj2EES2_Li8ELi32ELi64ELi128ELi4ELi4ELi64ELi4ELi64ELc84ELc78ELb0ELb0ELb0EPKfS3_fEEviiiT16_PT17_ilS7_ilS5_S7_ilPT18_ili26rocblas_geam_ex_operation_,"axG",@progbits,_ZN12_GLOBAL__N_120geam_min_plus_kernelIf15HIP_vector_typeIfLj2EES2_Li8ELi32ELi64ELi128ELi4ELi4ELi64ELi4ELi64ELc84ELc78ELb0ELb0ELb0EPKfS3_fEEviiiT16_PT17_ilS7_ilS5_S7_ilPT18_ili26rocblas_geam_ex_operation_,comdat
.Lfunc_end84:
	.size	_ZN12_GLOBAL__N_120geam_min_plus_kernelIf15HIP_vector_typeIfLj2EES2_Li8ELi32ELi64ELi128ELi4ELi4ELi64ELi4ELi64ELc84ELc78ELb0ELb0ELb0EPKfS3_fEEviiiT16_PT17_ilS7_ilS5_S7_ilPT18_ili26rocblas_geam_ex_operation_, .Lfunc_end84-_ZN12_GLOBAL__N_120geam_min_plus_kernelIf15HIP_vector_typeIfLj2EES2_Li8ELi32ELi64ELi128ELi4ELi4ELi64ELi4ELi64ELc84ELc78ELb0ELb0ELb0EPKfS3_fEEviiiT16_PT17_ilS7_ilS5_S7_ilPT18_ili26rocblas_geam_ex_operation_
                                        ; -- End function
	.set _ZN12_GLOBAL__N_120geam_min_plus_kernelIf15HIP_vector_typeIfLj2EES2_Li8ELi32ELi64ELi128ELi4ELi4ELi64ELi4ELi64ELc84ELc78ELb0ELb0ELb0EPKfS3_fEEviiiT16_PT17_ilS7_ilS5_S7_ilPT18_ili26rocblas_geam_ex_operation_.num_vgpr, 112
	.set _ZN12_GLOBAL__N_120geam_min_plus_kernelIf15HIP_vector_typeIfLj2EES2_Li8ELi32ELi64ELi128ELi4ELi4ELi64ELi4ELi64ELc84ELc78ELb0ELb0ELb0EPKfS3_fEEviiiT16_PT17_ilS7_ilS5_S7_ilPT18_ili26rocblas_geam_ex_operation_.num_agpr, 0
	.set _ZN12_GLOBAL__N_120geam_min_plus_kernelIf15HIP_vector_typeIfLj2EES2_Li8ELi32ELi64ELi128ELi4ELi4ELi64ELi4ELi64ELc84ELc78ELb0ELb0ELb0EPKfS3_fEEviiiT16_PT17_ilS7_ilS5_S7_ilPT18_ili26rocblas_geam_ex_operation_.numbered_sgpr, 28
	.set _ZN12_GLOBAL__N_120geam_min_plus_kernelIf15HIP_vector_typeIfLj2EES2_Li8ELi32ELi64ELi128ELi4ELi4ELi64ELi4ELi64ELc84ELc78ELb0ELb0ELb0EPKfS3_fEEviiiT16_PT17_ilS7_ilS5_S7_ilPT18_ili26rocblas_geam_ex_operation_.num_named_barrier, 0
	.set _ZN12_GLOBAL__N_120geam_min_plus_kernelIf15HIP_vector_typeIfLj2EES2_Li8ELi32ELi64ELi128ELi4ELi4ELi64ELi4ELi64ELc84ELc78ELb0ELb0ELb0EPKfS3_fEEviiiT16_PT17_ilS7_ilS5_S7_ilPT18_ili26rocblas_geam_ex_operation_.private_seg_size, 0
	.set _ZN12_GLOBAL__N_120geam_min_plus_kernelIf15HIP_vector_typeIfLj2EES2_Li8ELi32ELi64ELi128ELi4ELi4ELi64ELi4ELi64ELc84ELc78ELb0ELb0ELb0EPKfS3_fEEviiiT16_PT17_ilS7_ilS5_S7_ilPT18_ili26rocblas_geam_ex_operation_.uses_vcc, 1
	.set _ZN12_GLOBAL__N_120geam_min_plus_kernelIf15HIP_vector_typeIfLj2EES2_Li8ELi32ELi64ELi128ELi4ELi4ELi64ELi4ELi64ELc84ELc78ELb0ELb0ELb0EPKfS3_fEEviiiT16_PT17_ilS7_ilS5_S7_ilPT18_ili26rocblas_geam_ex_operation_.uses_flat_scratch, 0
	.set _ZN12_GLOBAL__N_120geam_min_plus_kernelIf15HIP_vector_typeIfLj2EES2_Li8ELi32ELi64ELi128ELi4ELi4ELi64ELi4ELi64ELc84ELc78ELb0ELb0ELb0EPKfS3_fEEviiiT16_PT17_ilS7_ilS5_S7_ilPT18_ili26rocblas_geam_ex_operation_.has_dyn_sized_stack, 0
	.set _ZN12_GLOBAL__N_120geam_min_plus_kernelIf15HIP_vector_typeIfLj2EES2_Li8ELi32ELi64ELi128ELi4ELi4ELi64ELi4ELi64ELc84ELc78ELb0ELb0ELb0EPKfS3_fEEviiiT16_PT17_ilS7_ilS5_S7_ilPT18_ili26rocblas_geam_ex_operation_.has_recursion, 0
	.set _ZN12_GLOBAL__N_120geam_min_plus_kernelIf15HIP_vector_typeIfLj2EES2_Li8ELi32ELi64ELi128ELi4ELi4ELi64ELi4ELi64ELc84ELc78ELb0ELb0ELb0EPKfS3_fEEviiiT16_PT17_ilS7_ilS5_S7_ilPT18_ili26rocblas_geam_ex_operation_.has_indirect_call, 0
	.section	.AMDGPU.csdata,"",@progbits
; Kernel info:
; codeLenInByte = 6640
; TotalNumSgprs: 34
; NumVgprs: 112
; NumAgprs: 0
; TotalNumVgprs: 112
; ScratchSize: 0
; MemoryBound: 0
; FloatMode: 240
; IeeeMode: 1
; LDSByteSize: 6144 bytes/workgroup (compile time only)
; SGPRBlocks: 4
; VGPRBlocks: 13
; NumSGPRsForWavesPerEU: 34
; NumVGPRsForWavesPerEU: 112
; AccumOffset: 112
; Occupancy: 4
; WaveLimiterHint : 0
; COMPUTE_PGM_RSRC2:SCRATCH_EN: 0
; COMPUTE_PGM_RSRC2:USER_SGPR: 2
; COMPUTE_PGM_RSRC2:TRAP_HANDLER: 0
; COMPUTE_PGM_RSRC2:TGID_X_EN: 1
; COMPUTE_PGM_RSRC2:TGID_Y_EN: 0
; COMPUTE_PGM_RSRC2:TGID_Z_EN: 1
; COMPUTE_PGM_RSRC2:TIDIG_COMP_CNT: 1
; COMPUTE_PGM_RSRC3_GFX90A:ACCUM_OFFSET: 27
; COMPUTE_PGM_RSRC3_GFX90A:TG_SPLIT: 0
	.section	.text._ZN12_GLOBAL__N_120geam_min_plus_kernelIf15HIP_vector_typeIfLj2EES2_Li8ELi32ELi64ELi128ELi4ELi4ELi64ELi4ELi64ELc84ELc78ELb1ELb0ELb0EfKffEEviiiT16_PT17_ilS6_ilS4_S6_ilPT18_ili26rocblas_geam_ex_operation_,"axG",@progbits,_ZN12_GLOBAL__N_120geam_min_plus_kernelIf15HIP_vector_typeIfLj2EES2_Li8ELi32ELi64ELi128ELi4ELi4ELi64ELi4ELi64ELc84ELc78ELb1ELb0ELb0EfKffEEviiiT16_PT17_ilS6_ilS4_S6_ilPT18_ili26rocblas_geam_ex_operation_,comdat
	.globl	_ZN12_GLOBAL__N_120geam_min_plus_kernelIf15HIP_vector_typeIfLj2EES2_Li8ELi32ELi64ELi128ELi4ELi4ELi64ELi4ELi64ELc84ELc78ELb1ELb0ELb0EfKffEEviiiT16_PT17_ilS6_ilS4_S6_ilPT18_ili26rocblas_geam_ex_operation_ ; -- Begin function _ZN12_GLOBAL__N_120geam_min_plus_kernelIf15HIP_vector_typeIfLj2EES2_Li8ELi32ELi64ELi128ELi4ELi4ELi64ELi4ELi64ELc84ELc78ELb1ELb0ELb0EfKffEEviiiT16_PT17_ilS6_ilS4_S6_ilPT18_ili26rocblas_geam_ex_operation_
	.p2align	8
	.type	_ZN12_GLOBAL__N_120geam_min_plus_kernelIf15HIP_vector_typeIfLj2EES2_Li8ELi32ELi64ELi128ELi4ELi4ELi64ELi4ELi64ELc84ELc78ELb1ELb0ELb0EfKffEEviiiT16_PT17_ilS6_ilS4_S6_ilPT18_ili26rocblas_geam_ex_operation_,@function
_ZN12_GLOBAL__N_120geam_min_plus_kernelIf15HIP_vector_typeIfLj2EES2_Li8ELi32ELi64ELi128ELi4ELi4ELi64ELi4ELi64ELc84ELc78ELb1ELb0ELb0EfKffEEviiiT16_PT17_ilS6_ilS4_S6_ilPT18_ili26rocblas_geam_ex_operation_: ; @_ZN12_GLOBAL__N_120geam_min_plus_kernelIf15HIP_vector_typeIfLj2EES2_Li8ELi32ELi64ELi128ELi4ELi4ELi64ELi4ELi64ELc84ELc78ELb1ELb0ELb0EfKffEEviiiT16_PT17_ilS6_ilS4_S6_ilPT18_ili26rocblas_geam_ex_operation_
; %bb.0:
	s_load_dwordx2 s[14:15], s[0:1], 0x8
	s_load_dwordx4 s[4:7], s[0:1], 0x20
	s_waitcnt lgkmcnt(0)
	v_cmp_eq_f32_e64 s[8:9], s15, 0
	s_and_b64 vcc, exec, s[8:9]
	s_cbranch_vccnz .LBB85_83
; %bb.1:
	s_load_dwordx2 s[10:11], s[0:1], 0x10
	s_mul_i32 s5, s5, s3
	s_mul_hi_u32 s12, s4, s3
	s_add_i32 s5, s12, s5
	s_mul_i32 s4, s4, s3
	s_lshl_b64 s[4:5], s[4:5], 2
	s_waitcnt lgkmcnt(0)
	s_add_u32 s16, s10, s4
	s_addc_u32 s17, s11, s5
	s_andn2_b64 vcc, exec, s[8:9]
	s_mov_b64 s[4:5], -1
	s_cbranch_vccnz .LBB85_3
.LBB85_2:
	s_mov_b64 s[4:5], 0
.LBB85_3:
	s_mov_b64 s[12:13], 0
	s_andn2_b64 vcc, exec, s[4:5]
	s_mov_b64 s[4:5], 0
	s_cbranch_vccnz .LBB85_5
; %bb.4:
	s_load_dwordx2 s[4:5], s[0:1], 0x38
	s_waitcnt lgkmcnt(0)
	s_mul_i32 s5, s5, s3
	s_mul_hi_u32 s8, s4, s3
	s_add_i32 s5, s8, s5
	s_mul_i32 s4, s4, s3
	s_lshl_b64 s[4:5], s[4:5], 2
	s_add_u32 s4, s6, s4
	s_addc_u32 s5, s7, s5
.LBB85_5:
	s_load_dword s18, s[0:1], 0x40
	s_load_dwordx4 s[8:11], s[0:1], 0x58
	s_mov_b32 s15, 0
	s_waitcnt lgkmcnt(0)
	v_cmp_eq_f32_e64 s[6:7], s18, 0
	s_and_b64 s[6:7], exec, s[6:7]
	s_mov_b64 vcc, s[6:7]
	s_cbranch_vccnz .LBB85_7
; %bb.6:
	s_load_dwordx2 s[12:13], s[0:1], 0x48
	s_mul_i32 s9, s9, s3
	s_mul_hi_u32 s19, s8, s3
	s_add_i32 s9, s19, s9
	s_mul_i32 s8, s8, s3
	s_lshl_b64 s[8:9], s[8:9], 2
	s_waitcnt lgkmcnt(0)
	s_add_u32 s12, s12, s8
	s_addc_u32 s13, s13, s9
.LBB85_7:
	s_load_dword s8, s[0:1], 0x0
	s_load_dword s9, s[0:1], 0x18
	;; [unrolled: 1-line block ×3, first 2 shown]
	v_and_b32_e32 v82, 0x3ff, v0
	v_bfe_u32 v83, v0, 10, 10
	s_waitcnt lgkmcnt(0)
	s_add_i32 s8, s8, -1
	s_ashr_i32 s19, s8, 31
	s_lshr_b32 s19, s19, 26
	s_add_i32 s8, s8, s19
	s_ashr_i32 s8, s8, 6
	s_add_i32 s19, s8, 1
	v_cvt_f32_u32_e32 v1, s19
	s_not_b32 s8, s8
	v_and_b32_e32 v84, 3, v0
	v_lshl_add_u32 v0, v83, 3, v82
	v_rcp_iflag_f32_e32 v1, v1
	v_lshrrev_b32_e32 v6, 2, v0
	v_lshlrev_b32_e32 v58, 2, v84
	v_mov_b32_e32 v59, 0
	v_mul_f32_e32 v1, 0x4f7ffffe, v1
	v_cvt_u32_f32_e32 v1, v1
	v_lshl_add_u64 v[2:3], s[4:5], 0, v[58:59]
	v_lshl_or_b32 v86, v6, 4, v58
	v_mov_b32_e32 v66, v59
	v_readfirstlane_b32 s21, v1
	s_mul_i32 s8, s8, s21
	s_mul_hi_u32 s8, s21, s8
	s_add_i32 s21, s21, s8
	s_mul_hi_u32 s8, s2, s21
	s_mul_i32 s21, s8, s19
	s_sub_i32 s21, s2, s21
	s_add_i32 s22, s8, 1
	s_sub_i32 s23, s21, s19
	s_cmp_ge_u32 s21, s19
	s_cselect_b32 s8, s22, s8
	s_cselect_b32 s21, s23, s21
	s_add_i32 s22, s8, 1
	s_cmp_ge_u32 s21, s19
	s_cselect_b32 s8, s22, s8
	s_mul_i32 s21, s8, s19
	s_sub_i32 s2, s2, s21
	s_lshl_b32 s19, s8, 7
	s_lshl_b32 s2, s2, 6
	v_add_u32_e32 v0, s2, v6
	v_add_u32_e32 v7, s19, v6
	v_mad_i64_i32 v[0:1], s[8:9], v0, s9, 0
	v_mad_i64_i32 v[68:69], s[8:9], v7, s20, 0
	v_add_u32_e32 v7, 64, v7
	v_lshl_add_u64 v[4:5], v[68:69], 2, v[2:3]
	v_mad_i64_i32 v[70:71], s[8:9], v7, s20, 0
	v_lshl_add_u64 v[2:3], v[70:71], 2, v[2:3]
	global_load_dword v7, v[4:5], off
	global_load_dword v8, v[2:3], off
	v_lshl_add_u64 v[72:73], v[0:1], 2, s[16:17]
	v_lshl_add_u64 v[0:1], v[72:73], 0, v[58:59]
	global_load_dword v9, v[0:1], off
	global_load_dword v74, v[2:3], off offset:16
	global_load_dword v75, v[4:5], off offset:16
	;; [unrolled: 1-line block ×3, first 2 shown]
	v_mov_b32_e32 v0, 0x1000
	v_cmp_neq_f32_e64 s[8:9], s18, 0
	s_mov_b64 s[16:17], -1
	v_lshl_add_u32 v85, v82, 4, v0
	v_mov_b32_e32 v67, v59
	v_mov_b32_e32 v64, v59
	;; [unrolled: 1-line block ×59, first 2 shown]
	v_add_u32_e32 v87, 0x1000, v86
	v_lshlrev_b32_e32 v88, 4, v83
	s_waitcnt vmcnt(4)
	ds_write2st64_b32 v86, v7, v8 offset1:4
	s_waitcnt vmcnt(3)
	ds_write_b32 v86, v9 offset:4096
	v_mov_b32_e32 v8, v59
	v_mov_b32_e32 v9, v59
	;; [unrolled: 1-line block ×3, first 2 shown]
	s_waitcnt lgkmcnt(0)
	s_barrier
.LBB85_8:                               ; =>This Inner Loop Header: Depth=1
	v_cndmask_b32_e64 v0, 0, 1, s[16:17]
	s_lshl_b32 s15, s15, 2
	v_cmp_ne_u32_e32 vcc, 1, v0
	v_add_u32_e32 v0, s15, v85
	ds_read2_b64 v[78:81], v0 offset1:16
	ds_read2_b64 v[90:93], v0 offset0:32 offset1:48
	ds_read2_b64 v[94:97], v0 offset0:64 offset1:80
	ds_read2_b64 v[98:101], v0 offset0:96 offset1:112
	v_add_u32_e32 v0, s15, v88
	ds_read2st64_b64 v[102:105], v0 offset1:1
	ds_read2st64_b64 v[0:3], v0 offset0:2 offset1:3
	s_waitcnt lgkmcnt(5)
	v_max_f32_e32 v89, v78, v78
	v_max_f32_e32 v80, v80, v80
	;; [unrolled: 1-line block ×3, first 2 shown]
	s_waitcnt lgkmcnt(1)
	v_max_f32_e32 v77, v102, v102
	v_max_f32_e32 v102, v103, v103
	;; [unrolled: 1-line block ×3, first 2 shown]
	v_min_f32_e32 v78, v89, v77
	v_min_f32_e32 v79, v103, v102
	v_pk_add_f32 v[58:59], v[78:79], v[58:59]
	v_min_f32_e32 v78, v80, v77
	v_min_f32_e32 v79, v81, v102
	v_max_f32_e32 v90, v90, v90
	v_max_f32_e32 v91, v91, v91
	v_pk_add_f32 v[66:67], v[78:79], v[66:67]
	v_min_f32_e32 v78, v90, v77
	v_min_f32_e32 v79, v91, v102
	v_max_f32_e32 v92, v92, v92
	v_max_f32_e32 v93, v93, v93
	;; [unrolled: 5-line block ×5, first 2 shown]
	v_pk_add_f32 v[56:57], v[78:79], v[56:57]
	v_min_f32_e32 v78, v98, v77
	v_min_f32_e32 v79, v99, v102
	v_max_f32_e32 v100, v100, v100
	v_pk_add_f32 v[54:55], v[78:79], v[54:55]
	v_min_f32_e32 v78, v100, v77
	v_max_f32_e32 v77, v101, v101
	v_min_f32_e32 v79, v77, v102
	v_max_f32_e32 v101, v104, v104
	v_max_f32_e32 v102, v105, v105
	v_pk_add_f32 v[52:53], v[78:79], v[52:53]
	v_min_f32_e32 v78, v89, v101
	v_min_f32_e32 v79, v103, v102
	v_pk_add_f32 v[50:51], v[78:79], v[50:51]
	v_min_f32_e32 v78, v80, v101
	v_min_f32_e32 v79, v81, v102
	;; [unrolled: 3-line block ×8, first 2 shown]
	v_pk_add_f32 v[36:37], v[78:79], v[36:37]
	s_waitcnt lgkmcnt(0)
	v_max_f32_e32 v78, v0, v0
	v_max_f32_e32 v79, v1, v1
	v_min_f32_e32 v0, v89, v78
	v_min_f32_e32 v1, v103, v79
	v_pk_add_f32 v[34:35], v[0:1], v[34:35]
	v_min_f32_e32 v0, v80, v78
	v_min_f32_e32 v1, v81, v79
	v_pk_add_f32 v[32:33], v[0:1], v[32:33]
	;; [unrolled: 3-line block ×7, first 2 shown]
	v_min_f32_e32 v0, v100, v78
	v_min_f32_e32 v1, v77, v79
	v_max_f32_e32 v2, v2, v2
	v_max_f32_e32 v3, v3, v3
	v_pk_add_f32 v[20:21], v[0:1], v[20:21]
	v_min_f32_e32 v0, v89, v2
	v_min_f32_e32 v1, v103, v3
	v_pk_add_f32 v[18:19], v[0:1], v[18:19]
	v_min_f32_e32 v0, v80, v2
	v_min_f32_e32 v1, v81, v3
	;; [unrolled: 3-line block ×8, first 2 shown]
	v_pk_add_f32 v[4:5], v[0:1], v[4:5]
	s_mov_b64 s[16:17], 0
	s_mov_b32 s15, 2
	s_cbranch_vccz .LBB85_8
; %bb.9:
	s_cmp_lt_i32 s14, 9
	s_waitcnt vmcnt(0)
	ds_write_b32 v86, v76 offset:5120
	ds_write2st64_b32 v86, v75, v74 offset0:8 offset1:12
	s_waitcnt lgkmcnt(0)
	s_barrier
	s_cbranch_scc1 .LBB85_16
; %bb.10:
	v_mov_b32_e32 v0, 0x1400
	v_lshl_add_u32 v91, v82, 4, v0
	v_mov_b32_e32 v0, 0x800
	v_add_u32_e32 v89, 0x1400, v86
	v_add_u32_e32 v90, 0x800, v86
	s_add_i32 s16, s14, -8
	v_lshl_add_u32 v92, v83, 4, v0
	s_mov_b32 s17, 8
	s_mov_b32 s20, 0
	v_mov_b32_e32 v75, 0
.LBB85_11:                              ; =>This Loop Header: Depth=1
                                        ;     Child Loop BB85_12 Depth 2
                                        ;     Child Loop BB85_14 Depth 2
	v_or_b32_e32 v74, s17, v84
	v_lshlrev_b64 v[0:1], 2, v[74:75]
	v_lshl_add_u64 v[76:77], v[72:73], 0, v[0:1]
	v_lshl_add_u64 v[0:1], s[4:5], 0, v[0:1]
	;; [unrolled: 1-line block ×3, first 2 shown]
	global_load_dword v74, v[76:77], off
	v_lshl_add_u64 v[80:81], v[70:71], 2, v[0:1]
	global_load_dword v93, v[78:79], off
	global_load_dword v94, v[80:81], off
	s_mov_b64 s[14:15], -1
	s_mov_b32 s21, 0
.LBB85_12:                              ;   Parent Loop BB85_11 Depth=1
                                        ; =>  This Inner Loop Header: Depth=2
	v_cndmask_b32_e64 v0, 0, 1, s[14:15]
	s_lshl_b32 s14, s21, 2
	v_cmp_ne_u32_e32 vcc, 1, v0
	v_add_u32_e32 v0, s14, v91
	ds_read2_b64 v[96:99], v0 offset1:16
	ds_read2_b64 v[100:103], v0 offset0:32 offset1:48
	ds_read2_b64 v[104:107], v0 offset0:64 offset1:80
	;; [unrolled: 1-line block ×3, first 2 shown]
	v_add_u32_e32 v0, s14, v92
	ds_read2st64_b64 v[112:115], v0 offset1:1
	ds_read2st64_b64 v[0:3], v0 offset0:2 offset1:3
	s_waitcnt lgkmcnt(5)
	v_max_f32_e32 v116, v97, v97
	v_max_f32_e32 v98, v98, v98
	;; [unrolled: 1-line block ×3, first 2 shown]
	s_waitcnt lgkmcnt(1)
	v_max_f32_e32 v95, v112, v112
	v_max_f32_e32 v112, v96, v96
	;; [unrolled: 1-line block ×3, first 2 shown]
	v_min_f32_e32 v96, v112, v95
	v_min_f32_e32 v97, v116, v113
	v_pk_add_f32 v[58:59], v[96:97], v[58:59]
	v_min_f32_e32 v96, v98, v95
	v_min_f32_e32 v97, v99, v113
	v_max_f32_e32 v100, v100, v100
	v_max_f32_e32 v101, v101, v101
	v_pk_add_f32 v[66:67], v[96:97], v[66:67]
	v_min_f32_e32 v96, v100, v95
	v_min_f32_e32 v97, v101, v113
	v_max_f32_e32 v102, v102, v102
	v_max_f32_e32 v103, v103, v103
	;; [unrolled: 5-line block ×5, first 2 shown]
	v_pk_add_f32 v[56:57], v[96:97], v[56:57]
	v_min_f32_e32 v96, v108, v95
	v_min_f32_e32 v97, v109, v113
	v_max_f32_e32 v110, v110, v110
	v_pk_add_f32 v[54:55], v[96:97], v[54:55]
	v_min_f32_e32 v96, v110, v95
	v_max_f32_e32 v95, v111, v111
	v_min_f32_e32 v97, v95, v113
	v_max_f32_e32 v111, v114, v114
	v_max_f32_e32 v113, v115, v115
	v_pk_add_f32 v[52:53], v[96:97], v[52:53]
	v_min_f32_e32 v96, v112, v111
	v_min_f32_e32 v97, v116, v113
	v_pk_add_f32 v[50:51], v[96:97], v[50:51]
	v_min_f32_e32 v96, v98, v111
	v_min_f32_e32 v97, v99, v113
	v_pk_add_f32 v[48:49], v[96:97], v[48:49]
	v_min_f32_e32 v96, v100, v111
	v_min_f32_e32 v97, v101, v113
	v_pk_add_f32 v[46:47], v[96:97], v[46:47]
	v_min_f32_e32 v96, v102, v111
	v_min_f32_e32 v97, v103, v113
	v_pk_add_f32 v[44:45], v[96:97], v[44:45]
	v_min_f32_e32 v96, v104, v111
	v_min_f32_e32 v97, v105, v113
	v_pk_add_f32 v[42:43], v[96:97], v[42:43]
	v_min_f32_e32 v96, v106, v111
	v_min_f32_e32 v97, v107, v113
	v_pk_add_f32 v[40:41], v[96:97], v[40:41]
	v_min_f32_e32 v96, v108, v111
	v_min_f32_e32 v97, v109, v113
	v_pk_add_f32 v[38:39], v[96:97], v[38:39]
	v_min_f32_e32 v96, v110, v111
	v_min_f32_e32 v97, v95, v113
	v_pk_add_f32 v[36:37], v[96:97], v[36:37]
	s_waitcnt lgkmcnt(0)
	v_max_f32_e32 v96, v0, v0
	v_max_f32_e32 v97, v1, v1
	v_min_f32_e32 v0, v112, v96
	v_min_f32_e32 v1, v116, v97
	v_pk_add_f32 v[34:35], v[0:1], v[34:35]
	v_min_f32_e32 v0, v98, v96
	v_min_f32_e32 v1, v99, v97
	v_pk_add_f32 v[32:33], v[0:1], v[32:33]
	;; [unrolled: 3-line block ×7, first 2 shown]
	v_min_f32_e32 v0, v110, v96
	v_min_f32_e32 v1, v95, v97
	v_max_f32_e32 v2, v2, v2
	v_max_f32_e32 v3, v3, v3
	v_pk_add_f32 v[20:21], v[0:1], v[20:21]
	v_min_f32_e32 v0, v112, v2
	v_min_f32_e32 v1, v116, v3
	v_pk_add_f32 v[18:19], v[0:1], v[18:19]
	v_min_f32_e32 v0, v98, v2
	v_min_f32_e32 v1, v99, v3
	;; [unrolled: 3-line block ×8, first 2 shown]
	v_pk_add_f32 v[4:5], v[0:1], v[4:5]
	s_mov_b64 s[14:15], 0
	s_mov_b32 s21, 2
	s_cbranch_vccz .LBB85_12
; %bb.13:                               ;   in Loop: Header=BB85_11 Depth=1
	s_waitcnt vmcnt(2)
	ds_write_b32 v87, v74
	s_waitcnt vmcnt(0)
	ds_write2st64_b32 v86, v93, v94 offset1:4
	s_waitcnt lgkmcnt(0)
	s_barrier
	global_load_dword v74, v[76:77], off offset:16
	global_load_dword v93, v[78:79], off offset:16
	;; [unrolled: 1-line block ×3, first 2 shown]
	s_mov_b32 s21, 0
	s_mov_b64 s[14:15], -1
.LBB85_14:                              ;   Parent Loop BB85_11 Depth=1
                                        ; =>  This Inner Loop Header: Depth=2
	v_cndmask_b32_e64 v0, 0, 1, s[14:15]
	s_lshl_b32 s14, s21, 2
	v_cmp_ne_u32_e32 vcc, 1, v0
	v_add_u32_e32 v0, s14, v85
	ds_read2_b64 v[76:79], v0 offset1:16
	ds_read2_b64 v[96:99], v0 offset0:32 offset1:48
	ds_read2_b64 v[100:103], v0 offset0:64 offset1:80
	;; [unrolled: 1-line block ×3, first 2 shown]
	v_add_u32_e32 v0, s14, v88
	ds_read2st64_b64 v[108:111], v0 offset1:1
	ds_read2st64_b64 v[0:3], v0 offset0:2 offset1:3
	s_waitcnt lgkmcnt(5)
	v_max_f32_e32 v81, v76, v76
	v_max_f32_e32 v78, v78, v78
	v_max_f32_e32 v79, v79, v79
	s_waitcnt lgkmcnt(1)
	v_max_f32_e32 v80, v108, v108
	v_max_f32_e32 v95, v109, v109
	;; [unrolled: 1-line block ×3, first 2 shown]
	v_min_f32_e32 v76, v81, v80
	v_min_f32_e32 v77, v108, v95
	v_pk_add_f32 v[58:59], v[76:77], v[58:59]
	v_min_f32_e32 v76, v78, v80
	v_min_f32_e32 v77, v79, v95
	v_max_f32_e32 v96, v96, v96
	v_max_f32_e32 v97, v97, v97
	v_pk_add_f32 v[66:67], v[76:77], v[66:67]
	v_min_f32_e32 v76, v96, v80
	v_min_f32_e32 v77, v97, v95
	v_max_f32_e32 v98, v98, v98
	v_max_f32_e32 v99, v99, v99
	;; [unrolled: 5-line block ×5, first 2 shown]
	v_pk_add_f32 v[56:57], v[76:77], v[56:57]
	v_min_f32_e32 v76, v104, v80
	v_min_f32_e32 v77, v105, v95
	v_max_f32_e32 v106, v106, v106
	v_pk_add_f32 v[54:55], v[76:77], v[54:55]
	v_min_f32_e32 v76, v106, v80
	v_max_f32_e32 v80, v107, v107
	v_min_f32_e32 v77, v80, v95
	v_max_f32_e32 v95, v110, v110
	v_max_f32_e32 v107, v111, v111
	v_pk_add_f32 v[52:53], v[76:77], v[52:53]
	v_min_f32_e32 v76, v81, v95
	v_min_f32_e32 v77, v108, v107
	v_pk_add_f32 v[50:51], v[76:77], v[50:51]
	v_min_f32_e32 v76, v78, v95
	v_min_f32_e32 v77, v79, v107
	;; [unrolled: 3-line block ×8, first 2 shown]
	v_pk_add_f32 v[36:37], v[76:77], v[36:37]
	s_waitcnt lgkmcnt(0)
	v_max_f32_e32 v76, v0, v0
	v_max_f32_e32 v77, v1, v1
	v_min_f32_e32 v0, v81, v76
	v_min_f32_e32 v1, v108, v77
	v_pk_add_f32 v[34:35], v[0:1], v[34:35]
	v_min_f32_e32 v0, v78, v76
	v_min_f32_e32 v1, v79, v77
	v_pk_add_f32 v[32:33], v[0:1], v[32:33]
	;; [unrolled: 3-line block ×7, first 2 shown]
	v_min_f32_e32 v0, v106, v76
	v_min_f32_e32 v1, v80, v77
	v_max_f32_e32 v2, v2, v2
	v_max_f32_e32 v3, v3, v3
	v_pk_add_f32 v[20:21], v[0:1], v[20:21]
	v_min_f32_e32 v0, v81, v2
	v_min_f32_e32 v1, v108, v3
	v_pk_add_f32 v[18:19], v[0:1], v[18:19]
	v_min_f32_e32 v0, v78, v2
	v_min_f32_e32 v1, v79, v3
	;; [unrolled: 3-line block ×8, first 2 shown]
	v_pk_add_f32 v[4:5], v[0:1], v[4:5]
	s_mov_b64 s[14:15], 0
	s_mov_b32 s21, 2
	s_cbranch_vccz .LBB85_14
; %bb.15:                               ;   in Loop: Header=BB85_11 Depth=1
	s_add_i32 s17, s17, 8
	s_add_i32 s20, s20, 8
	s_cmp_ge_i32 s20, s16
	s_waitcnt vmcnt(2)
	ds_write_b32 v89, v74
	s_waitcnt vmcnt(0)
	ds_write2st64_b32 v90, v93, v94 offset1:4
	s_waitcnt lgkmcnt(0)
	s_barrier
	s_cbranch_scc0 .LBB85_11
.LBB85_16:
	v_mov_b32_e32 v0, 0x1400
	v_lshl_add_u32 v68, v82, 4, v0
	v_mov_b32_e32 v0, 0x800
	v_lshl_add_u32 v69, v83, 4, v0
	s_mov_b32 s14, 0
	s_mov_b64 s[4:5], -1
.LBB85_17:                              ; =>This Inner Loop Header: Depth=1
	v_cndmask_b32_e64 v0, 0, 1, s[4:5]
	s_lshl_b32 s4, s14, 2
	v_cmp_ne_u32_e32 vcc, 1, v0
	v_add_u32_e32 v0, s4, v68
	ds_read2_b64 v[70:73], v0 offset1:16
	ds_read2_b64 v[74:77], v0 offset0:32 offset1:48
	ds_read2_b64 v[78:81], v0 offset0:64 offset1:80
	;; [unrolled: 1-line block ×3, first 2 shown]
	v_add_u32_e32 v0, s4, v69
	ds_read2st64_b64 v[88:91], v0 offset1:1
	ds_read2st64_b64 v[0:3], v0 offset0:2 offset1:3
	s_waitcnt lgkmcnt(5)
	v_max_f32_e32 v92, v70, v70
	v_max_f32_e32 v93, v71, v71
	v_max_f32_e32 v72, v72, v72
	s_waitcnt lgkmcnt(1)
	v_max_f32_e32 v88, v88, v88
	v_max_f32_e32 v89, v89, v89
	v_min_f32_e32 v70, v92, v88
	v_min_f32_e32 v71, v93, v89
	v_max_f32_e32 v73, v73, v73
	v_pk_add_f32 v[58:59], v[70:71], v[58:59]
	v_min_f32_e32 v70, v72, v88
	v_min_f32_e32 v71, v73, v89
	v_max_f32_e32 v74, v74, v74
	v_max_f32_e32 v75, v75, v75
	v_pk_add_f32 v[66:67], v[70:71], v[66:67]
	v_min_f32_e32 v70, v74, v88
	v_min_f32_e32 v71, v75, v89
	v_max_f32_e32 v76, v76, v76
	;; [unrolled: 5-line block ×7, first 2 shown]
	v_max_f32_e32 v89, v91, v91
	v_pk_add_f32 v[52:53], v[70:71], v[52:53]
	v_min_f32_e32 v70, v92, v88
	v_min_f32_e32 v71, v93, v89
	v_pk_add_f32 v[50:51], v[70:71], v[50:51]
	v_min_f32_e32 v70, v72, v88
	v_min_f32_e32 v71, v73, v89
	;; [unrolled: 3-line block ×8, first 2 shown]
	v_pk_add_f32 v[36:37], v[70:71], v[36:37]
	s_waitcnt lgkmcnt(0)
	v_max_f32_e32 v70, v0, v0
	v_max_f32_e32 v71, v1, v1
	v_min_f32_e32 v0, v92, v70
	v_min_f32_e32 v1, v93, v71
	v_pk_add_f32 v[34:35], v[0:1], v[34:35]
	v_min_f32_e32 v0, v72, v70
	v_min_f32_e32 v1, v73, v71
	v_pk_add_f32 v[32:33], v[0:1], v[32:33]
	v_min_f32_e32 v0, v74, v70
	v_min_f32_e32 v1, v75, v71
	v_pk_add_f32 v[30:31], v[0:1], v[30:31]
	v_min_f32_e32 v0, v76, v70
	v_min_f32_e32 v1, v77, v71
	v_pk_add_f32 v[28:29], v[0:1], v[28:29]
	v_min_f32_e32 v0, v78, v70
	v_min_f32_e32 v1, v79, v71
	v_pk_add_f32 v[26:27], v[0:1], v[26:27]
	v_min_f32_e32 v0, v80, v70
	v_min_f32_e32 v1, v81, v71
	v_pk_add_f32 v[24:25], v[0:1], v[24:25]
	v_min_f32_e32 v0, v84, v70
	v_min_f32_e32 v1, v85, v71
	v_pk_add_f32 v[22:23], v[0:1], v[22:23]
	v_min_f32_e32 v0, v86, v70
	v_min_f32_e32 v1, v87, v71
	v_max_f32_e32 v2, v2, v2
	v_max_f32_e32 v3, v3, v3
	v_pk_add_f32 v[20:21], v[0:1], v[20:21]
	v_min_f32_e32 v0, v92, v2
	v_min_f32_e32 v1, v93, v3
	v_pk_add_f32 v[18:19], v[0:1], v[18:19]
	v_min_f32_e32 v0, v72, v2
	v_min_f32_e32 v1, v73, v3
	;; [unrolled: 3-line block ×8, first 2 shown]
	v_pk_add_f32 v[4:5], v[0:1], v[4:5]
	s_mov_b64 s[4:5], 0
	s_mov_b32 s14, 2
	s_cbranch_vccz .LBB85_17
; %bb.18:
	s_load_dword s14, s[0:1], 0x50
	v_add_u32_e32 v72, s19, v83
	v_add_u32_e32 v0, s2, v82
	v_ashrrev_i32_e32 v1, 31, v0
	v_mov_b32_e32 v73, 0
	s_waitcnt lgkmcnt(0)
	v_mad_i64_i32 v[2:3], s[4:5], v72, s14, 0
	v_lshl_add_u64 v[68:69], v[2:3], 2, s[12:13]
	v_cndmask_b32_e64 v2, 0, 1, s[8:9]
	v_cmp_ne_u32_e64 s[4:5], 1, v2
	s_andn2_b64 vcc, exec, s[8:9]
	v_mov_b32_e32 v74, 0
	s_cbranch_vccnz .LBB85_20
; %bb.19:
	v_lshl_add_u64 v[2:3], v[0:1], 2, v[68:69]
	global_load_dword v2, v[2:3], off
	s_waitcnt vmcnt(0)
	v_mul_f32_e32 v74, s18, v2
.LBB85_20:
	s_load_dwordx2 s[8:9], s[0:1], 0x70
	s_load_dword s2, s[0:1], 0x68
	v_add_u32_e32 v2, 8, v0
	v_add_f32_e32 v58, v58, v59
	v_ashrrev_i32_e32 v3, 31, v2
	s_waitcnt lgkmcnt(0)
	s_mul_i32 s1, s9, s3
	s_mul_hi_u32 s9, s8, s3
	s_mul_i32 s0, s8, s3
	s_add_i32 s1, s9, s1
	s_lshl_b64 s[0:1], s[0:1], 2
	s_add_u32 s0, s10, s0
	s_addc_u32 s1, s11, s1
	v_mad_i64_i32 v[70:71], s[8:9], v72, s2, 0
	v_lshl_add_u64 v[70:71], v[70:71], 2, s[0:1]
	v_add_f32_e32 v74, v58, v74
	v_lshl_add_u64 v[58:59], v[0:1], 2, v[70:71]
	s_and_b64 vcc, exec, s[4:5]
	global_store_dword v[58:59], v74, off
	s_cbranch_vccnz .LBB85_22
; %bb.21:
	v_lshl_add_u64 v[58:59], v[2:3], 2, v[68:69]
	global_load_dword v58, v[58:59], off
	s_waitcnt vmcnt(0)
	v_mul_f32_e32 v73, s18, v58
.LBB85_22:
	v_add_f32_e32 v66, v66, v67
	v_add_u32_e32 v58, 16, v0
	v_add_f32_e32 v73, v66, v73
	v_lshl_add_u64 v[66:67], v[2:3], 2, v[70:71]
	v_ashrrev_i32_e32 v59, 31, v58
	global_store_dword v[66:67], v73, off
	v_mov_b32_e32 v66, 0
	s_and_b64 vcc, exec, s[4:5]
	v_mov_b32_e32 v67, 0
	s_cbranch_vccnz .LBB85_24
; %bb.23:
	v_lshl_add_u64 v[74:75], v[58:59], 2, v[68:69]
	global_load_dword v67, v[74:75], off
	s_waitcnt vmcnt(0)
	v_mul_f32_e32 v67, s18, v67
.LBB85_24:
	v_add_f32_e32 v73, v64, v65
	v_add_u32_e32 v64, 24, v0
	v_ashrrev_i32_e32 v65, 31, v64
	v_add_f32_e32 v67, v73, v67
	v_lshl_add_u64 v[74:75], v[58:59], 2, v[70:71]
	s_and_b64 vcc, exec, s[4:5]
	global_store_dword v[74:75], v67, off
	s_cbranch_vccnz .LBB85_26
; %bb.25:
	v_lshl_add_u64 v[66:67], v[64:65], 2, v[68:69]
	global_load_dword v66, v[66:67], off
	s_waitcnt vmcnt(0)
	v_mul_f32_e32 v66, s18, v66
.LBB85_26:
	v_add_f32_e32 v67, v62, v63
	v_add_u32_e32 v62, 32, v0
	v_add_f32_e32 v73, v67, v66
	v_lshl_add_u64 v[66:67], v[64:65], 2, v[70:71]
	v_ashrrev_i32_e32 v63, 31, v62
	global_store_dword v[66:67], v73, off
	v_mov_b32_e32 v66, 0
	s_and_b64 vcc, exec, s[4:5]
	v_mov_b32_e32 v67, 0
	s_cbranch_vccnz .LBB85_28
; %bb.27:
	v_lshl_add_u64 v[74:75], v[62:63], 2, v[68:69]
	global_load_dword v67, v[74:75], off
	s_waitcnt vmcnt(0)
	v_mul_f32_e32 v67, s18, v67
.LBB85_28:
	v_add_f32_e32 v73, v60, v61
	v_add_u32_e32 v60, 40, v0
	v_ashrrev_i32_e32 v61, 31, v60
	;; [unrolled: 30-line block ×3, first 2 shown]
	v_add_f32_e32 v67, v73, v67
	v_lshl_add_u64 v[74:75], v[56:57], 2, v[70:71]
	s_and_b64 vcc, exec, s[4:5]
	global_store_dword v[74:75], v67, off
	s_cbranch_vccnz .LBB85_34
; %bb.33:
	v_lshl_add_u64 v[66:67], v[54:55], 2, v[68:69]
	global_load_dword v66, v[66:67], off
	s_waitcnt vmcnt(0)
	v_mul_f32_e32 v66, s18, v66
.LBB85_34:
	v_add_f32_e32 v52, v52, v53
	v_add_f32_e32 v66, v52, v66
	v_lshl_add_u64 v[52:53], v[54:55], 2, v[70:71]
	global_store_dword v[52:53], v66, off
	v_add_u32_e32 v66, 32, v72
	v_mad_i64_i32 v[52:53], s[8:9], v66, s14, 0
	v_lshl_add_u64 v[52:53], v[52:53], 2, s[12:13]
	v_mov_b32_e32 v68, 0
	s_and_b64 vcc, exec, s[4:5]
	v_mov_b32_e32 v69, 0
	s_cbranch_vccnz .LBB85_36
; %bb.35:
	v_lshl_add_u64 v[70:71], v[0:1], 2, v[52:53]
	global_load_dword v67, v[70:71], off
	s_waitcnt vmcnt(0)
	v_mul_f32_e32 v69, s18, v67
.LBB85_36:
	v_mad_i64_i32 v[66:67], s[8:9], v66, s2, 0
	v_lshl_add_u64 v[66:67], v[66:67], 2, s[0:1]
	v_add_f32_e32 v50, v50, v51
	v_add_f32_e32 v69, v50, v69
	v_lshl_add_u64 v[50:51], v[0:1], 2, v[66:67]
	s_and_b64 vcc, exec, s[4:5]
	global_store_dword v[50:51], v69, off
	s_cbranch_vccnz .LBB85_38
; %bb.37:
	v_lshl_add_u64 v[50:51], v[2:3], 2, v[52:53]
	global_load_dword v50, v[50:51], off
	s_waitcnt vmcnt(0)
	v_mul_f32_e32 v68, s18, v50
.LBB85_38:
	v_add_f32_e32 v48, v48, v49
	v_add_f32_e32 v50, v48, v68
	v_lshl_add_u64 v[48:49], v[2:3], 2, v[66:67]
	global_store_dword v[48:49], v50, off
	v_mov_b32_e32 v48, 0
	s_and_b64 vcc, exec, s[4:5]
	v_mov_b32_e32 v49, 0
	s_cbranch_vccnz .LBB85_40
; %bb.39:
	v_lshl_add_u64 v[50:51], v[58:59], 2, v[52:53]
	global_load_dword v49, v[50:51], off
	s_waitcnt vmcnt(0)
	v_mul_f32_e32 v49, s18, v49
.LBB85_40:
	v_add_f32_e32 v46, v46, v47
	v_add_f32_e32 v49, v46, v49
	v_lshl_add_u64 v[46:47], v[58:59], 2, v[66:67]
	s_and_b64 vcc, exec, s[4:5]
	global_store_dword v[46:47], v49, off
	s_cbranch_vccnz .LBB85_42
; %bb.41:
	v_lshl_add_u64 v[46:47], v[64:65], 2, v[52:53]
	global_load_dword v46, v[46:47], off
	s_waitcnt vmcnt(0)
	v_mul_f32_e32 v48, s18, v46
.LBB85_42:
	v_add_f32_e32 v44, v44, v45
	v_add_f32_e32 v46, v44, v48
	v_lshl_add_u64 v[44:45], v[64:65], 2, v[66:67]
	global_store_dword v[44:45], v46, off
	v_mov_b32_e32 v44, 0
	s_and_b64 vcc, exec, s[4:5]
	v_mov_b32_e32 v45, 0
	s_cbranch_vccnz .LBB85_44
; %bb.43:
	v_lshl_add_u64 v[46:47], v[62:63], 2, v[52:53]
	global_load_dword v45, v[46:47], off
	s_waitcnt vmcnt(0)
	v_mul_f32_e32 v45, s18, v45
.LBB85_44:
	v_add_f32_e32 v42, v42, v43
	v_add_f32_e32 v45, v42, v45
	v_lshl_add_u64 v[42:43], v[62:63], 2, v[66:67]
	s_and_b64 vcc, exec, s[4:5]
	global_store_dword v[42:43], v45, off
	s_cbranch_vccnz .LBB85_46
; %bb.45:
	v_lshl_add_u64 v[42:43], v[60:61], 2, v[52:53]
	global_load_dword v42, v[42:43], off
	s_waitcnt vmcnt(0)
	v_mul_f32_e32 v44, s18, v42
.LBB85_46:
	v_add_f32_e32 v40, v40, v41
	v_add_f32_e32 v42, v40, v44
	v_lshl_add_u64 v[40:41], v[60:61], 2, v[66:67]
	global_store_dword v[40:41], v42, off
	v_mov_b32_e32 v40, 0
	s_and_b64 vcc, exec, s[4:5]
	v_mov_b32_e32 v41, 0
	s_cbranch_vccnz .LBB85_48
; %bb.47:
	v_lshl_add_u64 v[42:43], v[56:57], 2, v[52:53]
	global_load_dword v41, v[42:43], off
	s_waitcnt vmcnt(0)
	v_mul_f32_e32 v41, s18, v41
.LBB85_48:
	v_add_f32_e32 v38, v38, v39
	v_add_f32_e32 v41, v38, v41
	v_lshl_add_u64 v[38:39], v[56:57], 2, v[66:67]
	s_and_b64 vcc, exec, s[4:5]
	global_store_dword v[38:39], v41, off
	s_cbranch_vccnz .LBB85_50
; %bb.49:
	v_lshl_add_u64 v[38:39], v[54:55], 2, v[52:53]
	global_load_dword v38, v[38:39], off
	s_waitcnt vmcnt(0)
	v_mul_f32_e32 v40, s18, v38
.LBB85_50:
	v_add_f32_e32 v36, v36, v37
	v_add_f32_e32 v38, v36, v40
	v_lshl_add_u64 v[36:37], v[54:55], 2, v[66:67]
	global_store_dword v[36:37], v38, off
	v_add_u32_e32 v38, 64, v72
	v_mad_i64_i32 v[36:37], s[8:9], v38, s14, 0
	v_lshl_add_u64 v[36:37], v[36:37], 2, s[12:13]
	v_mov_b32_e32 v40, 0
	s_and_b64 vcc, exec, s[4:5]
	v_mov_b32_e32 v41, 0
	s_cbranch_vccnz .LBB85_52
; %bb.51:
	v_lshl_add_u64 v[42:43], v[0:1], 2, v[36:37]
	global_load_dword v39, v[42:43], off
	s_waitcnt vmcnt(0)
	v_mul_f32_e32 v41, s18, v39
.LBB85_52:
	v_mad_i64_i32 v[38:39], s[8:9], v38, s2, 0
	v_lshl_add_u64 v[38:39], v[38:39], 2, s[0:1]
	v_add_f32_e32 v34, v34, v35
	v_add_f32_e32 v41, v34, v41
	v_lshl_add_u64 v[34:35], v[0:1], 2, v[38:39]
	s_and_b64 vcc, exec, s[4:5]
	global_store_dword v[34:35], v41, off
	s_cbranch_vccnz .LBB85_54
; %bb.53:
	v_lshl_add_u64 v[34:35], v[2:3], 2, v[36:37]
	global_load_dword v34, v[34:35], off
	s_waitcnt vmcnt(0)
	v_mul_f32_e32 v40, s18, v34
.LBB85_54:
	v_add_f32_e32 v32, v32, v33
	v_add_f32_e32 v34, v32, v40
	v_lshl_add_u64 v[32:33], v[2:3], 2, v[38:39]
	global_store_dword v[32:33], v34, off
	v_mov_b32_e32 v32, 0
	s_and_b64 vcc, exec, s[4:5]
	v_mov_b32_e32 v33, 0
	s_cbranch_vccnz .LBB85_56
; %bb.55:
	v_lshl_add_u64 v[34:35], v[58:59], 2, v[36:37]
	global_load_dword v33, v[34:35], off
	s_waitcnt vmcnt(0)
	v_mul_f32_e32 v33, s18, v33
.LBB85_56:
	v_add_f32_e32 v30, v30, v31
	v_add_f32_e32 v33, v30, v33
	v_lshl_add_u64 v[30:31], v[58:59], 2, v[38:39]
	s_and_b64 vcc, exec, s[4:5]
	global_store_dword v[30:31], v33, off
	s_cbranch_vccnz .LBB85_58
; %bb.57:
	v_lshl_add_u64 v[30:31], v[64:65], 2, v[36:37]
	global_load_dword v30, v[30:31], off
	s_waitcnt vmcnt(0)
	v_mul_f32_e32 v32, s18, v30
.LBB85_58:
	v_add_f32_e32 v28, v28, v29
	v_add_f32_e32 v30, v28, v32
	v_lshl_add_u64 v[28:29], v[64:65], 2, v[38:39]
	global_store_dword v[28:29], v30, off
	v_mov_b32_e32 v28, 0
	s_and_b64 vcc, exec, s[4:5]
	v_mov_b32_e32 v29, 0
	s_cbranch_vccnz .LBB85_60
; %bb.59:
	v_lshl_add_u64 v[30:31], v[62:63], 2, v[36:37]
	global_load_dword v29, v[30:31], off
	s_waitcnt vmcnt(0)
	v_mul_f32_e32 v29, s18, v29
.LBB85_60:
	;; [unrolled: 26-line block ×3, first 2 shown]
	v_add_f32_e32 v22, v22, v23
	v_add_f32_e32 v25, v22, v25
	v_lshl_add_u64 v[22:23], v[56:57], 2, v[38:39]
	s_and_b64 vcc, exec, s[4:5]
	global_store_dword v[22:23], v25, off
	s_cbranch_vccnz .LBB85_66
; %bb.65:
	v_lshl_add_u64 v[22:23], v[54:55], 2, v[36:37]
	global_load_dword v22, v[22:23], off
	s_waitcnt vmcnt(0)
	v_mul_f32_e32 v24, s18, v22
.LBB85_66:
	v_add_f32_e32 v20, v20, v21
	v_add_f32_e32 v22, v20, v24
	v_lshl_add_u64 v[20:21], v[54:55], 2, v[38:39]
	global_store_dword v[20:21], v22, off
	v_add_u32_e32 v22, 0x60, v72
	v_mad_i64_i32 v[20:21], s[8:9], v22, s14, 0
	v_lshl_add_u64 v[20:21], v[20:21], 2, s[12:13]
	v_mov_b32_e32 v24, 0
	s_and_b64 vcc, exec, s[4:5]
	v_mov_b32_e32 v25, 0
	s_cbranch_vccnz .LBB85_68
; %bb.67:
	v_lshl_add_u64 v[26:27], v[0:1], 2, v[20:21]
	global_load_dword v23, v[26:27], off
	s_waitcnt vmcnt(0)
	v_mul_f32_e32 v25, s18, v23
.LBB85_68:
	v_mad_i64_i32 v[22:23], s[2:3], v22, s2, 0
	v_lshl_add_u64 v[22:23], v[22:23], 2, s[0:1]
	v_add_f32_e32 v18, v18, v19
	v_add_f32_e32 v18, v18, v25
	v_lshl_add_u64 v[0:1], v[0:1], 2, v[22:23]
	s_and_b64 vcc, exec, s[4:5]
	global_store_dword v[0:1], v18, off
	s_cbranch_vccnz .LBB85_70
; %bb.69:
	v_lshl_add_u64 v[0:1], v[2:3], 2, v[20:21]
	global_load_dword v0, v[0:1], off
	s_waitcnt vmcnt(0)
	v_mul_f32_e32 v24, s18, v0
.LBB85_70:
	v_add_f32_e32 v0, v16, v17
	v_add_f32_e32 v16, v0, v24
	v_lshl_add_u64 v[0:1], v[2:3], 2, v[22:23]
	global_store_dword v[0:1], v16, off
	v_mov_b32_e32 v0, 0
	s_and_b64 vcc, exec, s[4:5]
	v_mov_b32_e32 v1, 0
	s_cbranch_vccnz .LBB85_72
; %bb.71:
	v_lshl_add_u64 v[2:3], v[58:59], 2, v[20:21]
	global_load_dword v1, v[2:3], off
	s_waitcnt vmcnt(0)
	v_mul_f32_e32 v1, s18, v1
.LBB85_72:
	v_add_f32_e32 v2, v14, v15
	v_add_f32_e32 v1, v2, v1
	v_lshl_add_u64 v[2:3], v[58:59], 2, v[22:23]
	s_and_b64 vcc, exec, s[4:5]
	global_store_dword v[2:3], v1, off
	s_cbranch_vccnz .LBB85_74
; %bb.73:
	v_lshl_add_u64 v[0:1], v[64:65], 2, v[20:21]
	global_load_dword v0, v[0:1], off
	s_waitcnt vmcnt(0)
	v_mul_f32_e32 v0, s18, v0
.LBB85_74:
	v_add_f32_e32 v1, v12, v13
	v_add_f32_e32 v2, v1, v0
	v_lshl_add_u64 v[0:1], v[64:65], 2, v[22:23]
	global_store_dword v[0:1], v2, off
	v_mov_b32_e32 v0, 0
	s_and_b64 vcc, exec, s[4:5]
	v_mov_b32_e32 v1, 0
	s_cbranch_vccnz .LBB85_76
; %bb.75:
	v_lshl_add_u64 v[2:3], v[62:63], 2, v[20:21]
	global_load_dword v1, v[2:3], off
	s_waitcnt vmcnt(0)
	v_mul_f32_e32 v1, s18, v1
.LBB85_76:
	v_add_f32_e32 v2, v10, v11
	v_add_f32_e32 v1, v2, v1
	v_lshl_add_u64 v[2:3], v[62:63], 2, v[22:23]
	s_and_b64 vcc, exec, s[4:5]
	global_store_dword v[2:3], v1, off
	s_cbranch_vccnz .LBB85_78
; %bb.77:
	v_lshl_add_u64 v[0:1], v[60:61], 2, v[20:21]
	global_load_dword v0, v[0:1], off
	s_waitcnt vmcnt(0)
	v_mul_f32_e32 v0, s18, v0
.LBB85_78:
	v_add_f32_e32 v1, v8, v9
	v_add_f32_e32 v2, v1, v0
	v_lshl_add_u64 v[0:1], v[60:61], 2, v[22:23]
	global_store_dword v[0:1], v2, off
	v_add_f32_e32 v0, v6, v7
	s_mov_b64 s[0:1], -1
	s_mov_b64 vcc, s[6:7]
	s_cbranch_vccz .LBB85_80
; %bb.79:
	v_add_f32_e32 v1, 0, v0
	v_lshl_add_u64 v[2:3], v[56:57], 2, v[22:23]
	global_store_dword v[2:3], v1, off
	s_mov_b64 s[0:1], 0
.LBB85_80:
	s_andn2_b64 vcc, exec, s[0:1]
	v_mov_b32_e32 v1, 0
	s_cbranch_vccnz .LBB85_82
; %bb.81:
	v_lshlrev_b64 v[2:3], 2, v[56:57]
	v_lshl_add_u64 v[6:7], v[20:21], 0, v[2:3]
	global_load_dword v1, v[6:7], off
	v_lshl_add_u64 v[2:3], v[22:23], 0, v[2:3]
	s_waitcnt vmcnt(0)
	v_fmac_f32_e32 v0, s18, v1
	global_store_dword v[2:3], v0, off
	v_lshl_add_u64 v[0:1], v[54:55], 2, v[20:21]
	global_load_dword v0, v[0:1], off
	s_waitcnt vmcnt(0)
	v_mul_f32_e32 v1, s18, v0
.LBB85_82:
	v_add_f32_e32 v0, v4, v5
	v_add_f32_e32 v2, v0, v1
	v_lshl_add_u64 v[0:1], v[54:55], 2, v[22:23]
	global_store_dword v[0:1], v2, off
	s_endpgm
.LBB85_83:
	s_mov_b64 s[16:17], 0
	s_andn2_b64 vcc, exec, s[8:9]
	s_mov_b64 s[4:5], -1
	s_cbranch_vccz .LBB85_2
	s_branch .LBB85_3
	.section	.rodata,"a",@progbits
	.p2align	6, 0x0
	.amdhsa_kernel _ZN12_GLOBAL__N_120geam_min_plus_kernelIf15HIP_vector_typeIfLj2EES2_Li8ELi32ELi64ELi128ELi4ELi4ELi64ELi4ELi64ELc84ELc78ELb1ELb0ELb0EfKffEEviiiT16_PT17_ilS6_ilS4_S6_ilPT18_ili26rocblas_geam_ex_operation_
		.amdhsa_group_segment_fixed_size 6144
		.amdhsa_private_segment_fixed_size 0
		.amdhsa_kernarg_size 128
		.amdhsa_user_sgpr_count 2
		.amdhsa_user_sgpr_dispatch_ptr 0
		.amdhsa_user_sgpr_queue_ptr 0
		.amdhsa_user_sgpr_kernarg_segment_ptr 1
		.amdhsa_user_sgpr_dispatch_id 0
		.amdhsa_user_sgpr_kernarg_preload_length 0
		.amdhsa_user_sgpr_kernarg_preload_offset 0
		.amdhsa_user_sgpr_private_segment_size 0
		.amdhsa_uses_dynamic_stack 0
		.amdhsa_enable_private_segment 0
		.amdhsa_system_sgpr_workgroup_id_x 1
		.amdhsa_system_sgpr_workgroup_id_y 0
		.amdhsa_system_sgpr_workgroup_id_z 1
		.amdhsa_system_sgpr_workgroup_info 0
		.amdhsa_system_vgpr_workitem_id 1
		.amdhsa_next_free_vgpr 117
		.amdhsa_next_free_sgpr 24
		.amdhsa_accum_offset 120
		.amdhsa_reserve_vcc 1
		.amdhsa_float_round_mode_32 0
		.amdhsa_float_round_mode_16_64 0
		.amdhsa_float_denorm_mode_32 3
		.amdhsa_float_denorm_mode_16_64 3
		.amdhsa_dx10_clamp 1
		.amdhsa_ieee_mode 1
		.amdhsa_fp16_overflow 0
		.amdhsa_tg_split 0
		.amdhsa_exception_fp_ieee_invalid_op 0
		.amdhsa_exception_fp_denorm_src 0
		.amdhsa_exception_fp_ieee_div_zero 0
		.amdhsa_exception_fp_ieee_overflow 0
		.amdhsa_exception_fp_ieee_underflow 0
		.amdhsa_exception_fp_ieee_inexact 0
		.amdhsa_exception_int_div_zero 0
	.end_amdhsa_kernel
	.section	.text._ZN12_GLOBAL__N_120geam_min_plus_kernelIf15HIP_vector_typeIfLj2EES2_Li8ELi32ELi64ELi128ELi4ELi4ELi64ELi4ELi64ELc84ELc78ELb1ELb0ELb0EfKffEEviiiT16_PT17_ilS6_ilS4_S6_ilPT18_ili26rocblas_geam_ex_operation_,"axG",@progbits,_ZN12_GLOBAL__N_120geam_min_plus_kernelIf15HIP_vector_typeIfLj2EES2_Li8ELi32ELi64ELi128ELi4ELi4ELi64ELi4ELi64ELc84ELc78ELb1ELb0ELb0EfKffEEviiiT16_PT17_ilS6_ilS4_S6_ilPT18_ili26rocblas_geam_ex_operation_,comdat
.Lfunc_end85:
	.size	_ZN12_GLOBAL__N_120geam_min_plus_kernelIf15HIP_vector_typeIfLj2EES2_Li8ELi32ELi64ELi128ELi4ELi4ELi64ELi4ELi64ELc84ELc78ELb1ELb0ELb0EfKffEEviiiT16_PT17_ilS6_ilS4_S6_ilPT18_ili26rocblas_geam_ex_operation_, .Lfunc_end85-_ZN12_GLOBAL__N_120geam_min_plus_kernelIf15HIP_vector_typeIfLj2EES2_Li8ELi32ELi64ELi128ELi4ELi4ELi64ELi4ELi64ELc84ELc78ELb1ELb0ELb0EfKffEEviiiT16_PT17_ilS6_ilS4_S6_ilPT18_ili26rocblas_geam_ex_operation_
                                        ; -- End function
	.set _ZN12_GLOBAL__N_120geam_min_plus_kernelIf15HIP_vector_typeIfLj2EES2_Li8ELi32ELi64ELi128ELi4ELi4ELi64ELi4ELi64ELc84ELc78ELb1ELb0ELb0EfKffEEviiiT16_PT17_ilS6_ilS4_S6_ilPT18_ili26rocblas_geam_ex_operation_.num_vgpr, 117
	.set _ZN12_GLOBAL__N_120geam_min_plus_kernelIf15HIP_vector_typeIfLj2EES2_Li8ELi32ELi64ELi128ELi4ELi4ELi64ELi4ELi64ELc84ELc78ELb1ELb0ELb0EfKffEEviiiT16_PT17_ilS6_ilS4_S6_ilPT18_ili26rocblas_geam_ex_operation_.num_agpr, 0
	.set _ZN12_GLOBAL__N_120geam_min_plus_kernelIf15HIP_vector_typeIfLj2EES2_Li8ELi32ELi64ELi128ELi4ELi4ELi64ELi4ELi64ELc84ELc78ELb1ELb0ELb0EfKffEEviiiT16_PT17_ilS6_ilS4_S6_ilPT18_ili26rocblas_geam_ex_operation_.numbered_sgpr, 24
	.set _ZN12_GLOBAL__N_120geam_min_plus_kernelIf15HIP_vector_typeIfLj2EES2_Li8ELi32ELi64ELi128ELi4ELi4ELi64ELi4ELi64ELc84ELc78ELb1ELb0ELb0EfKffEEviiiT16_PT17_ilS6_ilS4_S6_ilPT18_ili26rocblas_geam_ex_operation_.num_named_barrier, 0
	.set _ZN12_GLOBAL__N_120geam_min_plus_kernelIf15HIP_vector_typeIfLj2EES2_Li8ELi32ELi64ELi128ELi4ELi4ELi64ELi4ELi64ELc84ELc78ELb1ELb0ELb0EfKffEEviiiT16_PT17_ilS6_ilS4_S6_ilPT18_ili26rocblas_geam_ex_operation_.private_seg_size, 0
	.set _ZN12_GLOBAL__N_120geam_min_plus_kernelIf15HIP_vector_typeIfLj2EES2_Li8ELi32ELi64ELi128ELi4ELi4ELi64ELi4ELi64ELc84ELc78ELb1ELb0ELb0EfKffEEviiiT16_PT17_ilS6_ilS4_S6_ilPT18_ili26rocblas_geam_ex_operation_.uses_vcc, 1
	.set _ZN12_GLOBAL__N_120geam_min_plus_kernelIf15HIP_vector_typeIfLj2EES2_Li8ELi32ELi64ELi128ELi4ELi4ELi64ELi4ELi64ELc84ELc78ELb1ELb0ELb0EfKffEEviiiT16_PT17_ilS6_ilS4_S6_ilPT18_ili26rocblas_geam_ex_operation_.uses_flat_scratch, 0
	.set _ZN12_GLOBAL__N_120geam_min_plus_kernelIf15HIP_vector_typeIfLj2EES2_Li8ELi32ELi64ELi128ELi4ELi4ELi64ELi4ELi64ELc84ELc78ELb1ELb0ELb0EfKffEEviiiT16_PT17_ilS6_ilS4_S6_ilPT18_ili26rocblas_geam_ex_operation_.has_dyn_sized_stack, 0
	.set _ZN12_GLOBAL__N_120geam_min_plus_kernelIf15HIP_vector_typeIfLj2EES2_Li8ELi32ELi64ELi128ELi4ELi4ELi64ELi4ELi64ELc84ELc78ELb1ELb0ELb0EfKffEEviiiT16_PT17_ilS6_ilS4_S6_ilPT18_ili26rocblas_geam_ex_operation_.has_recursion, 0
	.set _ZN12_GLOBAL__N_120geam_min_plus_kernelIf15HIP_vector_typeIfLj2EES2_Li8ELi32ELi64ELi128ELi4ELi4ELi64ELi4ELi64ELc84ELc78ELb1ELb0ELb0EfKffEEviiiT16_PT17_ilS6_ilS4_S6_ilPT18_ili26rocblas_geam_ex_operation_.has_indirect_call, 0
	.section	.AMDGPU.csdata,"",@progbits
; Kernel info:
; codeLenInByte = 6284
; TotalNumSgprs: 30
; NumVgprs: 117
; NumAgprs: 0
; TotalNumVgprs: 117
; ScratchSize: 0
; MemoryBound: 0
; FloatMode: 240
; IeeeMode: 1
; LDSByteSize: 6144 bytes/workgroup (compile time only)
; SGPRBlocks: 3
; VGPRBlocks: 14
; NumSGPRsForWavesPerEU: 30
; NumVGPRsForWavesPerEU: 117
; AccumOffset: 120
; Occupancy: 4
; WaveLimiterHint : 0
; COMPUTE_PGM_RSRC2:SCRATCH_EN: 0
; COMPUTE_PGM_RSRC2:USER_SGPR: 2
; COMPUTE_PGM_RSRC2:TRAP_HANDLER: 0
; COMPUTE_PGM_RSRC2:TGID_X_EN: 1
; COMPUTE_PGM_RSRC2:TGID_Y_EN: 0
; COMPUTE_PGM_RSRC2:TGID_Z_EN: 1
; COMPUTE_PGM_RSRC2:TIDIG_COMP_CNT: 1
; COMPUTE_PGM_RSRC3_GFX90A:ACCUM_OFFSET: 29
; COMPUTE_PGM_RSRC3_GFX90A:TG_SPLIT: 0
	.section	.text._ZN12_GLOBAL__N_120geam_min_plus_kernelIf15HIP_vector_typeIfLj2EES2_Li8ELi32ELi64ELi128ELi4ELi4ELi64ELi4ELi64ELc84ELc78ELb0ELb0ELb0EfKffEEviiiT16_PT17_ilS6_ilS4_S6_ilPT18_ili26rocblas_geam_ex_operation_,"axG",@progbits,_ZN12_GLOBAL__N_120geam_min_plus_kernelIf15HIP_vector_typeIfLj2EES2_Li8ELi32ELi64ELi128ELi4ELi4ELi64ELi4ELi64ELc84ELc78ELb0ELb0ELb0EfKffEEviiiT16_PT17_ilS6_ilS4_S6_ilPT18_ili26rocblas_geam_ex_operation_,comdat
	.globl	_ZN12_GLOBAL__N_120geam_min_plus_kernelIf15HIP_vector_typeIfLj2EES2_Li8ELi32ELi64ELi128ELi4ELi4ELi64ELi4ELi64ELc84ELc78ELb0ELb0ELb0EfKffEEviiiT16_PT17_ilS6_ilS4_S6_ilPT18_ili26rocblas_geam_ex_operation_ ; -- Begin function _ZN12_GLOBAL__N_120geam_min_plus_kernelIf15HIP_vector_typeIfLj2EES2_Li8ELi32ELi64ELi128ELi4ELi4ELi64ELi4ELi64ELc84ELc78ELb0ELb0ELb0EfKffEEviiiT16_PT17_ilS6_ilS4_S6_ilPT18_ili26rocblas_geam_ex_operation_
	.p2align	8
	.type	_ZN12_GLOBAL__N_120geam_min_plus_kernelIf15HIP_vector_typeIfLj2EES2_Li8ELi32ELi64ELi128ELi4ELi4ELi64ELi4ELi64ELc84ELc78ELb0ELb0ELb0EfKffEEviiiT16_PT17_ilS6_ilS4_S6_ilPT18_ili26rocblas_geam_ex_operation_,@function
_ZN12_GLOBAL__N_120geam_min_plus_kernelIf15HIP_vector_typeIfLj2EES2_Li8ELi32ELi64ELi128ELi4ELi4ELi64ELi4ELi64ELc84ELc78ELb0ELb0ELb0EfKffEEviiiT16_PT17_ilS6_ilS4_S6_ilPT18_ili26rocblas_geam_ex_operation_: ; @_ZN12_GLOBAL__N_120geam_min_plus_kernelIf15HIP_vector_typeIfLj2EES2_Li8ELi32ELi64ELi128ELi4ELi4ELi64ELi4ELi64ELc84ELc78ELb0ELb0ELb0EfKffEEviiiT16_PT17_ilS6_ilS4_S6_ilPT18_ili26rocblas_geam_ex_operation_
; %bb.0:
	s_load_dwordx2 s[18:19], s[0:1], 0x8
	s_load_dwordx4 s[8:11], s[0:1], 0x20
	s_waitcnt lgkmcnt(0)
	v_cmp_eq_f32_e64 s[6:7], s19, 0
	s_and_b64 s[4:5], exec, s[6:7]
	s_mov_b64 vcc, s[4:5]
	s_cbranch_vccnz .LBB86_95
; %bb.1:
	s_load_dwordx2 s[12:13], s[0:1], 0x10
	s_mul_i32 s9, s9, s3
	s_mul_hi_u32 s14, s8, s3
	s_add_i32 s9, s14, s9
	s_mul_i32 s8, s8, s3
	s_lshl_b64 s[8:9], s[8:9], 2
	s_waitcnt lgkmcnt(0)
	s_add_u32 s22, s12, s8
	s_addc_u32 s23, s13, s9
	s_andn2_b64 vcc, exec, s[6:7]
	s_mov_b64 s[6:7], -1
	s_cbranch_vccnz .LBB86_3
.LBB86_2:
	s_mov_b64 s[6:7], 0
.LBB86_3:
	s_mov_b64 s[16:17], 0
	s_andn2_b64 vcc, exec, s[6:7]
	s_mov_b64 s[20:21], 0
	s_cbranch_vccnz .LBB86_5
; %bb.4:
	s_load_dwordx2 s[6:7], s[0:1], 0x38
	s_waitcnt lgkmcnt(0)
	s_mul_i32 s7, s7, s3
	s_mul_hi_u32 s8, s6, s3
	s_add_i32 s7, s8, s7
	s_mul_i32 s6, s6, s3
	s_lshl_b64 s[6:7], s[6:7], 2
	s_add_u32 s20, s10, s6
	s_addc_u32 s21, s11, s7
.LBB86_5:
	s_load_dword s24, s[0:1], 0x40
	s_load_dwordx4 s[12:15], s[0:1], 0x58
	v_cmp_neq_f32_e64 s[10:11], s19, 0
	s_waitcnt lgkmcnt(0)
	v_cmp_eq_f32_e64 s[6:7], s24, 0
	s_and_b64 s[8:9], exec, s[6:7]
	s_mov_b64 vcc, s[8:9]
	s_cbranch_vccnz .LBB86_7
; %bb.6:
	s_load_dwordx2 s[6:7], s[0:1], 0x48
	s_mul_i32 s13, s13, s3
	s_mul_hi_u32 s16, s12, s3
	s_add_i32 s13, s16, s13
	s_mul_i32 s12, s12, s3
	s_lshl_b64 s[12:13], s[12:13], 2
	s_waitcnt lgkmcnt(0)
	s_add_u32 s16, s6, s12
	s_addc_u32 s17, s7, s13
.LBB86_7:
	s_load_dword s6, s[0:1], 0x0
	s_load_dword s26, s[0:1], 0x18
	;; [unrolled: 1-line block ×3, first 2 shown]
	v_and_b32_e32 v80, 0x3ff, v0
	v_bfe_u32 v81, v0, 10, 10
	s_waitcnt lgkmcnt(0)
	s_add_i32 s6, s6, -1
	s_ashr_i32 s7, s6, 31
	s_lshr_b32 s7, s7, 26
	s_add_i32 s6, s6, s7
	s_ashr_i32 s6, s6, 6
	s_add_i32 s7, s6, 1
	v_cvt_f32_u32_e32 v1, s7
	s_not_b32 s6, s6
	v_lshl_add_u32 v2, v81, 3, v80
	v_lshrrev_b32_e32 v72, 2, v2
	v_rcp_iflag_f32_e32 v1, v1
	v_and_b32_e32 v82, 3, v0
	v_cndmask_b32_e64 v0, 0, 1, s[10:11]
	v_mov_b32_e32 v76, 0
	v_mul_f32_e32 v1, 0x4f7ffffe, v1
	v_cvt_u32_f32_e32 v1, v1
	v_lshlrev_b32_e32 v68, 2, v82
	v_mov_b32_e32 v2, 0
	v_readfirstlane_b32 s12, v1
	s_mul_i32 s6, s6, s12
	s_mul_hi_u32 s6, s12, s6
	s_add_i32 s12, s12, s6
	s_mul_hi_u32 s6, s2, s12
	s_mul_i32 s12, s6, s7
	s_sub_i32 s12, s2, s12
	s_add_i32 s13, s6, 1
	s_sub_i32 s27, s12, s7
	s_cmp_ge_u32 s12, s7
	s_cselect_b32 s6, s13, s6
	s_cselect_b32 s12, s27, s12
	s_add_i32 s13, s6, 1
	s_cmp_ge_u32 s12, s7
	s_cselect_b32 s6, s13, s6
	s_mul_i32 s7, s6, s7
	s_lshl_b32 s12, s6, 7
	s_sub_i32 s2, s2, s7
	s_lshl_b32 s2, s2, 6
	v_add_u32_e32 v74, s12, v72
	v_cmp_ne_u32_e64 s[6:7], 1, v0
	s_andn2_b64 vcc, exec, s[10:11]
	v_add_u32_e32 v75, s2, v72
	v_add_u32_e32 v73, 64, v74
	v_mov_b32_e32 v0, 0
	v_mov_b32_e32 v1, 0
	s_cbranch_vccnz .LBB86_9
; %bb.8:
	v_mad_i64_i32 v[0:1], s[10:11], v75, s26, 0
	v_mov_b32_e32 v69, 0
	v_lshl_add_u64 v[0:1], v[0:1], 2, s[22:23]
	v_lshl_add_u64 v[2:3], s[20:21], 0, v[68:69]
	v_mad_i64_i32 v[4:5], s[10:11], v74, s25, 0
	v_lshl_add_u64 v[0:1], v[0:1], 0, v[68:69]
	v_lshl_add_u64 v[4:5], v[4:5], 2, v[2:3]
	v_mad_i64_i32 v[6:7], s[10:11], v73, s25, 0
	global_load_dword v0, v[0:1], off
	v_lshl_add_u64 v[2:3], v[6:7], 2, v[2:3]
	global_load_dword v6, v[4:5], off
	global_load_dword v1, v[2:3], off
	s_mov_b32 s10, s19
	s_waitcnt vmcnt(1)
	v_mul_f32_e32 v2, s19, v6
	s_waitcnt vmcnt(0)
	v_pk_mul_f32 v[0:1], s[10:11], v[0:1] op_sel_hi:[0,1]
.LBB86_9:
	s_and_b64 vcc, exec, s[6:7]
	v_mov_b32_e32 v70, 0
	v_mov_b32_e32 v71, 0
	s_cbranch_vccnz .LBB86_11
; %bb.10:
	v_mad_i64_i32 v[4:5], s[6:7], v75, s26, 0
	v_mov_b32_e32 v69, 0
	v_lshl_add_u64 v[4:5], v[4:5], 2, s[22:23]
	v_lshl_add_u64 v[6:7], s[20:21], 0, v[68:69]
	v_mad_i64_i32 v[8:9], s[6:7], v74, s25, 0
	v_lshl_add_u64 v[4:5], v[4:5], 0, v[68:69]
	v_lshl_add_u64 v[8:9], v[8:9], 2, v[6:7]
	v_mad_i64_i32 v[10:11], s[6:7], v73, s25, 0
	global_load_dword v4, v[4:5], off offset:16
	v_lshl_add_u64 v[6:7], v[10:11], 2, v[6:7]
	global_load_dword v3, v[8:9], off offset:16
	global_load_dword v5, v[6:7], off offset:16
	s_mov_b32 s6, s19
	s_waitcnt vmcnt(1)
	v_mul_f32_e32 v76, s19, v3
	s_waitcnt vmcnt(0)
	v_pk_mul_f32 v[70:71], s[6:7], v[4:5] op_sel_hi:[0,1]
.LBB86_11:
	v_lshlrev_b32_e32 v3, 4, v72
	v_lshl_or_b32 v83, v82, 2, v3
	ds_write_b32 v83, v0 offset:4096
	ds_write2st64_b32 v83, v2, v1 offset1:4
	v_mov_b32_e32 v0, 0x1000
	v_mov_b32_e32 v66, 0
	v_cmp_neq_f32_e64 s[6:7], s24, 0
	v_lshl_add_u32 v84, v80, 4, v0
	s_mov_b32 s13, 0
	s_mov_b64 s[10:11], -1
	v_mov_b32_e32 v67, v66
	v_mov_b32_e32 v64, v66
	;; [unrolled: 1-line block ×63, first 2 shown]
	v_add_u32_e32 v85, 0x1000, v83
	v_lshlrev_b32_e32 v86, 4, v81
	s_waitcnt lgkmcnt(0)
	s_barrier
.LBB86_12:                              ; =>This Inner Loop Header: Depth=1
	v_cndmask_b32_e64 v0, 0, 1, s[10:11]
	s_lshl_b32 s10, s13, 2
	v_cmp_ne_u32_e32 vcc, 1, v0
	v_add_u32_e32 v0, s10, v84
	ds_read2_b64 v[88:91], v0 offset1:16
	ds_read2_b64 v[92:95], v0 offset0:32 offset1:48
	ds_read2_b64 v[96:99], v0 offset0:64 offset1:80
	;; [unrolled: 1-line block ×3, first 2 shown]
	v_add_u32_e32 v0, s10, v86
	ds_read2st64_b64 v[104:107], v0 offset1:1
	ds_read2st64_b64 v[0:3], v0 offset0:2 offset1:3
	s_waitcnt lgkmcnt(5)
	v_max_f32_e32 v77, v88, v88
	v_max_f32_e32 v88, v89, v89
	;; [unrolled: 1-line block ×3, first 2 shown]
	s_waitcnt lgkmcnt(1)
	v_max_f32_e32 v69, v104, v104
	v_max_f32_e32 v87, v105, v105
	v_min_f32_e32 v78, v77, v69
	v_min_f32_e32 v79, v88, v87
	v_max_f32_e32 v90, v91, v91
	v_pk_add_f32 v[66:67], v[78:79], v[66:67]
	v_min_f32_e32 v78, v89, v69
	v_min_f32_e32 v79, v90, v87
	v_max_f32_e32 v91, v92, v92
	v_max_f32_e32 v92, v93, v93
	v_pk_add_f32 v[64:65], v[78:79], v[64:65]
	v_min_f32_e32 v78, v91, v69
	v_min_f32_e32 v79, v92, v87
	v_max_f32_e32 v93, v94, v94
	;; [unrolled: 5-line block ×6, first 2 shown]
	v_pk_add_f32 v[54:55], v[78:79], v[54:55]
	v_min_f32_e32 v78, v101, v69
	v_max_f32_e32 v69, v103, v103
	v_min_f32_e32 v79, v69, v87
	v_max_f32_e32 v87, v106, v106
	v_max_f32_e32 v102, v107, v107
	v_pk_add_f32 v[52:53], v[78:79], v[52:53]
	v_min_f32_e32 v78, v77, v87
	v_min_f32_e32 v79, v88, v102
	v_pk_add_f32 v[50:51], v[78:79], v[50:51]
	v_min_f32_e32 v78, v89, v87
	v_min_f32_e32 v79, v90, v102
	;; [unrolled: 3-line block ×8, first 2 shown]
	v_pk_add_f32 v[36:37], v[78:79], v[36:37]
	s_waitcnt lgkmcnt(0)
	v_max_f32_e32 v78, v0, v0
	v_max_f32_e32 v79, v1, v1
	v_min_f32_e32 v0, v77, v78
	v_min_f32_e32 v1, v88, v79
	v_pk_add_f32 v[34:35], v[0:1], v[34:35]
	v_min_f32_e32 v0, v89, v78
	v_min_f32_e32 v1, v90, v79
	v_pk_add_f32 v[32:33], v[0:1], v[32:33]
	;; [unrolled: 3-line block ×7, first 2 shown]
	v_min_f32_e32 v0, v101, v78
	v_min_f32_e32 v1, v69, v79
	v_max_f32_e32 v2, v2, v2
	v_max_f32_e32 v3, v3, v3
	v_pk_add_f32 v[20:21], v[0:1], v[20:21]
	v_min_f32_e32 v0, v77, v2
	v_min_f32_e32 v1, v88, v3
	v_pk_add_f32 v[18:19], v[0:1], v[18:19]
	v_min_f32_e32 v0, v89, v2
	v_min_f32_e32 v1, v90, v3
	v_pk_add_f32 v[16:17], v[0:1], v[16:17]
	v_min_f32_e32 v0, v91, v2
	v_min_f32_e32 v1, v92, v3
	v_pk_add_f32 v[14:15], v[0:1], v[14:15]
	v_min_f32_e32 v0, v93, v2
	v_min_f32_e32 v1, v94, v3
	v_pk_add_f32 v[12:13], v[0:1], v[12:13]
	v_min_f32_e32 v0, v95, v2
	v_min_f32_e32 v1, v96, v3
	v_pk_add_f32 v[10:11], v[0:1], v[10:11]
	v_min_f32_e32 v0, v97, v2
	v_min_f32_e32 v1, v98, v3
	v_pk_add_f32 v[8:9], v[0:1], v[8:9]
	v_min_f32_e32 v0, v99, v2
	v_min_f32_e32 v1, v100, v3
	v_pk_add_f32 v[6:7], v[0:1], v[6:7]
	v_min_f32_e32 v0, v101, v2
	v_min_f32_e32 v1, v69, v3
	v_pk_add_f32 v[4:5], v[0:1], v[4:5]
	s_mov_b64 s[10:11], 0
	s_mov_b32 s13, 2
	s_cbranch_vccz .LBB86_12
; %bb.13:
	v_lshl_or_b32 v0, v72, 4, v68
	s_cmp_lt_i32 s18, 9
	ds_write_b32 v0, v70 offset:5120
	ds_write2st64_b32 v0, v76, v71 offset0:8 offset1:12
	s_waitcnt lgkmcnt(0)
	s_barrier
	s_cbranch_scc1 .LBB86_28
; %bb.14:
	v_add_u32_e32 v87, 0x1400, v0
	v_add_u32_e32 v88, 0x800, v0
	v_mad_i64_i32 v[0:1], s[10:11], v75, s26, 0
	v_lshl_add_u64 v[68:69], v[0:1], 2, s[22:23]
	v_mov_b32_e32 v0, 0x1400
	v_lshl_add_u32 v89, v80, 4, v0
	v_mov_b32_e32 v0, 0x800
	s_add_i32 s13, s18, -8
	v_mad_i64_i32 v[70:71], s[10:11], v74, s25, 0
	v_mad_i64_i32 v[72:73], s[10:11], v73, s25, 0
	v_lshl_add_u32 v90, v81, 4, v0
	s_mov_b32 s18, s19
	s_mov_b32 s22, 8
	s_mov_b32 s23, 0
	v_mov_b32_e32 v75, 0
.LBB86_15:                              ; =>This Loop Header: Depth=1
                                        ;     Child Loop BB86_20 Depth 2
                                        ;     Child Loop BB86_26 Depth 2
	s_mov_b64 s[10:11], -1
	s_mov_b64 vcc, s[4:5]
                                        ; implicit-def: $vgpr76_vgpr77
	s_cbranch_vccz .LBB86_17
; %bb.16:                               ;   in Loop: Header=BB86_15 Depth=1
	v_mov_b32_e32 v76, v75
	s_mov_b64 s[10:11], 0
.LBB86_17:                              ;   in Loop: Header=BB86_15 Depth=1
	v_mov_b32_e32 v78, 0
	s_andn2_b64 vcc, exec, s[10:11]
	v_mov_b32_e32 v79, 0
	s_cbranch_vccnz .LBB86_19
; %bb.18:                               ;   in Loop: Header=BB86_15 Depth=1
	v_or_b32_e32 v74, s22, v82
	v_lshlrev_b64 v[0:1], 2, v[74:75]
	v_lshl_add_u64 v[2:3], v[68:69], 0, v[0:1]
	v_lshl_add_u64 v[0:1], s[20:21], 0, v[0:1]
	v_lshl_add_u64 v[76:77], v[70:71], 2, v[0:1]
	global_load_dword v2, v[2:3], off
	v_lshl_add_u64 v[0:1], v[72:73], 2, v[0:1]
	global_load_dword v74, v[76:77], off
	global_load_dword v3, v[0:1], off
	s_waitcnt vmcnt(1)
	v_mul_f32_e32 v76, s19, v74
	s_waitcnt vmcnt(0)
	v_pk_mul_f32 v[78:79], s[18:19], v[2:3]
.LBB86_19:                              ;   in Loop: Header=BB86_15 Depth=1
	s_mov_b32 s25, 0
	s_mov_b64 s[10:11], -1
.LBB86_20:                              ;   Parent Loop BB86_15 Depth=1
                                        ; =>  This Inner Loop Header: Depth=2
	v_cndmask_b32_e64 v0, 0, 1, s[10:11]
	s_lshl_b32 s10, s25, 2
	v_cmp_ne_u32_e32 vcc, 1, v0
	v_add_u32_e32 v0, s10, v89
	ds_read2_b64 v[92:95], v0 offset1:16
	ds_read2_b64 v[96:99], v0 offset0:32 offset1:48
	ds_read2_b64 v[100:103], v0 offset0:64 offset1:80
	;; [unrolled: 1-line block ×3, first 2 shown]
	v_add_u32_e32 v0, s10, v90
	ds_read2st64_b64 v[108:111], v0 offset1:1
	ds_read2st64_b64 v[0:3], v0 offset0:2 offset1:3
	s_waitcnt lgkmcnt(5)
	v_max_f32_e32 v77, v92, v92
	v_max_f32_e32 v94, v94, v94
	;; [unrolled: 1-line block ×3, first 2 shown]
	s_waitcnt lgkmcnt(1)
	v_max_f32_e32 v74, v108, v108
	v_max_f32_e32 v91, v109, v109
	;; [unrolled: 1-line block ×3, first 2 shown]
	v_min_f32_e32 v92, v77, v74
	v_min_f32_e32 v93, v108, v91
	v_pk_add_f32 v[66:67], v[92:93], v[66:67]
	v_min_f32_e32 v92, v94, v74
	v_min_f32_e32 v93, v95, v91
	v_max_f32_e32 v96, v96, v96
	v_max_f32_e32 v97, v97, v97
	v_pk_add_f32 v[64:65], v[92:93], v[64:65]
	v_min_f32_e32 v92, v96, v74
	v_min_f32_e32 v93, v97, v91
	v_max_f32_e32 v98, v98, v98
	v_max_f32_e32 v99, v99, v99
	;; [unrolled: 5-line block ×5, first 2 shown]
	v_pk_add_f32 v[56:57], v[92:93], v[56:57]
	v_min_f32_e32 v92, v104, v74
	v_min_f32_e32 v93, v105, v91
	v_max_f32_e32 v106, v106, v106
	v_pk_add_f32 v[54:55], v[92:93], v[54:55]
	v_min_f32_e32 v92, v106, v74
	v_max_f32_e32 v74, v107, v107
	v_min_f32_e32 v93, v74, v91
	v_max_f32_e32 v91, v110, v110
	v_max_f32_e32 v107, v111, v111
	v_pk_add_f32 v[52:53], v[92:93], v[52:53]
	v_min_f32_e32 v92, v77, v91
	v_min_f32_e32 v93, v108, v107
	v_pk_add_f32 v[50:51], v[92:93], v[50:51]
	v_min_f32_e32 v92, v94, v91
	v_min_f32_e32 v93, v95, v107
	v_pk_add_f32 v[48:49], v[92:93], v[48:49]
	v_min_f32_e32 v92, v96, v91
	v_min_f32_e32 v93, v97, v107
	v_pk_add_f32 v[46:47], v[92:93], v[46:47]
	v_min_f32_e32 v92, v98, v91
	v_min_f32_e32 v93, v99, v107
	v_pk_add_f32 v[44:45], v[92:93], v[44:45]
	v_min_f32_e32 v92, v100, v91
	v_min_f32_e32 v93, v101, v107
	v_pk_add_f32 v[42:43], v[92:93], v[42:43]
	v_min_f32_e32 v92, v102, v91
	v_min_f32_e32 v93, v103, v107
	v_pk_add_f32 v[40:41], v[92:93], v[40:41]
	v_min_f32_e32 v92, v104, v91
	v_min_f32_e32 v93, v105, v107
	v_pk_add_f32 v[38:39], v[92:93], v[38:39]
	v_min_f32_e32 v92, v106, v91
	v_min_f32_e32 v93, v74, v107
	v_pk_add_f32 v[36:37], v[92:93], v[36:37]
	s_waitcnt lgkmcnt(0)
	v_max_f32_e32 v91, v0, v0
	v_max_f32_e32 v92, v1, v1
	v_min_f32_e32 v0, v77, v91
	v_min_f32_e32 v1, v108, v92
	v_pk_add_f32 v[34:35], v[0:1], v[34:35]
	v_min_f32_e32 v0, v94, v91
	v_min_f32_e32 v1, v95, v92
	v_pk_add_f32 v[32:33], v[0:1], v[32:33]
	;; [unrolled: 3-line block ×7, first 2 shown]
	v_min_f32_e32 v0, v106, v91
	v_min_f32_e32 v1, v74, v92
	v_max_f32_e32 v2, v2, v2
	v_max_f32_e32 v3, v3, v3
	v_pk_add_f32 v[20:21], v[0:1], v[20:21]
	v_min_f32_e32 v0, v77, v2
	v_min_f32_e32 v1, v108, v3
	v_pk_add_f32 v[18:19], v[0:1], v[18:19]
	v_min_f32_e32 v0, v94, v2
	v_min_f32_e32 v1, v95, v3
	;; [unrolled: 3-line block ×8, first 2 shown]
	v_pk_add_f32 v[4:5], v[0:1], v[4:5]
	s_mov_b64 s[10:11], 0
	s_mov_b32 s25, 2
	s_cbranch_vccz .LBB86_20
; %bb.21:                               ;   in Loop: Header=BB86_15 Depth=1
	s_mov_b64 s[10:11], -1
	s_mov_b64 vcc, s[4:5]
	ds_write_b32 v85, v78
	ds_write2st64_b32 v83, v76, v79 offset1:4
	s_waitcnt lgkmcnt(0)
	s_barrier
                                        ; implicit-def: $vgpr76_vgpr77
	s_cbranch_vccz .LBB86_23
; %bb.22:                               ;   in Loop: Header=BB86_15 Depth=1
	v_mov_b32_e32 v76, v75
	s_mov_b64 s[10:11], 0
.LBB86_23:                              ;   in Loop: Header=BB86_15 Depth=1
	v_mov_b32_e32 v78, 0
	s_andn2_b64 vcc, exec, s[10:11]
	v_mov_b32_e32 v79, 0
	s_cbranch_vccnz .LBB86_25
; %bb.24:                               ;   in Loop: Header=BB86_15 Depth=1
	v_or_b32_e32 v74, s22, v82
	v_lshlrev_b64 v[0:1], 2, v[74:75]
	v_lshl_add_u64 v[2:3], v[68:69], 0, v[0:1]
	v_lshl_add_u64 v[0:1], s[20:21], 0, v[0:1]
	v_lshl_add_u64 v[76:77], v[70:71], 2, v[0:1]
	global_load_dword v2, v[2:3], off offset:16
	v_lshl_add_u64 v[0:1], v[72:73], 2, v[0:1]
	global_load_dword v74, v[76:77], off offset:16
	global_load_dword v3, v[0:1], off offset:16
	s_waitcnt vmcnt(1)
	v_mul_f32_e32 v76, s19, v74
	s_waitcnt vmcnt(0)
	v_pk_mul_f32 v[78:79], s[18:19], v[2:3]
.LBB86_25:                              ;   in Loop: Header=BB86_15 Depth=1
	s_mov_b32 s25, 0
	s_mov_b64 s[10:11], -1
.LBB86_26:                              ;   Parent Loop BB86_15 Depth=1
                                        ; =>  This Inner Loop Header: Depth=2
	v_cndmask_b32_e64 v0, 0, 1, s[10:11]
	s_lshl_b32 s10, s25, 2
	v_cmp_ne_u32_e32 vcc, 1, v0
	v_add_u32_e32 v0, s10, v84
	ds_read2_b64 v[92:95], v0 offset1:16
	ds_read2_b64 v[96:99], v0 offset0:32 offset1:48
	ds_read2_b64 v[100:103], v0 offset0:64 offset1:80
	;; [unrolled: 1-line block ×3, first 2 shown]
	v_add_u32_e32 v0, s10, v86
	ds_read2st64_b64 v[108:111], v0 offset1:1
	ds_read2st64_b64 v[0:3], v0 offset0:2 offset1:3
	s_waitcnt lgkmcnt(5)
	v_max_f32_e32 v77, v92, v92
	v_max_f32_e32 v94, v94, v94
	;; [unrolled: 1-line block ×3, first 2 shown]
	s_waitcnt lgkmcnt(1)
	v_max_f32_e32 v74, v108, v108
	v_max_f32_e32 v91, v109, v109
	;; [unrolled: 1-line block ×3, first 2 shown]
	v_min_f32_e32 v92, v77, v74
	v_min_f32_e32 v93, v108, v91
	v_pk_add_f32 v[66:67], v[92:93], v[66:67]
	v_min_f32_e32 v92, v94, v74
	v_min_f32_e32 v93, v95, v91
	v_max_f32_e32 v96, v96, v96
	v_max_f32_e32 v97, v97, v97
	v_pk_add_f32 v[64:65], v[92:93], v[64:65]
	v_min_f32_e32 v92, v96, v74
	v_min_f32_e32 v93, v97, v91
	v_max_f32_e32 v98, v98, v98
	v_max_f32_e32 v99, v99, v99
	;; [unrolled: 5-line block ×5, first 2 shown]
	v_pk_add_f32 v[56:57], v[92:93], v[56:57]
	v_min_f32_e32 v92, v104, v74
	v_min_f32_e32 v93, v105, v91
	v_max_f32_e32 v106, v106, v106
	v_pk_add_f32 v[54:55], v[92:93], v[54:55]
	v_min_f32_e32 v92, v106, v74
	v_max_f32_e32 v74, v107, v107
	v_min_f32_e32 v93, v74, v91
	v_max_f32_e32 v91, v110, v110
	v_max_f32_e32 v107, v111, v111
	v_pk_add_f32 v[52:53], v[92:93], v[52:53]
	v_min_f32_e32 v92, v77, v91
	v_min_f32_e32 v93, v108, v107
	v_pk_add_f32 v[50:51], v[92:93], v[50:51]
	v_min_f32_e32 v92, v94, v91
	v_min_f32_e32 v93, v95, v107
	;; [unrolled: 3-line block ×8, first 2 shown]
	v_pk_add_f32 v[36:37], v[92:93], v[36:37]
	s_waitcnt lgkmcnt(0)
	v_max_f32_e32 v91, v0, v0
	v_max_f32_e32 v92, v1, v1
	v_min_f32_e32 v0, v77, v91
	v_min_f32_e32 v1, v108, v92
	v_pk_add_f32 v[34:35], v[0:1], v[34:35]
	v_min_f32_e32 v0, v94, v91
	v_min_f32_e32 v1, v95, v92
	v_pk_add_f32 v[32:33], v[0:1], v[32:33]
	v_min_f32_e32 v0, v96, v91
	v_min_f32_e32 v1, v97, v92
	v_pk_add_f32 v[30:31], v[0:1], v[30:31]
	v_min_f32_e32 v0, v98, v91
	v_min_f32_e32 v1, v99, v92
	v_pk_add_f32 v[28:29], v[0:1], v[28:29]
	v_min_f32_e32 v0, v100, v91
	v_min_f32_e32 v1, v101, v92
	v_pk_add_f32 v[26:27], v[0:1], v[26:27]
	v_min_f32_e32 v0, v102, v91
	v_min_f32_e32 v1, v103, v92
	v_pk_add_f32 v[24:25], v[0:1], v[24:25]
	v_min_f32_e32 v0, v104, v91
	v_min_f32_e32 v1, v105, v92
	v_pk_add_f32 v[22:23], v[0:1], v[22:23]
	v_min_f32_e32 v0, v106, v91
	v_min_f32_e32 v1, v74, v92
	v_max_f32_e32 v2, v2, v2
	v_max_f32_e32 v3, v3, v3
	v_pk_add_f32 v[20:21], v[0:1], v[20:21]
	v_min_f32_e32 v0, v77, v2
	v_min_f32_e32 v1, v108, v3
	v_pk_add_f32 v[18:19], v[0:1], v[18:19]
	v_min_f32_e32 v0, v94, v2
	v_min_f32_e32 v1, v95, v3
	;; [unrolled: 3-line block ×8, first 2 shown]
	v_pk_add_f32 v[4:5], v[0:1], v[4:5]
	s_mov_b64 s[10:11], 0
	s_mov_b32 s25, 2
	s_cbranch_vccz .LBB86_26
; %bb.27:                               ;   in Loop: Header=BB86_15 Depth=1
	s_add_i32 s22, s22, 8
	s_add_i32 s23, s23, 8
	s_cmp_ge_i32 s23, s13
	ds_write_b32 v87, v78
	ds_write2st64_b32 v88, v76, v79 offset1:4
	s_waitcnt lgkmcnt(0)
	s_barrier
	s_cbranch_scc0 .LBB86_15
.LBB86_28:
	v_mov_b32_e32 v0, 0x1400
	v_lshl_add_u32 v68, v80, 4, v0
	v_mov_b32_e32 v0, 0x800
	v_lshl_add_u32 v69, v81, 4, v0
	s_mov_b32 s10, 0
	s_mov_b64 s[4:5], -1
.LBB86_29:                              ; =>This Inner Loop Header: Depth=1
	v_cndmask_b32_e64 v0, 0, 1, s[4:5]
	s_lshl_b32 s4, s10, 2
	v_cmp_ne_u32_e32 vcc, 1, v0
	v_add_u32_e32 v0, s4, v68
	ds_read2_b64 v[70:73], v0 offset1:16
	ds_read2_b64 v[74:77], v0 offset0:32 offset1:48
	ds_read2_b64 v[82:85], v0 offset0:64 offset1:80
	;; [unrolled: 1-line block ×3, first 2 shown]
	v_add_u32_e32 v0, s4, v69
	ds_read2st64_b64 v[90:93], v0 offset1:1
	ds_read2st64_b64 v[0:3], v0 offset0:2 offset1:3
	s_waitcnt lgkmcnt(5)
	v_max_f32_e32 v79, v70, v70
	v_max_f32_e32 v72, v72, v72
	;; [unrolled: 1-line block ×3, first 2 shown]
	s_waitcnt lgkmcnt(1)
	v_max_f32_e32 v78, v90, v90
	v_max_f32_e32 v90, v91, v91
	;; [unrolled: 1-line block ×3, first 2 shown]
	v_min_f32_e32 v70, v79, v78
	v_min_f32_e32 v71, v91, v90
	v_pk_add_f32 v[66:67], v[70:71], v[66:67]
	v_min_f32_e32 v70, v72, v78
	v_min_f32_e32 v71, v73, v90
	v_max_f32_e32 v74, v74, v74
	v_max_f32_e32 v75, v75, v75
	v_pk_add_f32 v[64:65], v[70:71], v[64:65]
	v_min_f32_e32 v70, v74, v78
	v_min_f32_e32 v71, v75, v90
	v_max_f32_e32 v76, v76, v76
	v_max_f32_e32 v77, v77, v77
	;; [unrolled: 5-line block ×5, first 2 shown]
	v_pk_add_f32 v[56:57], v[70:71], v[56:57]
	v_min_f32_e32 v70, v86, v78
	v_min_f32_e32 v71, v87, v90
	v_max_f32_e32 v88, v88, v88
	v_pk_add_f32 v[54:55], v[70:71], v[54:55]
	v_min_f32_e32 v70, v88, v78
	v_max_f32_e32 v78, v89, v89
	v_min_f32_e32 v71, v78, v90
	v_max_f32_e32 v89, v92, v92
	v_max_f32_e32 v90, v93, v93
	v_pk_add_f32 v[52:53], v[70:71], v[52:53]
	v_min_f32_e32 v70, v79, v89
	v_min_f32_e32 v71, v91, v90
	v_pk_add_f32 v[50:51], v[70:71], v[50:51]
	v_min_f32_e32 v70, v72, v89
	v_min_f32_e32 v71, v73, v90
	;; [unrolled: 3-line block ×8, first 2 shown]
	v_pk_add_f32 v[36:37], v[70:71], v[36:37]
	s_waitcnt lgkmcnt(0)
	v_max_f32_e32 v70, v0, v0
	v_max_f32_e32 v71, v1, v1
	v_min_f32_e32 v0, v79, v70
	v_min_f32_e32 v1, v91, v71
	v_pk_add_f32 v[34:35], v[0:1], v[34:35]
	v_min_f32_e32 v0, v72, v70
	v_min_f32_e32 v1, v73, v71
	v_pk_add_f32 v[32:33], v[0:1], v[32:33]
	;; [unrolled: 3-line block ×7, first 2 shown]
	v_min_f32_e32 v0, v88, v70
	v_min_f32_e32 v1, v78, v71
	v_max_f32_e32 v2, v2, v2
	v_max_f32_e32 v3, v3, v3
	v_pk_add_f32 v[20:21], v[0:1], v[20:21]
	v_min_f32_e32 v0, v79, v2
	v_min_f32_e32 v1, v91, v3
	v_pk_add_f32 v[18:19], v[0:1], v[18:19]
	v_min_f32_e32 v0, v72, v2
	v_min_f32_e32 v1, v73, v3
	;; [unrolled: 3-line block ×8, first 2 shown]
	v_pk_add_f32 v[4:5], v[0:1], v[4:5]
	s_mov_b64 s[4:5], 0
	s_mov_b32 s10, 2
	s_cbranch_vccz .LBB86_29
; %bb.30:
	s_load_dword s10, s[0:1], 0x50
	v_add_u32_e32 v72, s12, v81
	v_add_u32_e32 v0, s2, v80
	v_ashrrev_i32_e32 v1, 31, v0
	v_mov_b32_e32 v73, 0
	s_waitcnt lgkmcnt(0)
	v_mad_i64_i32 v[2:3], s[4:5], v72, s10, 0
	v_lshl_add_u64 v[68:69], v[2:3], 2, s[16:17]
	v_cndmask_b32_e64 v2, 0, 1, s[6:7]
	v_cmp_ne_u32_e64 s[4:5], 1, v2
	s_andn2_b64 vcc, exec, s[6:7]
	v_mov_b32_e32 v74, 0
	s_cbranch_vccnz .LBB86_32
; %bb.31:
	v_lshl_add_u64 v[2:3], v[0:1], 2, v[68:69]
	global_load_dword v2, v[2:3], off
	s_waitcnt vmcnt(0)
	v_mul_f32_e32 v74, s24, v2
.LBB86_32:
	s_load_dwordx2 s[6:7], s[0:1], 0x70
	s_load_dword s2, s[0:1], 0x68
	v_add_u32_e32 v2, 8, v0
	v_add_f32_e32 v66, v66, v67
	v_ashrrev_i32_e32 v3, 31, v2
	s_waitcnt lgkmcnt(0)
	s_mul_i32 s1, s7, s3
	s_mul_hi_u32 s7, s6, s3
	s_mul_i32 s0, s6, s3
	s_add_i32 s1, s7, s1
	s_lshl_b64 s[0:1], s[0:1], 2
	s_add_u32 s0, s14, s0
	s_addc_u32 s1, s15, s1
	v_mad_i64_i32 v[70:71], s[6:7], v72, s2, 0
	v_lshl_add_u64 v[70:71], v[70:71], 2, s[0:1]
	v_add_f32_e32 v74, v66, v74
	v_lshl_add_u64 v[66:67], v[0:1], 2, v[70:71]
	s_and_b64 vcc, exec, s[4:5]
	global_store_dword v[66:67], v74, off
	s_cbranch_vccnz .LBB86_34
; %bb.33:
	v_lshl_add_u64 v[66:67], v[2:3], 2, v[68:69]
	global_load_dword v66, v[66:67], off
	s_waitcnt vmcnt(0)
	v_mul_f32_e32 v73, s24, v66
.LBB86_34:
	v_add_f32_e32 v66, v64, v65
	v_add_u32_e32 v64, 16, v0
	v_add_f32_e32 v73, v66, v73
	v_lshl_add_u64 v[66:67], v[2:3], 2, v[70:71]
	v_ashrrev_i32_e32 v65, 31, v64
	global_store_dword v[66:67], v73, off
	v_mov_b32_e32 v66, 0
	s_and_b64 vcc, exec, s[4:5]
	v_mov_b32_e32 v67, 0
	s_cbranch_vccnz .LBB86_36
; %bb.35:
	v_lshl_add_u64 v[74:75], v[64:65], 2, v[68:69]
	global_load_dword v67, v[74:75], off
	s_waitcnt vmcnt(0)
	v_mul_f32_e32 v67, s24, v67
.LBB86_36:
	v_add_f32_e32 v73, v62, v63
	v_add_u32_e32 v62, 24, v0
	v_ashrrev_i32_e32 v63, 31, v62
	v_add_f32_e32 v67, v73, v67
	v_lshl_add_u64 v[74:75], v[64:65], 2, v[70:71]
	s_and_b64 vcc, exec, s[4:5]
	global_store_dword v[74:75], v67, off
	s_cbranch_vccnz .LBB86_38
; %bb.37:
	v_lshl_add_u64 v[66:67], v[62:63], 2, v[68:69]
	global_load_dword v66, v[66:67], off
	s_waitcnt vmcnt(0)
	v_mul_f32_e32 v66, s24, v66
.LBB86_38:
	v_add_f32_e32 v67, v60, v61
	v_add_u32_e32 v60, 32, v0
	v_add_f32_e32 v73, v67, v66
	v_lshl_add_u64 v[66:67], v[62:63], 2, v[70:71]
	v_ashrrev_i32_e32 v61, 31, v60
	global_store_dword v[66:67], v73, off
	v_mov_b32_e32 v66, 0
	s_and_b64 vcc, exec, s[4:5]
	v_mov_b32_e32 v67, 0
	s_cbranch_vccnz .LBB86_40
; %bb.39:
	v_lshl_add_u64 v[74:75], v[60:61], 2, v[68:69]
	global_load_dword v67, v[74:75], off
	s_waitcnt vmcnt(0)
	v_mul_f32_e32 v67, s24, v67
.LBB86_40:
	v_add_f32_e32 v73, v58, v59
	v_add_u32_e32 v58, 40, v0
	v_ashrrev_i32_e32 v59, 31, v58
	;; [unrolled: 30-line block ×3, first 2 shown]
	v_add_f32_e32 v67, v73, v67
	v_lshl_add_u64 v[74:75], v[56:57], 2, v[70:71]
	s_and_b64 vcc, exec, s[4:5]
	global_store_dword v[74:75], v67, off
	s_cbranch_vccnz .LBB86_46
; %bb.45:
	v_lshl_add_u64 v[66:67], v[54:55], 2, v[68:69]
	global_load_dword v66, v[66:67], off
	s_waitcnt vmcnt(0)
	v_mul_f32_e32 v66, s24, v66
.LBB86_46:
	v_add_f32_e32 v52, v52, v53
	v_add_f32_e32 v66, v52, v66
	v_lshl_add_u64 v[52:53], v[54:55], 2, v[70:71]
	global_store_dword v[52:53], v66, off
	v_add_u32_e32 v66, 32, v72
	v_mad_i64_i32 v[52:53], s[6:7], v66, s10, 0
	v_lshl_add_u64 v[52:53], v[52:53], 2, s[16:17]
	v_mov_b32_e32 v68, 0
	s_and_b64 vcc, exec, s[4:5]
	v_mov_b32_e32 v69, 0
	s_cbranch_vccnz .LBB86_48
; %bb.47:
	v_lshl_add_u64 v[70:71], v[0:1], 2, v[52:53]
	global_load_dword v67, v[70:71], off
	s_waitcnt vmcnt(0)
	v_mul_f32_e32 v69, s24, v67
.LBB86_48:
	v_mad_i64_i32 v[66:67], s[6:7], v66, s2, 0
	v_lshl_add_u64 v[66:67], v[66:67], 2, s[0:1]
	v_add_f32_e32 v50, v50, v51
	v_add_f32_e32 v69, v50, v69
	v_lshl_add_u64 v[50:51], v[0:1], 2, v[66:67]
	s_and_b64 vcc, exec, s[4:5]
	global_store_dword v[50:51], v69, off
	s_cbranch_vccnz .LBB86_50
; %bb.49:
	v_lshl_add_u64 v[50:51], v[2:3], 2, v[52:53]
	global_load_dword v50, v[50:51], off
	s_waitcnt vmcnt(0)
	v_mul_f32_e32 v68, s24, v50
.LBB86_50:
	v_add_f32_e32 v48, v48, v49
	v_add_f32_e32 v50, v48, v68
	v_lshl_add_u64 v[48:49], v[2:3], 2, v[66:67]
	global_store_dword v[48:49], v50, off
	v_mov_b32_e32 v48, 0
	s_and_b64 vcc, exec, s[4:5]
	v_mov_b32_e32 v49, 0
	s_cbranch_vccnz .LBB86_52
; %bb.51:
	v_lshl_add_u64 v[50:51], v[64:65], 2, v[52:53]
	global_load_dword v49, v[50:51], off
	s_waitcnt vmcnt(0)
	v_mul_f32_e32 v49, s24, v49
.LBB86_52:
	v_add_f32_e32 v46, v46, v47
	v_add_f32_e32 v49, v46, v49
	v_lshl_add_u64 v[46:47], v[64:65], 2, v[66:67]
	s_and_b64 vcc, exec, s[4:5]
	global_store_dword v[46:47], v49, off
	s_cbranch_vccnz .LBB86_54
; %bb.53:
	v_lshl_add_u64 v[46:47], v[62:63], 2, v[52:53]
	global_load_dword v46, v[46:47], off
	s_waitcnt vmcnt(0)
	v_mul_f32_e32 v48, s24, v46
.LBB86_54:
	v_add_f32_e32 v44, v44, v45
	v_add_f32_e32 v46, v44, v48
	v_lshl_add_u64 v[44:45], v[62:63], 2, v[66:67]
	global_store_dword v[44:45], v46, off
	v_mov_b32_e32 v44, 0
	s_and_b64 vcc, exec, s[4:5]
	v_mov_b32_e32 v45, 0
	s_cbranch_vccnz .LBB86_56
; %bb.55:
	v_lshl_add_u64 v[46:47], v[60:61], 2, v[52:53]
	global_load_dword v45, v[46:47], off
	s_waitcnt vmcnt(0)
	v_mul_f32_e32 v45, s24, v45
.LBB86_56:
	;; [unrolled: 26-line block ×3, first 2 shown]
	v_add_f32_e32 v38, v38, v39
	v_add_f32_e32 v41, v38, v41
	v_lshl_add_u64 v[38:39], v[56:57], 2, v[66:67]
	s_and_b64 vcc, exec, s[4:5]
	global_store_dword v[38:39], v41, off
	s_cbranch_vccnz .LBB86_62
; %bb.61:
	v_lshl_add_u64 v[38:39], v[54:55], 2, v[52:53]
	global_load_dword v38, v[38:39], off
	s_waitcnt vmcnt(0)
	v_mul_f32_e32 v40, s24, v38
.LBB86_62:
	v_add_f32_e32 v36, v36, v37
	v_add_f32_e32 v38, v36, v40
	v_lshl_add_u64 v[36:37], v[54:55], 2, v[66:67]
	global_store_dword v[36:37], v38, off
	v_add_u32_e32 v38, 64, v72
	v_mad_i64_i32 v[36:37], s[6:7], v38, s10, 0
	v_lshl_add_u64 v[36:37], v[36:37], 2, s[16:17]
	v_mov_b32_e32 v40, 0
	s_and_b64 vcc, exec, s[4:5]
	v_mov_b32_e32 v41, 0
	s_cbranch_vccnz .LBB86_64
; %bb.63:
	v_lshl_add_u64 v[42:43], v[0:1], 2, v[36:37]
	global_load_dword v39, v[42:43], off
	s_waitcnt vmcnt(0)
	v_mul_f32_e32 v41, s24, v39
.LBB86_64:
	v_mad_i64_i32 v[38:39], s[6:7], v38, s2, 0
	v_lshl_add_u64 v[38:39], v[38:39], 2, s[0:1]
	v_add_f32_e32 v34, v34, v35
	v_add_f32_e32 v41, v34, v41
	v_lshl_add_u64 v[34:35], v[0:1], 2, v[38:39]
	s_and_b64 vcc, exec, s[4:5]
	global_store_dword v[34:35], v41, off
	s_cbranch_vccnz .LBB86_66
; %bb.65:
	v_lshl_add_u64 v[34:35], v[2:3], 2, v[36:37]
	global_load_dword v34, v[34:35], off
	s_waitcnt vmcnt(0)
	v_mul_f32_e32 v40, s24, v34
.LBB86_66:
	v_add_f32_e32 v32, v32, v33
	v_add_f32_e32 v34, v32, v40
	v_lshl_add_u64 v[32:33], v[2:3], 2, v[38:39]
	global_store_dword v[32:33], v34, off
	v_mov_b32_e32 v32, 0
	s_and_b64 vcc, exec, s[4:5]
	v_mov_b32_e32 v33, 0
	s_cbranch_vccnz .LBB86_68
; %bb.67:
	v_lshl_add_u64 v[34:35], v[64:65], 2, v[36:37]
	global_load_dword v33, v[34:35], off
	s_waitcnt vmcnt(0)
	v_mul_f32_e32 v33, s24, v33
.LBB86_68:
	v_add_f32_e32 v30, v30, v31
	v_add_f32_e32 v33, v30, v33
	v_lshl_add_u64 v[30:31], v[64:65], 2, v[38:39]
	s_and_b64 vcc, exec, s[4:5]
	global_store_dword v[30:31], v33, off
	s_cbranch_vccnz .LBB86_70
; %bb.69:
	v_lshl_add_u64 v[30:31], v[62:63], 2, v[36:37]
	global_load_dword v30, v[30:31], off
	s_waitcnt vmcnt(0)
	v_mul_f32_e32 v32, s24, v30
.LBB86_70:
	v_add_f32_e32 v28, v28, v29
	v_add_f32_e32 v30, v28, v32
	v_lshl_add_u64 v[28:29], v[62:63], 2, v[38:39]
	global_store_dword v[28:29], v30, off
	v_mov_b32_e32 v28, 0
	s_and_b64 vcc, exec, s[4:5]
	v_mov_b32_e32 v29, 0
	s_cbranch_vccnz .LBB86_72
; %bb.71:
	v_lshl_add_u64 v[30:31], v[60:61], 2, v[36:37]
	global_load_dword v29, v[30:31], off
	s_waitcnt vmcnt(0)
	v_mul_f32_e32 v29, s24, v29
.LBB86_72:
	;; [unrolled: 26-line block ×3, first 2 shown]
	v_add_f32_e32 v22, v22, v23
	v_add_f32_e32 v25, v22, v25
	v_lshl_add_u64 v[22:23], v[56:57], 2, v[38:39]
	s_and_b64 vcc, exec, s[4:5]
	global_store_dword v[22:23], v25, off
	s_cbranch_vccnz .LBB86_78
; %bb.77:
	v_lshl_add_u64 v[22:23], v[54:55], 2, v[36:37]
	global_load_dword v22, v[22:23], off
	s_waitcnt vmcnt(0)
	v_mul_f32_e32 v24, s24, v22
.LBB86_78:
	v_add_f32_e32 v20, v20, v21
	v_add_f32_e32 v22, v20, v24
	v_lshl_add_u64 v[20:21], v[54:55], 2, v[38:39]
	global_store_dword v[20:21], v22, off
	v_add_u32_e32 v22, 0x60, v72
	v_mad_i64_i32 v[20:21], s[6:7], v22, s10, 0
	v_lshl_add_u64 v[20:21], v[20:21], 2, s[16:17]
	v_mov_b32_e32 v24, 0
	s_and_b64 vcc, exec, s[4:5]
	v_mov_b32_e32 v25, 0
	s_cbranch_vccnz .LBB86_80
; %bb.79:
	v_lshl_add_u64 v[26:27], v[0:1], 2, v[20:21]
	global_load_dword v23, v[26:27], off
	s_waitcnt vmcnt(0)
	v_mul_f32_e32 v25, s24, v23
.LBB86_80:
	v_mad_i64_i32 v[22:23], s[2:3], v22, s2, 0
	v_lshl_add_u64 v[22:23], v[22:23], 2, s[0:1]
	v_add_f32_e32 v18, v18, v19
	v_add_f32_e32 v18, v18, v25
	v_lshl_add_u64 v[0:1], v[0:1], 2, v[22:23]
	s_and_b64 vcc, exec, s[4:5]
	global_store_dword v[0:1], v18, off
	s_cbranch_vccnz .LBB86_82
; %bb.81:
	v_lshl_add_u64 v[0:1], v[2:3], 2, v[20:21]
	global_load_dword v0, v[0:1], off
	s_waitcnt vmcnt(0)
	v_mul_f32_e32 v24, s24, v0
.LBB86_82:
	v_add_f32_e32 v0, v16, v17
	v_add_f32_e32 v16, v0, v24
	v_lshl_add_u64 v[0:1], v[2:3], 2, v[22:23]
	global_store_dword v[0:1], v16, off
	v_mov_b32_e32 v0, 0
	s_and_b64 vcc, exec, s[4:5]
	v_mov_b32_e32 v1, 0
	s_cbranch_vccnz .LBB86_84
; %bb.83:
	v_lshl_add_u64 v[2:3], v[64:65], 2, v[20:21]
	global_load_dword v1, v[2:3], off
	s_waitcnt vmcnt(0)
	v_mul_f32_e32 v1, s24, v1
.LBB86_84:
	v_add_f32_e32 v2, v14, v15
	v_add_f32_e32 v1, v2, v1
	v_lshl_add_u64 v[2:3], v[64:65], 2, v[22:23]
	s_and_b64 vcc, exec, s[4:5]
	global_store_dword v[2:3], v1, off
	s_cbranch_vccnz .LBB86_86
; %bb.85:
	v_lshl_add_u64 v[0:1], v[62:63], 2, v[20:21]
	global_load_dword v0, v[0:1], off
	s_waitcnt vmcnt(0)
	v_mul_f32_e32 v0, s24, v0
.LBB86_86:
	v_add_f32_e32 v1, v12, v13
	v_add_f32_e32 v2, v1, v0
	v_lshl_add_u64 v[0:1], v[62:63], 2, v[22:23]
	global_store_dword v[0:1], v2, off
	v_mov_b32_e32 v0, 0
	s_and_b64 vcc, exec, s[4:5]
	v_mov_b32_e32 v1, 0
	s_cbranch_vccnz .LBB86_88
; %bb.87:
	v_lshl_add_u64 v[2:3], v[60:61], 2, v[20:21]
	global_load_dword v1, v[2:3], off
	s_waitcnt vmcnt(0)
	v_mul_f32_e32 v1, s24, v1
.LBB86_88:
	v_add_f32_e32 v2, v10, v11
	v_add_f32_e32 v1, v2, v1
	v_lshl_add_u64 v[2:3], v[60:61], 2, v[22:23]
	s_and_b64 vcc, exec, s[4:5]
	global_store_dword v[2:3], v1, off
	s_cbranch_vccnz .LBB86_90
; %bb.89:
	v_lshl_add_u64 v[0:1], v[58:59], 2, v[20:21]
	global_load_dword v0, v[0:1], off
	s_waitcnt vmcnt(0)
	v_mul_f32_e32 v0, s24, v0
.LBB86_90:
	v_add_f32_e32 v1, v8, v9
	v_add_f32_e32 v2, v1, v0
	v_lshl_add_u64 v[0:1], v[58:59], 2, v[22:23]
	global_store_dword v[0:1], v2, off
	v_add_f32_e32 v0, v6, v7
	s_mov_b64 s[0:1], -1
	s_mov_b64 vcc, s[8:9]
	s_cbranch_vccz .LBB86_92
; %bb.91:
	v_add_f32_e32 v1, 0, v0
	v_lshl_add_u64 v[2:3], v[56:57], 2, v[22:23]
	global_store_dword v[2:3], v1, off
	s_mov_b64 s[0:1], 0
.LBB86_92:
	s_andn2_b64 vcc, exec, s[0:1]
	v_mov_b32_e32 v1, 0
	s_cbranch_vccnz .LBB86_94
; %bb.93:
	v_lshlrev_b64 v[2:3], 2, v[56:57]
	v_lshl_add_u64 v[6:7], v[20:21], 0, v[2:3]
	global_load_dword v1, v[6:7], off
	v_lshl_add_u64 v[2:3], v[22:23], 0, v[2:3]
	s_waitcnt vmcnt(0)
	v_fmac_f32_e32 v0, s24, v1
	global_store_dword v[2:3], v0, off
	v_lshl_add_u64 v[0:1], v[54:55], 2, v[20:21]
	global_load_dword v0, v[0:1], off
	s_waitcnt vmcnt(0)
	v_mul_f32_e32 v1, s24, v0
.LBB86_94:
	v_add_f32_e32 v0, v4, v5
	v_add_f32_e32 v2, v0, v1
	v_lshl_add_u64 v[0:1], v[54:55], 2, v[22:23]
	global_store_dword v[0:1], v2, off
	s_endpgm
.LBB86_95:
	s_mov_b64 s[22:23], 0
	s_andn2_b64 vcc, exec, s[6:7]
	s_mov_b64 s[6:7], -1
	s_cbranch_vccz .LBB86_2
	s_branch .LBB86_3
	.section	.rodata,"a",@progbits
	.p2align	6, 0x0
	.amdhsa_kernel _ZN12_GLOBAL__N_120geam_min_plus_kernelIf15HIP_vector_typeIfLj2EES2_Li8ELi32ELi64ELi128ELi4ELi4ELi64ELi4ELi64ELc84ELc78ELb0ELb0ELb0EfKffEEviiiT16_PT17_ilS6_ilS4_S6_ilPT18_ili26rocblas_geam_ex_operation_
		.amdhsa_group_segment_fixed_size 6144
		.amdhsa_private_segment_fixed_size 0
		.amdhsa_kernarg_size 128
		.amdhsa_user_sgpr_count 2
		.amdhsa_user_sgpr_dispatch_ptr 0
		.amdhsa_user_sgpr_queue_ptr 0
		.amdhsa_user_sgpr_kernarg_segment_ptr 1
		.amdhsa_user_sgpr_dispatch_id 0
		.amdhsa_user_sgpr_kernarg_preload_length 0
		.amdhsa_user_sgpr_kernarg_preload_offset 0
		.amdhsa_user_sgpr_private_segment_size 0
		.amdhsa_uses_dynamic_stack 0
		.amdhsa_enable_private_segment 0
		.amdhsa_system_sgpr_workgroup_id_x 1
		.amdhsa_system_sgpr_workgroup_id_y 0
		.amdhsa_system_sgpr_workgroup_id_z 1
		.amdhsa_system_sgpr_workgroup_info 0
		.amdhsa_system_vgpr_workitem_id 1
		.amdhsa_next_free_vgpr 112
		.amdhsa_next_free_sgpr 28
		.amdhsa_accum_offset 112
		.amdhsa_reserve_vcc 1
		.amdhsa_float_round_mode_32 0
		.amdhsa_float_round_mode_16_64 0
		.amdhsa_float_denorm_mode_32 3
		.amdhsa_float_denorm_mode_16_64 3
		.amdhsa_dx10_clamp 1
		.amdhsa_ieee_mode 1
		.amdhsa_fp16_overflow 0
		.amdhsa_tg_split 0
		.amdhsa_exception_fp_ieee_invalid_op 0
		.amdhsa_exception_fp_denorm_src 0
		.amdhsa_exception_fp_ieee_div_zero 0
		.amdhsa_exception_fp_ieee_overflow 0
		.amdhsa_exception_fp_ieee_underflow 0
		.amdhsa_exception_fp_ieee_inexact 0
		.amdhsa_exception_int_div_zero 0
	.end_amdhsa_kernel
	.section	.text._ZN12_GLOBAL__N_120geam_min_plus_kernelIf15HIP_vector_typeIfLj2EES2_Li8ELi32ELi64ELi128ELi4ELi4ELi64ELi4ELi64ELc84ELc78ELb0ELb0ELb0EfKffEEviiiT16_PT17_ilS6_ilS4_S6_ilPT18_ili26rocblas_geam_ex_operation_,"axG",@progbits,_ZN12_GLOBAL__N_120geam_min_plus_kernelIf15HIP_vector_typeIfLj2EES2_Li8ELi32ELi64ELi128ELi4ELi4ELi64ELi4ELi64ELc84ELc78ELb0ELb0ELb0EfKffEEviiiT16_PT17_ilS6_ilS4_S6_ilPT18_ili26rocblas_geam_ex_operation_,comdat
.Lfunc_end86:
	.size	_ZN12_GLOBAL__N_120geam_min_plus_kernelIf15HIP_vector_typeIfLj2EES2_Li8ELi32ELi64ELi128ELi4ELi4ELi64ELi4ELi64ELc84ELc78ELb0ELb0ELb0EfKffEEviiiT16_PT17_ilS6_ilS4_S6_ilPT18_ili26rocblas_geam_ex_operation_, .Lfunc_end86-_ZN12_GLOBAL__N_120geam_min_plus_kernelIf15HIP_vector_typeIfLj2EES2_Li8ELi32ELi64ELi128ELi4ELi4ELi64ELi4ELi64ELc84ELc78ELb0ELb0ELb0EfKffEEviiiT16_PT17_ilS6_ilS4_S6_ilPT18_ili26rocblas_geam_ex_operation_
                                        ; -- End function
	.set _ZN12_GLOBAL__N_120geam_min_plus_kernelIf15HIP_vector_typeIfLj2EES2_Li8ELi32ELi64ELi128ELi4ELi4ELi64ELi4ELi64ELc84ELc78ELb0ELb0ELb0EfKffEEviiiT16_PT17_ilS6_ilS4_S6_ilPT18_ili26rocblas_geam_ex_operation_.num_vgpr, 112
	.set _ZN12_GLOBAL__N_120geam_min_plus_kernelIf15HIP_vector_typeIfLj2EES2_Li8ELi32ELi64ELi128ELi4ELi4ELi64ELi4ELi64ELc84ELc78ELb0ELb0ELb0EfKffEEviiiT16_PT17_ilS6_ilS4_S6_ilPT18_ili26rocblas_geam_ex_operation_.num_agpr, 0
	.set _ZN12_GLOBAL__N_120geam_min_plus_kernelIf15HIP_vector_typeIfLj2EES2_Li8ELi32ELi64ELi128ELi4ELi4ELi64ELi4ELi64ELc84ELc78ELb0ELb0ELb0EfKffEEviiiT16_PT17_ilS6_ilS4_S6_ilPT18_ili26rocblas_geam_ex_operation_.numbered_sgpr, 28
	.set _ZN12_GLOBAL__N_120geam_min_plus_kernelIf15HIP_vector_typeIfLj2EES2_Li8ELi32ELi64ELi128ELi4ELi4ELi64ELi4ELi64ELc84ELc78ELb0ELb0ELb0EfKffEEviiiT16_PT17_ilS6_ilS4_S6_ilPT18_ili26rocblas_geam_ex_operation_.num_named_barrier, 0
	.set _ZN12_GLOBAL__N_120geam_min_plus_kernelIf15HIP_vector_typeIfLj2EES2_Li8ELi32ELi64ELi128ELi4ELi4ELi64ELi4ELi64ELc84ELc78ELb0ELb0ELb0EfKffEEviiiT16_PT17_ilS6_ilS4_S6_ilPT18_ili26rocblas_geam_ex_operation_.private_seg_size, 0
	.set _ZN12_GLOBAL__N_120geam_min_plus_kernelIf15HIP_vector_typeIfLj2EES2_Li8ELi32ELi64ELi128ELi4ELi4ELi64ELi4ELi64ELc84ELc78ELb0ELb0ELb0EfKffEEviiiT16_PT17_ilS6_ilS4_S6_ilPT18_ili26rocblas_geam_ex_operation_.uses_vcc, 1
	.set _ZN12_GLOBAL__N_120geam_min_plus_kernelIf15HIP_vector_typeIfLj2EES2_Li8ELi32ELi64ELi128ELi4ELi4ELi64ELi4ELi64ELc84ELc78ELb0ELb0ELb0EfKffEEviiiT16_PT17_ilS6_ilS4_S6_ilPT18_ili26rocblas_geam_ex_operation_.uses_flat_scratch, 0
	.set _ZN12_GLOBAL__N_120geam_min_plus_kernelIf15HIP_vector_typeIfLj2EES2_Li8ELi32ELi64ELi128ELi4ELi4ELi64ELi4ELi64ELc84ELc78ELb0ELb0ELb0EfKffEEviiiT16_PT17_ilS6_ilS4_S6_ilPT18_ili26rocblas_geam_ex_operation_.has_dyn_sized_stack, 0
	.set _ZN12_GLOBAL__N_120geam_min_plus_kernelIf15HIP_vector_typeIfLj2EES2_Li8ELi32ELi64ELi128ELi4ELi4ELi64ELi4ELi64ELc84ELc78ELb0ELb0ELb0EfKffEEviiiT16_PT17_ilS6_ilS4_S6_ilPT18_ili26rocblas_geam_ex_operation_.has_recursion, 0
	.set _ZN12_GLOBAL__N_120geam_min_plus_kernelIf15HIP_vector_typeIfLj2EES2_Li8ELi32ELi64ELi128ELi4ELi4ELi64ELi4ELi64ELc84ELc78ELb0ELb0ELb0EfKffEEviiiT16_PT17_ilS6_ilS4_S6_ilPT18_ili26rocblas_geam_ex_operation_.has_indirect_call, 0
	.section	.AMDGPU.csdata,"",@progbits
; Kernel info:
; codeLenInByte = 6648
; TotalNumSgprs: 34
; NumVgprs: 112
; NumAgprs: 0
; TotalNumVgprs: 112
; ScratchSize: 0
; MemoryBound: 0
; FloatMode: 240
; IeeeMode: 1
; LDSByteSize: 6144 bytes/workgroup (compile time only)
; SGPRBlocks: 4
; VGPRBlocks: 13
; NumSGPRsForWavesPerEU: 34
; NumVGPRsForWavesPerEU: 112
; AccumOffset: 112
; Occupancy: 4
; WaveLimiterHint : 0
; COMPUTE_PGM_RSRC2:SCRATCH_EN: 0
; COMPUTE_PGM_RSRC2:USER_SGPR: 2
; COMPUTE_PGM_RSRC2:TRAP_HANDLER: 0
; COMPUTE_PGM_RSRC2:TGID_X_EN: 1
; COMPUTE_PGM_RSRC2:TGID_Y_EN: 0
; COMPUTE_PGM_RSRC2:TGID_Z_EN: 1
; COMPUTE_PGM_RSRC2:TIDIG_COMP_CNT: 1
; COMPUTE_PGM_RSRC3_GFX90A:ACCUM_OFFSET: 27
; COMPUTE_PGM_RSRC3_GFX90A:TG_SPLIT: 0
	.section	.text._ZN12_GLOBAL__N_120geam_min_plus_kernelIf15HIP_vector_typeIfLj2EES2_Li8ELi32ELi64ELi128ELi4ELi4ELi64ELi4ELi64ELc84ELc78ELb0ELb1ELb0EPKfS3_fEEviiiT16_PT17_ilS7_ilS5_S7_ilPT18_ili26rocblas_geam_ex_operation_,"axG",@progbits,_ZN12_GLOBAL__N_120geam_min_plus_kernelIf15HIP_vector_typeIfLj2EES2_Li8ELi32ELi64ELi128ELi4ELi4ELi64ELi4ELi64ELc84ELc78ELb0ELb1ELb0EPKfS3_fEEviiiT16_PT17_ilS7_ilS5_S7_ilPT18_ili26rocblas_geam_ex_operation_,comdat
	.globl	_ZN12_GLOBAL__N_120geam_min_plus_kernelIf15HIP_vector_typeIfLj2EES2_Li8ELi32ELi64ELi128ELi4ELi4ELi64ELi4ELi64ELc84ELc78ELb0ELb1ELb0EPKfS3_fEEviiiT16_PT17_ilS7_ilS5_S7_ilPT18_ili26rocblas_geam_ex_operation_ ; -- Begin function _ZN12_GLOBAL__N_120geam_min_plus_kernelIf15HIP_vector_typeIfLj2EES2_Li8ELi32ELi64ELi128ELi4ELi4ELi64ELi4ELi64ELc84ELc78ELb0ELb1ELb0EPKfS3_fEEviiiT16_PT17_ilS7_ilS5_S7_ilPT18_ili26rocblas_geam_ex_operation_
	.p2align	8
	.type	_ZN12_GLOBAL__N_120geam_min_plus_kernelIf15HIP_vector_typeIfLj2EES2_Li8ELi32ELi64ELi128ELi4ELi4ELi64ELi4ELi64ELc84ELc78ELb0ELb1ELb0EPKfS3_fEEviiiT16_PT17_ilS7_ilS5_S7_ilPT18_ili26rocblas_geam_ex_operation_,@function
_ZN12_GLOBAL__N_120geam_min_plus_kernelIf15HIP_vector_typeIfLj2EES2_Li8ELi32ELi64ELi128ELi4ELi4ELi64ELi4ELi64ELc84ELc78ELb0ELb1ELb0EPKfS3_fEEviiiT16_PT17_ilS7_ilS5_S7_ilPT18_ili26rocblas_geam_ex_operation_: ; @_ZN12_GLOBAL__N_120geam_min_plus_kernelIf15HIP_vector_typeIfLj2EES2_Li8ELi32ELi64ELi128ELi4ELi4ELi64ELi4ELi64ELc84ELc78ELb0ELb1ELb0EPKfS3_fEEviiiT16_PT17_ilS7_ilS5_S7_ilPT18_ili26rocblas_geam_ex_operation_
; %bb.0:
	s_load_dwordx4 s[12:15], s[0:1], 0x10
	s_load_dwordx4 s[4:7], s[0:1], 0x28
	;; [unrolled: 1-line block ×3, first 2 shown]
	s_mov_b32 s16, s3
	s_mov_b32 s17, 0
	s_lshl_b64 s[18:19], s[16:17], 2
	s_waitcnt lgkmcnt(0)
	s_add_u32 s12, s12, s18
	s_addc_u32 s13, s13, s19
	s_load_dword s30, s[12:13], 0x0
	s_load_dwordx2 s[20:21], s[0:1], 0x50
	s_add_u32 s22, s10, s18
	s_addc_u32 s23, s11, s19
	s_mov_b64 s[12:13], 0
	s_waitcnt lgkmcnt(0)
	v_cmp_eq_f32_e64 s[18:19], s30, 0
	v_cmp_neq_f32_e64 s[10:11], s30, 0
	s_and_b64 vcc, exec, s[18:19]
	s_mov_b64 s[18:19], 0
	s_cbranch_vccnz .LBB87_2
; %bb.1:
	s_mul_i32 s3, s5, s16
	s_mul_hi_u32 s5, s4, s16
	s_add_i32 s5, s5, s3
	s_mul_i32 s4, s4, s16
	s_lshl_b64 s[4:5], s[4:5], 2
	s_add_u32 s18, s14, s4
	s_addc_u32 s19, s15, s5
.LBB87_2:
	s_load_dword s28, s[22:23], 0x0
	s_andn2_b64 vcc, exec, s[10:11]
	s_cbranch_vccnz .LBB87_4
; %bb.3:
	s_mul_i32 s3, s9, s16
	s_mul_hi_u32 s4, s8, s16
	s_add_i32 s5, s4, s3
	s_mul_i32 s4, s8, s16
	s_lshl_b64 s[4:5], s[4:5], 2
	s_add_u32 s12, s6, s4
	s_addc_u32 s13, s7, s5
.LBB87_4:
	s_load_dwordx4 s[4:7], s[0:1], 0x60
	s_waitcnt lgkmcnt(0)
	v_cmp_eq_f32_e64 s[14:15], s28, 0
	v_cmp_neq_f32_e64 s[8:9], s28, 0
	s_and_b64 vcc, exec, s[14:15]
	s_cbranch_vccnz .LBB87_6
; %bb.5:
	s_mul_i32 s3, s5, s16
	s_mul_hi_u32 s5, s4, s16
	s_add_i32 s5, s5, s3
	s_mul_i32 s4, s4, s16
	s_lshl_b64 s[4:5], s[4:5], 2
	s_add_u32 s24, s20, s4
	s_addc_u32 s25, s21, s5
	s_branch .LBB87_7
.LBB87_6:
	s_mov_b64 s[24:25], 0
.LBB87_7:
	s_load_dwordx4 s[20:23], s[0:1], 0x0
	s_load_dword s31, s[0:1], 0x20
	v_and_b32_e32 v76, 0x3ff, v0
	v_bfe_u32 v77, v0, 10, 10
	v_and_b32_e32 v78, 3, v0
	s_waitcnt lgkmcnt(0)
	s_add_i32 s3, s20, -1
	s_ashr_i32 s4, s3, 31
	s_lshr_b32 s4, s4, 26
	s_add_i32 s3, s3, s4
	s_ashr_i32 s3, s3, 6
	s_add_i32 s4, s3, 1
	v_cvt_f32_u32_e32 v1, s4
	s_not_b32 s3, s3
	v_cmp_gt_i32_e32 vcc, s22, v78
	v_mov_b32_e32 v2, 0
	v_rcp_iflag_f32_e32 v0, v1
	v_lshl_add_u32 v1, v77, 3, v76
	v_lshrrev_b32_e32 v70, 2, v1
	v_lshlrev_b32_e32 v68, 2, v78
	v_mul_f32_e32 v0, 0x4f7ffffe, v0
	v_cvt_u32_f32_e32 v0, v0
	v_mov_b32_e32 v3, 0
	v_readfirstlane_b32 s5, v0
	s_mul_i32 s3, s3, s5
	s_mul_hi_u32 s3, s5, s3
	s_add_i32 s5, s5, s3
	s_mul_hi_u32 s3, s2, s5
	s_mul_i32 s5, s3, s4
	s_sub_i32 s5, s2, s5
	s_add_i32 s14, s3, 1
	s_sub_i32 s15, s5, s4
	s_cmp_ge_u32 s5, s4
	s_cselect_b32 s3, s14, s3
	s_cselect_b32 s5, s15, s5
	s_add_i32 s14, s3, 1
	s_cmp_ge_u32 s5, s4
	s_cselect_b32 s14, s14, s3
	s_mul_i32 s3, s14, s4
	s_sub_i32 s2, s2, s3
	s_lshl_b32 s17, s2, 6
	v_add_u32_e32 v71, s17, v70
	v_cmp_gt_i32_e64 s[2:3], s20, v71
	s_and_b64 s[4:5], vcc, s[2:3]
	s_and_b64 s[26:27], s[10:11], s[4:5]
	s_and_saveexec_b64 s[4:5], s[26:27]
	s_cbranch_execz .LBB87_9
; %bb.8:
	v_mad_i64_i32 v[0:1], s[26:27], v71, s31, 0
	v_lshl_add_u64 v[0:1], v[0:1], 2, s[18:19]
	v_mov_b32_e32 v69, 0
	v_lshl_add_u64 v[0:1], v[0:1], 0, v[68:69]
	global_load_dword v0, v[0:1], off
	s_waitcnt vmcnt(0)
	v_mul_f32_e32 v3, s30, v0
.LBB87_9:
	s_or_b64 exec, exec, s[4:5]
	s_load_dword s33, s[0:1], 0x38
	s_lshl_b32 s29, s14, 7
	v_add_u32_e32 v72, s29, v70
	s_add_i32 s23, s22, -1
	v_min_i32_e32 v0, s23, v78
	v_cmp_le_i32_e64 s[4:5], s21, v72
	s_xor_b64 s[26:27], s[10:11], -1
	v_cmp_le_i32_e32 vcc, s22, v78
	v_ashrrev_i32_e32 v1, 31, v0
	s_or_b64 s[14:15], s[4:5], s[26:27]
	v_lshl_add_u64 v[0:1], v[0:1], 2, s[12:13]
	s_nor_b64 s[34:35], vcc, s[14:15]
	s_and_saveexec_b64 s[4:5], s[34:35]
	s_cbranch_execz .LBB87_11
; %bb.10:
	s_waitcnt lgkmcnt(0)
	v_mad_i64_i32 v[4:5], s[34:35], v72, s33, 0
	v_lshl_add_u64 v[4:5], v[4:5], 2, v[0:1]
	global_load_dword v2, v[4:5], off
	s_waitcnt vmcnt(0)
	v_mul_f32_e32 v2, s30, v2
.LBB87_11:
	s_or_b64 exec, exec, s[4:5]
	v_add_u32_e32 v73, 64, v72
	v_cmp_le_i32_e64 s[4:5], s21, v73
	s_or_b64 s[4:5], s[4:5], s[26:27]
	s_nor_b64 s[34:35], vcc, s[4:5]
	v_mov_b32_e32 v69, 0
	v_mov_b32_e32 v4, 0
	s_and_saveexec_b64 s[26:27], s[34:35]
	s_cbranch_execz .LBB87_13
; %bb.12:
	s_waitcnt lgkmcnt(0)
	v_mad_i64_i32 v[4:5], s[34:35], v73, s33, 0
	v_lshl_add_u64 v[0:1], v[4:5], 2, v[0:1]
	global_load_dword v0, v[0:1], off
	s_waitcnt vmcnt(0)
	v_mul_f32_e32 v4, s30, v0
.LBB87_13:
	s_or_b64 exec, exec, s[26:27]
	v_or_b32_e32 v0, 4, v78
	v_cmp_gt_i32_e32 vcc, s22, v0
	s_and_b64 s[26:27], vcc, s[2:3]
	s_and_b64 s[34:35], s[10:11], s[26:27]
	s_and_saveexec_b64 s[26:27], s[34:35]
	s_cbranch_execz .LBB87_15
; %bb.14:
	v_mad_i64_i32 v[6:7], s[34:35], v71, s31, 0
	v_lshl_add_u64 v[6:7], v[6:7], 2, s[18:19]
	v_mov_b32_e32 v69, 0
	v_lshl_add_u64 v[6:7], v[6:7], 0, v[68:69]
	global_load_dword v1, v[6:7], off offset:16
	s_waitcnt vmcnt(0)
	v_mul_f32_e32 v69, s30, v1
.LBB87_15:
	s_or_b64 exec, exec, s[26:27]
	v_cmp_le_i32_e32 vcc, s22, v0
	v_min_i32_e32 v0, s23, v0
	v_ashrrev_i32_e32 v1, 31, v0
	v_lshl_add_u64 v[0:1], v[0:1], 2, s[12:13]
	s_nor_b64 s[34:35], vcc, s[14:15]
	v_mov_b32_e32 v74, 0
	v_mov_b32_e32 v75, 0
	s_and_saveexec_b64 s[26:27], s[34:35]
	s_cbranch_execz .LBB87_17
; %bb.16:
	s_waitcnt lgkmcnt(0)
	v_mad_i64_i32 v[6:7], s[34:35], v72, s33, 0
	v_lshl_add_u64 v[6:7], v[6:7], 2, v[0:1]
	global_load_dword v5, v[6:7], off
	s_waitcnt vmcnt(0)
	v_mul_f32_e32 v75, s30, v5
.LBB87_17:
	s_or_b64 exec, exec, s[26:27]
	s_nor_b64 s[34:35], vcc, s[4:5]
	s_and_saveexec_b64 s[26:27], s[34:35]
	s_cbranch_execz .LBB87_19
; %bb.18:
	s_waitcnt lgkmcnt(0)
	v_mad_i64_i32 v[6:7], s[34:35], v73, s33, 0
	v_lshl_add_u64 v[0:1], v[6:7], 2, v[0:1]
	global_load_dword v0, v[0:1], off
	s_waitcnt vmcnt(0)
	v_mul_f32_e32 v74, s30, v0
.LBB87_19:
	s_or_b64 exec, exec, s[26:27]
	v_lshlrev_b32_e32 v0, 4, v70
	v_lshl_or_b32 v79, v78, 2, v0
	v_mov_b32_e32 v0, 0x1000
	v_mov_b32_e32 v66, 0
	ds_write_b32 v79, v3 offset:4096
	ds_write2st64_b32 v79, v2, v4 offset1:4
	v_lshl_add_u32 v80, v76, 4, v0
	s_mov_b32 s34, 0
	s_mov_b64 s[26:27], -1
	v_mov_b32_e32 v67, v66
	v_mov_b32_e32 v64, v66
	;; [unrolled: 1-line block ×63, first 2 shown]
	v_add_u32_e32 v81, 0x1000, v79
	v_lshlrev_b32_e32 v82, 4, v77
	s_waitcnt lgkmcnt(0)
	s_barrier
.LBB87_20:                              ; =>This Inner Loop Header: Depth=1
	v_cndmask_b32_e64 v0, 0, 1, s[26:27]
	s_lshl_b32 s26, s34, 2
	v_cmp_ne_u32_e32 vcc, 1, v0
	v_add_u32_e32 v0, s26, v80
	ds_read2_b64 v[84:87], v0 offset1:16
	ds_read2_b64 v[88:91], v0 offset0:32 offset1:48
	ds_read2_b64 v[92:95], v0 offset0:64 offset1:80
	;; [unrolled: 1-line block ×3, first 2 shown]
	v_add_u32_e32 v0, s26, v82
	ds_read2st64_b64 v[100:103], v0 offset1:1
	ds_read2st64_b64 v[0:3], v0 offset0:2 offset1:3
	s_waitcnt lgkmcnt(5)
	v_max_f32_e32 v104, v85, v85
	v_max_f32_e32 v86, v86, v86
	;; [unrolled: 1-line block ×3, first 2 shown]
	s_waitcnt lgkmcnt(1)
	v_max_f32_e32 v83, v100, v100
	v_max_f32_e32 v100, v84, v84
	;; [unrolled: 1-line block ×3, first 2 shown]
	v_min_f32_e32 v84, v100, v83
	v_min_f32_e32 v85, v104, v101
	v_pk_add_f32 v[66:67], v[66:67], v[84:85]
	v_min_f32_e32 v84, v86, v83
	v_min_f32_e32 v85, v87, v101
	v_max_f32_e32 v88, v88, v88
	v_max_f32_e32 v89, v89, v89
	v_pk_add_f32 v[64:65], v[64:65], v[84:85]
	v_min_f32_e32 v84, v88, v83
	v_min_f32_e32 v85, v89, v101
	v_max_f32_e32 v90, v90, v90
	v_max_f32_e32 v91, v91, v91
	;; [unrolled: 5-line block ×5, first 2 shown]
	v_pk_add_f32 v[56:57], v[56:57], v[84:85]
	v_min_f32_e32 v84, v96, v83
	v_min_f32_e32 v85, v97, v101
	v_max_f32_e32 v98, v98, v98
	v_pk_add_f32 v[54:55], v[54:55], v[84:85]
	v_min_f32_e32 v84, v98, v83
	v_max_f32_e32 v83, v99, v99
	v_min_f32_e32 v85, v83, v101
	v_max_f32_e32 v99, v102, v102
	v_max_f32_e32 v101, v103, v103
	v_pk_add_f32 v[52:53], v[52:53], v[84:85]
	v_min_f32_e32 v84, v100, v99
	v_min_f32_e32 v85, v104, v101
	v_pk_add_f32 v[50:51], v[50:51], v[84:85]
	v_min_f32_e32 v84, v86, v99
	v_min_f32_e32 v85, v87, v101
	;; [unrolled: 3-line block ×8, first 2 shown]
	v_pk_add_f32 v[36:37], v[36:37], v[84:85]
	s_waitcnt lgkmcnt(0)
	v_max_f32_e32 v84, v0, v0
	v_max_f32_e32 v85, v1, v1
	v_min_f32_e32 v0, v100, v84
	v_min_f32_e32 v1, v104, v85
	v_pk_add_f32 v[34:35], v[34:35], v[0:1]
	v_min_f32_e32 v0, v86, v84
	v_min_f32_e32 v1, v87, v85
	v_pk_add_f32 v[32:33], v[32:33], v[0:1]
	;; [unrolled: 3-line block ×7, first 2 shown]
	v_min_f32_e32 v0, v98, v84
	v_min_f32_e32 v1, v83, v85
	v_max_f32_e32 v2, v2, v2
	v_max_f32_e32 v3, v3, v3
	v_pk_add_f32 v[20:21], v[20:21], v[0:1]
	v_min_f32_e32 v0, v100, v2
	v_min_f32_e32 v1, v104, v3
	v_pk_add_f32 v[18:19], v[18:19], v[0:1]
	v_min_f32_e32 v0, v86, v2
	v_min_f32_e32 v1, v87, v3
	;; [unrolled: 3-line block ×8, first 2 shown]
	v_pk_add_f32 v[4:5], v[4:5], v[0:1]
	s_mov_b64 s[26:27], 0
	s_mov_b32 s34, 2
	s_cbranch_vccz .LBB87_20
; %bb.21:
	v_lshl_or_b32 v0, v70, 4, v68
	s_cmp_lt_i32 s22, 9
	ds_write_b32 v0, v69 offset:5120
	ds_write2st64_b32 v0, v75, v74 offset0:8 offset1:12
	s_waitcnt lgkmcnt(0)
	s_barrier
	s_cbranch_scc1 .LBB87_40
; %bb.22:
	v_add_u32_e32 v83, 0x1400, v0
	v_add_u32_e32 v84, 0x800, v0
	v_mad_i64_i32 v[0:1], s[34:35], v71, s31, 0
	v_lshl_add_u64 v[68:69], v[0:1], 2, s[18:19]
	v_mov_b32_e32 v0, 0x1400
	v_lshl_add_u32 v85, v76, 4, v0
	v_mov_b32_e32 v0, 0x800
	s_add_i32 s26, s22, -8
	v_mad_i64_i32 v[70:71], s[18:19], v72, s33, 0
	v_mad_i64_i32 v[72:73], s[18:19], v73, s33, 0
	v_lshl_add_u32 v86, v77, 4, v0
	s_mov_b32 s27, 8
	s_mov_b32 s31, 0
	v_mov_b32_e32 v75, 0
.LBB87_23:                              ; =>This Loop Header: Depth=1
                                        ;     Child Loop BB87_30 Depth 2
                                        ;     Child Loop BB87_38 Depth 2
	v_or_b32_e32 v74, s27, v78
	v_cmp_gt_i32_e32 vcc, s22, v74
	s_and_b64 s[18:19], vcc, s[2:3]
	s_and_b64 s[34:35], s[10:11], s[18:19]
	v_mov_b32_e32 v87, 0
	s_and_saveexec_b64 s[18:19], s[34:35]
	s_cbranch_execz .LBB87_25
; %bb.24:                               ;   in Loop: Header=BB87_23 Depth=1
	v_lshl_add_u64 v[0:1], v[74:75], 2, v[68:69]
	global_load_dword v0, v[0:1], off
	s_waitcnt vmcnt(0)
	v_mul_f32_e32 v87, s30, v0
.LBB87_25:                              ;   in Loop: Header=BB87_23 Depth=1
	s_or_b64 exec, exec, s[18:19]
	v_min_i32_e32 v0, s23, v74
	v_cmp_le_i32_e32 vcc, s22, v74
	v_ashrrev_i32_e32 v1, 31, v0
	v_lshl_add_u64 v[0:1], v[0:1], 2, s[12:13]
	s_nor_b64 s[34:35], s[14:15], vcc
	v_mov_b32_e32 v88, 0
	v_mov_b32_e32 v89, 0
	s_and_saveexec_b64 s[18:19], s[34:35]
	s_cbranch_execz .LBB87_27
; %bb.26:                               ;   in Loop: Header=BB87_23 Depth=1
	v_lshl_add_u64 v[2:3], v[70:71], 2, v[0:1]
	global_load_dword v2, v[2:3], off
	s_waitcnt vmcnt(0)
	v_mul_f32_e32 v89, s30, v2
.LBB87_27:                              ;   in Loop: Header=BB87_23 Depth=1
	s_or_b64 exec, exec, s[18:19]
	s_nor_b64 s[34:35], s[4:5], vcc
	s_and_saveexec_b64 s[18:19], s[34:35]
	s_cbranch_execz .LBB87_29
; %bb.28:                               ;   in Loop: Header=BB87_23 Depth=1
	v_lshl_add_u64 v[0:1], v[72:73], 2, v[0:1]
	global_load_dword v0, v[0:1], off
	s_waitcnt vmcnt(0)
	v_mul_f32_e32 v88, s30, v0
.LBB87_29:                              ;   in Loop: Header=BB87_23 Depth=1
	s_or_b64 exec, exec, s[18:19]
	s_mov_b32 s33, 0
	s_mov_b64 s[18:19], -1
.LBB87_30:                              ;   Parent Loop BB87_23 Depth=1
                                        ; =>  This Inner Loop Header: Depth=2
	v_cndmask_b32_e64 v0, 0, 1, s[18:19]
	s_lshl_b32 s18, s33, 2
	v_cmp_ne_u32_e32 vcc, 1, v0
	v_add_u32_e32 v0, s18, v85
	ds_read2_b64 v[90:93], v0 offset1:16
	ds_read2_b64 v[94:97], v0 offset0:32 offset1:48
	ds_read2_b64 v[98:101], v0 offset0:64 offset1:80
	;; [unrolled: 1-line block ×3, first 2 shown]
	v_add_u32_e32 v0, s18, v86
	ds_read2st64_b64 v[106:109], v0 offset1:1
	ds_read2st64_b64 v[0:3], v0 offset0:2 offset1:3
	s_waitcnt lgkmcnt(5)
	v_max_f32_e32 v110, v90, v90
	v_max_f32_e32 v111, v91, v91
	;; [unrolled: 1-line block ×3, first 2 shown]
	s_waitcnt lgkmcnt(1)
	v_max_f32_e32 v106, v106, v106
	v_max_f32_e32 v107, v107, v107
	v_min_f32_e32 v90, v110, v106
	v_min_f32_e32 v91, v111, v107
	v_max_f32_e32 v93, v93, v93
	v_pk_add_f32 v[66:67], v[66:67], v[90:91]
	v_min_f32_e32 v90, v92, v106
	v_min_f32_e32 v91, v93, v107
	v_max_f32_e32 v94, v94, v94
	v_max_f32_e32 v95, v95, v95
	v_pk_add_f32 v[64:65], v[64:65], v[90:91]
	v_min_f32_e32 v90, v94, v106
	v_min_f32_e32 v91, v95, v107
	v_max_f32_e32 v96, v96, v96
	;; [unrolled: 5-line block ×7, first 2 shown]
	v_max_f32_e32 v107, v109, v109
	v_pk_add_f32 v[52:53], v[52:53], v[90:91]
	v_min_f32_e32 v90, v110, v106
	v_min_f32_e32 v91, v111, v107
	v_pk_add_f32 v[50:51], v[50:51], v[90:91]
	v_min_f32_e32 v90, v92, v106
	v_min_f32_e32 v91, v93, v107
	;; [unrolled: 3-line block ×8, first 2 shown]
	v_pk_add_f32 v[36:37], v[36:37], v[90:91]
	s_waitcnt lgkmcnt(0)
	v_max_f32_e32 v90, v0, v0
	v_max_f32_e32 v91, v1, v1
	v_min_f32_e32 v0, v110, v90
	v_min_f32_e32 v1, v111, v91
	v_pk_add_f32 v[34:35], v[34:35], v[0:1]
	v_min_f32_e32 v0, v92, v90
	v_min_f32_e32 v1, v93, v91
	v_pk_add_f32 v[32:33], v[32:33], v[0:1]
	;; [unrolled: 3-line block ×7, first 2 shown]
	v_min_f32_e32 v0, v104, v90
	v_min_f32_e32 v1, v105, v91
	v_max_f32_e32 v2, v2, v2
	v_max_f32_e32 v3, v3, v3
	v_pk_add_f32 v[20:21], v[20:21], v[0:1]
	v_min_f32_e32 v0, v110, v2
	v_min_f32_e32 v1, v111, v3
	v_pk_add_f32 v[18:19], v[18:19], v[0:1]
	v_min_f32_e32 v0, v92, v2
	v_min_f32_e32 v1, v93, v3
	;; [unrolled: 3-line block ×8, first 2 shown]
	v_pk_add_f32 v[4:5], v[4:5], v[0:1]
	s_mov_b64 s[18:19], 0
	s_mov_b32 s33, 2
	s_cbranch_vccz .LBB87_30
; %bb.31:                               ;   in Loop: Header=BB87_23 Depth=1
	v_or_b32_e32 v0, 4, v74
	v_cmp_gt_i32_e32 vcc, s22, v0
	s_and_b64 s[18:19], vcc, s[2:3]
	ds_write_b32 v81, v87
	ds_write2st64_b32 v79, v89, v88 offset1:4
	s_and_b64 s[34:35], s[10:11], s[18:19]
	v_mov_b32_e32 v87, 0
	v_mov_b32_e32 v88, 0
	s_waitcnt lgkmcnt(0)
	s_barrier
	s_and_saveexec_b64 s[18:19], s[34:35]
	s_cbranch_execz .LBB87_33
; %bb.32:                               ;   in Loop: Header=BB87_23 Depth=1
	v_lshl_add_u64 v[2:3], v[74:75], 2, v[68:69]
	global_load_dword v1, v[2:3], off offset:16
	s_waitcnt vmcnt(0)
	v_mul_f32_e32 v88, s30, v1
.LBB87_33:                              ;   in Loop: Header=BB87_23 Depth=1
	s_or_b64 exec, exec, s[18:19]
	v_cmp_le_i32_e32 vcc, s22, v0
	v_min_i32_e32 v0, s23, v0
	v_ashrrev_i32_e32 v1, 31, v0
	v_lshl_add_u64 v[0:1], v[0:1], 2, s[12:13]
	s_nor_b64 s[34:35], s[14:15], vcc
	s_and_saveexec_b64 s[18:19], s[34:35]
	s_cbranch_execz .LBB87_35
; %bb.34:                               ;   in Loop: Header=BB87_23 Depth=1
	v_lshl_add_u64 v[2:3], v[70:71], 2, v[0:1]
	global_load_dword v2, v[2:3], off
	s_waitcnt vmcnt(0)
	v_mul_f32_e32 v87, s30, v2
.LBB87_35:                              ;   in Loop: Header=BB87_23 Depth=1
	s_or_b64 exec, exec, s[18:19]
	s_nor_b64 s[34:35], s[4:5], vcc
	v_mov_b32_e32 v74, 0
	s_and_saveexec_b64 s[18:19], s[34:35]
	s_cbranch_execz .LBB87_37
; %bb.36:                               ;   in Loop: Header=BB87_23 Depth=1
	v_lshl_add_u64 v[0:1], v[72:73], 2, v[0:1]
	global_load_dword v0, v[0:1], off
	s_waitcnt vmcnt(0)
	v_mul_f32_e32 v74, s30, v0
.LBB87_37:                              ;   in Loop: Header=BB87_23 Depth=1
	s_or_b64 exec, exec, s[18:19]
	s_mov_b32 s33, 0
	s_mov_b64 s[18:19], -1
.LBB87_38:                              ;   Parent Loop BB87_23 Depth=1
                                        ; =>  This Inner Loop Header: Depth=2
	v_cndmask_b32_e64 v0, 0, 1, s[18:19]
	s_lshl_b32 s18, s33, 2
	v_cmp_ne_u32_e32 vcc, 1, v0
	v_add_u32_e32 v0, s18, v80
	ds_read2_b64 v[90:93], v0 offset1:16
	ds_read2_b64 v[94:97], v0 offset0:32 offset1:48
	ds_read2_b64 v[98:101], v0 offset0:64 offset1:80
	;; [unrolled: 1-line block ×3, first 2 shown]
	v_add_u32_e32 v0, s18, v82
	ds_read2st64_b64 v[106:109], v0 offset1:1
	ds_read2st64_b64 v[0:3], v0 offset0:2 offset1:3
	s_waitcnt lgkmcnt(5)
	v_max_f32_e32 v110, v91, v91
	v_max_f32_e32 v92, v92, v92
	;; [unrolled: 1-line block ×3, first 2 shown]
	s_waitcnt lgkmcnt(1)
	v_max_f32_e32 v89, v106, v106
	v_max_f32_e32 v106, v90, v90
	;; [unrolled: 1-line block ×3, first 2 shown]
	v_min_f32_e32 v90, v106, v89
	v_min_f32_e32 v91, v110, v107
	v_pk_add_f32 v[66:67], v[66:67], v[90:91]
	v_min_f32_e32 v90, v92, v89
	v_min_f32_e32 v91, v93, v107
	v_max_f32_e32 v94, v94, v94
	v_max_f32_e32 v95, v95, v95
	v_pk_add_f32 v[64:65], v[64:65], v[90:91]
	v_min_f32_e32 v90, v94, v89
	v_min_f32_e32 v91, v95, v107
	v_max_f32_e32 v96, v96, v96
	v_max_f32_e32 v97, v97, v97
	;; [unrolled: 5-line block ×5, first 2 shown]
	v_pk_add_f32 v[56:57], v[56:57], v[90:91]
	v_min_f32_e32 v90, v102, v89
	v_min_f32_e32 v91, v103, v107
	v_max_f32_e32 v104, v104, v104
	v_pk_add_f32 v[54:55], v[54:55], v[90:91]
	v_min_f32_e32 v90, v104, v89
	v_max_f32_e32 v89, v105, v105
	v_min_f32_e32 v91, v89, v107
	v_max_f32_e32 v105, v108, v108
	v_max_f32_e32 v107, v109, v109
	v_pk_add_f32 v[52:53], v[52:53], v[90:91]
	v_min_f32_e32 v90, v106, v105
	v_min_f32_e32 v91, v110, v107
	v_pk_add_f32 v[50:51], v[50:51], v[90:91]
	v_min_f32_e32 v90, v92, v105
	v_min_f32_e32 v91, v93, v107
	;; [unrolled: 3-line block ×8, first 2 shown]
	v_pk_add_f32 v[36:37], v[36:37], v[90:91]
	s_waitcnt lgkmcnt(0)
	v_max_f32_e32 v90, v0, v0
	v_max_f32_e32 v91, v1, v1
	v_min_f32_e32 v0, v106, v90
	v_min_f32_e32 v1, v110, v91
	v_pk_add_f32 v[34:35], v[34:35], v[0:1]
	v_min_f32_e32 v0, v92, v90
	v_min_f32_e32 v1, v93, v91
	v_pk_add_f32 v[32:33], v[32:33], v[0:1]
	;; [unrolled: 3-line block ×7, first 2 shown]
	v_min_f32_e32 v0, v104, v90
	v_min_f32_e32 v1, v89, v91
	v_max_f32_e32 v2, v2, v2
	v_max_f32_e32 v3, v3, v3
	v_pk_add_f32 v[20:21], v[20:21], v[0:1]
	v_min_f32_e32 v0, v106, v2
	v_min_f32_e32 v1, v110, v3
	v_pk_add_f32 v[18:19], v[18:19], v[0:1]
	v_min_f32_e32 v0, v92, v2
	v_min_f32_e32 v1, v93, v3
	v_pk_add_f32 v[16:17], v[16:17], v[0:1]
	v_min_f32_e32 v0, v94, v2
	v_min_f32_e32 v1, v95, v3
	v_pk_add_f32 v[14:15], v[14:15], v[0:1]
	v_min_f32_e32 v0, v96, v2
	v_min_f32_e32 v1, v97, v3
	v_pk_add_f32 v[12:13], v[12:13], v[0:1]
	v_min_f32_e32 v0, v98, v2
	v_min_f32_e32 v1, v99, v3
	v_pk_add_f32 v[10:11], v[10:11], v[0:1]
	v_min_f32_e32 v0, v100, v2
	v_min_f32_e32 v1, v101, v3
	v_pk_add_f32 v[8:9], v[8:9], v[0:1]
	v_min_f32_e32 v0, v102, v2
	v_min_f32_e32 v1, v103, v3
	v_pk_add_f32 v[6:7], v[6:7], v[0:1]
	v_min_f32_e32 v0, v104, v2
	v_min_f32_e32 v1, v89, v3
	v_pk_add_f32 v[4:5], v[4:5], v[0:1]
	s_mov_b64 s[18:19], 0
	s_mov_b32 s33, 2
	s_cbranch_vccz .LBB87_38
; %bb.39:                               ;   in Loop: Header=BB87_23 Depth=1
	s_add_i32 s27, s27, 8
	s_add_i32 s31, s31, 8
	s_cmp_ge_i32 s31, s26
	ds_write_b32 v83, v88
	ds_write2st64_b32 v84, v87, v74 offset1:4
	s_waitcnt lgkmcnt(0)
	s_barrier
	s_cbranch_scc0 .LBB87_23
.LBB87_40:
	v_mov_b32_e32 v0, 0x1400
	v_lshl_add_u32 v68, v76, 4, v0
	v_mov_b32_e32 v0, 0x800
	v_lshl_add_u32 v69, v77, 4, v0
	s_mov_b32 s4, 0
	s_mov_b64 s[2:3], -1
.LBB87_41:                              ; =>This Inner Loop Header: Depth=1
	v_cndmask_b32_e64 v0, 0, 1, s[2:3]
	s_lshl_b32 s2, s4, 2
	v_cmp_ne_u32_e32 vcc, 1, v0
	v_add_u32_e32 v0, s2, v68
	ds_read2_b64 v[70:73], v0 offset1:16
	ds_read2_b64 v[78:81], v0 offset0:32 offset1:48
	ds_read2_b64 v[82:85], v0 offset0:64 offset1:80
	ds_read2_b64 v[86:89], v0 offset0:96 offset1:112
	v_add_u32_e32 v0, s2, v69
	ds_read2st64_b64 v[90:93], v0 offset1:1
	ds_read2st64_b64 v[0:3], v0 offset0:2 offset1:3
	s_waitcnt lgkmcnt(5)
	v_max_f32_e32 v75, v70, v70
	v_max_f32_e32 v72, v72, v72
	;; [unrolled: 1-line block ×3, first 2 shown]
	s_waitcnt lgkmcnt(1)
	v_max_f32_e32 v74, v90, v90
	v_max_f32_e32 v90, v91, v91
	;; [unrolled: 1-line block ×3, first 2 shown]
	v_min_f32_e32 v70, v75, v74
	v_min_f32_e32 v71, v91, v90
	v_pk_add_f32 v[66:67], v[66:67], v[70:71]
	v_min_f32_e32 v70, v72, v74
	v_min_f32_e32 v71, v73, v90
	v_max_f32_e32 v78, v78, v78
	v_max_f32_e32 v79, v79, v79
	v_pk_add_f32 v[64:65], v[64:65], v[70:71]
	v_min_f32_e32 v70, v78, v74
	v_min_f32_e32 v71, v79, v90
	v_max_f32_e32 v80, v80, v80
	v_max_f32_e32 v81, v81, v81
	v_pk_add_f32 v[62:63], v[62:63], v[70:71]
	v_min_f32_e32 v70, v80, v74
	v_min_f32_e32 v71, v81, v90
	v_max_f32_e32 v82, v82, v82
	v_max_f32_e32 v83, v83, v83
	v_pk_add_f32 v[60:61], v[60:61], v[70:71]
	v_min_f32_e32 v70, v82, v74
	v_min_f32_e32 v71, v83, v90
	v_max_f32_e32 v84, v84, v84
	v_max_f32_e32 v85, v85, v85
	v_pk_add_f32 v[58:59], v[58:59], v[70:71]
	v_min_f32_e32 v70, v84, v74
	v_min_f32_e32 v71, v85, v90
	v_max_f32_e32 v86, v86, v86
	v_max_f32_e32 v87, v87, v87
	v_pk_add_f32 v[56:57], v[56:57], v[70:71]
	v_min_f32_e32 v70, v86, v74
	v_min_f32_e32 v71, v87, v90
	v_max_f32_e32 v88, v88, v88
	v_pk_add_f32 v[54:55], v[54:55], v[70:71]
	v_min_f32_e32 v70, v88, v74
	v_max_f32_e32 v74, v89, v89
	v_min_f32_e32 v71, v74, v90
	v_max_f32_e32 v89, v92, v92
	v_max_f32_e32 v90, v93, v93
	v_pk_add_f32 v[52:53], v[52:53], v[70:71]
	v_min_f32_e32 v70, v75, v89
	v_min_f32_e32 v71, v91, v90
	v_pk_add_f32 v[50:51], v[50:51], v[70:71]
	v_min_f32_e32 v70, v72, v89
	v_min_f32_e32 v71, v73, v90
	;; [unrolled: 3-line block ×8, first 2 shown]
	v_pk_add_f32 v[36:37], v[36:37], v[70:71]
	s_waitcnt lgkmcnt(0)
	v_max_f32_e32 v70, v0, v0
	v_max_f32_e32 v71, v1, v1
	v_min_f32_e32 v0, v75, v70
	v_min_f32_e32 v1, v91, v71
	v_pk_add_f32 v[34:35], v[34:35], v[0:1]
	v_min_f32_e32 v0, v72, v70
	v_min_f32_e32 v1, v73, v71
	v_pk_add_f32 v[32:33], v[32:33], v[0:1]
	;; [unrolled: 3-line block ×7, first 2 shown]
	v_min_f32_e32 v0, v88, v70
	v_min_f32_e32 v1, v74, v71
	v_max_f32_e32 v2, v2, v2
	v_max_f32_e32 v3, v3, v3
	v_pk_add_f32 v[20:21], v[20:21], v[0:1]
	v_min_f32_e32 v0, v75, v2
	v_min_f32_e32 v1, v91, v3
	v_pk_add_f32 v[18:19], v[18:19], v[0:1]
	v_min_f32_e32 v0, v72, v2
	v_min_f32_e32 v1, v73, v3
	;; [unrolled: 3-line block ×8, first 2 shown]
	v_pk_add_f32 v[4:5], v[4:5], v[0:1]
	s_mov_b64 s[2:3], 0
	s_mov_b32 s4, 2
	s_cbranch_vccz .LBB87_41
; %bb.42:
	s_load_dwordx2 s[2:3], s[0:1], 0x78
	s_load_dword s31, s[0:1], 0x58
	s_load_dword s30, s[0:1], 0x70
	v_add_u32_e32 v72, s29, v77
	v_add_u32_e32 v0, s17, v76
	s_waitcnt lgkmcnt(0)
	s_mul_i32 s1, s3, s16
	s_mul_hi_u32 s3, s2, s16
	s_mul_i32 s0, s2, s16
	s_add_i32 s1, s3, s1
	s_lshl_b64 s[0:1], s[0:1], 2
	s_add_u32 s22, s6, s0
	s_addc_u32 s23, s7, s1
	v_mad_i64_i32 v[2:3], s[0:1], v72, s31, 0
	v_lshl_add_u64 v[70:71], v[2:3], 2, s[24:25]
	v_mad_i64_i32 v[2:3], s[0:1], v72, s30, 0
	v_cmp_gt_i32_e64 s[18:19], s21, v72
	v_lshl_add_u64 v[68:69], v[2:3], 2, s[22:23]
	v_cmp_gt_i32_e64 s[2:3], s20, v0
	v_cndmask_b32_e64 v2, 0, 1, s[8:9]
	s_and_b64 s[6:7], s[2:3], s[18:19]
	v_ashrrev_i32_e32 v1, 31, v0
	v_cmp_ne_u32_e64 s[0:1], 1, v2
	s_and_saveexec_b64 s[4:5], s[6:7]
	s_cbranch_execz .LBB87_47
; %bb.43:
	s_and_b64 vcc, exec, s[0:1]
	s_cbranch_vccnz .LBB87_45
; %bb.44:
	v_lshl_add_u64 v[2:3], v[0:1], 2, v[70:71]
	global_load_dword v2, v[2:3], off
	s_waitcnt vmcnt(0)
	v_mul_f32_e32 v2, s28, v2
	s_branch .LBB87_46
.LBB87_45:
	v_mov_b32_e32 v2, 0
.LBB87_46:
	v_add_f32_e32 v3, v66, v67
	v_add_f32_e32 v66, v3, v2
	v_lshl_add_u64 v[2:3], v[0:1], 2, v[68:69]
	global_store_dword v[2:3], v66, off
.LBB87_47:
	s_or_b64 exec, exec, s[4:5]
	v_add_u32_e32 v2, 8, v0
	v_cmp_gt_i32_e64 s[4:5], s20, v2
	s_and_b64 s[8:9], s[4:5], s[18:19]
	v_ashrrev_i32_e32 v3, 31, v2
	s_and_saveexec_b64 s[6:7], s[8:9]
	s_cbranch_execz .LBB87_52
; %bb.48:
	s_and_b64 vcc, exec, s[0:1]
	s_cbranch_vccnz .LBB87_50
; %bb.49:
	v_lshl_add_u64 v[66:67], v[2:3], 2, v[70:71]
	global_load_dword v66, v[66:67], off
	s_waitcnt vmcnt(0)
	v_mul_f32_e32 v66, s28, v66
	s_branch .LBB87_51
.LBB87_50:
	v_mov_b32_e32 v66, 0
.LBB87_51:
	v_add_f32_e32 v64, v64, v65
	v_add_f32_e32 v66, v64, v66
	v_lshl_add_u64 v[64:65], v[2:3], 2, v[68:69]
	global_store_dword v[64:65], v66, off
.LBB87_52:
	s_or_b64 exec, exec, s[6:7]
	v_add_u32_e32 v64, 16, v0
	v_cmp_gt_i32_e64 s[6:7], s20, v64
	s_and_b64 s[10:11], s[6:7], s[18:19]
	v_ashrrev_i32_e32 v65, 31, v64
	;; [unrolled: 24-line block ×7, first 2 shown]
	s_and_saveexec_b64 s[18:19], s[26:27]
	s_cbranch_execz .LBB87_82
; %bb.78:
	s_and_b64 vcc, exec, s[0:1]
	s_cbranch_vccnz .LBB87_80
; %bb.79:
	v_lshl_add_u64 v[66:67], v[54:55], 2, v[70:71]
	global_load_dword v66, v[66:67], off
	s_waitcnt vmcnt(0)
	v_mul_f32_e32 v66, s28, v66
	s_branch .LBB87_81
.LBB87_80:
	v_mov_b32_e32 v66, 0
.LBB87_81:
	v_add_f32_e32 v52, v52, v53
	v_add_f32_e32 v66, v52, v66
	v_lshl_add_u64 v[52:53], v[54:55], 2, v[68:69]
	global_store_dword v[52:53], v66, off
.LBB87_82:
	s_or_b64 exec, exec, s[18:19]
	v_add_u32_e32 v68, 32, v72
	v_mad_i64_i32 v[52:53], s[26:27], v68, s31, 0
	v_cmp_gt_i32_e64 s[18:19], s21, v68
	v_lshl_add_u64 v[66:67], v[52:53], 2, s[24:25]
	v_mad_i64_i32 v[52:53], s[26:27], v68, s30, 0
	v_lshl_add_u64 v[52:53], v[52:53], 2, s[22:23]
	s_and_b64 s[34:35], s[2:3], s[18:19]
	s_and_saveexec_b64 s[26:27], s[34:35]
	s_cbranch_execnz .LBB87_90
; %bb.83:
	s_or_b64 exec, exec, s[26:27]
	s_and_b64 s[34:35], s[4:5], s[18:19]
	s_and_saveexec_b64 s[26:27], s[34:35]
	s_cbranch_execnz .LBB87_94
.LBB87_84:
	s_or_b64 exec, exec, s[26:27]
	s_and_b64 s[34:35], s[6:7], s[18:19]
	s_and_saveexec_b64 s[26:27], s[34:35]
	s_cbranch_execnz .LBB87_98
.LBB87_85:
	s_or_b64 exec, exec, s[26:27]
	s_and_b64 s[34:35], s[8:9], s[18:19]
	s_and_saveexec_b64 s[26:27], s[34:35]
	s_cbranch_execnz .LBB87_102
.LBB87_86:
	s_or_b64 exec, exec, s[26:27]
	s_and_b64 s[34:35], s[10:11], s[18:19]
	s_and_saveexec_b64 s[26:27], s[34:35]
	s_cbranch_execnz .LBB87_106
.LBB87_87:
	s_or_b64 exec, exec, s[26:27]
	s_and_b64 s[34:35], s[12:13], s[18:19]
	s_and_saveexec_b64 s[26:27], s[34:35]
	s_cbranch_execnz .LBB87_110
.LBB87_88:
	s_or_b64 exec, exec, s[26:27]
	s_and_b64 s[34:35], s[14:15], s[18:19]
	s_and_saveexec_b64 s[26:27], s[34:35]
	s_cbranch_execnz .LBB87_114
.LBB87_89:
	s_or_b64 exec, exec, s[26:27]
	s_and_b64 s[26:27], s[16:17], s[18:19]
	s_and_saveexec_b64 s[18:19], s[26:27]
	s_cbranch_execnz .LBB87_118
	s_branch .LBB87_122
.LBB87_90:
	s_and_b64 vcc, exec, s[0:1]
	s_cbranch_vccnz .LBB87_92
; %bb.91:
	v_lshl_add_u64 v[68:69], v[0:1], 2, v[66:67]
	global_load_dword v68, v[68:69], off
	s_waitcnt vmcnt(0)
	v_mul_f32_e32 v68, s28, v68
	s_branch .LBB87_93
.LBB87_92:
	v_mov_b32_e32 v68, 0
.LBB87_93:
	v_add_f32_e32 v50, v50, v51
	v_add_f32_e32 v68, v50, v68
	v_lshl_add_u64 v[50:51], v[0:1], 2, v[52:53]
	global_store_dword v[50:51], v68, off
	s_or_b64 exec, exec, s[26:27]
	s_and_b64 s[34:35], s[4:5], s[18:19]
	s_and_saveexec_b64 s[26:27], s[34:35]
	s_cbranch_execz .LBB87_84
.LBB87_94:
	s_and_b64 vcc, exec, s[0:1]
	s_cbranch_vccnz .LBB87_96
; %bb.95:
	v_lshl_add_u64 v[50:51], v[2:3], 2, v[66:67]
	global_load_dword v50, v[50:51], off
	s_waitcnt vmcnt(0)
	v_mul_f32_e32 v50, s28, v50
	s_branch .LBB87_97
.LBB87_96:
	v_mov_b32_e32 v50, 0
.LBB87_97:
	v_add_f32_e32 v48, v48, v49
	v_add_f32_e32 v50, v48, v50
	v_lshl_add_u64 v[48:49], v[2:3], 2, v[52:53]
	global_store_dword v[48:49], v50, off
	s_or_b64 exec, exec, s[26:27]
	s_and_b64 s[34:35], s[6:7], s[18:19]
	s_and_saveexec_b64 s[26:27], s[34:35]
	s_cbranch_execz .LBB87_85
.LBB87_98:
	s_and_b64 vcc, exec, s[0:1]
	s_cbranch_vccnz .LBB87_100
; %bb.99:
	v_lshl_add_u64 v[48:49], v[64:65], 2, v[66:67]
	global_load_dword v48, v[48:49], off
	s_waitcnt vmcnt(0)
	v_mul_f32_e32 v48, s28, v48
	s_branch .LBB87_101
.LBB87_100:
	v_mov_b32_e32 v48, 0
.LBB87_101:
	v_add_f32_e32 v46, v46, v47
	v_add_f32_e32 v48, v46, v48
	v_lshl_add_u64 v[46:47], v[64:65], 2, v[52:53]
	global_store_dword v[46:47], v48, off
	s_or_b64 exec, exec, s[26:27]
	s_and_b64 s[34:35], s[8:9], s[18:19]
	s_and_saveexec_b64 s[26:27], s[34:35]
	s_cbranch_execz .LBB87_86
.LBB87_102:
	s_and_b64 vcc, exec, s[0:1]
	s_cbranch_vccnz .LBB87_104
; %bb.103:
	v_lshl_add_u64 v[46:47], v[62:63], 2, v[66:67]
	global_load_dword v46, v[46:47], off
	s_waitcnt vmcnt(0)
	v_mul_f32_e32 v46, s28, v46
	s_branch .LBB87_105
.LBB87_104:
	v_mov_b32_e32 v46, 0
.LBB87_105:
	v_add_f32_e32 v44, v44, v45
	v_add_f32_e32 v46, v44, v46
	v_lshl_add_u64 v[44:45], v[62:63], 2, v[52:53]
	global_store_dword v[44:45], v46, off
	s_or_b64 exec, exec, s[26:27]
	s_and_b64 s[34:35], s[10:11], s[18:19]
	s_and_saveexec_b64 s[26:27], s[34:35]
	s_cbranch_execz .LBB87_87
.LBB87_106:
	s_and_b64 vcc, exec, s[0:1]
	s_cbranch_vccnz .LBB87_108
; %bb.107:
	v_lshl_add_u64 v[44:45], v[60:61], 2, v[66:67]
	global_load_dword v44, v[44:45], off
	s_waitcnt vmcnt(0)
	v_mul_f32_e32 v44, s28, v44
	s_branch .LBB87_109
.LBB87_108:
	v_mov_b32_e32 v44, 0
.LBB87_109:
	v_add_f32_e32 v42, v42, v43
	v_add_f32_e32 v44, v42, v44
	v_lshl_add_u64 v[42:43], v[60:61], 2, v[52:53]
	global_store_dword v[42:43], v44, off
	s_or_b64 exec, exec, s[26:27]
	s_and_b64 s[34:35], s[12:13], s[18:19]
	s_and_saveexec_b64 s[26:27], s[34:35]
	s_cbranch_execz .LBB87_88
.LBB87_110:
	s_and_b64 vcc, exec, s[0:1]
	s_cbranch_vccnz .LBB87_112
; %bb.111:
	v_lshl_add_u64 v[42:43], v[58:59], 2, v[66:67]
	global_load_dword v42, v[42:43], off
	s_waitcnt vmcnt(0)
	v_mul_f32_e32 v42, s28, v42
	s_branch .LBB87_113
.LBB87_112:
	v_mov_b32_e32 v42, 0
.LBB87_113:
	v_add_f32_e32 v40, v40, v41
	v_add_f32_e32 v42, v40, v42
	v_lshl_add_u64 v[40:41], v[58:59], 2, v[52:53]
	global_store_dword v[40:41], v42, off
	s_or_b64 exec, exec, s[26:27]
	s_and_b64 s[34:35], s[14:15], s[18:19]
	s_and_saveexec_b64 s[26:27], s[34:35]
	s_cbranch_execz .LBB87_89
.LBB87_114:
	s_and_b64 vcc, exec, s[0:1]
	s_cbranch_vccnz .LBB87_116
; %bb.115:
	v_lshl_add_u64 v[40:41], v[56:57], 2, v[66:67]
	global_load_dword v40, v[40:41], off
	s_waitcnt vmcnt(0)
	v_mul_f32_e32 v40, s28, v40
	s_branch .LBB87_117
.LBB87_116:
	v_mov_b32_e32 v40, 0
.LBB87_117:
	v_add_f32_e32 v38, v38, v39
	v_add_f32_e32 v40, v38, v40
	v_lshl_add_u64 v[38:39], v[56:57], 2, v[52:53]
	global_store_dword v[38:39], v40, off
	s_or_b64 exec, exec, s[26:27]
	s_and_b64 s[26:27], s[16:17], s[18:19]
	s_and_saveexec_b64 s[18:19], s[26:27]
	s_cbranch_execz .LBB87_122
.LBB87_118:
	s_and_b64 vcc, exec, s[0:1]
	s_cbranch_vccnz .LBB87_120
; %bb.119:
	v_lshl_add_u64 v[38:39], v[54:55], 2, v[66:67]
	global_load_dword v38, v[38:39], off
	s_waitcnt vmcnt(0)
	v_mul_f32_e32 v38, s28, v38
	s_branch .LBB87_121
.LBB87_120:
	v_mov_b32_e32 v38, 0
.LBB87_121:
	v_add_f32_e32 v36, v36, v37
	v_add_f32_e32 v38, v36, v38
	v_lshl_add_u64 v[36:37], v[54:55], 2, v[52:53]
	global_store_dword v[36:37], v38, off
.LBB87_122:
	s_or_b64 exec, exec, s[18:19]
	v_add_u32_e32 v40, 64, v72
	v_mad_i64_i32 v[36:37], s[26:27], v40, s31, 0
	v_cmp_gt_i32_e64 s[18:19], s21, v40
	v_lshl_add_u64 v[38:39], v[36:37], 2, s[24:25]
	v_mad_i64_i32 v[36:37], s[26:27], v40, s30, 0
	v_lshl_add_u64 v[36:37], v[36:37], 2, s[22:23]
	s_and_b64 s[34:35], s[2:3], s[18:19]
	s_and_saveexec_b64 s[26:27], s[34:35]
	s_cbranch_execnz .LBB87_130
; %bb.123:
	s_or_b64 exec, exec, s[26:27]
	s_and_b64 s[34:35], s[4:5], s[18:19]
	s_and_saveexec_b64 s[26:27], s[34:35]
	s_cbranch_execnz .LBB87_134
.LBB87_124:
	s_or_b64 exec, exec, s[26:27]
	s_and_b64 s[34:35], s[6:7], s[18:19]
	s_and_saveexec_b64 s[26:27], s[34:35]
	s_cbranch_execnz .LBB87_138
.LBB87_125:
	s_or_b64 exec, exec, s[26:27]
	s_and_b64 s[34:35], s[8:9], s[18:19]
	s_and_saveexec_b64 s[26:27], s[34:35]
	s_cbranch_execnz .LBB87_142
.LBB87_126:
	s_or_b64 exec, exec, s[26:27]
	s_and_b64 s[34:35], s[10:11], s[18:19]
	s_and_saveexec_b64 s[26:27], s[34:35]
	s_cbranch_execnz .LBB87_146
.LBB87_127:
	s_or_b64 exec, exec, s[26:27]
	s_and_b64 s[34:35], s[12:13], s[18:19]
	s_and_saveexec_b64 s[26:27], s[34:35]
	s_cbranch_execnz .LBB87_150
.LBB87_128:
	s_or_b64 exec, exec, s[26:27]
	s_and_b64 s[34:35], s[14:15], s[18:19]
	s_and_saveexec_b64 s[26:27], s[34:35]
	s_cbranch_execnz .LBB87_154
.LBB87_129:
	s_or_b64 exec, exec, s[26:27]
	s_and_b64 s[26:27], s[16:17], s[18:19]
	s_and_saveexec_b64 s[18:19], s[26:27]
	s_cbranch_execnz .LBB87_158
	s_branch .LBB87_162
.LBB87_130:
	s_and_b64 vcc, exec, s[0:1]
	s_cbranch_vccnz .LBB87_132
; %bb.131:
	v_lshl_add_u64 v[40:41], v[0:1], 2, v[38:39]
	global_load_dword v40, v[40:41], off
	s_waitcnt vmcnt(0)
	v_mul_f32_e32 v40, s28, v40
	s_branch .LBB87_133
.LBB87_132:
	v_mov_b32_e32 v40, 0
.LBB87_133:
	v_add_f32_e32 v34, v34, v35
	v_add_f32_e32 v40, v34, v40
	v_lshl_add_u64 v[34:35], v[0:1], 2, v[36:37]
	global_store_dword v[34:35], v40, off
	s_or_b64 exec, exec, s[26:27]
	s_and_b64 s[34:35], s[4:5], s[18:19]
	s_and_saveexec_b64 s[26:27], s[34:35]
	s_cbranch_execz .LBB87_124
.LBB87_134:
	s_and_b64 vcc, exec, s[0:1]
	s_cbranch_vccnz .LBB87_136
; %bb.135:
	v_lshl_add_u64 v[34:35], v[2:3], 2, v[38:39]
	global_load_dword v34, v[34:35], off
	s_waitcnt vmcnt(0)
	v_mul_f32_e32 v34, s28, v34
	s_branch .LBB87_137
.LBB87_136:
	v_mov_b32_e32 v34, 0
.LBB87_137:
	v_add_f32_e32 v32, v32, v33
	v_add_f32_e32 v34, v32, v34
	v_lshl_add_u64 v[32:33], v[2:3], 2, v[36:37]
	global_store_dword v[32:33], v34, off
	s_or_b64 exec, exec, s[26:27]
	s_and_b64 s[34:35], s[6:7], s[18:19]
	s_and_saveexec_b64 s[26:27], s[34:35]
	s_cbranch_execz .LBB87_125
.LBB87_138:
	s_and_b64 vcc, exec, s[0:1]
	s_cbranch_vccnz .LBB87_140
; %bb.139:
	v_lshl_add_u64 v[32:33], v[64:65], 2, v[38:39]
	global_load_dword v32, v[32:33], off
	s_waitcnt vmcnt(0)
	v_mul_f32_e32 v32, s28, v32
	s_branch .LBB87_141
.LBB87_140:
	v_mov_b32_e32 v32, 0
.LBB87_141:
	v_add_f32_e32 v30, v30, v31
	v_add_f32_e32 v32, v30, v32
	v_lshl_add_u64 v[30:31], v[64:65], 2, v[36:37]
	global_store_dword v[30:31], v32, off
	s_or_b64 exec, exec, s[26:27]
	s_and_b64 s[34:35], s[8:9], s[18:19]
	s_and_saveexec_b64 s[26:27], s[34:35]
	s_cbranch_execz .LBB87_126
.LBB87_142:
	s_and_b64 vcc, exec, s[0:1]
	s_cbranch_vccnz .LBB87_144
; %bb.143:
	v_lshl_add_u64 v[30:31], v[62:63], 2, v[38:39]
	global_load_dword v30, v[30:31], off
	s_waitcnt vmcnt(0)
	v_mul_f32_e32 v30, s28, v30
	s_branch .LBB87_145
.LBB87_144:
	v_mov_b32_e32 v30, 0
.LBB87_145:
	v_add_f32_e32 v28, v28, v29
	v_add_f32_e32 v30, v28, v30
	v_lshl_add_u64 v[28:29], v[62:63], 2, v[36:37]
	global_store_dword v[28:29], v30, off
	s_or_b64 exec, exec, s[26:27]
	s_and_b64 s[34:35], s[10:11], s[18:19]
	s_and_saveexec_b64 s[26:27], s[34:35]
	s_cbranch_execz .LBB87_127
.LBB87_146:
	s_and_b64 vcc, exec, s[0:1]
	s_cbranch_vccnz .LBB87_148
; %bb.147:
	v_lshl_add_u64 v[28:29], v[60:61], 2, v[38:39]
	global_load_dword v28, v[28:29], off
	s_waitcnt vmcnt(0)
	v_mul_f32_e32 v28, s28, v28
	s_branch .LBB87_149
.LBB87_148:
	v_mov_b32_e32 v28, 0
.LBB87_149:
	v_add_f32_e32 v26, v26, v27
	v_add_f32_e32 v28, v26, v28
	v_lshl_add_u64 v[26:27], v[60:61], 2, v[36:37]
	global_store_dword v[26:27], v28, off
	s_or_b64 exec, exec, s[26:27]
	s_and_b64 s[34:35], s[12:13], s[18:19]
	s_and_saveexec_b64 s[26:27], s[34:35]
	s_cbranch_execz .LBB87_128
.LBB87_150:
	s_and_b64 vcc, exec, s[0:1]
	s_cbranch_vccnz .LBB87_152
; %bb.151:
	v_lshl_add_u64 v[26:27], v[58:59], 2, v[38:39]
	global_load_dword v26, v[26:27], off
	s_waitcnt vmcnt(0)
	v_mul_f32_e32 v26, s28, v26
	s_branch .LBB87_153
.LBB87_152:
	v_mov_b32_e32 v26, 0
.LBB87_153:
	v_add_f32_e32 v24, v24, v25
	v_add_f32_e32 v26, v24, v26
	v_lshl_add_u64 v[24:25], v[58:59], 2, v[36:37]
	global_store_dword v[24:25], v26, off
	s_or_b64 exec, exec, s[26:27]
	s_and_b64 s[34:35], s[14:15], s[18:19]
	s_and_saveexec_b64 s[26:27], s[34:35]
	s_cbranch_execz .LBB87_129
.LBB87_154:
	s_and_b64 vcc, exec, s[0:1]
	s_cbranch_vccnz .LBB87_156
; %bb.155:
	v_lshl_add_u64 v[24:25], v[56:57], 2, v[38:39]
	global_load_dword v24, v[24:25], off
	s_waitcnt vmcnt(0)
	v_mul_f32_e32 v24, s28, v24
	s_branch .LBB87_157
.LBB87_156:
	v_mov_b32_e32 v24, 0
.LBB87_157:
	v_add_f32_e32 v22, v22, v23
	v_add_f32_e32 v24, v22, v24
	v_lshl_add_u64 v[22:23], v[56:57], 2, v[36:37]
	global_store_dword v[22:23], v24, off
	s_or_b64 exec, exec, s[26:27]
	s_and_b64 s[26:27], s[16:17], s[18:19]
	s_and_saveexec_b64 s[18:19], s[26:27]
	s_cbranch_execz .LBB87_162
.LBB87_158:
	s_and_b64 vcc, exec, s[0:1]
	s_cbranch_vccnz .LBB87_160
; %bb.159:
	v_lshl_add_u64 v[22:23], v[54:55], 2, v[38:39]
	global_load_dword v22, v[22:23], off
	s_waitcnt vmcnt(0)
	v_mul_f32_e32 v22, s28, v22
	s_branch .LBB87_161
.LBB87_160:
	v_mov_b32_e32 v22, 0
.LBB87_161:
	v_add_f32_e32 v20, v20, v21
	v_add_f32_e32 v22, v20, v22
	v_lshl_add_u64 v[20:21], v[54:55], 2, v[36:37]
	global_store_dword v[20:21], v22, off
.LBB87_162:
	s_or_b64 exec, exec, s[18:19]
	v_add_u32_e32 v24, 0x60, v72
	v_cmp_gt_i32_e64 s[18:19], s21, v24
	v_mad_i64_i32 v[20:21], s[20:21], v24, s31, 0
	v_lshl_add_u64 v[22:23], v[20:21], 2, s[24:25]
	v_mad_i64_i32 v[20:21], s[20:21], v24, s30, 0
	v_lshl_add_u64 v[20:21], v[20:21], 2, s[22:23]
	s_and_b64 s[20:21], s[2:3], s[18:19]
	s_and_saveexec_b64 s[2:3], s[20:21]
	s_cbranch_execnz .LBB87_171
; %bb.163:
	s_or_b64 exec, exec, s[2:3]
	s_and_b64 s[4:5], s[4:5], s[18:19]
	s_and_saveexec_b64 s[2:3], s[4:5]
	s_cbranch_execnz .LBB87_175
.LBB87_164:
	s_or_b64 exec, exec, s[2:3]
	s_and_b64 s[4:5], s[6:7], s[18:19]
	s_and_saveexec_b64 s[2:3], s[4:5]
	s_cbranch_execnz .LBB87_179
.LBB87_165:
	s_or_b64 exec, exec, s[2:3]
	s_and_b64 s[4:5], s[8:9], s[18:19]
	s_and_saveexec_b64 s[2:3], s[4:5]
	s_cbranch_execnz .LBB87_183
.LBB87_166:
	s_or_b64 exec, exec, s[2:3]
	s_and_b64 s[4:5], s[10:11], s[18:19]
	s_and_saveexec_b64 s[2:3], s[4:5]
	s_cbranch_execnz .LBB87_187
.LBB87_167:
	s_or_b64 exec, exec, s[2:3]
	s_and_b64 s[4:5], s[12:13], s[18:19]
	s_and_saveexec_b64 s[2:3], s[4:5]
	s_cbranch_execnz .LBB87_191
.LBB87_168:
	s_or_b64 exec, exec, s[2:3]
	s_and_b64 s[4:5], s[14:15], s[18:19]
	s_and_saveexec_b64 s[2:3], s[4:5]
	s_cbranch_execnz .LBB87_195
.LBB87_169:
	s_or_b64 exec, exec, s[2:3]
	s_and_b64 s[2:3], s[16:17], s[18:19]
	s_and_saveexec_b64 s[4:5], s[2:3]
	s_cbranch_execnz .LBB87_199
.LBB87_170:
	s_endpgm
.LBB87_171:
	s_and_b64 vcc, exec, s[0:1]
	s_cbranch_vccnz .LBB87_173
; %bb.172:
	v_lshl_add_u64 v[24:25], v[0:1], 2, v[22:23]
	global_load_dword v24, v[24:25], off
	s_waitcnt vmcnt(0)
	v_mul_f32_e32 v24, s28, v24
	s_branch .LBB87_174
.LBB87_173:
	v_mov_b32_e32 v24, 0
.LBB87_174:
	v_add_f32_e32 v18, v18, v19
	v_add_f32_e32 v18, v18, v24
	v_lshl_add_u64 v[0:1], v[0:1], 2, v[20:21]
	global_store_dword v[0:1], v18, off
	s_or_b64 exec, exec, s[2:3]
	s_and_b64 s[4:5], s[4:5], s[18:19]
	s_and_saveexec_b64 s[2:3], s[4:5]
	s_cbranch_execz .LBB87_164
.LBB87_175:
	s_and_b64 vcc, exec, s[0:1]
	s_cbranch_vccnz .LBB87_177
; %bb.176:
	v_lshl_add_u64 v[0:1], v[2:3], 2, v[22:23]
	global_load_dword v0, v[0:1], off
	s_waitcnt vmcnt(0)
	v_mul_f32_e32 v0, s28, v0
	s_branch .LBB87_178
.LBB87_177:
	v_mov_b32_e32 v0, 0
.LBB87_178:
	v_add_f32_e32 v1, v16, v17
	v_add_f32_e32 v16, v1, v0
	v_lshl_add_u64 v[0:1], v[2:3], 2, v[20:21]
	global_store_dword v[0:1], v16, off
	s_or_b64 exec, exec, s[2:3]
	s_and_b64 s[4:5], s[6:7], s[18:19]
	s_and_saveexec_b64 s[2:3], s[4:5]
	s_cbranch_execz .LBB87_165
.LBB87_179:
	s_and_b64 vcc, exec, s[0:1]
	s_cbranch_vccnz .LBB87_181
; %bb.180:
	v_lshl_add_u64 v[0:1], v[64:65], 2, v[22:23]
	global_load_dword v0, v[0:1], off
	s_waitcnt vmcnt(0)
	v_mul_f32_e32 v0, s28, v0
	s_branch .LBB87_182
.LBB87_181:
	v_mov_b32_e32 v0, 0
.LBB87_182:
	v_add_f32_e32 v1, v14, v15
	v_add_f32_e32 v2, v1, v0
	v_lshl_add_u64 v[0:1], v[64:65], 2, v[20:21]
	global_store_dword v[0:1], v2, off
	s_or_b64 exec, exec, s[2:3]
	s_and_b64 s[4:5], s[8:9], s[18:19]
	s_and_saveexec_b64 s[2:3], s[4:5]
	s_cbranch_execz .LBB87_166
.LBB87_183:
	s_and_b64 vcc, exec, s[0:1]
	s_cbranch_vccnz .LBB87_185
; %bb.184:
	v_lshl_add_u64 v[0:1], v[62:63], 2, v[22:23]
	global_load_dword v0, v[0:1], off
	s_waitcnt vmcnt(0)
	v_mul_f32_e32 v0, s28, v0
	s_branch .LBB87_186
.LBB87_185:
	v_mov_b32_e32 v0, 0
.LBB87_186:
	v_add_f32_e32 v1, v12, v13
	v_add_f32_e32 v2, v1, v0
	v_lshl_add_u64 v[0:1], v[62:63], 2, v[20:21]
	global_store_dword v[0:1], v2, off
	s_or_b64 exec, exec, s[2:3]
	s_and_b64 s[4:5], s[10:11], s[18:19]
	s_and_saveexec_b64 s[2:3], s[4:5]
	s_cbranch_execz .LBB87_167
.LBB87_187:
	s_and_b64 vcc, exec, s[0:1]
	s_cbranch_vccnz .LBB87_189
; %bb.188:
	v_lshl_add_u64 v[0:1], v[60:61], 2, v[22:23]
	global_load_dword v0, v[0:1], off
	s_waitcnt vmcnt(0)
	v_mul_f32_e32 v0, s28, v0
	s_branch .LBB87_190
.LBB87_189:
	v_mov_b32_e32 v0, 0
.LBB87_190:
	v_add_f32_e32 v1, v10, v11
	v_add_f32_e32 v2, v1, v0
	v_lshl_add_u64 v[0:1], v[60:61], 2, v[20:21]
	global_store_dword v[0:1], v2, off
	s_or_b64 exec, exec, s[2:3]
	s_and_b64 s[4:5], s[12:13], s[18:19]
	s_and_saveexec_b64 s[2:3], s[4:5]
	s_cbranch_execz .LBB87_168
.LBB87_191:
	s_and_b64 vcc, exec, s[0:1]
	s_cbranch_vccnz .LBB87_193
; %bb.192:
	v_lshl_add_u64 v[0:1], v[58:59], 2, v[22:23]
	global_load_dword v0, v[0:1], off
	s_waitcnt vmcnt(0)
	v_mul_f32_e32 v0, s28, v0
	s_branch .LBB87_194
.LBB87_193:
	v_mov_b32_e32 v0, 0
.LBB87_194:
	v_add_f32_e32 v1, v8, v9
	v_add_f32_e32 v2, v1, v0
	v_lshl_add_u64 v[0:1], v[58:59], 2, v[20:21]
	global_store_dword v[0:1], v2, off
	s_or_b64 exec, exec, s[2:3]
	s_and_b64 s[4:5], s[14:15], s[18:19]
	s_and_saveexec_b64 s[2:3], s[4:5]
	s_cbranch_execz .LBB87_169
.LBB87_195:
	s_and_b64 vcc, exec, s[0:1]
	s_cbranch_vccnz .LBB87_197
; %bb.196:
	v_lshl_add_u64 v[0:1], v[56:57], 2, v[22:23]
	global_load_dword v0, v[0:1], off
	s_waitcnt vmcnt(0)
	v_mul_f32_e32 v0, s28, v0
	s_branch .LBB87_198
.LBB87_197:
	v_mov_b32_e32 v0, 0
.LBB87_198:
	v_add_f32_e32 v1, v6, v7
	v_add_f32_e32 v2, v1, v0
	v_lshl_add_u64 v[0:1], v[56:57], 2, v[20:21]
	global_store_dword v[0:1], v2, off
	s_or_b64 exec, exec, s[2:3]
	s_and_b64 s[2:3], s[16:17], s[18:19]
	s_and_saveexec_b64 s[4:5], s[2:3]
	s_cbranch_execz .LBB87_170
.LBB87_199:
	s_and_b64 vcc, exec, s[0:1]
	s_cbranch_vccnz .LBB87_201
; %bb.200:
	v_lshl_add_u64 v[0:1], v[54:55], 2, v[22:23]
	global_load_dword v0, v[0:1], off
	s_waitcnt vmcnt(0)
	v_mul_f32_e32 v0, s28, v0
	s_branch .LBB87_202
.LBB87_201:
	v_mov_b32_e32 v0, 0
.LBB87_202:
	v_add_f32_e32 v1, v4, v5
	v_add_f32_e32 v2, v1, v0
	v_lshl_add_u64 v[0:1], v[54:55], 2, v[20:21]
	global_store_dword v[0:1], v2, off
	s_endpgm
	.section	.rodata,"a",@progbits
	.p2align	6, 0x0
	.amdhsa_kernel _ZN12_GLOBAL__N_120geam_min_plus_kernelIf15HIP_vector_typeIfLj2EES2_Li8ELi32ELi64ELi128ELi4ELi4ELi64ELi4ELi64ELc84ELc78ELb0ELb1ELb0EPKfS3_fEEviiiT16_PT17_ilS7_ilS5_S7_ilPT18_ili26rocblas_geam_ex_operation_
		.amdhsa_group_segment_fixed_size 6144
		.amdhsa_private_segment_fixed_size 0
		.amdhsa_kernarg_size 136
		.amdhsa_user_sgpr_count 2
		.amdhsa_user_sgpr_dispatch_ptr 0
		.amdhsa_user_sgpr_queue_ptr 0
		.amdhsa_user_sgpr_kernarg_segment_ptr 1
		.amdhsa_user_sgpr_dispatch_id 0
		.amdhsa_user_sgpr_kernarg_preload_length 0
		.amdhsa_user_sgpr_kernarg_preload_offset 0
		.amdhsa_user_sgpr_private_segment_size 0
		.amdhsa_uses_dynamic_stack 0
		.amdhsa_enable_private_segment 0
		.amdhsa_system_sgpr_workgroup_id_x 1
		.amdhsa_system_sgpr_workgroup_id_y 0
		.amdhsa_system_sgpr_workgroup_id_z 1
		.amdhsa_system_sgpr_workgroup_info 0
		.amdhsa_system_vgpr_workitem_id 1
		.amdhsa_next_free_vgpr 112
		.amdhsa_next_free_sgpr 36
		.amdhsa_accum_offset 112
		.amdhsa_reserve_vcc 1
		.amdhsa_float_round_mode_32 0
		.amdhsa_float_round_mode_16_64 0
		.amdhsa_float_denorm_mode_32 3
		.amdhsa_float_denorm_mode_16_64 3
		.amdhsa_dx10_clamp 1
		.amdhsa_ieee_mode 1
		.amdhsa_fp16_overflow 0
		.amdhsa_tg_split 0
		.amdhsa_exception_fp_ieee_invalid_op 0
		.amdhsa_exception_fp_denorm_src 0
		.amdhsa_exception_fp_ieee_div_zero 0
		.amdhsa_exception_fp_ieee_overflow 0
		.amdhsa_exception_fp_ieee_underflow 0
		.amdhsa_exception_fp_ieee_inexact 0
		.amdhsa_exception_int_div_zero 0
	.end_amdhsa_kernel
	.section	.text._ZN12_GLOBAL__N_120geam_min_plus_kernelIf15HIP_vector_typeIfLj2EES2_Li8ELi32ELi64ELi128ELi4ELi4ELi64ELi4ELi64ELc84ELc78ELb0ELb1ELb0EPKfS3_fEEviiiT16_PT17_ilS7_ilS5_S7_ilPT18_ili26rocblas_geam_ex_operation_,"axG",@progbits,_ZN12_GLOBAL__N_120geam_min_plus_kernelIf15HIP_vector_typeIfLj2EES2_Li8ELi32ELi64ELi128ELi4ELi4ELi64ELi4ELi64ELc84ELc78ELb0ELb1ELb0EPKfS3_fEEviiiT16_PT17_ilS7_ilS5_S7_ilPT18_ili26rocblas_geam_ex_operation_,comdat
.Lfunc_end87:
	.size	_ZN12_GLOBAL__N_120geam_min_plus_kernelIf15HIP_vector_typeIfLj2EES2_Li8ELi32ELi64ELi128ELi4ELi4ELi64ELi4ELi64ELc84ELc78ELb0ELb1ELb0EPKfS3_fEEviiiT16_PT17_ilS7_ilS5_S7_ilPT18_ili26rocblas_geam_ex_operation_, .Lfunc_end87-_ZN12_GLOBAL__N_120geam_min_plus_kernelIf15HIP_vector_typeIfLj2EES2_Li8ELi32ELi64ELi128ELi4ELi4ELi64ELi4ELi64ELc84ELc78ELb0ELb1ELb0EPKfS3_fEEviiiT16_PT17_ilS7_ilS5_S7_ilPT18_ili26rocblas_geam_ex_operation_
                                        ; -- End function
	.set _ZN12_GLOBAL__N_120geam_min_plus_kernelIf15HIP_vector_typeIfLj2EES2_Li8ELi32ELi64ELi128ELi4ELi4ELi64ELi4ELi64ELc84ELc78ELb0ELb1ELb0EPKfS3_fEEviiiT16_PT17_ilS7_ilS5_S7_ilPT18_ili26rocblas_geam_ex_operation_.num_vgpr, 112
	.set _ZN12_GLOBAL__N_120geam_min_plus_kernelIf15HIP_vector_typeIfLj2EES2_Li8ELi32ELi64ELi128ELi4ELi4ELi64ELi4ELi64ELc84ELc78ELb0ELb1ELb0EPKfS3_fEEviiiT16_PT17_ilS7_ilS5_S7_ilPT18_ili26rocblas_geam_ex_operation_.num_agpr, 0
	.set _ZN12_GLOBAL__N_120geam_min_plus_kernelIf15HIP_vector_typeIfLj2EES2_Li8ELi32ELi64ELi128ELi4ELi4ELi64ELi4ELi64ELc84ELc78ELb0ELb1ELb0EPKfS3_fEEviiiT16_PT17_ilS7_ilS5_S7_ilPT18_ili26rocblas_geam_ex_operation_.numbered_sgpr, 36
	.set _ZN12_GLOBAL__N_120geam_min_plus_kernelIf15HIP_vector_typeIfLj2EES2_Li8ELi32ELi64ELi128ELi4ELi4ELi64ELi4ELi64ELc84ELc78ELb0ELb1ELb0EPKfS3_fEEviiiT16_PT17_ilS7_ilS5_S7_ilPT18_ili26rocblas_geam_ex_operation_.num_named_barrier, 0
	.set _ZN12_GLOBAL__N_120geam_min_plus_kernelIf15HIP_vector_typeIfLj2EES2_Li8ELi32ELi64ELi128ELi4ELi4ELi64ELi4ELi64ELc84ELc78ELb0ELb1ELb0EPKfS3_fEEviiiT16_PT17_ilS7_ilS5_S7_ilPT18_ili26rocblas_geam_ex_operation_.private_seg_size, 0
	.set _ZN12_GLOBAL__N_120geam_min_plus_kernelIf15HIP_vector_typeIfLj2EES2_Li8ELi32ELi64ELi128ELi4ELi4ELi64ELi4ELi64ELc84ELc78ELb0ELb1ELb0EPKfS3_fEEviiiT16_PT17_ilS7_ilS5_S7_ilPT18_ili26rocblas_geam_ex_operation_.uses_vcc, 1
	.set _ZN12_GLOBAL__N_120geam_min_plus_kernelIf15HIP_vector_typeIfLj2EES2_Li8ELi32ELi64ELi128ELi4ELi4ELi64ELi4ELi64ELc84ELc78ELb0ELb1ELb0EPKfS3_fEEviiiT16_PT17_ilS7_ilS5_S7_ilPT18_ili26rocblas_geam_ex_operation_.uses_flat_scratch, 0
	.set _ZN12_GLOBAL__N_120geam_min_plus_kernelIf15HIP_vector_typeIfLj2EES2_Li8ELi32ELi64ELi128ELi4ELi4ELi64ELi4ELi64ELc84ELc78ELb0ELb1ELb0EPKfS3_fEEviiiT16_PT17_ilS7_ilS5_S7_ilPT18_ili26rocblas_geam_ex_operation_.has_dyn_sized_stack, 0
	.set _ZN12_GLOBAL__N_120geam_min_plus_kernelIf15HIP_vector_typeIfLj2EES2_Li8ELi32ELi64ELi128ELi4ELi4ELi64ELi4ELi64ELc84ELc78ELb0ELb1ELb0EPKfS3_fEEviiiT16_PT17_ilS7_ilS5_S7_ilPT18_ili26rocblas_geam_ex_operation_.has_recursion, 0
	.set _ZN12_GLOBAL__N_120geam_min_plus_kernelIf15HIP_vector_typeIfLj2EES2_Li8ELi32ELi64ELi128ELi4ELi4ELi64ELi4ELi64ELc84ELc78ELb0ELb1ELb0EPKfS3_fEEviiiT16_PT17_ilS7_ilS5_S7_ilPT18_ili26rocblas_geam_ex_operation_.has_indirect_call, 0
	.section	.AMDGPU.csdata,"",@progbits
; Kernel info:
; codeLenInByte = 7920
; TotalNumSgprs: 42
; NumVgprs: 112
; NumAgprs: 0
; TotalNumVgprs: 112
; ScratchSize: 0
; MemoryBound: 0
; FloatMode: 240
; IeeeMode: 1
; LDSByteSize: 6144 bytes/workgroup (compile time only)
; SGPRBlocks: 5
; VGPRBlocks: 13
; NumSGPRsForWavesPerEU: 42
; NumVGPRsForWavesPerEU: 112
; AccumOffset: 112
; Occupancy: 4
; WaveLimiterHint : 0
; COMPUTE_PGM_RSRC2:SCRATCH_EN: 0
; COMPUTE_PGM_RSRC2:USER_SGPR: 2
; COMPUTE_PGM_RSRC2:TRAP_HANDLER: 0
; COMPUTE_PGM_RSRC2:TGID_X_EN: 1
; COMPUTE_PGM_RSRC2:TGID_Y_EN: 0
; COMPUTE_PGM_RSRC2:TGID_Z_EN: 1
; COMPUTE_PGM_RSRC2:TIDIG_COMP_CNT: 1
; COMPUTE_PGM_RSRC3_GFX90A:ACCUM_OFFSET: 27
; COMPUTE_PGM_RSRC3_GFX90A:TG_SPLIT: 0
	.section	.text._ZN12_GLOBAL__N_120geam_min_plus_kernelIf15HIP_vector_typeIfLj2EES2_Li8ELi32ELi64ELi128ELi4ELi4ELi64ELi4ELi64ELc84ELc78ELb1ELb1ELb0EfKffEEviiiT16_PT17_ilS6_ilS4_S6_ilPT18_ili26rocblas_geam_ex_operation_,"axG",@progbits,_ZN12_GLOBAL__N_120geam_min_plus_kernelIf15HIP_vector_typeIfLj2EES2_Li8ELi32ELi64ELi128ELi4ELi4ELi64ELi4ELi64ELc84ELc78ELb1ELb1ELb0EfKffEEviiiT16_PT17_ilS6_ilS4_S6_ilPT18_ili26rocblas_geam_ex_operation_,comdat
	.globl	_ZN12_GLOBAL__N_120geam_min_plus_kernelIf15HIP_vector_typeIfLj2EES2_Li8ELi32ELi64ELi128ELi4ELi4ELi64ELi4ELi64ELc84ELc78ELb1ELb1ELb0EfKffEEviiiT16_PT17_ilS6_ilS4_S6_ilPT18_ili26rocblas_geam_ex_operation_ ; -- Begin function _ZN12_GLOBAL__N_120geam_min_plus_kernelIf15HIP_vector_typeIfLj2EES2_Li8ELi32ELi64ELi128ELi4ELi4ELi64ELi4ELi64ELc84ELc78ELb1ELb1ELb0EfKffEEviiiT16_PT17_ilS6_ilS4_S6_ilPT18_ili26rocblas_geam_ex_operation_
	.p2align	8
	.type	_ZN12_GLOBAL__N_120geam_min_plus_kernelIf15HIP_vector_typeIfLj2EES2_Li8ELi32ELi64ELi128ELi4ELi4ELi64ELi4ELi64ELc84ELc78ELb1ELb1ELb0EfKffEEviiiT16_PT17_ilS6_ilS4_S6_ilPT18_ili26rocblas_geam_ex_operation_,@function
_ZN12_GLOBAL__N_120geam_min_plus_kernelIf15HIP_vector_typeIfLj2EES2_Li8ELi32ELi64ELi128ELi4ELi4ELi64ELi4ELi64ELc84ELc78ELb1ELb1ELb0EfKffEEviiiT16_PT17_ilS6_ilS4_S6_ilPT18_ili26rocblas_geam_ex_operation_: ; @_ZN12_GLOBAL__N_120geam_min_plus_kernelIf15HIP_vector_typeIfLj2EES2_Li8ELi32ELi64ELi128ELi4ELi4ELi64ELi4ELi64ELc84ELc78ELb1ELb1ELb0EfKffEEviiiT16_PT17_ilS6_ilS4_S6_ilPT18_ili26rocblas_geam_ex_operation_
; %bb.0:
	s_load_dwordx4 s[20:23], s[0:1], 0x0
	s_load_dwordx4 s[4:7], s[0:1], 0x20
	s_waitcnt lgkmcnt(0)
	v_cmp_eq_f32_e64 s[8:9], s23, 0
	s_and_b64 vcc, exec, s[8:9]
	s_cbranch_vccnz .LBB88_49
; %bb.1:
	s_load_dwordx2 s[10:11], s[0:1], 0x10
	s_mul_i32 s5, s5, s3
	s_mul_hi_u32 s12, s4, s3
	s_add_i32 s5, s12, s5
	s_mul_i32 s4, s4, s3
	s_lshl_b64 s[4:5], s[4:5], 2
	s_waitcnt lgkmcnt(0)
	s_add_u32 s16, s10, s4
	s_addc_u32 s17, s11, s5
	s_andn2_b64 vcc, exec, s[8:9]
	s_mov_b64 s[4:5], -1
	s_cbranch_vccnz .LBB88_3
.LBB88_2:
	s_mov_b64 s[4:5], 0
.LBB88_3:
	s_mov_b64 s[24:25], 0
	s_andn2_b64 vcc, exec, s[4:5]
	s_mov_b64 s[14:15], 0
	s_cbranch_vccnz .LBB88_5
; %bb.4:
	s_load_dwordx2 s[4:5], s[0:1], 0x38
	s_waitcnt lgkmcnt(0)
	s_mul_i32 s5, s5, s3
	s_mul_hi_u32 s8, s4, s3
	s_add_i32 s5, s8, s5
	s_mul_i32 s4, s4, s3
	s_lshl_b64 s[4:5], s[4:5], 2
	s_add_u32 s14, s6, s4
	s_addc_u32 s15, s7, s5
.LBB88_5:
	s_load_dword s28, s[0:1], 0x40
	s_load_dwordx4 s[8:11], s[0:1], 0x58
	s_waitcnt lgkmcnt(0)
	v_cmp_eq_f32_e64 s[4:5], s28, 0
	v_cmp_neq_f32_e64 s[12:13], s28, 0
	s_and_b64 vcc, exec, s[4:5]
	s_cbranch_vccnz .LBB88_7
; %bb.6:
	s_load_dwordx2 s[4:5], s[0:1], 0x48
	s_mul_i32 s6, s9, s3
	s_mul_hi_u32 s7, s8, s3
	s_add_i32 s7, s7, s6
	s_mul_i32 s6, s8, s3
	s_lshl_b64 s[6:7], s[6:7], 2
	s_waitcnt lgkmcnt(0)
	s_add_u32 s24, s4, s6
	s_addc_u32 s25, s5, s7
.LBB88_7:
	s_add_i32 s4, s20, -1
	s_ashr_i32 s5, s4, 31
	s_lshr_b32 s5, s5, 26
	s_add_i32 s4, s4, s5
	s_ashr_i32 s4, s4, 6
	s_add_i32 s5, s4, 1
	v_cvt_f32_u32_e32 v1, s5
	v_and_b32_e32 v69, 0x3ff, v0
	v_bfe_u32 v84, v0, 10, 10
	v_and_b32_e32 v68, 3, v0
	v_rcp_iflag_f32_e32 v1, v1
	s_not_b32 s4, s4
	s_load_dword s23, s[0:1], 0x18
	v_cmp_le_i32_e32 vcc, s22, v68
	v_mul_f32_e32 v0, 0x4f7ffffe, v1
	v_cvt_u32_f32_e32 v0, v0
	v_lshl_add_u32 v1, v84, 3, v69
	v_lshrrev_b32_e32 v74, 2, v1
	v_mov_b32_e32 v71, 0
	v_readfirstlane_b32 s6, v0
	s_mul_i32 s4, s4, s6
	s_mul_hi_u32 s4, s6, s4
	s_add_i32 s6, s6, s4
	s_mul_hi_u32 s4, s2, s6
	s_mul_i32 s6, s4, s5
	s_sub_i32 s6, s2, s6
	s_add_i32 s7, s4, 1
	s_sub_i32 s8, s6, s5
	s_cmp_ge_u32 s6, s5
	s_cselect_b32 s4, s7, s4
	s_cselect_b32 s6, s8, s6
	s_add_i32 s7, s4, 1
	s_cmp_ge_u32 s6, s5
	s_cselect_b32 s6, s7, s4
	s_mul_i32 s4, s6, s5
	s_sub_i32 s2, s2, s4
	s_lshl_b32 s2, s2, 6
	v_add_u32_e32 v75, s2, v74
	v_cmp_le_i32_e64 s[8:9], s20, v75
	s_nor_b64 s[4:5], vcc, s[8:9]
	v_lshlrev_b32_e32 v70, 2, v68
                                        ; implicit-def: $vgpr5
	s_and_saveexec_b64 s[18:19], s[4:5]
	s_xor_b64 s[4:5], exec, s[18:19]
	s_cbranch_execz .LBB88_9
; %bb.8:
	s_waitcnt lgkmcnt(0)
	v_mad_i64_i32 v[0:1], s[18:19], v75, s23, 0
	v_lshl_add_u64 v[0:1], v[0:1], 2, s[16:17]
	v_lshl_add_u64 v[0:1], v[0:1], 0, v[70:71]
	global_load_dword v5, v[0:1], off
.LBB88_9:
	s_andn2_saveexec_b64 s[4:5], s[4:5]
	s_cbranch_execz .LBB88_11
; %bb.10:
	s_waitcnt vmcnt(0)
	v_mov_b32_e32 v5, 0
.LBB88_11:
	s_or_b64 exec, exec, s[4:5]
	s_load_dword s27, s[0:1], 0x30
	s_lshl_b32 s26, s6, 7
	v_add_u32_e32 v76, s26, v74
	v_lshlrev_b32_e32 v0, 2, v68
	v_mov_b32_e32 v1, 0
	v_cmp_le_i32_e64 s[4:5], s21, v76
	v_lshl_add_u64 v[2:3], s[14:15], 0, v[0:1]
	s_nor_b64 s[18:19], vcc, s[4:5]
	v_mov_b32_e32 v4, 0
	s_and_saveexec_b64 s[6:7], s[18:19]
	s_cbranch_execz .LBB88_13
; %bb.12:
	s_waitcnt lgkmcnt(0)
	v_mad_i64_i32 v[6:7], s[18:19], v76, s27, 0
	v_lshl_add_u64 v[6:7], v[6:7], 2, v[2:3]
	global_load_dword v4, v[6:7], off
.LBB88_13:
	s_or_b64 exec, exec, s[6:7]
	v_add_u32_e32 v77, 64, v76
	v_cmp_le_i32_e64 s[6:7], s21, v77
	s_nor_b64 s[30:31], vcc, s[6:7]
	s_and_saveexec_b64 s[18:19], s[30:31]
	s_cbranch_execz .LBB88_15
; %bb.14:
	s_waitcnt lgkmcnt(0)
	v_mad_i64_i32 v[0:1], s[30:31], v77, s27, 0
	v_lshl_add_u64 v[0:1], v[0:1], 2, v[2:3]
	global_load_dword v1, v[0:1], off
.LBB88_15:
	s_or_b64 exec, exec, s[18:19]
	v_or_b32_e32 v0, 4, v68
	v_cmp_le_i32_e32 vcc, s22, v0
	s_nor_b64 s[18:19], vcc, s[8:9]
	v_mov_b32_e32 v71, 0
                                        ; implicit-def: $vgpr78
	s_and_saveexec_b64 s[30:31], s[18:19]
	s_xor_b64 s[18:19], exec, s[30:31]
	s_cbranch_execz .LBB88_17
; %bb.16:
	s_waitcnt lgkmcnt(0)
	v_mad_i64_i32 v[2:3], s[30:31], v75, s23, 0
	v_lshl_add_u64 v[2:3], v[2:3], 2, s[16:17]
	v_lshl_add_u64 v[2:3], v[2:3], 0, v[70:71]
	global_load_dword v78, v[2:3], off offset:16
.LBB88_17:
	s_andn2_saveexec_b64 s[18:19], s[18:19]
	s_cbranch_execz .LBB88_19
; %bb.18:
	s_waitcnt vmcnt(0)
	v_mov_b32_e32 v78, 0
.LBB88_19:
	s_or_b64 exec, exec, s[18:19]
	v_lshlrev_b32_e32 v72, 2, v0
	v_mov_b32_e32 v73, 0
	v_lshl_add_u64 v[2:3], s[14:15], 0, v[72:73]
	s_nor_b64 s[30:31], vcc, s[4:5]
	v_mov_b32_e32 v71, 0
	s_and_saveexec_b64 s[18:19], s[30:31]
	s_cbranch_execz .LBB88_21
; %bb.20:
	s_waitcnt lgkmcnt(0)
	v_mad_i64_i32 v[6:7], s[30:31], v76, s27, 0
	v_lshl_add_u64 v[6:7], v[6:7], 2, v[2:3]
	global_load_dword v71, v[6:7], off
.LBB88_21:
	s_or_b64 exec, exec, s[18:19]
	s_nor_b64 s[30:31], vcc, s[6:7]
	s_and_saveexec_b64 s[18:19], s[30:31]
	s_cbranch_execz .LBB88_23
; %bb.22:
	s_waitcnt lgkmcnt(0)
	v_mad_i64_i32 v[6:7], s[30:31], v77, s27, 0
	v_lshl_add_u64 v[2:3], v[6:7], 2, v[2:3]
	global_load_dword v73, v[2:3], off
.LBB88_23:
	s_or_b64 exec, exec, s[18:19]
	v_lshlrev_b32_e32 v0, 4, v74
	v_lshl_or_b32 v85, v68, 2, v0
	v_mov_b32_e32 v0, 0x1000
	v_mov_b32_e32 v66, 0
	s_waitcnt vmcnt(0)
	ds_write_b32 v85, v5 offset:4096
	ds_write2st64_b32 v85, v4, v1 offset1:4
	v_lshl_add_u32 v86, v69, 4, v0
	s_mov_b32 s29, 0
	s_mov_b64 s[18:19], -1
	v_mov_b32_e32 v67, v66
	v_mov_b32_e32 v64, v66
	;; [unrolled: 1-line block ×63, first 2 shown]
	v_add_u32_e32 v87, 0x1000, v85
	v_lshlrev_b32_e32 v88, 4, v84
	s_waitcnt lgkmcnt(0)
	s_barrier
.LBB88_24:                              ; =>This Inner Loop Header: Depth=1
	v_cndmask_b32_e64 v0, 0, 1, s[18:19]
	s_lshl_b32 s18, s29, 2
	v_cmp_ne_u32_e32 vcc, 1, v0
	v_add_u32_e32 v0, s18, v86
	ds_read2_b64 v[80:83], v0 offset1:16
	ds_read2_b64 v[90:93], v0 offset0:32 offset1:48
	ds_read2_b64 v[94:97], v0 offset0:64 offset1:80
	;; [unrolled: 1-line block ×3, first 2 shown]
	v_add_u32_e32 v0, s18, v88
	ds_read2st64_b64 v[102:105], v0 offset1:1
	ds_read2st64_b64 v[0:3], v0 offset0:2 offset1:3
	s_waitcnt lgkmcnt(5)
	v_max_f32_e32 v79, v80, v80
	v_max_f32_e32 v82, v82, v82
	;; [unrolled: 1-line block ×3, first 2 shown]
	s_waitcnt lgkmcnt(1)
	v_max_f32_e32 v72, v102, v102
	v_max_f32_e32 v89, v103, v103
	;; [unrolled: 1-line block ×3, first 2 shown]
	v_min_f32_e32 v80, v79, v72
	v_min_f32_e32 v81, v102, v89
	v_pk_add_f32 v[66:67], v[66:67], v[80:81]
	v_min_f32_e32 v80, v82, v72
	v_min_f32_e32 v81, v83, v89
	v_max_f32_e32 v90, v90, v90
	v_max_f32_e32 v91, v91, v91
	v_pk_add_f32 v[64:65], v[64:65], v[80:81]
	v_min_f32_e32 v80, v90, v72
	v_min_f32_e32 v81, v91, v89
	v_max_f32_e32 v92, v92, v92
	v_max_f32_e32 v93, v93, v93
	v_pk_add_f32 v[62:63], v[62:63], v[80:81]
	v_min_f32_e32 v80, v92, v72
	v_min_f32_e32 v81, v93, v89
	v_max_f32_e32 v94, v94, v94
	v_max_f32_e32 v95, v95, v95
	v_pk_add_f32 v[60:61], v[60:61], v[80:81]
	v_min_f32_e32 v80, v94, v72
	v_min_f32_e32 v81, v95, v89
	v_max_f32_e32 v96, v96, v96
	v_max_f32_e32 v97, v97, v97
	v_pk_add_f32 v[58:59], v[58:59], v[80:81]
	v_min_f32_e32 v80, v96, v72
	v_min_f32_e32 v81, v97, v89
	v_max_f32_e32 v98, v98, v98
	v_max_f32_e32 v99, v99, v99
	v_pk_add_f32 v[56:57], v[56:57], v[80:81]
	v_min_f32_e32 v80, v98, v72
	v_min_f32_e32 v81, v99, v89
	v_max_f32_e32 v100, v100, v100
	v_pk_add_f32 v[54:55], v[54:55], v[80:81]
	v_min_f32_e32 v80, v100, v72
	v_max_f32_e32 v72, v101, v101
	v_min_f32_e32 v81, v72, v89
	v_max_f32_e32 v89, v104, v104
	v_max_f32_e32 v101, v105, v105
	v_pk_add_f32 v[52:53], v[52:53], v[80:81]
	v_min_f32_e32 v80, v79, v89
	v_min_f32_e32 v81, v102, v101
	v_pk_add_f32 v[50:51], v[50:51], v[80:81]
	v_min_f32_e32 v80, v82, v89
	v_min_f32_e32 v81, v83, v101
	;; [unrolled: 3-line block ×8, first 2 shown]
	v_pk_add_f32 v[36:37], v[36:37], v[80:81]
	s_waitcnt lgkmcnt(0)
	v_max_f32_e32 v80, v0, v0
	v_max_f32_e32 v81, v1, v1
	v_min_f32_e32 v0, v79, v80
	v_min_f32_e32 v1, v102, v81
	v_pk_add_f32 v[34:35], v[34:35], v[0:1]
	v_min_f32_e32 v0, v82, v80
	v_min_f32_e32 v1, v83, v81
	v_pk_add_f32 v[32:33], v[32:33], v[0:1]
	;; [unrolled: 3-line block ×7, first 2 shown]
	v_min_f32_e32 v0, v100, v80
	v_min_f32_e32 v1, v72, v81
	v_max_f32_e32 v2, v2, v2
	v_max_f32_e32 v3, v3, v3
	v_pk_add_f32 v[20:21], v[20:21], v[0:1]
	v_min_f32_e32 v0, v79, v2
	v_min_f32_e32 v1, v102, v3
	v_pk_add_f32 v[18:19], v[18:19], v[0:1]
	v_min_f32_e32 v0, v82, v2
	v_min_f32_e32 v1, v83, v3
	;; [unrolled: 3-line block ×8, first 2 shown]
	v_pk_add_f32 v[4:5], v[4:5], v[0:1]
	s_mov_b64 s[18:19], 0
	s_mov_b32 s29, 2
	s_cbranch_vccz .LBB88_24
; %bb.25:
	v_lshl_or_b32 v0, v74, 4, v70
	s_cmp_lt_i32 s22, 9
	ds_write_b32 v0, v78 offset:5120
	ds_write2st64_b32 v0, v71, v73 offset0:8 offset1:12
	s_waitcnt lgkmcnt(0)
	s_barrier
	s_cbranch_scc1 .LBB88_44
; %bb.26:
	v_add_u32_e32 v89, 0x1400, v0
	v_add_u32_e32 v90, 0x800, v0
	v_mad_i64_i32 v[0:1], s[30:31], v75, s23, 0
	v_lshl_add_u64 v[70:71], v[0:1], 2, s[16:17]
	v_mov_b32_e32 v0, 0x1400
	v_lshl_add_u32 v91, v69, 4, v0
	v_mov_b32_e32 v0, 0x800
	s_add_i32 s18, s22, -8
	v_mad_i64_i32 v[72:73], s[16:17], v76, s27, 0
	v_mad_i64_i32 v[74:75], s[16:17], v77, s27, 0
	v_lshl_add_u32 v92, v84, 4, v0
	s_mov_b32 s19, 8
	s_mov_b32 s23, 0
	v_mov_b32_e32 v77, 0
.LBB88_27:                              ; =>This Loop Header: Depth=1
                                        ;     Child Loop BB88_34 Depth 2
                                        ;     Child Loop BB88_42 Depth 2
	v_or_b32_e32 v76, s19, v68
	v_cmp_le_i32_e32 vcc, s22, v76
	s_nor_b64 s[30:31], vcc, s[8:9]
	v_lshl_add_u64 v[78:79], v[76:77], 2, v[70:71]
	v_mov_b32_e32 v95, v77
	s_and_saveexec_b64 s[16:17], s[30:31]
	s_cbranch_execz .LBB88_29
; %bb.28:                               ;   in Loop: Header=BB88_27 Depth=1
	global_load_dword v95, v[78:79], off
.LBB88_29:                              ;   in Loop: Header=BB88_27 Depth=1
	s_or_b64 exec, exec, s[16:17]
	v_lshl_add_u64 v[0:1], v[76:77], 2, s[14:15]
	s_nor_b64 s[30:31], s[4:5], vcc
	v_mov_b32_e32 v93, 0
	v_lshl_add_u64 v[82:83], v[72:73], 2, v[0:1]
	v_mov_b32_e32 v94, 0
	s_and_saveexec_b64 s[16:17], s[30:31]
	s_cbranch_execz .LBB88_31
; %bb.30:                               ;   in Loop: Header=BB88_27 Depth=1
	global_load_dword v94, v[82:83], off
.LBB88_31:                              ;   in Loop: Header=BB88_27 Depth=1
	s_or_b64 exec, exec, s[16:17]
	s_nor_b64 s[30:31], s[6:7], vcc
	v_lshl_add_u64 v[80:81], v[74:75], 2, v[0:1]
	s_and_saveexec_b64 s[16:17], s[30:31]
	s_cbranch_execz .LBB88_33
; %bb.32:                               ;   in Loop: Header=BB88_27 Depth=1
	global_load_dword v93, v[80:81], off
.LBB88_33:                              ;   in Loop: Header=BB88_27 Depth=1
	s_or_b64 exec, exec, s[16:17]
	s_mov_b32 s27, 0
	s_mov_b64 s[16:17], -1
.LBB88_34:                              ;   Parent Loop BB88_27 Depth=1
                                        ; =>  This Inner Loop Header: Depth=2
	v_cndmask_b32_e64 v0, 0, 1, s[16:17]
	s_lshl_b32 s16, s27, 2
	v_cmp_ne_u32_e32 vcc, 1, v0
	v_add_u32_e32 v0, s16, v91
	ds_read2_b64 v[96:99], v0 offset1:16
	ds_read2_b64 v[100:103], v0 offset0:32 offset1:48
	ds_read2_b64 v[104:107], v0 offset0:64 offset1:80
	;; [unrolled: 1-line block ×3, first 2 shown]
	v_add_u32_e32 v0, s16, v92
	ds_read2st64_b64 v[112:115], v0 offset1:1
	ds_read2st64_b64 v[0:3], v0 offset0:2 offset1:3
	s_waitcnt lgkmcnt(5)
	v_max_f32_e32 v116, v96, v96
	v_max_f32_e32 v117, v97, v97
	;; [unrolled: 1-line block ×3, first 2 shown]
	s_waitcnt lgkmcnt(1)
	v_max_f32_e32 v112, v112, v112
	v_max_f32_e32 v113, v113, v113
	v_min_f32_e32 v96, v116, v112
	v_min_f32_e32 v97, v117, v113
	v_max_f32_e32 v99, v99, v99
	v_pk_add_f32 v[66:67], v[66:67], v[96:97]
	v_min_f32_e32 v96, v98, v112
	v_min_f32_e32 v97, v99, v113
	v_max_f32_e32 v100, v100, v100
	v_max_f32_e32 v101, v101, v101
	v_pk_add_f32 v[64:65], v[64:65], v[96:97]
	v_min_f32_e32 v96, v100, v112
	v_min_f32_e32 v97, v101, v113
	v_max_f32_e32 v102, v102, v102
	;; [unrolled: 5-line block ×7, first 2 shown]
	v_max_f32_e32 v113, v115, v115
	v_pk_add_f32 v[52:53], v[52:53], v[96:97]
	v_min_f32_e32 v96, v116, v112
	v_min_f32_e32 v97, v117, v113
	v_pk_add_f32 v[50:51], v[50:51], v[96:97]
	v_min_f32_e32 v96, v98, v112
	v_min_f32_e32 v97, v99, v113
	;; [unrolled: 3-line block ×8, first 2 shown]
	v_pk_add_f32 v[36:37], v[36:37], v[96:97]
	s_waitcnt lgkmcnt(0)
	v_max_f32_e32 v96, v0, v0
	v_max_f32_e32 v97, v1, v1
	v_min_f32_e32 v0, v116, v96
	v_min_f32_e32 v1, v117, v97
	v_pk_add_f32 v[34:35], v[34:35], v[0:1]
	v_min_f32_e32 v0, v98, v96
	v_min_f32_e32 v1, v99, v97
	v_pk_add_f32 v[32:33], v[32:33], v[0:1]
	;; [unrolled: 3-line block ×7, first 2 shown]
	v_min_f32_e32 v0, v110, v96
	v_min_f32_e32 v1, v111, v97
	v_max_f32_e32 v2, v2, v2
	v_max_f32_e32 v3, v3, v3
	v_pk_add_f32 v[20:21], v[20:21], v[0:1]
	v_min_f32_e32 v0, v116, v2
	v_min_f32_e32 v1, v117, v3
	v_pk_add_f32 v[18:19], v[18:19], v[0:1]
	v_min_f32_e32 v0, v98, v2
	v_min_f32_e32 v1, v99, v3
	;; [unrolled: 3-line block ×8, first 2 shown]
	v_pk_add_f32 v[4:5], v[4:5], v[0:1]
	s_mov_b64 s[16:17], 0
	s_mov_b32 s27, 2
	s_cbranch_vccz .LBB88_34
; %bb.35:                               ;   in Loop: Header=BB88_27 Depth=1
	v_or_b32_e32 v0, 4, v76
	v_cmp_le_i32_e32 vcc, s22, v0
	s_waitcnt vmcnt(0)
	ds_write_b32 v87, v95
	ds_write2st64_b32 v85, v94, v93 offset1:4
	s_nor_b64 s[30:31], vcc, s[8:9]
	v_mov_b32_e32 v76, 0
	v_mov_b32_e32 v93, 0
	s_waitcnt lgkmcnt(0)
	s_barrier
	s_and_saveexec_b64 s[16:17], s[30:31]
	s_cbranch_execz .LBB88_37
; %bb.36:                               ;   in Loop: Header=BB88_27 Depth=1
	global_load_dword v93, v[78:79], off offset:16
.LBB88_37:                              ;   in Loop: Header=BB88_27 Depth=1
	s_or_b64 exec, exec, s[16:17]
	s_nor_b64 s[30:31], s[4:5], vcc
	s_and_saveexec_b64 s[16:17], s[30:31]
	s_cbranch_execz .LBB88_39
; %bb.38:                               ;   in Loop: Header=BB88_27 Depth=1
	global_load_dword v76, v[82:83], off offset:16
.LBB88_39:                              ;   in Loop: Header=BB88_27 Depth=1
	s_or_b64 exec, exec, s[16:17]
	s_nor_b64 s[30:31], s[6:7], vcc
	v_mov_b32_e32 v78, 0
	s_and_saveexec_b64 s[16:17], s[30:31]
	s_cbranch_execz .LBB88_41
; %bb.40:                               ;   in Loop: Header=BB88_27 Depth=1
	global_load_dword v78, v[80:81], off offset:16
.LBB88_41:                              ;   in Loop: Header=BB88_27 Depth=1
	s_or_b64 exec, exec, s[16:17]
	s_mov_b32 s27, 0
	s_mov_b64 s[16:17], -1
.LBB88_42:                              ;   Parent Loop BB88_27 Depth=1
                                        ; =>  This Inner Loop Header: Depth=2
	v_cndmask_b32_e64 v0, 0, 1, s[16:17]
	s_lshl_b32 s16, s27, 2
	v_cmp_ne_u32_e32 vcc, 1, v0
	v_add_u32_e32 v0, s16, v86
	ds_read2_b64 v[80:83], v0 offset1:16
	ds_read2_b64 v[94:97], v0 offset0:32 offset1:48
	ds_read2_b64 v[98:101], v0 offset0:64 offset1:80
	;; [unrolled: 1-line block ×3, first 2 shown]
	v_add_u32_e32 v0, s16, v88
	ds_read2st64_b64 v[106:109], v0 offset1:1
	ds_read2st64_b64 v[0:3], v0 offset0:2 offset1:3
	s_waitcnt lgkmcnt(5)
	v_max_f32_e32 v110, v81, v81
	v_max_f32_e32 v82, v82, v82
	;; [unrolled: 1-line block ×3, first 2 shown]
	s_waitcnt lgkmcnt(1)
	v_max_f32_e32 v79, v106, v106
	v_max_f32_e32 v106, v80, v80
	;; [unrolled: 1-line block ×3, first 2 shown]
	v_min_f32_e32 v80, v106, v79
	v_min_f32_e32 v81, v110, v107
	v_pk_add_f32 v[66:67], v[66:67], v[80:81]
	v_min_f32_e32 v80, v82, v79
	v_min_f32_e32 v81, v83, v107
	v_max_f32_e32 v94, v94, v94
	v_max_f32_e32 v95, v95, v95
	v_pk_add_f32 v[64:65], v[64:65], v[80:81]
	v_min_f32_e32 v80, v94, v79
	v_min_f32_e32 v81, v95, v107
	v_max_f32_e32 v96, v96, v96
	v_max_f32_e32 v97, v97, v97
	;; [unrolled: 5-line block ×5, first 2 shown]
	v_pk_add_f32 v[56:57], v[56:57], v[80:81]
	v_min_f32_e32 v80, v102, v79
	v_min_f32_e32 v81, v103, v107
	v_max_f32_e32 v104, v104, v104
	v_pk_add_f32 v[54:55], v[54:55], v[80:81]
	v_min_f32_e32 v80, v104, v79
	v_max_f32_e32 v79, v105, v105
	v_min_f32_e32 v81, v79, v107
	v_max_f32_e32 v105, v108, v108
	v_max_f32_e32 v107, v109, v109
	v_pk_add_f32 v[52:53], v[52:53], v[80:81]
	v_min_f32_e32 v80, v106, v105
	v_min_f32_e32 v81, v110, v107
	v_pk_add_f32 v[50:51], v[50:51], v[80:81]
	v_min_f32_e32 v80, v82, v105
	v_min_f32_e32 v81, v83, v107
	;; [unrolled: 3-line block ×8, first 2 shown]
	v_pk_add_f32 v[36:37], v[36:37], v[80:81]
	s_waitcnt lgkmcnt(0)
	v_max_f32_e32 v80, v0, v0
	v_max_f32_e32 v81, v1, v1
	v_min_f32_e32 v0, v106, v80
	v_min_f32_e32 v1, v110, v81
	v_pk_add_f32 v[34:35], v[34:35], v[0:1]
	v_min_f32_e32 v0, v82, v80
	v_min_f32_e32 v1, v83, v81
	v_pk_add_f32 v[32:33], v[32:33], v[0:1]
	;; [unrolled: 3-line block ×7, first 2 shown]
	v_min_f32_e32 v0, v104, v80
	v_min_f32_e32 v1, v79, v81
	v_max_f32_e32 v2, v2, v2
	v_max_f32_e32 v3, v3, v3
	v_pk_add_f32 v[20:21], v[20:21], v[0:1]
	v_min_f32_e32 v0, v106, v2
	v_min_f32_e32 v1, v110, v3
	v_pk_add_f32 v[18:19], v[18:19], v[0:1]
	v_min_f32_e32 v0, v82, v2
	v_min_f32_e32 v1, v83, v3
	;; [unrolled: 3-line block ×8, first 2 shown]
	v_pk_add_f32 v[4:5], v[4:5], v[0:1]
	s_mov_b64 s[16:17], 0
	s_mov_b32 s27, 2
	s_cbranch_vccz .LBB88_42
; %bb.43:                               ;   in Loop: Header=BB88_27 Depth=1
	s_add_i32 s19, s19, 8
	s_add_i32 s23, s23, 8
	s_cmp_ge_i32 s23, s18
	s_waitcnt vmcnt(0)
	ds_write_b32 v89, v93
	ds_write2st64_b32 v90, v76, v78 offset1:4
	s_waitcnt lgkmcnt(0)
	s_barrier
	s_cbranch_scc0 .LBB88_27
.LBB88_44:
	v_mov_b32_e32 v0, 0x1400
	v_lshl_add_u32 v68, v69, 4, v0
	v_mov_b32_e32 v0, 0x800
	v_lshl_add_u32 v70, v84, 4, v0
	s_mov_b32 s6, 0
	s_mov_b64 s[4:5], -1
.LBB88_45:                              ; =>This Inner Loop Header: Depth=1
	v_cndmask_b32_e64 v0, 0, 1, s[4:5]
	s_lshl_b32 s4, s6, 2
	v_cmp_ne_u32_e32 vcc, 1, v0
	v_add_u32_e32 v0, s4, v68
	ds_read2_b64 v[72:75], v0 offset1:16
	ds_read2_b64 v[76:79], v0 offset0:32 offset1:48
	ds_read2_b64 v[80:83], v0 offset0:64 offset1:80
	;; [unrolled: 1-line block ×3, first 2 shown]
	v_add_u32_e32 v0, s4, v70
	ds_read2st64_b64 v[90:93], v0 offset1:1
	ds_read2st64_b64 v[0:3], v0 offset0:2 offset1:3
	s_waitcnt lgkmcnt(5)
	v_max_f32_e32 v85, v72, v72
	v_max_f32_e32 v74, v74, v74
	;; [unrolled: 1-line block ×3, first 2 shown]
	s_waitcnt lgkmcnt(1)
	v_max_f32_e32 v71, v90, v90
	v_max_f32_e32 v90, v91, v91
	;; [unrolled: 1-line block ×3, first 2 shown]
	v_min_f32_e32 v72, v85, v71
	v_min_f32_e32 v73, v91, v90
	v_pk_add_f32 v[66:67], v[66:67], v[72:73]
	v_min_f32_e32 v72, v74, v71
	v_min_f32_e32 v73, v75, v90
	v_max_f32_e32 v76, v76, v76
	v_max_f32_e32 v77, v77, v77
	v_pk_add_f32 v[64:65], v[64:65], v[72:73]
	v_min_f32_e32 v72, v76, v71
	v_min_f32_e32 v73, v77, v90
	v_max_f32_e32 v78, v78, v78
	v_max_f32_e32 v79, v79, v79
	;; [unrolled: 5-line block ×5, first 2 shown]
	v_pk_add_f32 v[56:57], v[56:57], v[72:73]
	v_min_f32_e32 v72, v86, v71
	v_min_f32_e32 v73, v87, v90
	v_max_f32_e32 v88, v88, v88
	v_pk_add_f32 v[54:55], v[54:55], v[72:73]
	v_min_f32_e32 v72, v88, v71
	v_max_f32_e32 v71, v89, v89
	v_min_f32_e32 v73, v71, v90
	v_max_f32_e32 v89, v92, v92
	v_max_f32_e32 v90, v93, v93
	v_pk_add_f32 v[52:53], v[52:53], v[72:73]
	v_min_f32_e32 v72, v85, v89
	v_min_f32_e32 v73, v91, v90
	v_pk_add_f32 v[50:51], v[50:51], v[72:73]
	v_min_f32_e32 v72, v74, v89
	v_min_f32_e32 v73, v75, v90
	;; [unrolled: 3-line block ×8, first 2 shown]
	v_pk_add_f32 v[36:37], v[36:37], v[72:73]
	s_waitcnt lgkmcnt(0)
	v_max_f32_e32 v72, v0, v0
	v_max_f32_e32 v73, v1, v1
	v_min_f32_e32 v0, v85, v72
	v_min_f32_e32 v1, v91, v73
	v_pk_add_f32 v[34:35], v[34:35], v[0:1]
	v_min_f32_e32 v0, v74, v72
	v_min_f32_e32 v1, v75, v73
	v_pk_add_f32 v[32:33], v[32:33], v[0:1]
	v_min_f32_e32 v0, v76, v72
	v_min_f32_e32 v1, v77, v73
	v_pk_add_f32 v[30:31], v[30:31], v[0:1]
	v_min_f32_e32 v0, v78, v72
	v_min_f32_e32 v1, v79, v73
	v_pk_add_f32 v[28:29], v[28:29], v[0:1]
	v_min_f32_e32 v0, v80, v72
	v_min_f32_e32 v1, v81, v73
	v_pk_add_f32 v[26:27], v[26:27], v[0:1]
	v_min_f32_e32 v0, v82, v72
	v_min_f32_e32 v1, v83, v73
	v_pk_add_f32 v[24:25], v[24:25], v[0:1]
	v_min_f32_e32 v0, v86, v72
	v_min_f32_e32 v1, v87, v73
	v_pk_add_f32 v[22:23], v[22:23], v[0:1]
	v_min_f32_e32 v0, v88, v72
	v_min_f32_e32 v1, v71, v73
	v_max_f32_e32 v2, v2, v2
	v_max_f32_e32 v3, v3, v3
	v_pk_add_f32 v[20:21], v[20:21], v[0:1]
	v_min_f32_e32 v0, v85, v2
	v_min_f32_e32 v1, v91, v3
	v_pk_add_f32 v[18:19], v[18:19], v[0:1]
	v_min_f32_e32 v0, v74, v2
	v_min_f32_e32 v1, v75, v3
	;; [unrolled: 3-line block ×8, first 2 shown]
	v_pk_add_f32 v[4:5], v[4:5], v[0:1]
	s_mov_b64 s[4:5], 0
	s_mov_b32 s6, 2
	s_cbranch_vccz .LBB88_45
; %bb.46:
	s_load_dwordx2 s[4:5], s[0:1], 0x70
	s_load_dword s30, s[0:1], 0x50
	s_load_dword s29, s[0:1], 0x68
	v_add_u32_e32 v72, s26, v84
	v_add_u32_e32 v0, s2, v69
	s_waitcnt lgkmcnt(0)
	s_mul_i32 s1, s5, s3
	s_mul_hi_u32 s5, s4, s3
	s_mul_i32 s0, s4, s3
	s_add_i32 s1, s5, s1
	s_lshl_b64 s[0:1], s[0:1], 2
	s_add_u32 s22, s10, s0
	s_addc_u32 s23, s11, s1
	v_mad_i64_i32 v[2:3], s[0:1], v72, s30, 0
	v_lshl_add_u64 v[70:71], v[2:3], 2, s[24:25]
	v_mad_i64_i32 v[2:3], s[0:1], v72, s29, 0
	v_cmp_gt_i32_e64 s[18:19], s21, v72
	v_lshl_add_u64 v[68:69], v[2:3], 2, s[22:23]
	v_cmp_gt_i32_e64 s[2:3], s20, v0
	v_cndmask_b32_e64 v2, 0, 1, s[12:13]
	s_and_b64 s[6:7], s[2:3], s[18:19]
	v_ashrrev_i32_e32 v1, 31, v0
	v_cmp_ne_u32_e64 s[0:1], 1, v2
	s_and_saveexec_b64 s[4:5], s[6:7]
	s_cbranch_execz .LBB88_52
; %bb.47:
	s_and_b64 vcc, exec, s[0:1]
	s_cbranch_vccnz .LBB88_50
; %bb.48:
	v_lshl_add_u64 v[2:3], v[0:1], 2, v[70:71]
	global_load_dword v2, v[2:3], off
	s_waitcnt vmcnt(0)
	v_mul_f32_e32 v2, s28, v2
	s_branch .LBB88_51
.LBB88_49:
	s_mov_b64 s[16:17], 0
	s_andn2_b64 vcc, exec, s[8:9]
	s_mov_b64 s[4:5], -1
	s_cbranch_vccz .LBB88_2
	s_branch .LBB88_3
.LBB88_50:
	v_mov_b32_e32 v2, 0
.LBB88_51:
	v_add_f32_e32 v3, v66, v67
	v_add_f32_e32 v66, v3, v2
	v_lshl_add_u64 v[2:3], v[0:1], 2, v[68:69]
	global_store_dword v[2:3], v66, off
.LBB88_52:
	s_or_b64 exec, exec, s[4:5]
	v_add_u32_e32 v2, 8, v0
	v_cmp_gt_i32_e64 s[4:5], s20, v2
	s_and_b64 s[8:9], s[4:5], s[18:19]
	v_ashrrev_i32_e32 v3, 31, v2
	s_and_saveexec_b64 s[6:7], s[8:9]
	s_cbranch_execz .LBB88_57
; %bb.53:
	s_and_b64 vcc, exec, s[0:1]
	s_cbranch_vccnz .LBB88_55
; %bb.54:
	v_lshl_add_u64 v[66:67], v[2:3], 2, v[70:71]
	global_load_dword v66, v[66:67], off
	s_waitcnt vmcnt(0)
	v_mul_f32_e32 v66, s28, v66
	s_branch .LBB88_56
.LBB88_55:
	v_mov_b32_e32 v66, 0
.LBB88_56:
	v_add_f32_e32 v64, v64, v65
	v_add_f32_e32 v66, v64, v66
	v_lshl_add_u64 v[64:65], v[2:3], 2, v[68:69]
	global_store_dword v[64:65], v66, off
.LBB88_57:
	s_or_b64 exec, exec, s[6:7]
	v_add_u32_e32 v64, 16, v0
	v_cmp_gt_i32_e64 s[6:7], s20, v64
	s_and_b64 s[10:11], s[6:7], s[18:19]
	v_ashrrev_i32_e32 v65, 31, v64
	s_and_saveexec_b64 s[8:9], s[10:11]
	s_cbranch_execz .LBB88_62
; %bb.58:
	s_and_b64 vcc, exec, s[0:1]
	s_cbranch_vccnz .LBB88_60
; %bb.59:
	v_lshl_add_u64 v[66:67], v[64:65], 2, v[70:71]
	global_load_dword v66, v[66:67], off
	s_waitcnt vmcnt(0)
	v_mul_f32_e32 v66, s28, v66
	s_branch .LBB88_61
.LBB88_60:
	v_mov_b32_e32 v66, 0
.LBB88_61:
	v_add_f32_e32 v62, v62, v63
	v_add_f32_e32 v66, v62, v66
	v_lshl_add_u64 v[62:63], v[64:65], 2, v[68:69]
	global_store_dword v[62:63], v66, off
.LBB88_62:
	;; [unrolled: 24-line block ×7, first 2 shown]
	s_or_b64 exec, exec, s[18:19]
	v_add_u32_e32 v68, 32, v72
	v_mad_i64_i32 v[52:53], s[26:27], v68, s30, 0
	v_cmp_gt_i32_e64 s[18:19], s21, v68
	v_lshl_add_u64 v[66:67], v[52:53], 2, s[24:25]
	v_mad_i64_i32 v[52:53], s[26:27], v68, s29, 0
	v_lshl_add_u64 v[52:53], v[52:53], 2, s[22:23]
	s_and_b64 s[34:35], s[2:3], s[18:19]
	s_and_saveexec_b64 s[26:27], s[34:35]
	s_cbranch_execnz .LBB88_95
; %bb.88:
	s_or_b64 exec, exec, s[26:27]
	s_and_b64 s[34:35], s[4:5], s[18:19]
	s_and_saveexec_b64 s[26:27], s[34:35]
	s_cbranch_execnz .LBB88_99
.LBB88_89:
	s_or_b64 exec, exec, s[26:27]
	s_and_b64 s[34:35], s[6:7], s[18:19]
	s_and_saveexec_b64 s[26:27], s[34:35]
	s_cbranch_execnz .LBB88_103
.LBB88_90:
	s_or_b64 exec, exec, s[26:27]
	s_and_b64 s[34:35], s[8:9], s[18:19]
	s_and_saveexec_b64 s[26:27], s[34:35]
	s_cbranch_execnz .LBB88_107
.LBB88_91:
	s_or_b64 exec, exec, s[26:27]
	s_and_b64 s[34:35], s[10:11], s[18:19]
	s_and_saveexec_b64 s[26:27], s[34:35]
	s_cbranch_execnz .LBB88_111
.LBB88_92:
	s_or_b64 exec, exec, s[26:27]
	s_and_b64 s[34:35], s[12:13], s[18:19]
	s_and_saveexec_b64 s[26:27], s[34:35]
	s_cbranch_execnz .LBB88_115
.LBB88_93:
	s_or_b64 exec, exec, s[26:27]
	s_and_b64 s[34:35], s[14:15], s[18:19]
	s_and_saveexec_b64 s[26:27], s[34:35]
	s_cbranch_execnz .LBB88_119
.LBB88_94:
	s_or_b64 exec, exec, s[26:27]
	s_and_b64 s[26:27], s[16:17], s[18:19]
	s_and_saveexec_b64 s[18:19], s[26:27]
	s_cbranch_execnz .LBB88_123
	s_branch .LBB88_127
.LBB88_95:
	s_and_b64 vcc, exec, s[0:1]
	s_cbranch_vccnz .LBB88_97
; %bb.96:
	v_lshl_add_u64 v[68:69], v[0:1], 2, v[66:67]
	global_load_dword v68, v[68:69], off
	s_waitcnt vmcnt(0)
	v_mul_f32_e32 v68, s28, v68
	s_branch .LBB88_98
.LBB88_97:
	v_mov_b32_e32 v68, 0
.LBB88_98:
	v_add_f32_e32 v50, v50, v51
	v_add_f32_e32 v68, v50, v68
	v_lshl_add_u64 v[50:51], v[0:1], 2, v[52:53]
	global_store_dword v[50:51], v68, off
	s_or_b64 exec, exec, s[26:27]
	s_and_b64 s[34:35], s[4:5], s[18:19]
	s_and_saveexec_b64 s[26:27], s[34:35]
	s_cbranch_execz .LBB88_89
.LBB88_99:
	s_and_b64 vcc, exec, s[0:1]
	s_cbranch_vccnz .LBB88_101
; %bb.100:
	v_lshl_add_u64 v[50:51], v[2:3], 2, v[66:67]
	global_load_dword v50, v[50:51], off
	s_waitcnt vmcnt(0)
	v_mul_f32_e32 v50, s28, v50
	s_branch .LBB88_102
.LBB88_101:
	v_mov_b32_e32 v50, 0
.LBB88_102:
	v_add_f32_e32 v48, v48, v49
	v_add_f32_e32 v50, v48, v50
	v_lshl_add_u64 v[48:49], v[2:3], 2, v[52:53]
	global_store_dword v[48:49], v50, off
	s_or_b64 exec, exec, s[26:27]
	s_and_b64 s[34:35], s[6:7], s[18:19]
	s_and_saveexec_b64 s[26:27], s[34:35]
	s_cbranch_execz .LBB88_90
.LBB88_103:
	s_and_b64 vcc, exec, s[0:1]
	s_cbranch_vccnz .LBB88_105
; %bb.104:
	v_lshl_add_u64 v[48:49], v[64:65], 2, v[66:67]
	global_load_dword v48, v[48:49], off
	s_waitcnt vmcnt(0)
	v_mul_f32_e32 v48, s28, v48
	s_branch .LBB88_106
.LBB88_105:
	v_mov_b32_e32 v48, 0
.LBB88_106:
	v_add_f32_e32 v46, v46, v47
	v_add_f32_e32 v48, v46, v48
	v_lshl_add_u64 v[46:47], v[64:65], 2, v[52:53]
	global_store_dword v[46:47], v48, off
	s_or_b64 exec, exec, s[26:27]
	s_and_b64 s[34:35], s[8:9], s[18:19]
	s_and_saveexec_b64 s[26:27], s[34:35]
	s_cbranch_execz .LBB88_91
.LBB88_107:
	s_and_b64 vcc, exec, s[0:1]
	s_cbranch_vccnz .LBB88_109
; %bb.108:
	v_lshl_add_u64 v[46:47], v[62:63], 2, v[66:67]
	global_load_dword v46, v[46:47], off
	s_waitcnt vmcnt(0)
	v_mul_f32_e32 v46, s28, v46
	s_branch .LBB88_110
.LBB88_109:
	v_mov_b32_e32 v46, 0
.LBB88_110:
	v_add_f32_e32 v44, v44, v45
	v_add_f32_e32 v46, v44, v46
	v_lshl_add_u64 v[44:45], v[62:63], 2, v[52:53]
	global_store_dword v[44:45], v46, off
	s_or_b64 exec, exec, s[26:27]
	s_and_b64 s[34:35], s[10:11], s[18:19]
	s_and_saveexec_b64 s[26:27], s[34:35]
	s_cbranch_execz .LBB88_92
.LBB88_111:
	s_and_b64 vcc, exec, s[0:1]
	s_cbranch_vccnz .LBB88_113
; %bb.112:
	v_lshl_add_u64 v[44:45], v[60:61], 2, v[66:67]
	global_load_dword v44, v[44:45], off
	s_waitcnt vmcnt(0)
	v_mul_f32_e32 v44, s28, v44
	s_branch .LBB88_114
.LBB88_113:
	v_mov_b32_e32 v44, 0
.LBB88_114:
	v_add_f32_e32 v42, v42, v43
	v_add_f32_e32 v44, v42, v44
	v_lshl_add_u64 v[42:43], v[60:61], 2, v[52:53]
	global_store_dword v[42:43], v44, off
	s_or_b64 exec, exec, s[26:27]
	s_and_b64 s[34:35], s[12:13], s[18:19]
	s_and_saveexec_b64 s[26:27], s[34:35]
	s_cbranch_execz .LBB88_93
.LBB88_115:
	s_and_b64 vcc, exec, s[0:1]
	s_cbranch_vccnz .LBB88_117
; %bb.116:
	v_lshl_add_u64 v[42:43], v[58:59], 2, v[66:67]
	global_load_dword v42, v[42:43], off
	s_waitcnt vmcnt(0)
	v_mul_f32_e32 v42, s28, v42
	s_branch .LBB88_118
.LBB88_117:
	v_mov_b32_e32 v42, 0
.LBB88_118:
	v_add_f32_e32 v40, v40, v41
	v_add_f32_e32 v42, v40, v42
	v_lshl_add_u64 v[40:41], v[58:59], 2, v[52:53]
	global_store_dword v[40:41], v42, off
	s_or_b64 exec, exec, s[26:27]
	s_and_b64 s[34:35], s[14:15], s[18:19]
	s_and_saveexec_b64 s[26:27], s[34:35]
	s_cbranch_execz .LBB88_94
.LBB88_119:
	s_and_b64 vcc, exec, s[0:1]
	s_cbranch_vccnz .LBB88_121
; %bb.120:
	v_lshl_add_u64 v[40:41], v[56:57], 2, v[66:67]
	global_load_dword v40, v[40:41], off
	s_waitcnt vmcnt(0)
	v_mul_f32_e32 v40, s28, v40
	s_branch .LBB88_122
.LBB88_121:
	v_mov_b32_e32 v40, 0
.LBB88_122:
	v_add_f32_e32 v38, v38, v39
	v_add_f32_e32 v40, v38, v40
	v_lshl_add_u64 v[38:39], v[56:57], 2, v[52:53]
	global_store_dword v[38:39], v40, off
	s_or_b64 exec, exec, s[26:27]
	s_and_b64 s[26:27], s[16:17], s[18:19]
	s_and_saveexec_b64 s[18:19], s[26:27]
	s_cbranch_execz .LBB88_127
.LBB88_123:
	s_and_b64 vcc, exec, s[0:1]
	s_cbranch_vccnz .LBB88_125
; %bb.124:
	v_lshl_add_u64 v[38:39], v[54:55], 2, v[66:67]
	global_load_dword v38, v[38:39], off
	s_waitcnt vmcnt(0)
	v_mul_f32_e32 v38, s28, v38
	s_branch .LBB88_126
.LBB88_125:
	v_mov_b32_e32 v38, 0
.LBB88_126:
	v_add_f32_e32 v36, v36, v37
	v_add_f32_e32 v38, v36, v38
	v_lshl_add_u64 v[36:37], v[54:55], 2, v[52:53]
	global_store_dword v[36:37], v38, off
.LBB88_127:
	s_or_b64 exec, exec, s[18:19]
	v_add_u32_e32 v40, 64, v72
	v_mad_i64_i32 v[36:37], s[26:27], v40, s30, 0
	v_cmp_gt_i32_e64 s[18:19], s21, v40
	v_lshl_add_u64 v[38:39], v[36:37], 2, s[24:25]
	v_mad_i64_i32 v[36:37], s[26:27], v40, s29, 0
	v_lshl_add_u64 v[36:37], v[36:37], 2, s[22:23]
	s_and_b64 s[34:35], s[2:3], s[18:19]
	s_and_saveexec_b64 s[26:27], s[34:35]
	s_cbranch_execnz .LBB88_135
; %bb.128:
	s_or_b64 exec, exec, s[26:27]
	s_and_b64 s[34:35], s[4:5], s[18:19]
	s_and_saveexec_b64 s[26:27], s[34:35]
	s_cbranch_execnz .LBB88_139
.LBB88_129:
	s_or_b64 exec, exec, s[26:27]
	s_and_b64 s[34:35], s[6:7], s[18:19]
	s_and_saveexec_b64 s[26:27], s[34:35]
	s_cbranch_execnz .LBB88_143
.LBB88_130:
	s_or_b64 exec, exec, s[26:27]
	s_and_b64 s[34:35], s[8:9], s[18:19]
	s_and_saveexec_b64 s[26:27], s[34:35]
	s_cbranch_execnz .LBB88_147
.LBB88_131:
	s_or_b64 exec, exec, s[26:27]
	s_and_b64 s[34:35], s[10:11], s[18:19]
	s_and_saveexec_b64 s[26:27], s[34:35]
	s_cbranch_execnz .LBB88_151
.LBB88_132:
	s_or_b64 exec, exec, s[26:27]
	s_and_b64 s[34:35], s[12:13], s[18:19]
	s_and_saveexec_b64 s[26:27], s[34:35]
	s_cbranch_execnz .LBB88_155
.LBB88_133:
	s_or_b64 exec, exec, s[26:27]
	s_and_b64 s[34:35], s[14:15], s[18:19]
	s_and_saveexec_b64 s[26:27], s[34:35]
	s_cbranch_execnz .LBB88_159
.LBB88_134:
	s_or_b64 exec, exec, s[26:27]
	s_and_b64 s[26:27], s[16:17], s[18:19]
	s_and_saveexec_b64 s[18:19], s[26:27]
	s_cbranch_execnz .LBB88_163
	s_branch .LBB88_167
.LBB88_135:
	s_and_b64 vcc, exec, s[0:1]
	s_cbranch_vccnz .LBB88_137
; %bb.136:
	v_lshl_add_u64 v[40:41], v[0:1], 2, v[38:39]
	global_load_dword v40, v[40:41], off
	s_waitcnt vmcnt(0)
	v_mul_f32_e32 v40, s28, v40
	s_branch .LBB88_138
.LBB88_137:
	v_mov_b32_e32 v40, 0
.LBB88_138:
	v_add_f32_e32 v34, v34, v35
	v_add_f32_e32 v40, v34, v40
	v_lshl_add_u64 v[34:35], v[0:1], 2, v[36:37]
	global_store_dword v[34:35], v40, off
	s_or_b64 exec, exec, s[26:27]
	s_and_b64 s[34:35], s[4:5], s[18:19]
	s_and_saveexec_b64 s[26:27], s[34:35]
	s_cbranch_execz .LBB88_129
.LBB88_139:
	s_and_b64 vcc, exec, s[0:1]
	s_cbranch_vccnz .LBB88_141
; %bb.140:
	v_lshl_add_u64 v[34:35], v[2:3], 2, v[38:39]
	global_load_dword v34, v[34:35], off
	s_waitcnt vmcnt(0)
	v_mul_f32_e32 v34, s28, v34
	s_branch .LBB88_142
.LBB88_141:
	v_mov_b32_e32 v34, 0
.LBB88_142:
	v_add_f32_e32 v32, v32, v33
	v_add_f32_e32 v34, v32, v34
	v_lshl_add_u64 v[32:33], v[2:3], 2, v[36:37]
	global_store_dword v[32:33], v34, off
	s_or_b64 exec, exec, s[26:27]
	s_and_b64 s[34:35], s[6:7], s[18:19]
	s_and_saveexec_b64 s[26:27], s[34:35]
	s_cbranch_execz .LBB88_130
.LBB88_143:
	s_and_b64 vcc, exec, s[0:1]
	s_cbranch_vccnz .LBB88_145
; %bb.144:
	v_lshl_add_u64 v[32:33], v[64:65], 2, v[38:39]
	global_load_dword v32, v[32:33], off
	s_waitcnt vmcnt(0)
	v_mul_f32_e32 v32, s28, v32
	s_branch .LBB88_146
.LBB88_145:
	v_mov_b32_e32 v32, 0
.LBB88_146:
	v_add_f32_e32 v30, v30, v31
	v_add_f32_e32 v32, v30, v32
	v_lshl_add_u64 v[30:31], v[64:65], 2, v[36:37]
	global_store_dword v[30:31], v32, off
	s_or_b64 exec, exec, s[26:27]
	s_and_b64 s[34:35], s[8:9], s[18:19]
	s_and_saveexec_b64 s[26:27], s[34:35]
	s_cbranch_execz .LBB88_131
.LBB88_147:
	s_and_b64 vcc, exec, s[0:1]
	s_cbranch_vccnz .LBB88_149
; %bb.148:
	v_lshl_add_u64 v[30:31], v[62:63], 2, v[38:39]
	global_load_dword v30, v[30:31], off
	s_waitcnt vmcnt(0)
	v_mul_f32_e32 v30, s28, v30
	s_branch .LBB88_150
.LBB88_149:
	v_mov_b32_e32 v30, 0
.LBB88_150:
	v_add_f32_e32 v28, v28, v29
	v_add_f32_e32 v30, v28, v30
	v_lshl_add_u64 v[28:29], v[62:63], 2, v[36:37]
	global_store_dword v[28:29], v30, off
	s_or_b64 exec, exec, s[26:27]
	s_and_b64 s[34:35], s[10:11], s[18:19]
	s_and_saveexec_b64 s[26:27], s[34:35]
	s_cbranch_execz .LBB88_132
.LBB88_151:
	s_and_b64 vcc, exec, s[0:1]
	s_cbranch_vccnz .LBB88_153
; %bb.152:
	v_lshl_add_u64 v[28:29], v[60:61], 2, v[38:39]
	global_load_dword v28, v[28:29], off
	s_waitcnt vmcnt(0)
	v_mul_f32_e32 v28, s28, v28
	s_branch .LBB88_154
.LBB88_153:
	v_mov_b32_e32 v28, 0
.LBB88_154:
	v_add_f32_e32 v26, v26, v27
	v_add_f32_e32 v28, v26, v28
	v_lshl_add_u64 v[26:27], v[60:61], 2, v[36:37]
	global_store_dword v[26:27], v28, off
	s_or_b64 exec, exec, s[26:27]
	s_and_b64 s[34:35], s[12:13], s[18:19]
	s_and_saveexec_b64 s[26:27], s[34:35]
	s_cbranch_execz .LBB88_133
.LBB88_155:
	s_and_b64 vcc, exec, s[0:1]
	s_cbranch_vccnz .LBB88_157
; %bb.156:
	v_lshl_add_u64 v[26:27], v[58:59], 2, v[38:39]
	global_load_dword v26, v[26:27], off
	s_waitcnt vmcnt(0)
	v_mul_f32_e32 v26, s28, v26
	s_branch .LBB88_158
.LBB88_157:
	v_mov_b32_e32 v26, 0
.LBB88_158:
	v_add_f32_e32 v24, v24, v25
	v_add_f32_e32 v26, v24, v26
	v_lshl_add_u64 v[24:25], v[58:59], 2, v[36:37]
	global_store_dword v[24:25], v26, off
	s_or_b64 exec, exec, s[26:27]
	s_and_b64 s[34:35], s[14:15], s[18:19]
	s_and_saveexec_b64 s[26:27], s[34:35]
	s_cbranch_execz .LBB88_134
.LBB88_159:
	s_and_b64 vcc, exec, s[0:1]
	s_cbranch_vccnz .LBB88_161
; %bb.160:
	v_lshl_add_u64 v[24:25], v[56:57], 2, v[38:39]
	global_load_dword v24, v[24:25], off
	s_waitcnt vmcnt(0)
	v_mul_f32_e32 v24, s28, v24
	s_branch .LBB88_162
.LBB88_161:
	v_mov_b32_e32 v24, 0
.LBB88_162:
	v_add_f32_e32 v22, v22, v23
	v_add_f32_e32 v24, v22, v24
	v_lshl_add_u64 v[22:23], v[56:57], 2, v[36:37]
	global_store_dword v[22:23], v24, off
	s_or_b64 exec, exec, s[26:27]
	s_and_b64 s[26:27], s[16:17], s[18:19]
	s_and_saveexec_b64 s[18:19], s[26:27]
	s_cbranch_execz .LBB88_167
.LBB88_163:
	s_and_b64 vcc, exec, s[0:1]
	s_cbranch_vccnz .LBB88_165
; %bb.164:
	v_lshl_add_u64 v[22:23], v[54:55], 2, v[38:39]
	global_load_dword v22, v[22:23], off
	s_waitcnt vmcnt(0)
	v_mul_f32_e32 v22, s28, v22
	s_branch .LBB88_166
.LBB88_165:
	v_mov_b32_e32 v22, 0
.LBB88_166:
	v_add_f32_e32 v20, v20, v21
	v_add_f32_e32 v22, v20, v22
	v_lshl_add_u64 v[20:21], v[54:55], 2, v[36:37]
	global_store_dword v[20:21], v22, off
.LBB88_167:
	s_or_b64 exec, exec, s[18:19]
	v_add_u32_e32 v24, 0x60, v72
	v_cmp_gt_i32_e64 s[18:19], s21, v24
	v_mad_i64_i32 v[20:21], s[20:21], v24, s30, 0
	v_lshl_add_u64 v[22:23], v[20:21], 2, s[24:25]
	v_mad_i64_i32 v[20:21], s[20:21], v24, s29, 0
	v_lshl_add_u64 v[20:21], v[20:21], 2, s[22:23]
	s_and_b64 s[20:21], s[2:3], s[18:19]
	s_and_saveexec_b64 s[2:3], s[20:21]
	s_cbranch_execnz .LBB88_176
; %bb.168:
	s_or_b64 exec, exec, s[2:3]
	s_and_b64 s[4:5], s[4:5], s[18:19]
	s_and_saveexec_b64 s[2:3], s[4:5]
	s_cbranch_execnz .LBB88_180
.LBB88_169:
	s_or_b64 exec, exec, s[2:3]
	s_and_b64 s[4:5], s[6:7], s[18:19]
	s_and_saveexec_b64 s[2:3], s[4:5]
	s_cbranch_execnz .LBB88_184
.LBB88_170:
	s_or_b64 exec, exec, s[2:3]
	s_and_b64 s[4:5], s[8:9], s[18:19]
	s_and_saveexec_b64 s[2:3], s[4:5]
	s_cbranch_execnz .LBB88_188
.LBB88_171:
	s_or_b64 exec, exec, s[2:3]
	s_and_b64 s[4:5], s[10:11], s[18:19]
	s_and_saveexec_b64 s[2:3], s[4:5]
	s_cbranch_execnz .LBB88_192
.LBB88_172:
	s_or_b64 exec, exec, s[2:3]
	s_and_b64 s[4:5], s[12:13], s[18:19]
	s_and_saveexec_b64 s[2:3], s[4:5]
	s_cbranch_execnz .LBB88_196
.LBB88_173:
	s_or_b64 exec, exec, s[2:3]
	s_and_b64 s[4:5], s[14:15], s[18:19]
	s_and_saveexec_b64 s[2:3], s[4:5]
	s_cbranch_execnz .LBB88_200
.LBB88_174:
	s_or_b64 exec, exec, s[2:3]
	s_and_b64 s[2:3], s[16:17], s[18:19]
	s_and_saveexec_b64 s[4:5], s[2:3]
	s_cbranch_execnz .LBB88_204
.LBB88_175:
	s_endpgm
.LBB88_176:
	s_and_b64 vcc, exec, s[0:1]
	s_cbranch_vccnz .LBB88_178
; %bb.177:
	v_lshl_add_u64 v[24:25], v[0:1], 2, v[22:23]
	global_load_dword v24, v[24:25], off
	s_waitcnt vmcnt(0)
	v_mul_f32_e32 v24, s28, v24
	s_branch .LBB88_179
.LBB88_178:
	v_mov_b32_e32 v24, 0
.LBB88_179:
	v_add_f32_e32 v18, v18, v19
	v_add_f32_e32 v18, v18, v24
	v_lshl_add_u64 v[0:1], v[0:1], 2, v[20:21]
	global_store_dword v[0:1], v18, off
	s_or_b64 exec, exec, s[2:3]
	s_and_b64 s[4:5], s[4:5], s[18:19]
	s_and_saveexec_b64 s[2:3], s[4:5]
	s_cbranch_execz .LBB88_169
.LBB88_180:
	s_and_b64 vcc, exec, s[0:1]
	s_cbranch_vccnz .LBB88_182
; %bb.181:
	v_lshl_add_u64 v[0:1], v[2:3], 2, v[22:23]
	global_load_dword v0, v[0:1], off
	s_waitcnt vmcnt(0)
	v_mul_f32_e32 v0, s28, v0
	s_branch .LBB88_183
.LBB88_182:
	v_mov_b32_e32 v0, 0
.LBB88_183:
	v_add_f32_e32 v1, v16, v17
	v_add_f32_e32 v16, v1, v0
	v_lshl_add_u64 v[0:1], v[2:3], 2, v[20:21]
	global_store_dword v[0:1], v16, off
	s_or_b64 exec, exec, s[2:3]
	s_and_b64 s[4:5], s[6:7], s[18:19]
	s_and_saveexec_b64 s[2:3], s[4:5]
	s_cbranch_execz .LBB88_170
.LBB88_184:
	s_and_b64 vcc, exec, s[0:1]
	s_cbranch_vccnz .LBB88_186
; %bb.185:
	v_lshl_add_u64 v[0:1], v[64:65], 2, v[22:23]
	global_load_dword v0, v[0:1], off
	s_waitcnt vmcnt(0)
	v_mul_f32_e32 v0, s28, v0
	s_branch .LBB88_187
.LBB88_186:
	v_mov_b32_e32 v0, 0
.LBB88_187:
	v_add_f32_e32 v1, v14, v15
	v_add_f32_e32 v2, v1, v0
	v_lshl_add_u64 v[0:1], v[64:65], 2, v[20:21]
	global_store_dword v[0:1], v2, off
	s_or_b64 exec, exec, s[2:3]
	s_and_b64 s[4:5], s[8:9], s[18:19]
	s_and_saveexec_b64 s[2:3], s[4:5]
	s_cbranch_execz .LBB88_171
.LBB88_188:
	s_and_b64 vcc, exec, s[0:1]
	s_cbranch_vccnz .LBB88_190
; %bb.189:
	v_lshl_add_u64 v[0:1], v[62:63], 2, v[22:23]
	global_load_dword v0, v[0:1], off
	s_waitcnt vmcnt(0)
	v_mul_f32_e32 v0, s28, v0
	s_branch .LBB88_191
.LBB88_190:
	v_mov_b32_e32 v0, 0
.LBB88_191:
	v_add_f32_e32 v1, v12, v13
	v_add_f32_e32 v2, v1, v0
	v_lshl_add_u64 v[0:1], v[62:63], 2, v[20:21]
	global_store_dword v[0:1], v2, off
	s_or_b64 exec, exec, s[2:3]
	s_and_b64 s[4:5], s[10:11], s[18:19]
	s_and_saveexec_b64 s[2:3], s[4:5]
	s_cbranch_execz .LBB88_172
.LBB88_192:
	s_and_b64 vcc, exec, s[0:1]
	s_cbranch_vccnz .LBB88_194
; %bb.193:
	v_lshl_add_u64 v[0:1], v[60:61], 2, v[22:23]
	global_load_dword v0, v[0:1], off
	s_waitcnt vmcnt(0)
	v_mul_f32_e32 v0, s28, v0
	s_branch .LBB88_195
.LBB88_194:
	v_mov_b32_e32 v0, 0
.LBB88_195:
	v_add_f32_e32 v1, v10, v11
	v_add_f32_e32 v2, v1, v0
	v_lshl_add_u64 v[0:1], v[60:61], 2, v[20:21]
	global_store_dword v[0:1], v2, off
	s_or_b64 exec, exec, s[2:3]
	s_and_b64 s[4:5], s[12:13], s[18:19]
	s_and_saveexec_b64 s[2:3], s[4:5]
	s_cbranch_execz .LBB88_173
.LBB88_196:
	s_and_b64 vcc, exec, s[0:1]
	s_cbranch_vccnz .LBB88_198
; %bb.197:
	v_lshl_add_u64 v[0:1], v[58:59], 2, v[22:23]
	global_load_dword v0, v[0:1], off
	s_waitcnt vmcnt(0)
	v_mul_f32_e32 v0, s28, v0
	s_branch .LBB88_199
.LBB88_198:
	v_mov_b32_e32 v0, 0
.LBB88_199:
	v_add_f32_e32 v1, v8, v9
	v_add_f32_e32 v2, v1, v0
	v_lshl_add_u64 v[0:1], v[58:59], 2, v[20:21]
	global_store_dword v[0:1], v2, off
	s_or_b64 exec, exec, s[2:3]
	s_and_b64 s[4:5], s[14:15], s[18:19]
	s_and_saveexec_b64 s[2:3], s[4:5]
	s_cbranch_execz .LBB88_174
.LBB88_200:
	s_and_b64 vcc, exec, s[0:1]
	s_cbranch_vccnz .LBB88_202
; %bb.201:
	v_lshl_add_u64 v[0:1], v[56:57], 2, v[22:23]
	global_load_dword v0, v[0:1], off
	s_waitcnt vmcnt(0)
	v_mul_f32_e32 v0, s28, v0
	s_branch .LBB88_203
.LBB88_202:
	v_mov_b32_e32 v0, 0
.LBB88_203:
	v_add_f32_e32 v1, v6, v7
	v_add_f32_e32 v2, v1, v0
	v_lshl_add_u64 v[0:1], v[56:57], 2, v[20:21]
	global_store_dword v[0:1], v2, off
	s_or_b64 exec, exec, s[2:3]
	s_and_b64 s[2:3], s[16:17], s[18:19]
	s_and_saveexec_b64 s[4:5], s[2:3]
	s_cbranch_execz .LBB88_175
.LBB88_204:
	s_and_b64 vcc, exec, s[0:1]
	s_cbranch_vccnz .LBB88_206
; %bb.205:
	v_lshl_add_u64 v[0:1], v[54:55], 2, v[22:23]
	global_load_dword v0, v[0:1], off
	s_waitcnt vmcnt(0)
	v_mul_f32_e32 v0, s28, v0
	s_branch .LBB88_207
.LBB88_206:
	v_mov_b32_e32 v0, 0
.LBB88_207:
	v_add_f32_e32 v1, v4, v5
	v_add_f32_e32 v2, v1, v0
	v_lshl_add_u64 v[0:1], v[54:55], 2, v[20:21]
	global_store_dword v[0:1], v2, off
	s_endpgm
	.section	.rodata,"a",@progbits
	.p2align	6, 0x0
	.amdhsa_kernel _ZN12_GLOBAL__N_120geam_min_plus_kernelIf15HIP_vector_typeIfLj2EES2_Li8ELi32ELi64ELi128ELi4ELi4ELi64ELi4ELi64ELc84ELc78ELb1ELb1ELb0EfKffEEviiiT16_PT17_ilS6_ilS4_S6_ilPT18_ili26rocblas_geam_ex_operation_
		.amdhsa_group_segment_fixed_size 6144
		.amdhsa_private_segment_fixed_size 0
		.amdhsa_kernarg_size 128
		.amdhsa_user_sgpr_count 2
		.amdhsa_user_sgpr_dispatch_ptr 0
		.amdhsa_user_sgpr_queue_ptr 0
		.amdhsa_user_sgpr_kernarg_segment_ptr 1
		.amdhsa_user_sgpr_dispatch_id 0
		.amdhsa_user_sgpr_kernarg_preload_length 0
		.amdhsa_user_sgpr_kernarg_preload_offset 0
		.amdhsa_user_sgpr_private_segment_size 0
		.amdhsa_uses_dynamic_stack 0
		.amdhsa_enable_private_segment 0
		.amdhsa_system_sgpr_workgroup_id_x 1
		.amdhsa_system_sgpr_workgroup_id_y 0
		.amdhsa_system_sgpr_workgroup_id_z 1
		.amdhsa_system_sgpr_workgroup_info 0
		.amdhsa_system_vgpr_workitem_id 1
		.amdhsa_next_free_vgpr 118
		.amdhsa_next_free_sgpr 36
		.amdhsa_accum_offset 120
		.amdhsa_reserve_vcc 1
		.amdhsa_float_round_mode_32 0
		.amdhsa_float_round_mode_16_64 0
		.amdhsa_float_denorm_mode_32 3
		.amdhsa_float_denorm_mode_16_64 3
		.amdhsa_dx10_clamp 1
		.amdhsa_ieee_mode 1
		.amdhsa_fp16_overflow 0
		.amdhsa_tg_split 0
		.amdhsa_exception_fp_ieee_invalid_op 0
		.amdhsa_exception_fp_denorm_src 0
		.amdhsa_exception_fp_ieee_div_zero 0
		.amdhsa_exception_fp_ieee_overflow 0
		.amdhsa_exception_fp_ieee_underflow 0
		.amdhsa_exception_fp_ieee_inexact 0
		.amdhsa_exception_int_div_zero 0
	.end_amdhsa_kernel
	.section	.text._ZN12_GLOBAL__N_120geam_min_plus_kernelIf15HIP_vector_typeIfLj2EES2_Li8ELi32ELi64ELi128ELi4ELi4ELi64ELi4ELi64ELc84ELc78ELb1ELb1ELb0EfKffEEviiiT16_PT17_ilS6_ilS4_S6_ilPT18_ili26rocblas_geam_ex_operation_,"axG",@progbits,_ZN12_GLOBAL__N_120geam_min_plus_kernelIf15HIP_vector_typeIfLj2EES2_Li8ELi32ELi64ELi128ELi4ELi4ELi64ELi4ELi64ELc84ELc78ELb1ELb1ELb0EfKffEEviiiT16_PT17_ilS6_ilS4_S6_ilPT18_ili26rocblas_geam_ex_operation_,comdat
.Lfunc_end88:
	.size	_ZN12_GLOBAL__N_120geam_min_plus_kernelIf15HIP_vector_typeIfLj2EES2_Li8ELi32ELi64ELi128ELi4ELi4ELi64ELi4ELi64ELc84ELc78ELb1ELb1ELb0EfKffEEviiiT16_PT17_ilS6_ilS4_S6_ilPT18_ili26rocblas_geam_ex_operation_, .Lfunc_end88-_ZN12_GLOBAL__N_120geam_min_plus_kernelIf15HIP_vector_typeIfLj2EES2_Li8ELi32ELi64ELi128ELi4ELi4ELi64ELi4ELi64ELc84ELc78ELb1ELb1ELb0EfKffEEviiiT16_PT17_ilS6_ilS4_S6_ilPT18_ili26rocblas_geam_ex_operation_
                                        ; -- End function
	.set _ZN12_GLOBAL__N_120geam_min_plus_kernelIf15HIP_vector_typeIfLj2EES2_Li8ELi32ELi64ELi128ELi4ELi4ELi64ELi4ELi64ELc84ELc78ELb1ELb1ELb0EfKffEEviiiT16_PT17_ilS6_ilS4_S6_ilPT18_ili26rocblas_geam_ex_operation_.num_vgpr, 118
	.set _ZN12_GLOBAL__N_120geam_min_plus_kernelIf15HIP_vector_typeIfLj2EES2_Li8ELi32ELi64ELi128ELi4ELi4ELi64ELi4ELi64ELc84ELc78ELb1ELb1ELb0EfKffEEviiiT16_PT17_ilS6_ilS4_S6_ilPT18_ili26rocblas_geam_ex_operation_.num_agpr, 0
	.set _ZN12_GLOBAL__N_120geam_min_plus_kernelIf15HIP_vector_typeIfLj2EES2_Li8ELi32ELi64ELi128ELi4ELi4ELi64ELi4ELi64ELc84ELc78ELb1ELb1ELb0EfKffEEviiiT16_PT17_ilS6_ilS4_S6_ilPT18_ili26rocblas_geam_ex_operation_.numbered_sgpr, 36
	.set _ZN12_GLOBAL__N_120geam_min_plus_kernelIf15HIP_vector_typeIfLj2EES2_Li8ELi32ELi64ELi128ELi4ELi4ELi64ELi4ELi64ELc84ELc78ELb1ELb1ELb0EfKffEEviiiT16_PT17_ilS6_ilS4_S6_ilPT18_ili26rocblas_geam_ex_operation_.num_named_barrier, 0
	.set _ZN12_GLOBAL__N_120geam_min_plus_kernelIf15HIP_vector_typeIfLj2EES2_Li8ELi32ELi64ELi128ELi4ELi4ELi64ELi4ELi64ELc84ELc78ELb1ELb1ELb0EfKffEEviiiT16_PT17_ilS6_ilS4_S6_ilPT18_ili26rocblas_geam_ex_operation_.private_seg_size, 0
	.set _ZN12_GLOBAL__N_120geam_min_plus_kernelIf15HIP_vector_typeIfLj2EES2_Li8ELi32ELi64ELi128ELi4ELi4ELi64ELi4ELi64ELc84ELc78ELb1ELb1ELb0EfKffEEviiiT16_PT17_ilS6_ilS4_S6_ilPT18_ili26rocblas_geam_ex_operation_.uses_vcc, 1
	.set _ZN12_GLOBAL__N_120geam_min_plus_kernelIf15HIP_vector_typeIfLj2EES2_Li8ELi32ELi64ELi128ELi4ELi4ELi64ELi4ELi64ELc84ELc78ELb1ELb1ELb0EfKffEEviiiT16_PT17_ilS6_ilS4_S6_ilPT18_ili26rocblas_geam_ex_operation_.uses_flat_scratch, 0
	.set _ZN12_GLOBAL__N_120geam_min_plus_kernelIf15HIP_vector_typeIfLj2EES2_Li8ELi32ELi64ELi128ELi4ELi4ELi64ELi4ELi64ELc84ELc78ELb1ELb1ELb0EfKffEEviiiT16_PT17_ilS6_ilS4_S6_ilPT18_ili26rocblas_geam_ex_operation_.has_dyn_sized_stack, 0
	.set _ZN12_GLOBAL__N_120geam_min_plus_kernelIf15HIP_vector_typeIfLj2EES2_Li8ELi32ELi64ELi128ELi4ELi4ELi64ELi4ELi64ELc84ELc78ELb1ELb1ELb0EfKffEEviiiT16_PT17_ilS6_ilS4_S6_ilPT18_ili26rocblas_geam_ex_operation_.has_recursion, 0
	.set _ZN12_GLOBAL__N_120geam_min_plus_kernelIf15HIP_vector_typeIfLj2EES2_Li8ELi32ELi64ELi128ELi4ELi4ELi64ELi4ELi64ELc84ELc78ELb1ELb1ELb0EfKffEEviiiT16_PT17_ilS6_ilS4_S6_ilPT18_ili26rocblas_geam_ex_operation_.has_indirect_call, 0
	.section	.AMDGPU.csdata,"",@progbits
; Kernel info:
; codeLenInByte = 7760
; TotalNumSgprs: 42
; NumVgprs: 118
; NumAgprs: 0
; TotalNumVgprs: 118
; ScratchSize: 0
; MemoryBound: 0
; FloatMode: 240
; IeeeMode: 1
; LDSByteSize: 6144 bytes/workgroup (compile time only)
; SGPRBlocks: 5
; VGPRBlocks: 14
; NumSGPRsForWavesPerEU: 42
; NumVGPRsForWavesPerEU: 118
; AccumOffset: 120
; Occupancy: 4
; WaveLimiterHint : 0
; COMPUTE_PGM_RSRC2:SCRATCH_EN: 0
; COMPUTE_PGM_RSRC2:USER_SGPR: 2
; COMPUTE_PGM_RSRC2:TRAP_HANDLER: 0
; COMPUTE_PGM_RSRC2:TGID_X_EN: 1
; COMPUTE_PGM_RSRC2:TGID_Y_EN: 0
; COMPUTE_PGM_RSRC2:TGID_Z_EN: 1
; COMPUTE_PGM_RSRC2:TIDIG_COMP_CNT: 1
; COMPUTE_PGM_RSRC3_GFX90A:ACCUM_OFFSET: 29
; COMPUTE_PGM_RSRC3_GFX90A:TG_SPLIT: 0
	.section	.text._ZN12_GLOBAL__N_120geam_min_plus_kernelIf15HIP_vector_typeIfLj2EES2_Li8ELi32ELi64ELi128ELi4ELi4ELi64ELi4ELi64ELc84ELc78ELb0ELb1ELb0EfKffEEviiiT16_PT17_ilS6_ilS4_S6_ilPT18_ili26rocblas_geam_ex_operation_,"axG",@progbits,_ZN12_GLOBAL__N_120geam_min_plus_kernelIf15HIP_vector_typeIfLj2EES2_Li8ELi32ELi64ELi128ELi4ELi4ELi64ELi4ELi64ELc84ELc78ELb0ELb1ELb0EfKffEEviiiT16_PT17_ilS6_ilS4_S6_ilPT18_ili26rocblas_geam_ex_operation_,comdat
	.globl	_ZN12_GLOBAL__N_120geam_min_plus_kernelIf15HIP_vector_typeIfLj2EES2_Li8ELi32ELi64ELi128ELi4ELi4ELi64ELi4ELi64ELc84ELc78ELb0ELb1ELb0EfKffEEviiiT16_PT17_ilS6_ilS4_S6_ilPT18_ili26rocblas_geam_ex_operation_ ; -- Begin function _ZN12_GLOBAL__N_120geam_min_plus_kernelIf15HIP_vector_typeIfLj2EES2_Li8ELi32ELi64ELi128ELi4ELi4ELi64ELi4ELi64ELc84ELc78ELb0ELb1ELb0EfKffEEviiiT16_PT17_ilS6_ilS4_S6_ilPT18_ili26rocblas_geam_ex_operation_
	.p2align	8
	.type	_ZN12_GLOBAL__N_120geam_min_plus_kernelIf15HIP_vector_typeIfLj2EES2_Li8ELi32ELi64ELi128ELi4ELi4ELi64ELi4ELi64ELc84ELc78ELb0ELb1ELb0EfKffEEviiiT16_PT17_ilS6_ilS4_S6_ilPT18_ili26rocblas_geam_ex_operation_,@function
_ZN12_GLOBAL__N_120geam_min_plus_kernelIf15HIP_vector_typeIfLj2EES2_Li8ELi32ELi64ELi128ELi4ELi4ELi64ELi4ELi64ELc84ELc78ELb0ELb1ELb0EfKffEEviiiT16_PT17_ilS6_ilS4_S6_ilPT18_ili26rocblas_geam_ex_operation_: ; @_ZN12_GLOBAL__N_120geam_min_plus_kernelIf15HIP_vector_typeIfLj2EES2_Li8ELi32ELi64ELi128ELi4ELi4ELi64ELi4ELi64ELc84ELc78ELb0ELb1ELb0EfKffEEviiiT16_PT17_ilS6_ilS4_S6_ilPT18_ili26rocblas_geam_ex_operation_
; %bb.0:
	s_load_dwordx4 s[20:23], s[0:1], 0x0
	s_load_dwordx4 s[4:7], s[0:1], 0x20
	s_waitcnt lgkmcnt(0)
	v_cmp_eq_f32_e64 s[8:9], s23, 0
	v_cmp_neq_f32_e64 s[14:15], s23, 0
	s_and_b64 vcc, exec, s[8:9]
	s_cbranch_vccnz .LBB89_45
; %bb.1:
	s_load_dwordx2 s[10:11], s[0:1], 0x10
	s_mul_i32 s5, s5, s3
	s_mul_hi_u32 s12, s4, s3
	s_add_i32 s5, s12, s5
	s_mul_i32 s4, s4, s3
	s_lshl_b64 s[4:5], s[4:5], 2
	s_waitcnt lgkmcnt(0)
	s_add_u32 s18, s10, s4
	s_addc_u32 s19, s11, s5
	s_andn2_b64 vcc, exec, s[8:9]
	s_mov_b64 s[4:5], -1
	s_cbranch_vccnz .LBB89_3
.LBB89_2:
	s_mov_b64 s[4:5], 0
.LBB89_3:
	s_mov_b64 s[24:25], 0
	s_andn2_b64 vcc, exec, s[4:5]
	s_mov_b64 s[16:17], 0
	s_cbranch_vccnz .LBB89_5
; %bb.4:
	s_load_dwordx2 s[4:5], s[0:1], 0x38
	s_waitcnt lgkmcnt(0)
	s_mul_i32 s5, s5, s3
	s_mul_hi_u32 s8, s4, s3
	s_add_i32 s5, s8, s5
	s_mul_i32 s4, s4, s3
	s_lshl_b64 s[4:5], s[4:5], 2
	s_add_u32 s16, s6, s4
	s_addc_u32 s17, s7, s5
.LBB89_5:
	s_load_dword s28, s[0:1], 0x40
	s_load_dwordx4 s[8:11], s[0:1], 0x58
	s_waitcnt lgkmcnt(0)
	v_cmp_eq_f32_e64 s[4:5], s28, 0
	v_cmp_neq_f32_e64 s[12:13], s28, 0
	s_and_b64 vcc, exec, s[4:5]
	s_cbranch_vccnz .LBB89_7
; %bb.6:
	s_load_dwordx2 s[4:5], s[0:1], 0x48
	s_mul_i32 s6, s9, s3
	s_mul_hi_u32 s7, s8, s3
	s_add_i32 s7, s7, s6
	s_mul_i32 s6, s8, s3
	s_lshl_b64 s[6:7], s[6:7], 2
	s_waitcnt lgkmcnt(0)
	s_add_u32 s24, s4, s6
	s_addc_u32 s25, s5, s7
.LBB89_7:
	s_add_i32 s4, s20, -1
	s_ashr_i32 s5, s4, 31
	s_lshr_b32 s5, s5, 26
	s_add_i32 s4, s4, s5
	s_ashr_i32 s4, s4, 6
	s_add_i32 s5, s4, 1
	v_cvt_f32_u32_e32 v1, s5
	v_and_b32_e32 v76, 0x3ff, v0
	v_bfe_u32 v77, v0, 10, 10
	v_and_b32_e32 v78, 3, v0
	v_rcp_iflag_f32_e32 v1, v1
	s_not_b32 s4, s4
	s_load_dword s31, s[0:1], 0x18
	v_cmp_gt_i32_e32 vcc, s22, v78
	v_mul_f32_e32 v0, 0x4f7ffffe, v1
	v_cvt_u32_f32_e32 v0, v0
	v_lshl_add_u32 v1, v77, 3, v76
	v_lshrrev_b32_e32 v70, 2, v1
	v_mov_b32_e32 v2, 0
	v_readfirstlane_b32 s6, v0
	s_mul_i32 s4, s4, s6
	s_mul_hi_u32 s4, s6, s4
	s_add_i32 s6, s6, s4
	s_mul_hi_u32 s4, s2, s6
	s_mul_i32 s6, s4, s5
	s_sub_i32 s6, s2, s6
	s_add_i32 s7, s4, 1
	s_sub_i32 s8, s6, s5
	s_cmp_ge_u32 s6, s5
	s_cselect_b32 s4, s7, s4
	s_cselect_b32 s6, s8, s6
	s_add_i32 s7, s4, 1
	s_cmp_ge_u32 s6, s5
	s_cselect_b32 s8, s7, s4
	s_mul_i32 s4, s8, s5
	s_sub_i32 s2, s2, s4
	s_lshl_b32 s2, s2, 6
	v_add_u32_e32 v71, s2, v70
	v_cmp_gt_i32_e64 s[4:5], s20, v71
	s_and_b64 s[6:7], vcc, s[4:5]
	s_and_b64 s[26:27], s[14:15], s[6:7]
	v_lshlrev_b32_e32 v68, 2, v78
	v_mov_b32_e32 v3, 0
	s_and_saveexec_b64 s[6:7], s[26:27]
	s_cbranch_execz .LBB89_9
; %bb.8:
	s_waitcnt lgkmcnt(0)
	v_mad_i64_i32 v[0:1], s[26:27], v71, s31, 0
	v_lshl_add_u64 v[0:1], v[0:1], 2, s[18:19]
	v_mov_b32_e32 v69, 0
	v_lshl_add_u64 v[0:1], v[0:1], 0, v[68:69]
	global_load_dword v0, v[0:1], off
	s_waitcnt vmcnt(0)
	v_mul_f32_e32 v3, s23, v0
.LBB89_9:
	s_or_b64 exec, exec, s[6:7]
	s_load_dword s33, s[0:1], 0x30
	s_lshl_b32 s29, s8, 7
	v_add_u32_e32 v72, s29, v70
	s_add_i32 s30, s22, -1
	v_min_i32_e32 v0, s30, v78
	v_cmp_le_i32_e64 s[6:7], s21, v72
	s_xor_b64 s[26:27], s[14:15], -1
	v_cmp_le_i32_e32 vcc, s22, v78
	v_ashrrev_i32_e32 v1, 31, v0
	s_or_b64 s[8:9], s[6:7], s[26:27]
	v_lshl_add_u64 v[0:1], v[0:1], 2, s[16:17]
	s_nor_b64 s[34:35], vcc, s[8:9]
	s_and_saveexec_b64 s[6:7], s[34:35]
	s_cbranch_execz .LBB89_11
; %bb.10:
	s_waitcnt lgkmcnt(0)
	v_mad_i64_i32 v[4:5], s[34:35], v72, s33, 0
	v_lshl_add_u64 v[4:5], v[4:5], 2, v[0:1]
	global_load_dword v2, v[4:5], off
	s_waitcnt vmcnt(0)
	v_mul_f32_e32 v2, s23, v2
.LBB89_11:
	s_or_b64 exec, exec, s[6:7]
	v_add_u32_e32 v73, 64, v72
	v_cmp_le_i32_e64 s[6:7], s21, v73
	s_or_b64 s[6:7], s[6:7], s[26:27]
	s_nor_b64 s[34:35], vcc, s[6:7]
	v_mov_b32_e32 v69, 0
	v_mov_b32_e32 v4, 0
	s_and_saveexec_b64 s[26:27], s[34:35]
	s_cbranch_execz .LBB89_13
; %bb.12:
	s_waitcnt lgkmcnt(0)
	v_mad_i64_i32 v[4:5], s[34:35], v73, s33, 0
	v_lshl_add_u64 v[0:1], v[4:5], 2, v[0:1]
	global_load_dword v0, v[0:1], off
	s_waitcnt vmcnt(0)
	v_mul_f32_e32 v4, s23, v0
.LBB89_13:
	s_or_b64 exec, exec, s[26:27]
	v_or_b32_e32 v0, 4, v78
	v_cmp_gt_i32_e32 vcc, s22, v0
	s_and_b64 s[26:27], vcc, s[4:5]
	s_and_b64 s[34:35], s[14:15], s[26:27]
	s_and_saveexec_b64 s[26:27], s[34:35]
	s_cbranch_execz .LBB89_15
; %bb.14:
	s_waitcnt lgkmcnt(0)
	v_mad_i64_i32 v[6:7], s[34:35], v71, s31, 0
	v_lshl_add_u64 v[6:7], v[6:7], 2, s[18:19]
	v_mov_b32_e32 v69, 0
	v_lshl_add_u64 v[6:7], v[6:7], 0, v[68:69]
	global_load_dword v1, v[6:7], off offset:16
	s_waitcnt vmcnt(0)
	v_mul_f32_e32 v69, s23, v1
.LBB89_15:
	s_or_b64 exec, exec, s[26:27]
	v_cmp_le_i32_e32 vcc, s22, v0
	v_min_i32_e32 v0, s30, v0
	v_ashrrev_i32_e32 v1, 31, v0
	v_lshl_add_u64 v[0:1], v[0:1], 2, s[16:17]
	s_nor_b64 s[34:35], vcc, s[8:9]
	v_mov_b32_e32 v74, 0
	v_mov_b32_e32 v75, 0
	s_and_saveexec_b64 s[26:27], s[34:35]
	s_cbranch_execz .LBB89_17
; %bb.16:
	s_waitcnt lgkmcnt(0)
	v_mad_i64_i32 v[6:7], s[34:35], v72, s33, 0
	v_lshl_add_u64 v[6:7], v[6:7], 2, v[0:1]
	global_load_dword v5, v[6:7], off
	s_waitcnt vmcnt(0)
	v_mul_f32_e32 v75, s23, v5
.LBB89_17:
	s_or_b64 exec, exec, s[26:27]
	s_nor_b64 s[34:35], vcc, s[6:7]
	s_and_saveexec_b64 s[26:27], s[34:35]
	s_cbranch_execz .LBB89_19
; %bb.18:
	s_waitcnt lgkmcnt(0)
	v_mad_i64_i32 v[6:7], s[34:35], v73, s33, 0
	v_lshl_add_u64 v[0:1], v[6:7], 2, v[0:1]
	global_load_dword v0, v[0:1], off
	s_waitcnt vmcnt(0)
	v_mul_f32_e32 v74, s23, v0
.LBB89_19:
	s_or_b64 exec, exec, s[26:27]
	v_lshlrev_b32_e32 v0, 4, v70
	v_lshl_or_b32 v79, v78, 2, v0
	v_mov_b32_e32 v0, 0x1000
	v_mov_b32_e32 v66, 0
	ds_write_b32 v79, v3 offset:4096
	ds_write2st64_b32 v79, v2, v4 offset1:4
	v_lshl_add_u32 v80, v76, 4, v0
	s_mov_b32 s34, 0
	s_mov_b64 s[26:27], -1
	v_mov_b32_e32 v67, v66
	v_mov_b32_e32 v64, v66
	;; [unrolled: 1-line block ×63, first 2 shown]
	v_add_u32_e32 v81, 0x1000, v79
	v_lshlrev_b32_e32 v82, 4, v77
	s_waitcnt lgkmcnt(0)
	s_barrier
.LBB89_20:                              ; =>This Inner Loop Header: Depth=1
	v_cndmask_b32_e64 v0, 0, 1, s[26:27]
	s_lshl_b32 s26, s34, 2
	v_cmp_ne_u32_e32 vcc, 1, v0
	v_add_u32_e32 v0, s26, v80
	ds_read2_b64 v[84:87], v0 offset1:16
	ds_read2_b64 v[88:91], v0 offset0:32 offset1:48
	ds_read2_b64 v[92:95], v0 offset0:64 offset1:80
	;; [unrolled: 1-line block ×3, first 2 shown]
	v_add_u32_e32 v0, s26, v82
	ds_read2st64_b64 v[100:103], v0 offset1:1
	ds_read2st64_b64 v[0:3], v0 offset0:2 offset1:3
	s_waitcnt lgkmcnt(5)
	v_max_f32_e32 v104, v85, v85
	v_max_f32_e32 v86, v86, v86
	;; [unrolled: 1-line block ×3, first 2 shown]
	s_waitcnt lgkmcnt(1)
	v_max_f32_e32 v83, v100, v100
	v_max_f32_e32 v100, v84, v84
	v_max_f32_e32 v101, v101, v101
	v_min_f32_e32 v84, v100, v83
	v_min_f32_e32 v85, v104, v101
	v_pk_add_f32 v[66:67], v[66:67], v[84:85]
	v_min_f32_e32 v84, v86, v83
	v_min_f32_e32 v85, v87, v101
	v_max_f32_e32 v88, v88, v88
	v_max_f32_e32 v89, v89, v89
	v_pk_add_f32 v[64:65], v[64:65], v[84:85]
	v_min_f32_e32 v84, v88, v83
	v_min_f32_e32 v85, v89, v101
	v_max_f32_e32 v90, v90, v90
	v_max_f32_e32 v91, v91, v91
	;; [unrolled: 5-line block ×5, first 2 shown]
	v_pk_add_f32 v[56:57], v[56:57], v[84:85]
	v_min_f32_e32 v84, v96, v83
	v_min_f32_e32 v85, v97, v101
	v_max_f32_e32 v98, v98, v98
	v_pk_add_f32 v[54:55], v[54:55], v[84:85]
	v_min_f32_e32 v84, v98, v83
	v_max_f32_e32 v83, v99, v99
	v_min_f32_e32 v85, v83, v101
	v_max_f32_e32 v99, v102, v102
	v_max_f32_e32 v101, v103, v103
	v_pk_add_f32 v[52:53], v[52:53], v[84:85]
	v_min_f32_e32 v84, v100, v99
	v_min_f32_e32 v85, v104, v101
	v_pk_add_f32 v[50:51], v[50:51], v[84:85]
	v_min_f32_e32 v84, v86, v99
	v_min_f32_e32 v85, v87, v101
	;; [unrolled: 3-line block ×8, first 2 shown]
	v_pk_add_f32 v[36:37], v[36:37], v[84:85]
	s_waitcnt lgkmcnt(0)
	v_max_f32_e32 v84, v0, v0
	v_max_f32_e32 v85, v1, v1
	v_min_f32_e32 v0, v100, v84
	v_min_f32_e32 v1, v104, v85
	v_pk_add_f32 v[34:35], v[34:35], v[0:1]
	v_min_f32_e32 v0, v86, v84
	v_min_f32_e32 v1, v87, v85
	v_pk_add_f32 v[32:33], v[32:33], v[0:1]
	;; [unrolled: 3-line block ×7, first 2 shown]
	v_min_f32_e32 v0, v98, v84
	v_min_f32_e32 v1, v83, v85
	v_max_f32_e32 v2, v2, v2
	v_max_f32_e32 v3, v3, v3
	v_pk_add_f32 v[20:21], v[20:21], v[0:1]
	v_min_f32_e32 v0, v100, v2
	v_min_f32_e32 v1, v104, v3
	v_pk_add_f32 v[18:19], v[18:19], v[0:1]
	v_min_f32_e32 v0, v86, v2
	v_min_f32_e32 v1, v87, v3
	;; [unrolled: 3-line block ×8, first 2 shown]
	v_pk_add_f32 v[4:5], v[4:5], v[0:1]
	s_mov_b64 s[26:27], 0
	s_mov_b32 s34, 2
	s_cbranch_vccz .LBB89_20
; %bb.21:
	v_lshl_or_b32 v0, v70, 4, v68
	s_cmp_lt_i32 s22, 9
	ds_write_b32 v0, v69 offset:5120
	ds_write2st64_b32 v0, v75, v74 offset0:8 offset1:12
	s_waitcnt lgkmcnt(0)
	s_barrier
	s_cbranch_scc1 .LBB89_40
; %bb.22:
	v_add_u32_e32 v83, 0x1400, v0
	v_add_u32_e32 v84, 0x800, v0
	v_mad_i64_i32 v[0:1], s[34:35], v71, s31, 0
	v_lshl_add_u64 v[68:69], v[0:1], 2, s[18:19]
	v_mov_b32_e32 v0, 0x1400
	v_lshl_add_u32 v85, v76, 4, v0
	v_mov_b32_e32 v0, 0x800
	s_add_i32 s26, s22, -8
	v_mad_i64_i32 v[70:71], s[18:19], v72, s33, 0
	v_mad_i64_i32 v[72:73], s[18:19], v73, s33, 0
	v_lshl_add_u32 v86, v77, 4, v0
	s_mov_b32 s27, 8
	s_mov_b32 s31, 0
	v_mov_b32_e32 v75, 0
.LBB89_23:                              ; =>This Loop Header: Depth=1
                                        ;     Child Loop BB89_30 Depth 2
                                        ;     Child Loop BB89_38 Depth 2
	v_or_b32_e32 v74, s27, v78
	v_cmp_gt_i32_e32 vcc, s22, v74
	s_and_b64 s[18:19], vcc, s[4:5]
	s_and_b64 s[34:35], s[14:15], s[18:19]
	v_mov_b32_e32 v87, 0
	s_and_saveexec_b64 s[18:19], s[34:35]
	s_cbranch_execz .LBB89_25
; %bb.24:                               ;   in Loop: Header=BB89_23 Depth=1
	v_lshl_add_u64 v[0:1], v[74:75], 2, v[68:69]
	global_load_dword v0, v[0:1], off
	s_waitcnt vmcnt(0)
	v_mul_f32_e32 v87, s23, v0
.LBB89_25:                              ;   in Loop: Header=BB89_23 Depth=1
	s_or_b64 exec, exec, s[18:19]
	v_min_i32_e32 v0, s30, v74
	v_cmp_le_i32_e32 vcc, s22, v74
	v_ashrrev_i32_e32 v1, 31, v0
	v_lshl_add_u64 v[0:1], v[0:1], 2, s[16:17]
	s_nor_b64 s[34:35], s[8:9], vcc
	v_mov_b32_e32 v88, 0
	v_mov_b32_e32 v89, 0
	s_and_saveexec_b64 s[18:19], s[34:35]
	s_cbranch_execz .LBB89_27
; %bb.26:                               ;   in Loop: Header=BB89_23 Depth=1
	v_lshl_add_u64 v[2:3], v[70:71], 2, v[0:1]
	global_load_dword v2, v[2:3], off
	s_waitcnt vmcnt(0)
	v_mul_f32_e32 v89, s23, v2
.LBB89_27:                              ;   in Loop: Header=BB89_23 Depth=1
	s_or_b64 exec, exec, s[18:19]
	s_nor_b64 s[34:35], s[6:7], vcc
	s_and_saveexec_b64 s[18:19], s[34:35]
	s_cbranch_execz .LBB89_29
; %bb.28:                               ;   in Loop: Header=BB89_23 Depth=1
	v_lshl_add_u64 v[0:1], v[72:73], 2, v[0:1]
	global_load_dword v0, v[0:1], off
	s_waitcnt vmcnt(0)
	v_mul_f32_e32 v88, s23, v0
.LBB89_29:                              ;   in Loop: Header=BB89_23 Depth=1
	s_or_b64 exec, exec, s[18:19]
	s_mov_b32 s33, 0
	s_mov_b64 s[18:19], -1
.LBB89_30:                              ;   Parent Loop BB89_23 Depth=1
                                        ; =>  This Inner Loop Header: Depth=2
	v_cndmask_b32_e64 v0, 0, 1, s[18:19]
	s_lshl_b32 s18, s33, 2
	v_cmp_ne_u32_e32 vcc, 1, v0
	v_add_u32_e32 v0, s18, v85
	ds_read2_b64 v[90:93], v0 offset1:16
	ds_read2_b64 v[94:97], v0 offset0:32 offset1:48
	ds_read2_b64 v[98:101], v0 offset0:64 offset1:80
	;; [unrolled: 1-line block ×3, first 2 shown]
	v_add_u32_e32 v0, s18, v86
	ds_read2st64_b64 v[106:109], v0 offset1:1
	ds_read2st64_b64 v[0:3], v0 offset0:2 offset1:3
	s_waitcnt lgkmcnt(5)
	v_max_f32_e32 v110, v90, v90
	v_max_f32_e32 v111, v91, v91
	;; [unrolled: 1-line block ×3, first 2 shown]
	s_waitcnt lgkmcnt(1)
	v_max_f32_e32 v106, v106, v106
	v_max_f32_e32 v107, v107, v107
	v_min_f32_e32 v90, v110, v106
	v_min_f32_e32 v91, v111, v107
	v_max_f32_e32 v93, v93, v93
	v_pk_add_f32 v[66:67], v[66:67], v[90:91]
	v_min_f32_e32 v90, v92, v106
	v_min_f32_e32 v91, v93, v107
	v_max_f32_e32 v94, v94, v94
	v_max_f32_e32 v95, v95, v95
	v_pk_add_f32 v[64:65], v[64:65], v[90:91]
	v_min_f32_e32 v90, v94, v106
	v_min_f32_e32 v91, v95, v107
	v_max_f32_e32 v96, v96, v96
	;; [unrolled: 5-line block ×7, first 2 shown]
	v_max_f32_e32 v107, v109, v109
	v_pk_add_f32 v[52:53], v[52:53], v[90:91]
	v_min_f32_e32 v90, v110, v106
	v_min_f32_e32 v91, v111, v107
	v_pk_add_f32 v[50:51], v[50:51], v[90:91]
	v_min_f32_e32 v90, v92, v106
	v_min_f32_e32 v91, v93, v107
	;; [unrolled: 3-line block ×8, first 2 shown]
	v_pk_add_f32 v[36:37], v[36:37], v[90:91]
	s_waitcnt lgkmcnt(0)
	v_max_f32_e32 v90, v0, v0
	v_max_f32_e32 v91, v1, v1
	v_min_f32_e32 v0, v110, v90
	v_min_f32_e32 v1, v111, v91
	v_pk_add_f32 v[34:35], v[34:35], v[0:1]
	v_min_f32_e32 v0, v92, v90
	v_min_f32_e32 v1, v93, v91
	v_pk_add_f32 v[32:33], v[32:33], v[0:1]
	;; [unrolled: 3-line block ×7, first 2 shown]
	v_min_f32_e32 v0, v104, v90
	v_min_f32_e32 v1, v105, v91
	v_max_f32_e32 v2, v2, v2
	v_max_f32_e32 v3, v3, v3
	v_pk_add_f32 v[20:21], v[20:21], v[0:1]
	v_min_f32_e32 v0, v110, v2
	v_min_f32_e32 v1, v111, v3
	v_pk_add_f32 v[18:19], v[18:19], v[0:1]
	v_min_f32_e32 v0, v92, v2
	v_min_f32_e32 v1, v93, v3
	;; [unrolled: 3-line block ×8, first 2 shown]
	v_pk_add_f32 v[4:5], v[4:5], v[0:1]
	s_mov_b64 s[18:19], 0
	s_mov_b32 s33, 2
	s_cbranch_vccz .LBB89_30
; %bb.31:                               ;   in Loop: Header=BB89_23 Depth=1
	v_or_b32_e32 v0, 4, v74
	v_cmp_gt_i32_e32 vcc, s22, v0
	s_and_b64 s[18:19], vcc, s[4:5]
	ds_write_b32 v81, v87
	ds_write2st64_b32 v79, v89, v88 offset1:4
	s_and_b64 s[34:35], s[14:15], s[18:19]
	v_mov_b32_e32 v87, 0
	v_mov_b32_e32 v88, 0
	s_waitcnt lgkmcnt(0)
	s_barrier
	s_and_saveexec_b64 s[18:19], s[34:35]
	s_cbranch_execz .LBB89_33
; %bb.32:                               ;   in Loop: Header=BB89_23 Depth=1
	v_lshl_add_u64 v[2:3], v[74:75], 2, v[68:69]
	global_load_dword v1, v[2:3], off offset:16
	s_waitcnt vmcnt(0)
	v_mul_f32_e32 v88, s23, v1
.LBB89_33:                              ;   in Loop: Header=BB89_23 Depth=1
	s_or_b64 exec, exec, s[18:19]
	v_cmp_le_i32_e32 vcc, s22, v0
	v_min_i32_e32 v0, s30, v0
	v_ashrrev_i32_e32 v1, 31, v0
	v_lshl_add_u64 v[0:1], v[0:1], 2, s[16:17]
	s_nor_b64 s[34:35], s[8:9], vcc
	s_and_saveexec_b64 s[18:19], s[34:35]
	s_cbranch_execz .LBB89_35
; %bb.34:                               ;   in Loop: Header=BB89_23 Depth=1
	v_lshl_add_u64 v[2:3], v[70:71], 2, v[0:1]
	global_load_dword v2, v[2:3], off
	s_waitcnt vmcnt(0)
	v_mul_f32_e32 v87, s23, v2
.LBB89_35:                              ;   in Loop: Header=BB89_23 Depth=1
	s_or_b64 exec, exec, s[18:19]
	s_nor_b64 s[34:35], s[6:7], vcc
	v_mov_b32_e32 v74, 0
	s_and_saveexec_b64 s[18:19], s[34:35]
	s_cbranch_execz .LBB89_37
; %bb.36:                               ;   in Loop: Header=BB89_23 Depth=1
	v_lshl_add_u64 v[0:1], v[72:73], 2, v[0:1]
	global_load_dword v0, v[0:1], off
	s_waitcnt vmcnt(0)
	v_mul_f32_e32 v74, s23, v0
.LBB89_37:                              ;   in Loop: Header=BB89_23 Depth=1
	s_or_b64 exec, exec, s[18:19]
	s_mov_b32 s33, 0
	s_mov_b64 s[18:19], -1
.LBB89_38:                              ;   Parent Loop BB89_23 Depth=1
                                        ; =>  This Inner Loop Header: Depth=2
	v_cndmask_b32_e64 v0, 0, 1, s[18:19]
	s_lshl_b32 s18, s33, 2
	v_cmp_ne_u32_e32 vcc, 1, v0
	v_add_u32_e32 v0, s18, v80
	ds_read2_b64 v[90:93], v0 offset1:16
	ds_read2_b64 v[94:97], v0 offset0:32 offset1:48
	ds_read2_b64 v[98:101], v0 offset0:64 offset1:80
	;; [unrolled: 1-line block ×3, first 2 shown]
	v_add_u32_e32 v0, s18, v82
	ds_read2st64_b64 v[106:109], v0 offset1:1
	ds_read2st64_b64 v[0:3], v0 offset0:2 offset1:3
	s_waitcnt lgkmcnt(5)
	v_max_f32_e32 v110, v91, v91
	v_max_f32_e32 v92, v92, v92
	;; [unrolled: 1-line block ×3, first 2 shown]
	s_waitcnt lgkmcnt(1)
	v_max_f32_e32 v89, v106, v106
	v_max_f32_e32 v106, v90, v90
	;; [unrolled: 1-line block ×3, first 2 shown]
	v_min_f32_e32 v90, v106, v89
	v_min_f32_e32 v91, v110, v107
	v_pk_add_f32 v[66:67], v[66:67], v[90:91]
	v_min_f32_e32 v90, v92, v89
	v_min_f32_e32 v91, v93, v107
	v_max_f32_e32 v94, v94, v94
	v_max_f32_e32 v95, v95, v95
	v_pk_add_f32 v[64:65], v[64:65], v[90:91]
	v_min_f32_e32 v90, v94, v89
	v_min_f32_e32 v91, v95, v107
	v_max_f32_e32 v96, v96, v96
	v_max_f32_e32 v97, v97, v97
	;; [unrolled: 5-line block ×5, first 2 shown]
	v_pk_add_f32 v[56:57], v[56:57], v[90:91]
	v_min_f32_e32 v90, v102, v89
	v_min_f32_e32 v91, v103, v107
	v_max_f32_e32 v104, v104, v104
	v_pk_add_f32 v[54:55], v[54:55], v[90:91]
	v_min_f32_e32 v90, v104, v89
	v_max_f32_e32 v89, v105, v105
	v_min_f32_e32 v91, v89, v107
	v_max_f32_e32 v105, v108, v108
	v_max_f32_e32 v107, v109, v109
	v_pk_add_f32 v[52:53], v[52:53], v[90:91]
	v_min_f32_e32 v90, v106, v105
	v_min_f32_e32 v91, v110, v107
	v_pk_add_f32 v[50:51], v[50:51], v[90:91]
	v_min_f32_e32 v90, v92, v105
	v_min_f32_e32 v91, v93, v107
	;; [unrolled: 3-line block ×8, first 2 shown]
	v_pk_add_f32 v[36:37], v[36:37], v[90:91]
	s_waitcnt lgkmcnt(0)
	v_max_f32_e32 v90, v0, v0
	v_max_f32_e32 v91, v1, v1
	v_min_f32_e32 v0, v106, v90
	v_min_f32_e32 v1, v110, v91
	v_pk_add_f32 v[34:35], v[34:35], v[0:1]
	v_min_f32_e32 v0, v92, v90
	v_min_f32_e32 v1, v93, v91
	v_pk_add_f32 v[32:33], v[32:33], v[0:1]
	;; [unrolled: 3-line block ×7, first 2 shown]
	v_min_f32_e32 v0, v104, v90
	v_min_f32_e32 v1, v89, v91
	v_max_f32_e32 v2, v2, v2
	v_max_f32_e32 v3, v3, v3
	v_pk_add_f32 v[20:21], v[20:21], v[0:1]
	v_min_f32_e32 v0, v106, v2
	v_min_f32_e32 v1, v110, v3
	v_pk_add_f32 v[18:19], v[18:19], v[0:1]
	v_min_f32_e32 v0, v92, v2
	v_min_f32_e32 v1, v93, v3
	;; [unrolled: 3-line block ×8, first 2 shown]
	v_pk_add_f32 v[4:5], v[4:5], v[0:1]
	s_mov_b64 s[18:19], 0
	s_mov_b32 s33, 2
	s_cbranch_vccz .LBB89_38
; %bb.39:                               ;   in Loop: Header=BB89_23 Depth=1
	s_add_i32 s27, s27, 8
	s_add_i32 s31, s31, 8
	s_cmp_ge_i32 s31, s26
	ds_write_b32 v83, v88
	ds_write2st64_b32 v84, v87, v74 offset1:4
	s_waitcnt lgkmcnt(0)
	s_barrier
	s_cbranch_scc0 .LBB89_23
.LBB89_40:
	v_mov_b32_e32 v0, 0x1400
	v_lshl_add_u32 v68, v76, 4, v0
	v_mov_b32_e32 v0, 0x800
	v_lshl_add_u32 v69, v77, 4, v0
	s_mov_b32 s6, 0
	s_mov_b64 s[4:5], -1
.LBB89_41:                              ; =>This Inner Loop Header: Depth=1
	v_cndmask_b32_e64 v0, 0, 1, s[4:5]
	s_lshl_b32 s4, s6, 2
	v_cmp_ne_u32_e32 vcc, 1, v0
	v_add_u32_e32 v0, s4, v68
	ds_read2_b64 v[70:73], v0 offset1:16
	ds_read2_b64 v[78:81], v0 offset0:32 offset1:48
	ds_read2_b64 v[82:85], v0 offset0:64 offset1:80
	ds_read2_b64 v[86:89], v0 offset0:96 offset1:112
	v_add_u32_e32 v0, s4, v69
	ds_read2st64_b64 v[90:93], v0 offset1:1
	ds_read2st64_b64 v[0:3], v0 offset0:2 offset1:3
	s_waitcnt lgkmcnt(5)
	v_max_f32_e32 v75, v70, v70
	v_max_f32_e32 v72, v72, v72
	;; [unrolled: 1-line block ×3, first 2 shown]
	s_waitcnt lgkmcnt(1)
	v_max_f32_e32 v74, v90, v90
	v_max_f32_e32 v90, v91, v91
	;; [unrolled: 1-line block ×3, first 2 shown]
	v_min_f32_e32 v70, v75, v74
	v_min_f32_e32 v71, v91, v90
	v_pk_add_f32 v[66:67], v[66:67], v[70:71]
	v_min_f32_e32 v70, v72, v74
	v_min_f32_e32 v71, v73, v90
	v_max_f32_e32 v78, v78, v78
	v_max_f32_e32 v79, v79, v79
	v_pk_add_f32 v[64:65], v[64:65], v[70:71]
	v_min_f32_e32 v70, v78, v74
	v_min_f32_e32 v71, v79, v90
	v_max_f32_e32 v80, v80, v80
	v_max_f32_e32 v81, v81, v81
	;; [unrolled: 5-line block ×5, first 2 shown]
	v_pk_add_f32 v[56:57], v[56:57], v[70:71]
	v_min_f32_e32 v70, v86, v74
	v_min_f32_e32 v71, v87, v90
	v_max_f32_e32 v88, v88, v88
	v_pk_add_f32 v[54:55], v[54:55], v[70:71]
	v_min_f32_e32 v70, v88, v74
	v_max_f32_e32 v74, v89, v89
	v_min_f32_e32 v71, v74, v90
	v_max_f32_e32 v89, v92, v92
	v_max_f32_e32 v90, v93, v93
	v_pk_add_f32 v[52:53], v[52:53], v[70:71]
	v_min_f32_e32 v70, v75, v89
	v_min_f32_e32 v71, v91, v90
	v_pk_add_f32 v[50:51], v[50:51], v[70:71]
	v_min_f32_e32 v70, v72, v89
	v_min_f32_e32 v71, v73, v90
	;; [unrolled: 3-line block ×8, first 2 shown]
	v_pk_add_f32 v[36:37], v[36:37], v[70:71]
	s_waitcnt lgkmcnt(0)
	v_max_f32_e32 v70, v0, v0
	v_max_f32_e32 v71, v1, v1
	v_min_f32_e32 v0, v75, v70
	v_min_f32_e32 v1, v91, v71
	v_pk_add_f32 v[34:35], v[34:35], v[0:1]
	v_min_f32_e32 v0, v72, v70
	v_min_f32_e32 v1, v73, v71
	v_pk_add_f32 v[32:33], v[32:33], v[0:1]
	;; [unrolled: 3-line block ×7, first 2 shown]
	v_min_f32_e32 v0, v88, v70
	v_min_f32_e32 v1, v74, v71
	v_max_f32_e32 v2, v2, v2
	v_max_f32_e32 v3, v3, v3
	v_pk_add_f32 v[20:21], v[20:21], v[0:1]
	v_min_f32_e32 v0, v75, v2
	v_min_f32_e32 v1, v91, v3
	v_pk_add_f32 v[18:19], v[18:19], v[0:1]
	v_min_f32_e32 v0, v72, v2
	v_min_f32_e32 v1, v73, v3
	;; [unrolled: 3-line block ×8, first 2 shown]
	v_pk_add_f32 v[4:5], v[4:5], v[0:1]
	s_mov_b64 s[4:5], 0
	s_mov_b32 s6, 2
	s_cbranch_vccz .LBB89_41
; %bb.42:
	s_load_dwordx2 s[4:5], s[0:1], 0x70
	s_load_dword s31, s[0:1], 0x50
	s_load_dword s30, s[0:1], 0x68
	v_add_u32_e32 v72, s29, v77
	v_add_u32_e32 v0, s2, v76
	s_waitcnt lgkmcnt(0)
	s_mul_i32 s1, s5, s3
	s_mul_hi_u32 s5, s4, s3
	s_mul_i32 s0, s4, s3
	s_add_i32 s1, s5, s1
	s_lshl_b64 s[0:1], s[0:1], 2
	s_add_u32 s22, s10, s0
	s_addc_u32 s23, s11, s1
	v_mad_i64_i32 v[2:3], s[0:1], v72, s31, 0
	v_lshl_add_u64 v[70:71], v[2:3], 2, s[24:25]
	v_mad_i64_i32 v[2:3], s[0:1], v72, s30, 0
	v_cmp_gt_i32_e64 s[18:19], s21, v72
	v_lshl_add_u64 v[68:69], v[2:3], 2, s[22:23]
	v_cmp_gt_i32_e64 s[2:3], s20, v0
	v_cndmask_b32_e64 v2, 0, 1, s[12:13]
	s_and_b64 s[6:7], s[2:3], s[18:19]
	v_ashrrev_i32_e32 v1, 31, v0
	v_cmp_ne_u32_e64 s[0:1], 1, v2
	s_and_saveexec_b64 s[4:5], s[6:7]
	s_cbranch_execz .LBB89_48
; %bb.43:
	s_and_b64 vcc, exec, s[0:1]
	s_cbranch_vccnz .LBB89_46
; %bb.44:
	v_lshl_add_u64 v[2:3], v[0:1], 2, v[70:71]
	global_load_dword v2, v[2:3], off
	s_waitcnt vmcnt(0)
	v_mul_f32_e32 v2, s28, v2
	s_branch .LBB89_47
.LBB89_45:
	s_mov_b64 s[18:19], 0
	s_andn2_b64 vcc, exec, s[8:9]
	s_mov_b64 s[4:5], -1
	s_cbranch_vccz .LBB89_2
	s_branch .LBB89_3
.LBB89_46:
	v_mov_b32_e32 v2, 0
.LBB89_47:
	v_add_f32_e32 v3, v66, v67
	v_add_f32_e32 v66, v3, v2
	v_lshl_add_u64 v[2:3], v[0:1], 2, v[68:69]
	global_store_dword v[2:3], v66, off
.LBB89_48:
	s_or_b64 exec, exec, s[4:5]
	v_add_u32_e32 v2, 8, v0
	v_cmp_gt_i32_e64 s[4:5], s20, v2
	s_and_b64 s[8:9], s[4:5], s[18:19]
	v_ashrrev_i32_e32 v3, 31, v2
	s_and_saveexec_b64 s[6:7], s[8:9]
	s_cbranch_execz .LBB89_53
; %bb.49:
	s_and_b64 vcc, exec, s[0:1]
	s_cbranch_vccnz .LBB89_51
; %bb.50:
	v_lshl_add_u64 v[66:67], v[2:3], 2, v[70:71]
	global_load_dword v66, v[66:67], off
	s_waitcnt vmcnt(0)
	v_mul_f32_e32 v66, s28, v66
	s_branch .LBB89_52
.LBB89_51:
	v_mov_b32_e32 v66, 0
.LBB89_52:
	v_add_f32_e32 v64, v64, v65
	v_add_f32_e32 v66, v64, v66
	v_lshl_add_u64 v[64:65], v[2:3], 2, v[68:69]
	global_store_dword v[64:65], v66, off
.LBB89_53:
	s_or_b64 exec, exec, s[6:7]
	v_add_u32_e32 v64, 16, v0
	v_cmp_gt_i32_e64 s[6:7], s20, v64
	s_and_b64 s[10:11], s[6:7], s[18:19]
	v_ashrrev_i32_e32 v65, 31, v64
	s_and_saveexec_b64 s[8:9], s[10:11]
	s_cbranch_execz .LBB89_58
; %bb.54:
	s_and_b64 vcc, exec, s[0:1]
	s_cbranch_vccnz .LBB89_56
; %bb.55:
	v_lshl_add_u64 v[66:67], v[64:65], 2, v[70:71]
	global_load_dword v66, v[66:67], off
	s_waitcnt vmcnt(0)
	v_mul_f32_e32 v66, s28, v66
	s_branch .LBB89_57
.LBB89_56:
	v_mov_b32_e32 v66, 0
.LBB89_57:
	v_add_f32_e32 v62, v62, v63
	v_add_f32_e32 v66, v62, v66
	v_lshl_add_u64 v[62:63], v[64:65], 2, v[68:69]
	global_store_dword v[62:63], v66, off
.LBB89_58:
	;; [unrolled: 24-line block ×7, first 2 shown]
	s_or_b64 exec, exec, s[18:19]
	v_add_u32_e32 v68, 32, v72
	v_mad_i64_i32 v[52:53], s[26:27], v68, s31, 0
	v_cmp_gt_i32_e64 s[18:19], s21, v68
	v_lshl_add_u64 v[66:67], v[52:53], 2, s[24:25]
	v_mad_i64_i32 v[52:53], s[26:27], v68, s30, 0
	v_lshl_add_u64 v[52:53], v[52:53], 2, s[22:23]
	s_and_b64 s[34:35], s[2:3], s[18:19]
	s_and_saveexec_b64 s[26:27], s[34:35]
	s_cbranch_execnz .LBB89_91
; %bb.84:
	s_or_b64 exec, exec, s[26:27]
	s_and_b64 s[34:35], s[4:5], s[18:19]
	s_and_saveexec_b64 s[26:27], s[34:35]
	s_cbranch_execnz .LBB89_95
.LBB89_85:
	s_or_b64 exec, exec, s[26:27]
	s_and_b64 s[34:35], s[6:7], s[18:19]
	s_and_saveexec_b64 s[26:27], s[34:35]
	s_cbranch_execnz .LBB89_99
.LBB89_86:
	s_or_b64 exec, exec, s[26:27]
	s_and_b64 s[34:35], s[8:9], s[18:19]
	s_and_saveexec_b64 s[26:27], s[34:35]
	s_cbranch_execnz .LBB89_103
.LBB89_87:
	s_or_b64 exec, exec, s[26:27]
	s_and_b64 s[34:35], s[10:11], s[18:19]
	s_and_saveexec_b64 s[26:27], s[34:35]
	s_cbranch_execnz .LBB89_107
.LBB89_88:
	s_or_b64 exec, exec, s[26:27]
	s_and_b64 s[34:35], s[12:13], s[18:19]
	s_and_saveexec_b64 s[26:27], s[34:35]
	s_cbranch_execnz .LBB89_111
.LBB89_89:
	s_or_b64 exec, exec, s[26:27]
	s_and_b64 s[34:35], s[14:15], s[18:19]
	s_and_saveexec_b64 s[26:27], s[34:35]
	s_cbranch_execnz .LBB89_115
.LBB89_90:
	s_or_b64 exec, exec, s[26:27]
	s_and_b64 s[26:27], s[16:17], s[18:19]
	s_and_saveexec_b64 s[18:19], s[26:27]
	s_cbranch_execnz .LBB89_119
	s_branch .LBB89_123
.LBB89_91:
	s_and_b64 vcc, exec, s[0:1]
	s_cbranch_vccnz .LBB89_93
; %bb.92:
	v_lshl_add_u64 v[68:69], v[0:1], 2, v[66:67]
	global_load_dword v68, v[68:69], off
	s_waitcnt vmcnt(0)
	v_mul_f32_e32 v68, s28, v68
	s_branch .LBB89_94
.LBB89_93:
	v_mov_b32_e32 v68, 0
.LBB89_94:
	v_add_f32_e32 v50, v50, v51
	v_add_f32_e32 v68, v50, v68
	v_lshl_add_u64 v[50:51], v[0:1], 2, v[52:53]
	global_store_dword v[50:51], v68, off
	s_or_b64 exec, exec, s[26:27]
	s_and_b64 s[34:35], s[4:5], s[18:19]
	s_and_saveexec_b64 s[26:27], s[34:35]
	s_cbranch_execz .LBB89_85
.LBB89_95:
	s_and_b64 vcc, exec, s[0:1]
	s_cbranch_vccnz .LBB89_97
; %bb.96:
	v_lshl_add_u64 v[50:51], v[2:3], 2, v[66:67]
	global_load_dword v50, v[50:51], off
	s_waitcnt vmcnt(0)
	v_mul_f32_e32 v50, s28, v50
	s_branch .LBB89_98
.LBB89_97:
	v_mov_b32_e32 v50, 0
.LBB89_98:
	v_add_f32_e32 v48, v48, v49
	v_add_f32_e32 v50, v48, v50
	v_lshl_add_u64 v[48:49], v[2:3], 2, v[52:53]
	global_store_dword v[48:49], v50, off
	s_or_b64 exec, exec, s[26:27]
	s_and_b64 s[34:35], s[6:7], s[18:19]
	s_and_saveexec_b64 s[26:27], s[34:35]
	s_cbranch_execz .LBB89_86
.LBB89_99:
	s_and_b64 vcc, exec, s[0:1]
	s_cbranch_vccnz .LBB89_101
; %bb.100:
	v_lshl_add_u64 v[48:49], v[64:65], 2, v[66:67]
	global_load_dword v48, v[48:49], off
	s_waitcnt vmcnt(0)
	v_mul_f32_e32 v48, s28, v48
	s_branch .LBB89_102
.LBB89_101:
	v_mov_b32_e32 v48, 0
.LBB89_102:
	v_add_f32_e32 v46, v46, v47
	v_add_f32_e32 v48, v46, v48
	v_lshl_add_u64 v[46:47], v[64:65], 2, v[52:53]
	global_store_dword v[46:47], v48, off
	s_or_b64 exec, exec, s[26:27]
	s_and_b64 s[34:35], s[8:9], s[18:19]
	s_and_saveexec_b64 s[26:27], s[34:35]
	s_cbranch_execz .LBB89_87
.LBB89_103:
	s_and_b64 vcc, exec, s[0:1]
	s_cbranch_vccnz .LBB89_105
; %bb.104:
	v_lshl_add_u64 v[46:47], v[62:63], 2, v[66:67]
	global_load_dword v46, v[46:47], off
	s_waitcnt vmcnt(0)
	v_mul_f32_e32 v46, s28, v46
	s_branch .LBB89_106
.LBB89_105:
	v_mov_b32_e32 v46, 0
.LBB89_106:
	v_add_f32_e32 v44, v44, v45
	v_add_f32_e32 v46, v44, v46
	v_lshl_add_u64 v[44:45], v[62:63], 2, v[52:53]
	global_store_dword v[44:45], v46, off
	s_or_b64 exec, exec, s[26:27]
	s_and_b64 s[34:35], s[10:11], s[18:19]
	s_and_saveexec_b64 s[26:27], s[34:35]
	s_cbranch_execz .LBB89_88
.LBB89_107:
	s_and_b64 vcc, exec, s[0:1]
	s_cbranch_vccnz .LBB89_109
; %bb.108:
	v_lshl_add_u64 v[44:45], v[60:61], 2, v[66:67]
	global_load_dword v44, v[44:45], off
	s_waitcnt vmcnt(0)
	v_mul_f32_e32 v44, s28, v44
	s_branch .LBB89_110
.LBB89_109:
	v_mov_b32_e32 v44, 0
.LBB89_110:
	v_add_f32_e32 v42, v42, v43
	v_add_f32_e32 v44, v42, v44
	v_lshl_add_u64 v[42:43], v[60:61], 2, v[52:53]
	global_store_dword v[42:43], v44, off
	s_or_b64 exec, exec, s[26:27]
	s_and_b64 s[34:35], s[12:13], s[18:19]
	s_and_saveexec_b64 s[26:27], s[34:35]
	s_cbranch_execz .LBB89_89
.LBB89_111:
	s_and_b64 vcc, exec, s[0:1]
	s_cbranch_vccnz .LBB89_113
; %bb.112:
	v_lshl_add_u64 v[42:43], v[58:59], 2, v[66:67]
	global_load_dword v42, v[42:43], off
	s_waitcnt vmcnt(0)
	v_mul_f32_e32 v42, s28, v42
	s_branch .LBB89_114
.LBB89_113:
	v_mov_b32_e32 v42, 0
.LBB89_114:
	v_add_f32_e32 v40, v40, v41
	v_add_f32_e32 v42, v40, v42
	v_lshl_add_u64 v[40:41], v[58:59], 2, v[52:53]
	global_store_dword v[40:41], v42, off
	s_or_b64 exec, exec, s[26:27]
	s_and_b64 s[34:35], s[14:15], s[18:19]
	s_and_saveexec_b64 s[26:27], s[34:35]
	s_cbranch_execz .LBB89_90
.LBB89_115:
	s_and_b64 vcc, exec, s[0:1]
	s_cbranch_vccnz .LBB89_117
; %bb.116:
	v_lshl_add_u64 v[40:41], v[56:57], 2, v[66:67]
	global_load_dword v40, v[40:41], off
	s_waitcnt vmcnt(0)
	v_mul_f32_e32 v40, s28, v40
	s_branch .LBB89_118
.LBB89_117:
	v_mov_b32_e32 v40, 0
.LBB89_118:
	v_add_f32_e32 v38, v38, v39
	v_add_f32_e32 v40, v38, v40
	v_lshl_add_u64 v[38:39], v[56:57], 2, v[52:53]
	global_store_dword v[38:39], v40, off
	s_or_b64 exec, exec, s[26:27]
	s_and_b64 s[26:27], s[16:17], s[18:19]
	s_and_saveexec_b64 s[18:19], s[26:27]
	s_cbranch_execz .LBB89_123
.LBB89_119:
	s_and_b64 vcc, exec, s[0:1]
	s_cbranch_vccnz .LBB89_121
; %bb.120:
	v_lshl_add_u64 v[38:39], v[54:55], 2, v[66:67]
	global_load_dword v38, v[38:39], off
	s_waitcnt vmcnt(0)
	v_mul_f32_e32 v38, s28, v38
	s_branch .LBB89_122
.LBB89_121:
	v_mov_b32_e32 v38, 0
.LBB89_122:
	v_add_f32_e32 v36, v36, v37
	v_add_f32_e32 v38, v36, v38
	v_lshl_add_u64 v[36:37], v[54:55], 2, v[52:53]
	global_store_dword v[36:37], v38, off
.LBB89_123:
	s_or_b64 exec, exec, s[18:19]
	v_add_u32_e32 v40, 64, v72
	v_mad_i64_i32 v[36:37], s[26:27], v40, s31, 0
	v_cmp_gt_i32_e64 s[18:19], s21, v40
	v_lshl_add_u64 v[38:39], v[36:37], 2, s[24:25]
	v_mad_i64_i32 v[36:37], s[26:27], v40, s30, 0
	v_lshl_add_u64 v[36:37], v[36:37], 2, s[22:23]
	s_and_b64 s[34:35], s[2:3], s[18:19]
	s_and_saveexec_b64 s[26:27], s[34:35]
	s_cbranch_execnz .LBB89_131
; %bb.124:
	s_or_b64 exec, exec, s[26:27]
	s_and_b64 s[34:35], s[4:5], s[18:19]
	s_and_saveexec_b64 s[26:27], s[34:35]
	s_cbranch_execnz .LBB89_135
.LBB89_125:
	s_or_b64 exec, exec, s[26:27]
	s_and_b64 s[34:35], s[6:7], s[18:19]
	s_and_saveexec_b64 s[26:27], s[34:35]
	s_cbranch_execnz .LBB89_139
.LBB89_126:
	s_or_b64 exec, exec, s[26:27]
	s_and_b64 s[34:35], s[8:9], s[18:19]
	s_and_saveexec_b64 s[26:27], s[34:35]
	s_cbranch_execnz .LBB89_143
.LBB89_127:
	s_or_b64 exec, exec, s[26:27]
	s_and_b64 s[34:35], s[10:11], s[18:19]
	s_and_saveexec_b64 s[26:27], s[34:35]
	s_cbranch_execnz .LBB89_147
.LBB89_128:
	s_or_b64 exec, exec, s[26:27]
	s_and_b64 s[34:35], s[12:13], s[18:19]
	s_and_saveexec_b64 s[26:27], s[34:35]
	s_cbranch_execnz .LBB89_151
.LBB89_129:
	s_or_b64 exec, exec, s[26:27]
	s_and_b64 s[34:35], s[14:15], s[18:19]
	s_and_saveexec_b64 s[26:27], s[34:35]
	s_cbranch_execnz .LBB89_155
.LBB89_130:
	s_or_b64 exec, exec, s[26:27]
	s_and_b64 s[26:27], s[16:17], s[18:19]
	s_and_saveexec_b64 s[18:19], s[26:27]
	s_cbranch_execnz .LBB89_159
	s_branch .LBB89_163
.LBB89_131:
	s_and_b64 vcc, exec, s[0:1]
	s_cbranch_vccnz .LBB89_133
; %bb.132:
	v_lshl_add_u64 v[40:41], v[0:1], 2, v[38:39]
	global_load_dword v40, v[40:41], off
	s_waitcnt vmcnt(0)
	v_mul_f32_e32 v40, s28, v40
	s_branch .LBB89_134
.LBB89_133:
	v_mov_b32_e32 v40, 0
.LBB89_134:
	v_add_f32_e32 v34, v34, v35
	v_add_f32_e32 v40, v34, v40
	v_lshl_add_u64 v[34:35], v[0:1], 2, v[36:37]
	global_store_dword v[34:35], v40, off
	s_or_b64 exec, exec, s[26:27]
	s_and_b64 s[34:35], s[4:5], s[18:19]
	s_and_saveexec_b64 s[26:27], s[34:35]
	s_cbranch_execz .LBB89_125
.LBB89_135:
	s_and_b64 vcc, exec, s[0:1]
	s_cbranch_vccnz .LBB89_137
; %bb.136:
	v_lshl_add_u64 v[34:35], v[2:3], 2, v[38:39]
	global_load_dword v34, v[34:35], off
	s_waitcnt vmcnt(0)
	v_mul_f32_e32 v34, s28, v34
	s_branch .LBB89_138
.LBB89_137:
	v_mov_b32_e32 v34, 0
.LBB89_138:
	v_add_f32_e32 v32, v32, v33
	v_add_f32_e32 v34, v32, v34
	v_lshl_add_u64 v[32:33], v[2:3], 2, v[36:37]
	global_store_dword v[32:33], v34, off
	s_or_b64 exec, exec, s[26:27]
	s_and_b64 s[34:35], s[6:7], s[18:19]
	s_and_saveexec_b64 s[26:27], s[34:35]
	s_cbranch_execz .LBB89_126
.LBB89_139:
	s_and_b64 vcc, exec, s[0:1]
	s_cbranch_vccnz .LBB89_141
; %bb.140:
	v_lshl_add_u64 v[32:33], v[64:65], 2, v[38:39]
	global_load_dword v32, v[32:33], off
	s_waitcnt vmcnt(0)
	v_mul_f32_e32 v32, s28, v32
	s_branch .LBB89_142
.LBB89_141:
	v_mov_b32_e32 v32, 0
.LBB89_142:
	v_add_f32_e32 v30, v30, v31
	v_add_f32_e32 v32, v30, v32
	v_lshl_add_u64 v[30:31], v[64:65], 2, v[36:37]
	global_store_dword v[30:31], v32, off
	s_or_b64 exec, exec, s[26:27]
	s_and_b64 s[34:35], s[8:9], s[18:19]
	s_and_saveexec_b64 s[26:27], s[34:35]
	s_cbranch_execz .LBB89_127
.LBB89_143:
	s_and_b64 vcc, exec, s[0:1]
	s_cbranch_vccnz .LBB89_145
; %bb.144:
	v_lshl_add_u64 v[30:31], v[62:63], 2, v[38:39]
	global_load_dword v30, v[30:31], off
	s_waitcnt vmcnt(0)
	v_mul_f32_e32 v30, s28, v30
	s_branch .LBB89_146
.LBB89_145:
	v_mov_b32_e32 v30, 0
.LBB89_146:
	v_add_f32_e32 v28, v28, v29
	v_add_f32_e32 v30, v28, v30
	v_lshl_add_u64 v[28:29], v[62:63], 2, v[36:37]
	global_store_dword v[28:29], v30, off
	s_or_b64 exec, exec, s[26:27]
	s_and_b64 s[34:35], s[10:11], s[18:19]
	s_and_saveexec_b64 s[26:27], s[34:35]
	s_cbranch_execz .LBB89_128
.LBB89_147:
	s_and_b64 vcc, exec, s[0:1]
	s_cbranch_vccnz .LBB89_149
; %bb.148:
	v_lshl_add_u64 v[28:29], v[60:61], 2, v[38:39]
	global_load_dword v28, v[28:29], off
	s_waitcnt vmcnt(0)
	v_mul_f32_e32 v28, s28, v28
	s_branch .LBB89_150
.LBB89_149:
	v_mov_b32_e32 v28, 0
.LBB89_150:
	v_add_f32_e32 v26, v26, v27
	v_add_f32_e32 v28, v26, v28
	v_lshl_add_u64 v[26:27], v[60:61], 2, v[36:37]
	global_store_dword v[26:27], v28, off
	s_or_b64 exec, exec, s[26:27]
	s_and_b64 s[34:35], s[12:13], s[18:19]
	s_and_saveexec_b64 s[26:27], s[34:35]
	s_cbranch_execz .LBB89_129
.LBB89_151:
	s_and_b64 vcc, exec, s[0:1]
	s_cbranch_vccnz .LBB89_153
; %bb.152:
	v_lshl_add_u64 v[26:27], v[58:59], 2, v[38:39]
	global_load_dword v26, v[26:27], off
	s_waitcnt vmcnt(0)
	v_mul_f32_e32 v26, s28, v26
	s_branch .LBB89_154
.LBB89_153:
	v_mov_b32_e32 v26, 0
.LBB89_154:
	v_add_f32_e32 v24, v24, v25
	v_add_f32_e32 v26, v24, v26
	v_lshl_add_u64 v[24:25], v[58:59], 2, v[36:37]
	global_store_dword v[24:25], v26, off
	s_or_b64 exec, exec, s[26:27]
	s_and_b64 s[34:35], s[14:15], s[18:19]
	s_and_saveexec_b64 s[26:27], s[34:35]
	s_cbranch_execz .LBB89_130
.LBB89_155:
	s_and_b64 vcc, exec, s[0:1]
	s_cbranch_vccnz .LBB89_157
; %bb.156:
	v_lshl_add_u64 v[24:25], v[56:57], 2, v[38:39]
	global_load_dword v24, v[24:25], off
	s_waitcnt vmcnt(0)
	v_mul_f32_e32 v24, s28, v24
	s_branch .LBB89_158
.LBB89_157:
	v_mov_b32_e32 v24, 0
.LBB89_158:
	v_add_f32_e32 v22, v22, v23
	v_add_f32_e32 v24, v22, v24
	v_lshl_add_u64 v[22:23], v[56:57], 2, v[36:37]
	global_store_dword v[22:23], v24, off
	s_or_b64 exec, exec, s[26:27]
	s_and_b64 s[26:27], s[16:17], s[18:19]
	s_and_saveexec_b64 s[18:19], s[26:27]
	s_cbranch_execz .LBB89_163
.LBB89_159:
	s_and_b64 vcc, exec, s[0:1]
	s_cbranch_vccnz .LBB89_161
; %bb.160:
	v_lshl_add_u64 v[22:23], v[54:55], 2, v[38:39]
	global_load_dword v22, v[22:23], off
	s_waitcnt vmcnt(0)
	v_mul_f32_e32 v22, s28, v22
	s_branch .LBB89_162
.LBB89_161:
	v_mov_b32_e32 v22, 0
.LBB89_162:
	v_add_f32_e32 v20, v20, v21
	v_add_f32_e32 v22, v20, v22
	v_lshl_add_u64 v[20:21], v[54:55], 2, v[36:37]
	global_store_dword v[20:21], v22, off
.LBB89_163:
	s_or_b64 exec, exec, s[18:19]
	v_add_u32_e32 v24, 0x60, v72
	v_cmp_gt_i32_e64 s[18:19], s21, v24
	v_mad_i64_i32 v[20:21], s[20:21], v24, s31, 0
	v_lshl_add_u64 v[22:23], v[20:21], 2, s[24:25]
	v_mad_i64_i32 v[20:21], s[20:21], v24, s30, 0
	v_lshl_add_u64 v[20:21], v[20:21], 2, s[22:23]
	s_and_b64 s[20:21], s[2:3], s[18:19]
	s_and_saveexec_b64 s[2:3], s[20:21]
	s_cbranch_execnz .LBB89_172
; %bb.164:
	s_or_b64 exec, exec, s[2:3]
	s_and_b64 s[4:5], s[4:5], s[18:19]
	s_and_saveexec_b64 s[2:3], s[4:5]
	s_cbranch_execnz .LBB89_176
.LBB89_165:
	s_or_b64 exec, exec, s[2:3]
	s_and_b64 s[4:5], s[6:7], s[18:19]
	s_and_saveexec_b64 s[2:3], s[4:5]
	s_cbranch_execnz .LBB89_180
.LBB89_166:
	s_or_b64 exec, exec, s[2:3]
	s_and_b64 s[4:5], s[8:9], s[18:19]
	s_and_saveexec_b64 s[2:3], s[4:5]
	s_cbranch_execnz .LBB89_184
.LBB89_167:
	s_or_b64 exec, exec, s[2:3]
	s_and_b64 s[4:5], s[10:11], s[18:19]
	s_and_saveexec_b64 s[2:3], s[4:5]
	s_cbranch_execnz .LBB89_188
.LBB89_168:
	s_or_b64 exec, exec, s[2:3]
	s_and_b64 s[4:5], s[12:13], s[18:19]
	s_and_saveexec_b64 s[2:3], s[4:5]
	s_cbranch_execnz .LBB89_192
.LBB89_169:
	s_or_b64 exec, exec, s[2:3]
	s_and_b64 s[4:5], s[14:15], s[18:19]
	s_and_saveexec_b64 s[2:3], s[4:5]
	s_cbranch_execnz .LBB89_196
.LBB89_170:
	s_or_b64 exec, exec, s[2:3]
	s_and_b64 s[2:3], s[16:17], s[18:19]
	s_and_saveexec_b64 s[4:5], s[2:3]
	s_cbranch_execnz .LBB89_200
.LBB89_171:
	s_endpgm
.LBB89_172:
	s_and_b64 vcc, exec, s[0:1]
	s_cbranch_vccnz .LBB89_174
; %bb.173:
	v_lshl_add_u64 v[24:25], v[0:1], 2, v[22:23]
	global_load_dword v24, v[24:25], off
	s_waitcnt vmcnt(0)
	v_mul_f32_e32 v24, s28, v24
	s_branch .LBB89_175
.LBB89_174:
	v_mov_b32_e32 v24, 0
.LBB89_175:
	v_add_f32_e32 v18, v18, v19
	v_add_f32_e32 v18, v18, v24
	v_lshl_add_u64 v[0:1], v[0:1], 2, v[20:21]
	global_store_dword v[0:1], v18, off
	s_or_b64 exec, exec, s[2:3]
	s_and_b64 s[4:5], s[4:5], s[18:19]
	s_and_saveexec_b64 s[2:3], s[4:5]
	s_cbranch_execz .LBB89_165
.LBB89_176:
	s_and_b64 vcc, exec, s[0:1]
	s_cbranch_vccnz .LBB89_178
; %bb.177:
	v_lshl_add_u64 v[0:1], v[2:3], 2, v[22:23]
	global_load_dword v0, v[0:1], off
	s_waitcnt vmcnt(0)
	v_mul_f32_e32 v0, s28, v0
	s_branch .LBB89_179
.LBB89_178:
	v_mov_b32_e32 v0, 0
.LBB89_179:
	v_add_f32_e32 v1, v16, v17
	v_add_f32_e32 v16, v1, v0
	v_lshl_add_u64 v[0:1], v[2:3], 2, v[20:21]
	global_store_dword v[0:1], v16, off
	s_or_b64 exec, exec, s[2:3]
	s_and_b64 s[4:5], s[6:7], s[18:19]
	s_and_saveexec_b64 s[2:3], s[4:5]
	s_cbranch_execz .LBB89_166
.LBB89_180:
	s_and_b64 vcc, exec, s[0:1]
	s_cbranch_vccnz .LBB89_182
; %bb.181:
	v_lshl_add_u64 v[0:1], v[64:65], 2, v[22:23]
	global_load_dword v0, v[0:1], off
	s_waitcnt vmcnt(0)
	v_mul_f32_e32 v0, s28, v0
	s_branch .LBB89_183
.LBB89_182:
	v_mov_b32_e32 v0, 0
.LBB89_183:
	v_add_f32_e32 v1, v14, v15
	v_add_f32_e32 v2, v1, v0
	v_lshl_add_u64 v[0:1], v[64:65], 2, v[20:21]
	global_store_dword v[0:1], v2, off
	s_or_b64 exec, exec, s[2:3]
	s_and_b64 s[4:5], s[8:9], s[18:19]
	s_and_saveexec_b64 s[2:3], s[4:5]
	s_cbranch_execz .LBB89_167
.LBB89_184:
	s_and_b64 vcc, exec, s[0:1]
	s_cbranch_vccnz .LBB89_186
; %bb.185:
	v_lshl_add_u64 v[0:1], v[62:63], 2, v[22:23]
	global_load_dword v0, v[0:1], off
	s_waitcnt vmcnt(0)
	v_mul_f32_e32 v0, s28, v0
	s_branch .LBB89_187
.LBB89_186:
	v_mov_b32_e32 v0, 0
.LBB89_187:
	v_add_f32_e32 v1, v12, v13
	v_add_f32_e32 v2, v1, v0
	v_lshl_add_u64 v[0:1], v[62:63], 2, v[20:21]
	global_store_dword v[0:1], v2, off
	s_or_b64 exec, exec, s[2:3]
	s_and_b64 s[4:5], s[10:11], s[18:19]
	s_and_saveexec_b64 s[2:3], s[4:5]
	s_cbranch_execz .LBB89_168
.LBB89_188:
	s_and_b64 vcc, exec, s[0:1]
	s_cbranch_vccnz .LBB89_190
; %bb.189:
	v_lshl_add_u64 v[0:1], v[60:61], 2, v[22:23]
	global_load_dword v0, v[0:1], off
	s_waitcnt vmcnt(0)
	v_mul_f32_e32 v0, s28, v0
	s_branch .LBB89_191
.LBB89_190:
	v_mov_b32_e32 v0, 0
.LBB89_191:
	v_add_f32_e32 v1, v10, v11
	v_add_f32_e32 v2, v1, v0
	v_lshl_add_u64 v[0:1], v[60:61], 2, v[20:21]
	global_store_dword v[0:1], v2, off
	s_or_b64 exec, exec, s[2:3]
	s_and_b64 s[4:5], s[12:13], s[18:19]
	s_and_saveexec_b64 s[2:3], s[4:5]
	s_cbranch_execz .LBB89_169
.LBB89_192:
	s_and_b64 vcc, exec, s[0:1]
	s_cbranch_vccnz .LBB89_194
; %bb.193:
	v_lshl_add_u64 v[0:1], v[58:59], 2, v[22:23]
	global_load_dword v0, v[0:1], off
	s_waitcnt vmcnt(0)
	v_mul_f32_e32 v0, s28, v0
	s_branch .LBB89_195
.LBB89_194:
	v_mov_b32_e32 v0, 0
.LBB89_195:
	v_add_f32_e32 v1, v8, v9
	v_add_f32_e32 v2, v1, v0
	v_lshl_add_u64 v[0:1], v[58:59], 2, v[20:21]
	global_store_dword v[0:1], v2, off
	s_or_b64 exec, exec, s[2:3]
	s_and_b64 s[4:5], s[14:15], s[18:19]
	s_and_saveexec_b64 s[2:3], s[4:5]
	s_cbranch_execz .LBB89_170
.LBB89_196:
	s_and_b64 vcc, exec, s[0:1]
	s_cbranch_vccnz .LBB89_198
; %bb.197:
	v_lshl_add_u64 v[0:1], v[56:57], 2, v[22:23]
	global_load_dword v0, v[0:1], off
	s_waitcnt vmcnt(0)
	v_mul_f32_e32 v0, s28, v0
	s_branch .LBB89_199
.LBB89_198:
	v_mov_b32_e32 v0, 0
.LBB89_199:
	v_add_f32_e32 v1, v6, v7
	v_add_f32_e32 v2, v1, v0
	v_lshl_add_u64 v[0:1], v[56:57], 2, v[20:21]
	global_store_dword v[0:1], v2, off
	s_or_b64 exec, exec, s[2:3]
	s_and_b64 s[2:3], s[16:17], s[18:19]
	s_and_saveexec_b64 s[4:5], s[2:3]
	s_cbranch_execz .LBB89_171
.LBB89_200:
	s_and_b64 vcc, exec, s[0:1]
	s_cbranch_vccnz .LBB89_202
; %bb.201:
	v_lshl_add_u64 v[0:1], v[54:55], 2, v[22:23]
	global_load_dword v0, v[0:1], off
	s_waitcnt vmcnt(0)
	v_mul_f32_e32 v0, s28, v0
	s_branch .LBB89_203
.LBB89_202:
	v_mov_b32_e32 v0, 0
.LBB89_203:
	v_add_f32_e32 v1, v4, v5
	v_add_f32_e32 v2, v1, v0
	v_lshl_add_u64 v[0:1], v[54:55], 2, v[20:21]
	global_store_dword v[0:1], v2, off
	s_endpgm
	.section	.rodata,"a",@progbits
	.p2align	6, 0x0
	.amdhsa_kernel _ZN12_GLOBAL__N_120geam_min_plus_kernelIf15HIP_vector_typeIfLj2EES2_Li8ELi32ELi64ELi128ELi4ELi4ELi64ELi4ELi64ELc84ELc78ELb0ELb1ELb0EfKffEEviiiT16_PT17_ilS6_ilS4_S6_ilPT18_ili26rocblas_geam_ex_operation_
		.amdhsa_group_segment_fixed_size 6144
		.amdhsa_private_segment_fixed_size 0
		.amdhsa_kernarg_size 128
		.amdhsa_user_sgpr_count 2
		.amdhsa_user_sgpr_dispatch_ptr 0
		.amdhsa_user_sgpr_queue_ptr 0
		.amdhsa_user_sgpr_kernarg_segment_ptr 1
		.amdhsa_user_sgpr_dispatch_id 0
		.amdhsa_user_sgpr_kernarg_preload_length 0
		.amdhsa_user_sgpr_kernarg_preload_offset 0
		.amdhsa_user_sgpr_private_segment_size 0
		.amdhsa_uses_dynamic_stack 0
		.amdhsa_enable_private_segment 0
		.amdhsa_system_sgpr_workgroup_id_x 1
		.amdhsa_system_sgpr_workgroup_id_y 0
		.amdhsa_system_sgpr_workgroup_id_z 1
		.amdhsa_system_sgpr_workgroup_info 0
		.amdhsa_system_vgpr_workitem_id 1
		.amdhsa_next_free_vgpr 112
		.amdhsa_next_free_sgpr 36
		.amdhsa_accum_offset 112
		.amdhsa_reserve_vcc 1
		.amdhsa_float_round_mode_32 0
		.amdhsa_float_round_mode_16_64 0
		.amdhsa_float_denorm_mode_32 3
		.amdhsa_float_denorm_mode_16_64 3
		.amdhsa_dx10_clamp 1
		.amdhsa_ieee_mode 1
		.amdhsa_fp16_overflow 0
		.amdhsa_tg_split 0
		.amdhsa_exception_fp_ieee_invalid_op 0
		.amdhsa_exception_fp_denorm_src 0
		.amdhsa_exception_fp_ieee_div_zero 0
		.amdhsa_exception_fp_ieee_overflow 0
		.amdhsa_exception_fp_ieee_underflow 0
		.amdhsa_exception_fp_ieee_inexact 0
		.amdhsa_exception_int_div_zero 0
	.end_amdhsa_kernel
	.section	.text._ZN12_GLOBAL__N_120geam_min_plus_kernelIf15HIP_vector_typeIfLj2EES2_Li8ELi32ELi64ELi128ELi4ELi4ELi64ELi4ELi64ELc84ELc78ELb0ELb1ELb0EfKffEEviiiT16_PT17_ilS6_ilS4_S6_ilPT18_ili26rocblas_geam_ex_operation_,"axG",@progbits,_ZN12_GLOBAL__N_120geam_min_plus_kernelIf15HIP_vector_typeIfLj2EES2_Li8ELi32ELi64ELi128ELi4ELi4ELi64ELi4ELi64ELc84ELc78ELb0ELb1ELb0EfKffEEviiiT16_PT17_ilS6_ilS4_S6_ilPT18_ili26rocblas_geam_ex_operation_,comdat
.Lfunc_end89:
	.size	_ZN12_GLOBAL__N_120geam_min_plus_kernelIf15HIP_vector_typeIfLj2EES2_Li8ELi32ELi64ELi128ELi4ELi4ELi64ELi4ELi64ELc84ELc78ELb0ELb1ELb0EfKffEEviiiT16_PT17_ilS6_ilS4_S6_ilPT18_ili26rocblas_geam_ex_operation_, .Lfunc_end89-_ZN12_GLOBAL__N_120geam_min_plus_kernelIf15HIP_vector_typeIfLj2EES2_Li8ELi32ELi64ELi128ELi4ELi4ELi64ELi4ELi64ELc84ELc78ELb0ELb1ELb0EfKffEEviiiT16_PT17_ilS6_ilS4_S6_ilPT18_ili26rocblas_geam_ex_operation_
                                        ; -- End function
	.set _ZN12_GLOBAL__N_120geam_min_plus_kernelIf15HIP_vector_typeIfLj2EES2_Li8ELi32ELi64ELi128ELi4ELi4ELi64ELi4ELi64ELc84ELc78ELb0ELb1ELb0EfKffEEviiiT16_PT17_ilS6_ilS4_S6_ilPT18_ili26rocblas_geam_ex_operation_.num_vgpr, 112
	.set _ZN12_GLOBAL__N_120geam_min_plus_kernelIf15HIP_vector_typeIfLj2EES2_Li8ELi32ELi64ELi128ELi4ELi4ELi64ELi4ELi64ELc84ELc78ELb0ELb1ELb0EfKffEEviiiT16_PT17_ilS6_ilS4_S6_ilPT18_ili26rocblas_geam_ex_operation_.num_agpr, 0
	.set _ZN12_GLOBAL__N_120geam_min_plus_kernelIf15HIP_vector_typeIfLj2EES2_Li8ELi32ELi64ELi128ELi4ELi4ELi64ELi4ELi64ELc84ELc78ELb0ELb1ELb0EfKffEEviiiT16_PT17_ilS6_ilS4_S6_ilPT18_ili26rocblas_geam_ex_operation_.numbered_sgpr, 36
	.set _ZN12_GLOBAL__N_120geam_min_plus_kernelIf15HIP_vector_typeIfLj2EES2_Li8ELi32ELi64ELi128ELi4ELi4ELi64ELi4ELi64ELc84ELc78ELb0ELb1ELb0EfKffEEviiiT16_PT17_ilS6_ilS4_S6_ilPT18_ili26rocblas_geam_ex_operation_.num_named_barrier, 0
	.set _ZN12_GLOBAL__N_120geam_min_plus_kernelIf15HIP_vector_typeIfLj2EES2_Li8ELi32ELi64ELi128ELi4ELi4ELi64ELi4ELi64ELc84ELc78ELb0ELb1ELb0EfKffEEviiiT16_PT17_ilS6_ilS4_S6_ilPT18_ili26rocblas_geam_ex_operation_.private_seg_size, 0
	.set _ZN12_GLOBAL__N_120geam_min_plus_kernelIf15HIP_vector_typeIfLj2EES2_Li8ELi32ELi64ELi128ELi4ELi4ELi64ELi4ELi64ELc84ELc78ELb0ELb1ELb0EfKffEEviiiT16_PT17_ilS6_ilS4_S6_ilPT18_ili26rocblas_geam_ex_operation_.uses_vcc, 1
	.set _ZN12_GLOBAL__N_120geam_min_plus_kernelIf15HIP_vector_typeIfLj2EES2_Li8ELi32ELi64ELi128ELi4ELi4ELi64ELi4ELi64ELc84ELc78ELb0ELb1ELb0EfKffEEviiiT16_PT17_ilS6_ilS4_S6_ilPT18_ili26rocblas_geam_ex_operation_.uses_flat_scratch, 0
	.set _ZN12_GLOBAL__N_120geam_min_plus_kernelIf15HIP_vector_typeIfLj2EES2_Li8ELi32ELi64ELi128ELi4ELi4ELi64ELi4ELi64ELc84ELc78ELb0ELb1ELb0EfKffEEviiiT16_PT17_ilS6_ilS4_S6_ilPT18_ili26rocblas_geam_ex_operation_.has_dyn_sized_stack, 0
	.set _ZN12_GLOBAL__N_120geam_min_plus_kernelIf15HIP_vector_typeIfLj2EES2_Li8ELi32ELi64ELi128ELi4ELi4ELi64ELi4ELi64ELc84ELc78ELb0ELb1ELb0EfKffEEviiiT16_PT17_ilS6_ilS4_S6_ilPT18_ili26rocblas_geam_ex_operation_.has_recursion, 0
	.set _ZN12_GLOBAL__N_120geam_min_plus_kernelIf15HIP_vector_typeIfLj2EES2_Li8ELi32ELi64ELi128ELi4ELi4ELi64ELi4ELi64ELc84ELc78ELb0ELb1ELb0EfKffEEviiiT16_PT17_ilS6_ilS4_S6_ilPT18_ili26rocblas_geam_ex_operation_.has_indirect_call, 0
	.section	.AMDGPU.csdata,"",@progbits
; Kernel info:
; codeLenInByte = 7924
; TotalNumSgprs: 42
; NumVgprs: 112
; NumAgprs: 0
; TotalNumVgprs: 112
; ScratchSize: 0
; MemoryBound: 0
; FloatMode: 240
; IeeeMode: 1
; LDSByteSize: 6144 bytes/workgroup (compile time only)
; SGPRBlocks: 5
; VGPRBlocks: 13
; NumSGPRsForWavesPerEU: 42
; NumVGPRsForWavesPerEU: 112
; AccumOffset: 112
; Occupancy: 4
; WaveLimiterHint : 0
; COMPUTE_PGM_RSRC2:SCRATCH_EN: 0
; COMPUTE_PGM_RSRC2:USER_SGPR: 2
; COMPUTE_PGM_RSRC2:TRAP_HANDLER: 0
; COMPUTE_PGM_RSRC2:TGID_X_EN: 1
; COMPUTE_PGM_RSRC2:TGID_Y_EN: 0
; COMPUTE_PGM_RSRC2:TGID_Z_EN: 1
; COMPUTE_PGM_RSRC2:TIDIG_COMP_CNT: 1
; COMPUTE_PGM_RSRC3_GFX90A:ACCUM_OFFSET: 27
; COMPUTE_PGM_RSRC3_GFX90A:TG_SPLIT: 0
	.section	.text._ZN12_GLOBAL__N_120geam_min_plus_kernelIf15HIP_vector_typeIfLj2EES2_Li8ELi32ELi64ELi128ELi4ELi64ELi4ELi64ELi4ELc78ELc84ELb0ELb0ELb0EPKfS3_fEEviiiT16_PT17_ilS7_ilS5_S7_ilPT18_ili26rocblas_geam_ex_operation_,"axG",@progbits,_ZN12_GLOBAL__N_120geam_min_plus_kernelIf15HIP_vector_typeIfLj2EES2_Li8ELi32ELi64ELi128ELi4ELi64ELi4ELi64ELi4ELc78ELc84ELb0ELb0ELb0EPKfS3_fEEviiiT16_PT17_ilS7_ilS5_S7_ilPT18_ili26rocblas_geam_ex_operation_,comdat
	.globl	_ZN12_GLOBAL__N_120geam_min_plus_kernelIf15HIP_vector_typeIfLj2EES2_Li8ELi32ELi64ELi128ELi4ELi64ELi4ELi64ELi4ELc78ELc84ELb0ELb0ELb0EPKfS3_fEEviiiT16_PT17_ilS7_ilS5_S7_ilPT18_ili26rocblas_geam_ex_operation_ ; -- Begin function _ZN12_GLOBAL__N_120geam_min_plus_kernelIf15HIP_vector_typeIfLj2EES2_Li8ELi32ELi64ELi128ELi4ELi64ELi4ELi64ELi4ELc78ELc84ELb0ELb0ELb0EPKfS3_fEEviiiT16_PT17_ilS7_ilS5_S7_ilPT18_ili26rocblas_geam_ex_operation_
	.p2align	8
	.type	_ZN12_GLOBAL__N_120geam_min_plus_kernelIf15HIP_vector_typeIfLj2EES2_Li8ELi32ELi64ELi128ELi4ELi64ELi4ELi64ELi4ELc78ELc84ELb0ELb0ELb0EPKfS3_fEEviiiT16_PT17_ilS7_ilS5_S7_ilPT18_ili26rocblas_geam_ex_operation_,@function
_ZN12_GLOBAL__N_120geam_min_plus_kernelIf15HIP_vector_typeIfLj2EES2_Li8ELi32ELi64ELi128ELi4ELi64ELi4ELi64ELi4ELc78ELc84ELb0ELb0ELb0EPKfS3_fEEviiiT16_PT17_ilS7_ilS5_S7_ilPT18_ili26rocblas_geam_ex_operation_: ; @_ZN12_GLOBAL__N_120geam_min_plus_kernelIf15HIP_vector_typeIfLj2EES2_Li8ELi32ELi64ELi128ELi4ELi64ELi4ELi64ELi4ELc78ELc84ELb0ELb0ELb0EPKfS3_fEEviiiT16_PT17_ilS7_ilS5_S7_ilPT18_ili26rocblas_geam_ex_operation_
; %bb.0:
	s_load_dwordx4 s[4:7], s[0:1], 0x10
	s_load_dwordx4 s[8:11], s[0:1], 0x28
	;; [unrolled: 1-line block ×3, first 2 shown]
	s_mov_b32 s16, s3
	s_mov_b32 s17, 0
	s_lshl_b64 s[20:21], s[16:17], 2
	s_waitcnt lgkmcnt(0)
	s_add_u32 s4, s4, s20
	s_addc_u32 s5, s5, s21
	s_load_dword s18, s[4:5], 0x0
	s_load_dwordx2 s[24:25], s[0:1], 0x50
	s_add_u32 s14, s14, s20
	s_addc_u32 s15, s15, s21
	s_mov_b64 s[20:21], 0
	s_waitcnt lgkmcnt(0)
	v_cmp_eq_f32_e64 s[4:5], s18, 0
	s_and_b64 s[4:5], exec, s[4:5]
	v_cmp_neq_f32_e64 s[26:27], s18, 0
	s_mov_b64 s[22:23], 0
	s_mov_b64 vcc, s[4:5]
	s_cbranch_vccnz .LBB90_2
; %bb.1:
	s_mul_i32 s3, s9, s16
	s_mul_hi_u32 s9, s8, s16
	s_add_i32 s9, s9, s3
	s_mul_i32 s8, s8, s16
	s_lshl_b64 s[8:9], s[8:9], 2
	s_add_u32 s22, s6, s8
	s_addc_u32 s23, s7, s9
.LBB90_2:
	s_load_dword s17, s[14:15], 0x0
	v_cndmask_b32_e64 v1, 0, 1, s[26:27]
	v_cmp_ne_u32_e64 s[6:7], 1, v1
	s_andn2_b64 vcc, exec, s[26:27]
	s_cbranch_vccnz .LBB90_4
; %bb.3:
	s_mul_i32 s3, s13, s16
	s_mul_hi_u32 s8, s12, s16
	s_add_i32 s9, s8, s3
	s_mul_i32 s8, s12, s16
	s_lshl_b64 s[8:9], s[8:9], 2
	s_add_u32 s20, s10, s8
	s_addc_u32 s21, s11, s9
.LBB90_4:
	s_load_dwordx4 s[12:15], s[0:1], 0x60
	s_waitcnt lgkmcnt(0)
	v_cmp_eq_f32_e64 s[8:9], s17, 0
	s_and_b64 s[8:9], exec, s[8:9]
	s_mov_b64 vcc, s[8:9]
	s_cbranch_vccnz .LBB90_6
; %bb.5:
	s_mul_i32 s3, s13, s16
	s_mul_hi_u32 s10, s12, s16
	s_add_i32 s11, s10, s3
	s_mul_i32 s10, s12, s16
	s_lshl_b64 s[10:11], s[10:11], 2
	s_add_u32 s10, s24, s10
	s_addc_u32 s11, s25, s11
	s_branch .LBB90_7
.LBB90_6:
	s_mov_b64 s[10:11], 0
.LBB90_7:
	s_load_dword s3, s[0:1], 0x0
	s_load_dword s24, s[0:1], 0x20
	;; [unrolled: 1-line block ×3, first 2 shown]
	v_and_b32_e32 v76, 0x3ff, v0
	v_bfe_u32 v77, v0, 10, 10
	s_waitcnt lgkmcnt(0)
	s_add_i32 s3, s3, -1
	s_ashr_i32 s12, s3, 31
	s_lshr_b32 s12, s12, 26
	s_add_i32 s3, s3, s12
	s_ashr_i32 s3, s3, 6
	s_add_i32 s12, s3, 1
	v_cvt_f32_u32_e32 v1, s12
	s_not_b32 s3, s3
	s_ashr_i32 s26, s24, 31
	s_ashr_i32 s27, s25, 31
	v_rcp_iflag_f32_e32 v0, v1
	v_lshl_add_u32 v1, v77, 3, v76
	v_and_b32_e32 v74, 63, v1
	v_lshrrev_b32_e32 v78, 6, v1
	v_mul_f32_e32 v0, 0x4f7ffffe, v0
	v_cvt_u32_f32_e32 v0, v0
	v_mov_b32_e32 v75, 0
	v_mov_b32_e32 v2, 0
	;; [unrolled: 1-line block ×3, first 2 shown]
	v_readfirstlane_b32 s13, v0
	s_mul_i32 s3, s3, s13
	s_mul_hi_u32 s3, s13, s3
	s_add_i32 s13, s13, s3
	s_mul_hi_u32 s3, s2, s13
	s_mul_i32 s13, s3, s12
	s_sub_i32 s13, s2, s13
	s_add_i32 s19, s3, 1
	s_sub_i32 s28, s13, s12
	s_cmp_ge_u32 s13, s12
	s_cselect_b32 s3, s19, s3
	s_cselect_b32 s13, s28, s13
	s_add_i32 s19, s3, 1
	s_cmp_ge_u32 s13, s12
	s_cselect_b32 s3, s19, s3
	s_mul_i32 s13, s3, s12
	s_sub_i32 s2, s2, s13
	s_lshl_b32 s12, s3, 7
	s_lshl_b32 s13, s2, 6
	v_or_b32_e32 v68, s13, v74
	v_or_b32_e32 v70, s12, v74
	s_and_b64 vcc, exec, s[6:7]
	v_ashrrev_i32_e32 v69, 31, v68
	v_ashrrev_i32_e32 v71, 31, v70
	v_mov_b32_e32 v0, 0
	s_cbranch_vccnz .LBB90_9
; %bb.8:
	v_mad_i64_i32 v[0:1], s[2:3], s24, v78, 0
	v_mad_i64_i32 v[2:3], s[2:3], s25, v78, 0
	v_lshl_add_u64 v[0:1], v[0:1], 2, s[22:23]
	v_lshl_add_u64 v[2:3], v[2:3], 2, s[20:21]
	;; [unrolled: 1-line block ×4, first 2 shown]
	global_load_dword v0, v[0:1], off
	s_nop 0
	global_load_dword v4, v[2:3], off
	global_load_dword v1, v[2:3], off offset:256
	s_waitcnt vmcnt(1)
	v_mul_f32_e32 v2, s18, v4
	s_waitcnt vmcnt(0)
	v_pk_mul_f32 v[0:1], s[18:19], v[0:1] op_sel_hi:[0,1]
.LBB90_9:
	s_and_b64 vcc, exec, s[6:7]
	v_add_u32_e32 v79, 4, v78
	v_mov_b32_e32 v72, 0
	v_mov_b32_e32 v73, 0
	s_cbranch_vccnz .LBB90_11
; %bb.10:
	v_mad_i64_i32 v[4:5], s[2:3], s24, v79, 0
	v_mad_i64_i32 v[6:7], s[2:3], s25, v79, 0
	v_lshl_add_u64 v[4:5], v[4:5], 2, s[22:23]
	v_lshl_add_u64 v[6:7], v[6:7], 2, s[20:21]
	;; [unrolled: 1-line block ×4, first 2 shown]
	global_load_dword v4, v[4:5], off
	s_nop 0
	global_load_dword v3, v[6:7], off
	global_load_dword v5, v[6:7], off offset:256
	s_waitcnt vmcnt(1)
	v_mul_f32_e32 v75, s18, v3
	s_waitcnt vmcnt(0)
	v_pk_mul_f32 v[72:73], s[18:19], v[4:5] op_sel_hi:[0,1]
.LBB90_11:
	v_lshlrev_b32_e32 v3, 4, v74
	v_lshl_add_u32 v80, v78, 2, v3
	ds_write_b32 v80, v0 offset:4096
	ds_write2st64_b32 v80, v2, v1 offset1:4
	v_mov_b32_e32 v0, 0x1000
	v_mov_b32_e32 v66, 0
	v_cmp_neq_f32_e64 s[2:3], s17, 0
	v_lshl_add_u32 v81, v76, 4, v0
	s_mov_b32 s19, 0
	s_mov_b64 s[6:7], -1
	v_mov_b32_e32 v67, v66
	v_mov_b32_e32 v64, v66
	;; [unrolled: 1-line block ×63, first 2 shown]
	v_or_b32_e32 v82, 0x1000, v80
	v_lshlrev_b32_e32 v83, 4, v77
	s_waitcnt lgkmcnt(0)
	s_barrier
.LBB90_12:                              ; =>This Inner Loop Header: Depth=1
	v_cndmask_b32_e64 v0, 0, 1, s[6:7]
	s_lshl_b32 s6, s19, 2
	v_cmp_ne_u32_e32 vcc, 1, v0
	v_add_u32_e32 v0, s6, v81
	ds_read2_b64 v[84:87], v0 offset1:16
	ds_read2_b64 v[88:91], v0 offset0:32 offset1:48
	ds_read2_b64 v[92:95], v0 offset0:64 offset1:80
	ds_read2_b64 v[96:99], v0 offset0:96 offset1:112
	v_add_u32_e32 v0, s6, v83
	ds_read2st64_b64 v[100:103], v0 offset1:1
	ds_read2st64_b64 v[0:3], v0 offset0:2 offset1:3
	s_waitcnt lgkmcnt(5)
	v_max_f32_e32 v104, v84, v84
	v_max_f32_e32 v105, v85, v85
	;; [unrolled: 1-line block ×3, first 2 shown]
	s_waitcnt lgkmcnt(1)
	v_max_f32_e32 v100, v100, v100
	v_max_f32_e32 v101, v101, v101
	v_min_f32_e32 v84, v104, v100
	v_min_f32_e32 v85, v105, v101
	v_max_f32_e32 v87, v87, v87
	v_pk_add_f32 v[66:67], v[84:85], v[66:67]
	v_min_f32_e32 v84, v86, v100
	v_min_f32_e32 v85, v87, v101
	v_max_f32_e32 v88, v88, v88
	v_max_f32_e32 v89, v89, v89
	v_pk_add_f32 v[64:65], v[84:85], v[64:65]
	v_min_f32_e32 v84, v88, v100
	v_min_f32_e32 v85, v89, v101
	v_max_f32_e32 v90, v90, v90
	;; [unrolled: 5-line block ×7, first 2 shown]
	v_max_f32_e32 v101, v103, v103
	v_pk_add_f32 v[52:53], v[84:85], v[52:53]
	v_min_f32_e32 v84, v104, v100
	v_min_f32_e32 v85, v105, v101
	v_pk_add_f32 v[50:51], v[84:85], v[50:51]
	v_min_f32_e32 v84, v86, v100
	v_min_f32_e32 v85, v87, v101
	;; [unrolled: 3-line block ×8, first 2 shown]
	v_pk_add_f32 v[36:37], v[84:85], v[36:37]
	s_waitcnt lgkmcnt(0)
	v_max_f32_e32 v84, v0, v0
	v_max_f32_e32 v85, v1, v1
	v_min_f32_e32 v0, v104, v84
	v_min_f32_e32 v1, v105, v85
	v_pk_add_f32 v[34:35], v[0:1], v[34:35]
	v_min_f32_e32 v0, v86, v84
	v_min_f32_e32 v1, v87, v85
	v_pk_add_f32 v[32:33], v[0:1], v[32:33]
	;; [unrolled: 3-line block ×7, first 2 shown]
	v_min_f32_e32 v0, v98, v84
	v_min_f32_e32 v1, v99, v85
	v_max_f32_e32 v2, v2, v2
	v_max_f32_e32 v3, v3, v3
	v_pk_add_f32 v[20:21], v[0:1], v[20:21]
	v_min_f32_e32 v0, v104, v2
	v_min_f32_e32 v1, v105, v3
	v_pk_add_f32 v[18:19], v[0:1], v[18:19]
	v_min_f32_e32 v0, v86, v2
	v_min_f32_e32 v1, v87, v3
	;; [unrolled: 3-line block ×8, first 2 shown]
	v_pk_add_f32 v[4:5], v[0:1], v[4:5]
	s_mov_b64 s[6:7], 0
	s_mov_b32 s19, 2
	s_cbranch_vccz .LBB90_12
; %bb.13:
	s_load_dword s28, s[0:1], 0x8
	v_lshlrev_b32_e32 v0, 2, v78
	v_lshl_add_u32 v0, v74, 4, v0
	ds_write_b32 v0, v72 offset:5120
	ds_write2st64_b32 v0, v75, v73 offset0:8 offset1:12
	s_waitcnt lgkmcnt(0)
	s_cmp_lt_i32 s28, 9
	s_barrier
	s_cbranch_scc1 .LBB90_28
; %bb.14:
	v_add_u32_e32 v84, 0x1400, v0
	v_or_b32_e32 v85, 0x800, v0
	v_mov_b32_e32 v0, 0x1400
	v_lshl_add_u32 v86, v76, 4, v0
	v_mov_b32_e32 v0, 0x800
	s_add_i32 s28, s28, -8
	v_lshl_add_u64 v[68:69], v[68:69], 2, s[22:23]
	v_lshl_add_u32 v87, v77, 4, v0
	v_lshl_add_u64 v[70:71], v[70:71], 2, s[20:21]
	s_mov_b32 s19, s18
	s_mov_b32 s20, 8
	;; [unrolled: 1-line block ×3, first 2 shown]
.LBB90_15:                              ; =>This Loop Header: Depth=1
                                        ;     Child Loop BB90_20 Depth 2
                                        ;     Child Loop BB90_26 Depth 2
	s_mov_b64 s[6:7], -1
	s_mov_b64 vcc, s[4:5]
                                        ; implicit-def: $vgpr72_vgpr73
	s_cbranch_vccz .LBB90_17
; %bb.16:                               ;   in Loop: Header=BB90_15 Depth=1
	s_mov_b64 s[6:7], 0
	v_mov_b32_e32 v72, 0
.LBB90_17:                              ;   in Loop: Header=BB90_15 Depth=1
	v_mov_b32_e32 v74, 0
	s_andn2_b64 vcc, exec, s[6:7]
	v_mov_b32_e32 v75, 0
	s_cbranch_vccnz .LBB90_19
; %bb.18:                               ;   in Loop: Header=BB90_15 Depth=1
	v_add_u32_e32 v73, s20, v78
	v_mad_u64_u32 v[0:1], s[6:7], v73, s24, 0
	v_mov_b32_e32 v2, v1
	v_mad_u64_u32 v[2:3], s[6:7], v73, s26, v[2:3]
	v_mov_b32_e32 v1, v2
	;; [unrolled: 2-line block ×4, first 2 shown]
	v_lshl_add_u64 v[0:1], v[0:1], 2, v[68:69]
	v_lshl_add_u64 v[2:3], v[2:3], 2, v[70:71]
	global_load_dword v0, v[0:1], off
	s_nop 0
	global_load_dword v72, v[2:3], off
	global_load_dword v1, v[2:3], off offset:256
	s_waitcnt vmcnt(1)
	v_mul_f32_e32 v72, s18, v72
	s_waitcnt vmcnt(0)
	v_pk_mul_f32 v[74:75], s[18:19], v[0:1]
.LBB90_19:                              ;   in Loop: Header=BB90_15 Depth=1
	s_mov_b32 s22, 0
	s_mov_b64 s[6:7], -1
.LBB90_20:                              ;   Parent Loop BB90_15 Depth=1
                                        ; =>  This Inner Loop Header: Depth=2
	v_cndmask_b32_e64 v0, 0, 1, s[6:7]
	s_lshl_b32 s6, s22, 2
	v_cmp_ne_u32_e32 vcc, 1, v0
	v_add_u32_e32 v0, s6, v86
	ds_read2_b64 v[88:91], v0 offset1:16
	ds_read2_b64 v[92:95], v0 offset0:32 offset1:48
	ds_read2_b64 v[96:99], v0 offset0:64 offset1:80
	;; [unrolled: 1-line block ×3, first 2 shown]
	v_add_u32_e32 v0, s6, v87
	ds_read2st64_b64 v[104:107], v0 offset1:1
	ds_read2st64_b64 v[0:3], v0 offset0:2 offset1:3
	s_waitcnt lgkmcnt(5)
	v_max_f32_e32 v108, v89, v89
	v_max_f32_e32 v90, v90, v90
	v_max_f32_e32 v91, v91, v91
	s_waitcnt lgkmcnt(1)
	v_max_f32_e32 v73, v104, v104
	v_max_f32_e32 v104, v88, v88
	;; [unrolled: 1-line block ×3, first 2 shown]
	v_min_f32_e32 v88, v104, v73
	v_min_f32_e32 v89, v108, v105
	v_pk_add_f32 v[66:67], v[88:89], v[66:67]
	v_min_f32_e32 v88, v90, v73
	v_min_f32_e32 v89, v91, v105
	v_max_f32_e32 v92, v92, v92
	v_max_f32_e32 v93, v93, v93
	v_pk_add_f32 v[64:65], v[88:89], v[64:65]
	v_min_f32_e32 v88, v92, v73
	v_min_f32_e32 v89, v93, v105
	v_max_f32_e32 v94, v94, v94
	v_max_f32_e32 v95, v95, v95
	;; [unrolled: 5-line block ×5, first 2 shown]
	v_pk_add_f32 v[56:57], v[88:89], v[56:57]
	v_min_f32_e32 v88, v100, v73
	v_min_f32_e32 v89, v101, v105
	v_max_f32_e32 v102, v102, v102
	v_pk_add_f32 v[54:55], v[88:89], v[54:55]
	v_min_f32_e32 v88, v102, v73
	v_max_f32_e32 v73, v103, v103
	v_min_f32_e32 v89, v73, v105
	v_max_f32_e32 v103, v106, v106
	v_max_f32_e32 v105, v107, v107
	v_pk_add_f32 v[52:53], v[88:89], v[52:53]
	v_min_f32_e32 v88, v104, v103
	v_min_f32_e32 v89, v108, v105
	v_pk_add_f32 v[50:51], v[88:89], v[50:51]
	v_min_f32_e32 v88, v90, v103
	v_min_f32_e32 v89, v91, v105
	v_pk_add_f32 v[48:49], v[88:89], v[48:49]
	v_min_f32_e32 v88, v92, v103
	v_min_f32_e32 v89, v93, v105
	v_pk_add_f32 v[46:47], v[88:89], v[46:47]
	v_min_f32_e32 v88, v94, v103
	v_min_f32_e32 v89, v95, v105
	v_pk_add_f32 v[44:45], v[88:89], v[44:45]
	v_min_f32_e32 v88, v96, v103
	v_min_f32_e32 v89, v97, v105
	v_pk_add_f32 v[42:43], v[88:89], v[42:43]
	v_min_f32_e32 v88, v98, v103
	v_min_f32_e32 v89, v99, v105
	v_pk_add_f32 v[40:41], v[88:89], v[40:41]
	v_min_f32_e32 v88, v100, v103
	v_min_f32_e32 v89, v101, v105
	v_pk_add_f32 v[38:39], v[88:89], v[38:39]
	v_min_f32_e32 v88, v102, v103
	v_min_f32_e32 v89, v73, v105
	v_pk_add_f32 v[36:37], v[88:89], v[36:37]
	s_waitcnt lgkmcnt(0)
	v_max_f32_e32 v88, v0, v0
	v_max_f32_e32 v89, v1, v1
	v_min_f32_e32 v0, v104, v88
	v_min_f32_e32 v1, v108, v89
	v_pk_add_f32 v[34:35], v[0:1], v[34:35]
	v_min_f32_e32 v0, v90, v88
	v_min_f32_e32 v1, v91, v89
	v_pk_add_f32 v[32:33], v[0:1], v[32:33]
	;; [unrolled: 3-line block ×7, first 2 shown]
	v_min_f32_e32 v0, v102, v88
	v_min_f32_e32 v1, v73, v89
	v_max_f32_e32 v2, v2, v2
	v_max_f32_e32 v3, v3, v3
	v_pk_add_f32 v[20:21], v[0:1], v[20:21]
	v_min_f32_e32 v0, v104, v2
	v_min_f32_e32 v1, v108, v3
	v_pk_add_f32 v[18:19], v[0:1], v[18:19]
	v_min_f32_e32 v0, v90, v2
	v_min_f32_e32 v1, v91, v3
	;; [unrolled: 3-line block ×8, first 2 shown]
	v_pk_add_f32 v[4:5], v[0:1], v[4:5]
	s_mov_b64 s[6:7], 0
	s_mov_b32 s22, 2
	s_cbranch_vccz .LBB90_20
; %bb.21:                               ;   in Loop: Header=BB90_15 Depth=1
	s_mov_b64 s[6:7], -1
	s_mov_b64 vcc, s[4:5]
	ds_write_b32 v82, v74
	ds_write2st64_b32 v80, v72, v75 offset1:4
	s_waitcnt lgkmcnt(0)
	s_barrier
                                        ; implicit-def: $vgpr72_vgpr73
	s_cbranch_vccz .LBB90_23
; %bb.22:                               ;   in Loop: Header=BB90_15 Depth=1
	s_mov_b64 s[6:7], 0
	v_mov_b32_e32 v72, 0
.LBB90_23:                              ;   in Loop: Header=BB90_15 Depth=1
	v_mov_b32_e32 v74, 0
	s_andn2_b64 vcc, exec, s[6:7]
	v_mov_b32_e32 v75, 0
	s_cbranch_vccnz .LBB90_25
; %bb.24:                               ;   in Loop: Header=BB90_15 Depth=1
	v_add_u32_e32 v73, s20, v79
	v_mad_u64_u32 v[0:1], s[6:7], v73, s24, 0
	v_mov_b32_e32 v2, v1
	v_mad_u64_u32 v[2:3], s[6:7], v73, s26, v[2:3]
	v_mov_b32_e32 v1, v2
	;; [unrolled: 2-line block ×4, first 2 shown]
	v_lshl_add_u64 v[0:1], v[0:1], 2, v[68:69]
	v_lshl_add_u64 v[2:3], v[2:3], 2, v[70:71]
	global_load_dword v0, v[0:1], off
	s_nop 0
	global_load_dword v72, v[2:3], off
	global_load_dword v1, v[2:3], off offset:256
	s_waitcnt vmcnt(1)
	v_mul_f32_e32 v72, s18, v72
	s_waitcnt vmcnt(0)
	v_pk_mul_f32 v[74:75], s[18:19], v[0:1]
.LBB90_25:                              ;   in Loop: Header=BB90_15 Depth=1
	s_mov_b32 s22, 0
	s_mov_b64 s[6:7], -1
.LBB90_26:                              ;   Parent Loop BB90_15 Depth=1
                                        ; =>  This Inner Loop Header: Depth=2
	v_cndmask_b32_e64 v0, 0, 1, s[6:7]
	s_lshl_b32 s6, s22, 2
	v_cmp_ne_u32_e32 vcc, 1, v0
	v_add_u32_e32 v0, s6, v81
	ds_read2_b64 v[88:91], v0 offset1:16
	ds_read2_b64 v[92:95], v0 offset0:32 offset1:48
	ds_read2_b64 v[96:99], v0 offset0:64 offset1:80
	;; [unrolled: 1-line block ×3, first 2 shown]
	v_add_u32_e32 v0, s6, v83
	ds_read2st64_b64 v[104:107], v0 offset1:1
	ds_read2st64_b64 v[0:3], v0 offset0:2 offset1:3
	s_waitcnt lgkmcnt(5)
	v_max_f32_e32 v108, v89, v89
	v_max_f32_e32 v90, v90, v90
	;; [unrolled: 1-line block ×3, first 2 shown]
	s_waitcnt lgkmcnt(1)
	v_max_f32_e32 v73, v104, v104
	v_max_f32_e32 v104, v88, v88
	;; [unrolled: 1-line block ×3, first 2 shown]
	v_min_f32_e32 v88, v104, v73
	v_min_f32_e32 v89, v108, v105
	v_pk_add_f32 v[66:67], v[88:89], v[66:67]
	v_min_f32_e32 v88, v90, v73
	v_min_f32_e32 v89, v91, v105
	v_max_f32_e32 v92, v92, v92
	v_max_f32_e32 v93, v93, v93
	v_pk_add_f32 v[64:65], v[88:89], v[64:65]
	v_min_f32_e32 v88, v92, v73
	v_min_f32_e32 v89, v93, v105
	v_max_f32_e32 v94, v94, v94
	v_max_f32_e32 v95, v95, v95
	;; [unrolled: 5-line block ×5, first 2 shown]
	v_pk_add_f32 v[56:57], v[88:89], v[56:57]
	v_min_f32_e32 v88, v100, v73
	v_min_f32_e32 v89, v101, v105
	v_max_f32_e32 v102, v102, v102
	v_pk_add_f32 v[54:55], v[88:89], v[54:55]
	v_min_f32_e32 v88, v102, v73
	v_max_f32_e32 v73, v103, v103
	v_min_f32_e32 v89, v73, v105
	v_max_f32_e32 v103, v106, v106
	v_max_f32_e32 v105, v107, v107
	v_pk_add_f32 v[52:53], v[88:89], v[52:53]
	v_min_f32_e32 v88, v104, v103
	v_min_f32_e32 v89, v108, v105
	v_pk_add_f32 v[50:51], v[88:89], v[50:51]
	v_min_f32_e32 v88, v90, v103
	v_min_f32_e32 v89, v91, v105
	;; [unrolled: 3-line block ×8, first 2 shown]
	v_pk_add_f32 v[36:37], v[88:89], v[36:37]
	s_waitcnt lgkmcnt(0)
	v_max_f32_e32 v88, v0, v0
	v_max_f32_e32 v89, v1, v1
	v_min_f32_e32 v0, v104, v88
	v_min_f32_e32 v1, v108, v89
	v_pk_add_f32 v[34:35], v[0:1], v[34:35]
	v_min_f32_e32 v0, v90, v88
	v_min_f32_e32 v1, v91, v89
	v_pk_add_f32 v[32:33], v[0:1], v[32:33]
	;; [unrolled: 3-line block ×7, first 2 shown]
	v_min_f32_e32 v0, v102, v88
	v_min_f32_e32 v1, v73, v89
	v_max_f32_e32 v2, v2, v2
	v_max_f32_e32 v3, v3, v3
	v_pk_add_f32 v[20:21], v[0:1], v[20:21]
	v_min_f32_e32 v0, v104, v2
	v_min_f32_e32 v1, v108, v3
	v_pk_add_f32 v[18:19], v[0:1], v[18:19]
	v_min_f32_e32 v0, v90, v2
	v_min_f32_e32 v1, v91, v3
	;; [unrolled: 3-line block ×8, first 2 shown]
	v_pk_add_f32 v[4:5], v[0:1], v[4:5]
	s_mov_b64 s[6:7], 0
	s_mov_b32 s22, 2
	s_cbranch_vccz .LBB90_26
; %bb.27:                               ;   in Loop: Header=BB90_15 Depth=1
	s_add_i32 s20, s20, 8
	s_add_i32 s21, s21, 8
	s_cmp_ge_i32 s21, s28
	ds_write_b32 v84, v74
	ds_write2st64_b32 v85, v72, v75 offset1:4
	s_waitcnt lgkmcnt(0)
	s_barrier
	s_cbranch_scc0 .LBB90_15
.LBB90_28:
	v_mov_b32_e32 v0, 0x1400
	v_lshl_add_u32 v68, v76, 4, v0
	v_mov_b32_e32 v0, 0x800
	v_lshl_add_u32 v69, v77, 4, v0
	s_mov_b32 s6, 0
	s_mov_b64 s[4:5], -1
.LBB90_29:                              ; =>This Inner Loop Header: Depth=1
	v_cndmask_b32_e64 v0, 0, 1, s[4:5]
	s_lshl_b32 s4, s6, 2
	v_cmp_ne_u32_e32 vcc, 1, v0
	v_add_u32_e32 v0, s4, v68
	ds_read2_b64 v[70:73], v0 offset1:16
	ds_read2_b64 v[78:81], v0 offset0:32 offset1:48
	ds_read2_b64 v[82:85], v0 offset0:64 offset1:80
	;; [unrolled: 1-line block ×3, first 2 shown]
	v_add_u32_e32 v0, s4, v69
	ds_read2st64_b64 v[90:93], v0 offset1:1
	ds_read2st64_b64 v[0:3], v0 offset0:2 offset1:3
	s_waitcnt lgkmcnt(5)
	v_max_f32_e32 v75, v70, v70
	v_max_f32_e32 v72, v72, v72
	;; [unrolled: 1-line block ×3, first 2 shown]
	s_waitcnt lgkmcnt(1)
	v_max_f32_e32 v74, v90, v90
	v_max_f32_e32 v90, v91, v91
	;; [unrolled: 1-line block ×3, first 2 shown]
	v_min_f32_e32 v70, v75, v74
	v_min_f32_e32 v71, v91, v90
	v_pk_add_f32 v[66:67], v[70:71], v[66:67]
	v_min_f32_e32 v70, v72, v74
	v_min_f32_e32 v71, v73, v90
	v_max_f32_e32 v78, v78, v78
	v_max_f32_e32 v79, v79, v79
	v_pk_add_f32 v[64:65], v[70:71], v[64:65]
	v_min_f32_e32 v70, v78, v74
	v_min_f32_e32 v71, v79, v90
	v_max_f32_e32 v80, v80, v80
	v_max_f32_e32 v81, v81, v81
	;; [unrolled: 5-line block ×5, first 2 shown]
	v_pk_add_f32 v[56:57], v[70:71], v[56:57]
	v_min_f32_e32 v70, v86, v74
	v_min_f32_e32 v71, v87, v90
	v_max_f32_e32 v88, v88, v88
	v_pk_add_f32 v[54:55], v[70:71], v[54:55]
	v_min_f32_e32 v70, v88, v74
	v_max_f32_e32 v74, v89, v89
	v_min_f32_e32 v71, v74, v90
	v_max_f32_e32 v89, v92, v92
	v_max_f32_e32 v90, v93, v93
	v_pk_add_f32 v[52:53], v[70:71], v[52:53]
	v_min_f32_e32 v70, v75, v89
	v_min_f32_e32 v71, v91, v90
	v_pk_add_f32 v[50:51], v[70:71], v[50:51]
	v_min_f32_e32 v70, v72, v89
	v_min_f32_e32 v71, v73, v90
	;; [unrolled: 3-line block ×8, first 2 shown]
	v_pk_add_f32 v[36:37], v[70:71], v[36:37]
	s_waitcnt lgkmcnt(0)
	v_max_f32_e32 v70, v0, v0
	v_max_f32_e32 v71, v1, v1
	v_min_f32_e32 v0, v75, v70
	v_min_f32_e32 v1, v91, v71
	v_pk_add_f32 v[34:35], v[0:1], v[34:35]
	v_min_f32_e32 v0, v72, v70
	v_min_f32_e32 v1, v73, v71
	v_pk_add_f32 v[32:33], v[0:1], v[32:33]
	;; [unrolled: 3-line block ×7, first 2 shown]
	v_min_f32_e32 v0, v88, v70
	v_min_f32_e32 v1, v74, v71
	v_max_f32_e32 v2, v2, v2
	v_max_f32_e32 v3, v3, v3
	v_pk_add_f32 v[20:21], v[0:1], v[20:21]
	v_min_f32_e32 v0, v75, v2
	v_min_f32_e32 v1, v91, v3
	v_pk_add_f32 v[18:19], v[0:1], v[18:19]
	v_min_f32_e32 v0, v72, v2
	v_min_f32_e32 v1, v73, v3
	v_pk_add_f32 v[16:17], v[0:1], v[16:17]
	v_min_f32_e32 v0, v78, v2
	v_min_f32_e32 v1, v79, v3
	v_pk_add_f32 v[14:15], v[0:1], v[14:15]
	v_min_f32_e32 v0, v80, v2
	v_min_f32_e32 v1, v81, v3
	v_pk_add_f32 v[12:13], v[0:1], v[12:13]
	v_min_f32_e32 v0, v82, v2
	v_min_f32_e32 v1, v83, v3
	v_pk_add_f32 v[10:11], v[0:1], v[10:11]
	v_min_f32_e32 v0, v84, v2
	v_min_f32_e32 v1, v85, v3
	v_pk_add_f32 v[8:9], v[0:1], v[8:9]
	v_min_f32_e32 v0, v86, v2
	v_min_f32_e32 v1, v87, v3
	v_pk_add_f32 v[6:7], v[0:1], v[6:7]
	v_min_f32_e32 v0, v88, v2
	v_min_f32_e32 v1, v74, v3
	v_pk_add_f32 v[4:5], v[0:1], v[4:5]
	s_mov_b64 s[4:5], 0
	s_mov_b32 s6, 2
	s_cbranch_vccz .LBB90_29
; %bb.30:
	s_load_dword s6, s[0:1], 0x58
	v_add_u32_e32 v72, s12, v77
	v_add_u32_e32 v0, s13, v76
	v_ashrrev_i32_e32 v1, 31, v0
	v_mov_b32_e32 v73, 0
	s_waitcnt lgkmcnt(0)
	v_mad_i64_i32 v[2:3], s[4:5], v72, s6, 0
	v_lshl_add_u64 v[68:69], v[2:3], 2, s[10:11]
	v_cndmask_b32_e64 v2, 0, 1, s[2:3]
	v_cmp_ne_u32_e64 s[4:5], 1, v2
	s_andn2_b64 vcc, exec, s[2:3]
	v_mov_b32_e32 v74, 0
	s_cbranch_vccnz .LBB90_32
; %bb.31:
	v_lshl_add_u64 v[2:3], v[0:1], 2, v[68:69]
	global_load_dword v2, v[2:3], off
	s_waitcnt vmcnt(0)
	v_mul_f32_e32 v74, s17, v2
.LBB90_32:
	s_load_dwordx2 s[12:13], s[0:1], 0x78
	s_load_dword s2, s[0:1], 0x70
	v_add_u32_e32 v2, 8, v0
	v_add_f32_e32 v66, v66, v67
	v_ashrrev_i32_e32 v3, 31, v2
	s_waitcnt lgkmcnt(0)
	s_mul_i32 s1, s13, s16
	s_mul_hi_u32 s3, s12, s16
	s_mul_i32 s0, s12, s16
	s_add_i32 s1, s3, s1
	s_lshl_b64 s[0:1], s[0:1], 2
	s_add_u32 s0, s14, s0
	s_addc_u32 s1, s15, s1
	v_mad_i64_i32 v[70:71], s[12:13], v72, s2, 0
	v_lshl_add_u64 v[70:71], v[70:71], 2, s[0:1]
	v_add_f32_e32 v74, v66, v74
	v_lshl_add_u64 v[66:67], v[0:1], 2, v[70:71]
	s_and_b64 vcc, exec, s[4:5]
	global_store_dword v[66:67], v74, off
	s_cbranch_vccnz .LBB90_34
; %bb.33:
	v_lshl_add_u64 v[66:67], v[2:3], 2, v[68:69]
	global_load_dword v66, v[66:67], off
	s_waitcnt vmcnt(0)
	v_mul_f32_e32 v73, s17, v66
.LBB90_34:
	v_add_f32_e32 v66, v64, v65
	v_add_u32_e32 v64, 16, v0
	v_add_f32_e32 v73, v66, v73
	v_lshl_add_u64 v[66:67], v[2:3], 2, v[70:71]
	v_ashrrev_i32_e32 v65, 31, v64
	global_store_dword v[66:67], v73, off
	v_mov_b32_e32 v66, 0
	s_and_b64 vcc, exec, s[4:5]
	v_mov_b32_e32 v67, 0
	s_cbranch_vccnz .LBB90_36
; %bb.35:
	v_lshl_add_u64 v[74:75], v[64:65], 2, v[68:69]
	global_load_dword v67, v[74:75], off
	s_waitcnt vmcnt(0)
	v_mul_f32_e32 v67, s17, v67
.LBB90_36:
	v_add_f32_e32 v73, v62, v63
	v_add_u32_e32 v62, 24, v0
	v_ashrrev_i32_e32 v63, 31, v62
	v_add_f32_e32 v67, v73, v67
	v_lshl_add_u64 v[74:75], v[64:65], 2, v[70:71]
	s_and_b64 vcc, exec, s[4:5]
	global_store_dword v[74:75], v67, off
	s_cbranch_vccnz .LBB90_38
; %bb.37:
	v_lshl_add_u64 v[66:67], v[62:63], 2, v[68:69]
	global_load_dword v66, v[66:67], off
	s_waitcnt vmcnt(0)
	v_mul_f32_e32 v66, s17, v66
.LBB90_38:
	v_add_f32_e32 v67, v60, v61
	v_add_u32_e32 v60, 32, v0
	v_add_f32_e32 v73, v67, v66
	v_lshl_add_u64 v[66:67], v[62:63], 2, v[70:71]
	v_ashrrev_i32_e32 v61, 31, v60
	global_store_dword v[66:67], v73, off
	v_mov_b32_e32 v66, 0
	s_and_b64 vcc, exec, s[4:5]
	v_mov_b32_e32 v67, 0
	s_cbranch_vccnz .LBB90_40
; %bb.39:
	v_lshl_add_u64 v[74:75], v[60:61], 2, v[68:69]
	global_load_dword v67, v[74:75], off
	s_waitcnt vmcnt(0)
	v_mul_f32_e32 v67, s17, v67
.LBB90_40:
	v_add_f32_e32 v73, v58, v59
	v_add_u32_e32 v58, 40, v0
	v_ashrrev_i32_e32 v59, 31, v58
	;; [unrolled: 30-line block ×3, first 2 shown]
	v_add_f32_e32 v67, v73, v67
	v_lshl_add_u64 v[74:75], v[56:57], 2, v[70:71]
	s_and_b64 vcc, exec, s[4:5]
	global_store_dword v[74:75], v67, off
	s_cbranch_vccnz .LBB90_46
; %bb.45:
	v_lshl_add_u64 v[66:67], v[54:55], 2, v[68:69]
	global_load_dword v66, v[66:67], off
	s_waitcnt vmcnt(0)
	v_mul_f32_e32 v66, s17, v66
.LBB90_46:
	v_add_f32_e32 v52, v52, v53
	v_add_f32_e32 v66, v52, v66
	v_lshl_add_u64 v[52:53], v[54:55], 2, v[70:71]
	global_store_dword v[52:53], v66, off
	v_add_u32_e32 v66, 32, v72
	v_mad_i64_i32 v[52:53], s[12:13], v66, s6, 0
	v_lshl_add_u64 v[52:53], v[52:53], 2, s[10:11]
	v_mov_b32_e32 v68, 0
	s_and_b64 vcc, exec, s[4:5]
	v_mov_b32_e32 v69, 0
	s_cbranch_vccnz .LBB90_48
; %bb.47:
	v_lshl_add_u64 v[70:71], v[0:1], 2, v[52:53]
	global_load_dword v67, v[70:71], off
	s_waitcnt vmcnt(0)
	v_mul_f32_e32 v69, s17, v67
.LBB90_48:
	v_mad_i64_i32 v[66:67], s[12:13], v66, s2, 0
	v_lshl_add_u64 v[66:67], v[66:67], 2, s[0:1]
	v_add_f32_e32 v50, v50, v51
	v_add_f32_e32 v69, v50, v69
	v_lshl_add_u64 v[50:51], v[0:1], 2, v[66:67]
	s_and_b64 vcc, exec, s[4:5]
	global_store_dword v[50:51], v69, off
	s_cbranch_vccnz .LBB90_50
; %bb.49:
	v_lshl_add_u64 v[50:51], v[2:3], 2, v[52:53]
	global_load_dword v50, v[50:51], off
	s_waitcnt vmcnt(0)
	v_mul_f32_e32 v68, s17, v50
.LBB90_50:
	v_add_f32_e32 v48, v48, v49
	v_add_f32_e32 v50, v48, v68
	v_lshl_add_u64 v[48:49], v[2:3], 2, v[66:67]
	global_store_dword v[48:49], v50, off
	v_mov_b32_e32 v48, 0
	s_and_b64 vcc, exec, s[4:5]
	v_mov_b32_e32 v49, 0
	s_cbranch_vccnz .LBB90_52
; %bb.51:
	v_lshl_add_u64 v[50:51], v[64:65], 2, v[52:53]
	global_load_dword v49, v[50:51], off
	s_waitcnt vmcnt(0)
	v_mul_f32_e32 v49, s17, v49
.LBB90_52:
	v_add_f32_e32 v46, v46, v47
	v_add_f32_e32 v49, v46, v49
	v_lshl_add_u64 v[46:47], v[64:65], 2, v[66:67]
	s_and_b64 vcc, exec, s[4:5]
	global_store_dword v[46:47], v49, off
	s_cbranch_vccnz .LBB90_54
; %bb.53:
	v_lshl_add_u64 v[46:47], v[62:63], 2, v[52:53]
	global_load_dword v46, v[46:47], off
	s_waitcnt vmcnt(0)
	v_mul_f32_e32 v48, s17, v46
.LBB90_54:
	v_add_f32_e32 v44, v44, v45
	v_add_f32_e32 v46, v44, v48
	v_lshl_add_u64 v[44:45], v[62:63], 2, v[66:67]
	global_store_dword v[44:45], v46, off
	v_mov_b32_e32 v44, 0
	s_and_b64 vcc, exec, s[4:5]
	v_mov_b32_e32 v45, 0
	s_cbranch_vccnz .LBB90_56
; %bb.55:
	v_lshl_add_u64 v[46:47], v[60:61], 2, v[52:53]
	global_load_dword v45, v[46:47], off
	s_waitcnt vmcnt(0)
	v_mul_f32_e32 v45, s17, v45
.LBB90_56:
	;; [unrolled: 26-line block ×3, first 2 shown]
	v_add_f32_e32 v38, v38, v39
	v_add_f32_e32 v41, v38, v41
	v_lshl_add_u64 v[38:39], v[56:57], 2, v[66:67]
	s_and_b64 vcc, exec, s[4:5]
	global_store_dword v[38:39], v41, off
	s_cbranch_vccnz .LBB90_62
; %bb.61:
	v_lshl_add_u64 v[38:39], v[54:55], 2, v[52:53]
	global_load_dword v38, v[38:39], off
	s_waitcnt vmcnt(0)
	v_mul_f32_e32 v40, s17, v38
.LBB90_62:
	v_add_f32_e32 v36, v36, v37
	v_add_f32_e32 v38, v36, v40
	v_lshl_add_u64 v[36:37], v[54:55], 2, v[66:67]
	global_store_dword v[36:37], v38, off
	v_add_u32_e32 v38, 64, v72
	v_mad_i64_i32 v[36:37], s[12:13], v38, s6, 0
	v_lshl_add_u64 v[36:37], v[36:37], 2, s[10:11]
	v_mov_b32_e32 v40, 0
	s_and_b64 vcc, exec, s[4:5]
	v_mov_b32_e32 v41, 0
	s_cbranch_vccnz .LBB90_64
; %bb.63:
	v_lshl_add_u64 v[42:43], v[0:1], 2, v[36:37]
	global_load_dword v39, v[42:43], off
	s_waitcnt vmcnt(0)
	v_mul_f32_e32 v41, s17, v39
.LBB90_64:
	v_mad_i64_i32 v[38:39], s[12:13], v38, s2, 0
	v_lshl_add_u64 v[38:39], v[38:39], 2, s[0:1]
	v_add_f32_e32 v34, v34, v35
	v_add_f32_e32 v41, v34, v41
	v_lshl_add_u64 v[34:35], v[0:1], 2, v[38:39]
	s_and_b64 vcc, exec, s[4:5]
	global_store_dword v[34:35], v41, off
	s_cbranch_vccnz .LBB90_66
; %bb.65:
	v_lshl_add_u64 v[34:35], v[2:3], 2, v[36:37]
	global_load_dword v34, v[34:35], off
	s_waitcnt vmcnt(0)
	v_mul_f32_e32 v40, s17, v34
.LBB90_66:
	v_add_f32_e32 v32, v32, v33
	v_add_f32_e32 v34, v32, v40
	v_lshl_add_u64 v[32:33], v[2:3], 2, v[38:39]
	global_store_dword v[32:33], v34, off
	v_mov_b32_e32 v32, 0
	s_and_b64 vcc, exec, s[4:5]
	v_mov_b32_e32 v33, 0
	s_cbranch_vccnz .LBB90_68
; %bb.67:
	v_lshl_add_u64 v[34:35], v[64:65], 2, v[36:37]
	global_load_dword v33, v[34:35], off
	s_waitcnt vmcnt(0)
	v_mul_f32_e32 v33, s17, v33
.LBB90_68:
	v_add_f32_e32 v30, v30, v31
	v_add_f32_e32 v33, v30, v33
	v_lshl_add_u64 v[30:31], v[64:65], 2, v[38:39]
	s_and_b64 vcc, exec, s[4:5]
	global_store_dword v[30:31], v33, off
	s_cbranch_vccnz .LBB90_70
; %bb.69:
	v_lshl_add_u64 v[30:31], v[62:63], 2, v[36:37]
	global_load_dword v30, v[30:31], off
	s_waitcnt vmcnt(0)
	v_mul_f32_e32 v32, s17, v30
.LBB90_70:
	v_add_f32_e32 v28, v28, v29
	v_add_f32_e32 v30, v28, v32
	v_lshl_add_u64 v[28:29], v[62:63], 2, v[38:39]
	global_store_dword v[28:29], v30, off
	v_mov_b32_e32 v28, 0
	s_and_b64 vcc, exec, s[4:5]
	v_mov_b32_e32 v29, 0
	s_cbranch_vccnz .LBB90_72
; %bb.71:
	v_lshl_add_u64 v[30:31], v[60:61], 2, v[36:37]
	global_load_dword v29, v[30:31], off
	s_waitcnt vmcnt(0)
	v_mul_f32_e32 v29, s17, v29
.LBB90_72:
	;; [unrolled: 26-line block ×3, first 2 shown]
	v_add_f32_e32 v22, v22, v23
	v_add_f32_e32 v25, v22, v25
	v_lshl_add_u64 v[22:23], v[56:57], 2, v[38:39]
	s_and_b64 vcc, exec, s[4:5]
	global_store_dword v[22:23], v25, off
	s_cbranch_vccnz .LBB90_78
; %bb.77:
	v_lshl_add_u64 v[22:23], v[54:55], 2, v[36:37]
	global_load_dword v22, v[22:23], off
	s_waitcnt vmcnt(0)
	v_mul_f32_e32 v24, s17, v22
.LBB90_78:
	v_add_f32_e32 v20, v20, v21
	v_add_f32_e32 v22, v20, v24
	v_lshl_add_u64 v[20:21], v[54:55], 2, v[38:39]
	global_store_dword v[20:21], v22, off
	v_add_u32_e32 v22, 0x60, v72
	v_mad_i64_i32 v[20:21], s[6:7], v22, s6, 0
	v_lshl_add_u64 v[20:21], v[20:21], 2, s[10:11]
	v_mov_b32_e32 v24, 0
	s_and_b64 vcc, exec, s[4:5]
	v_mov_b32_e32 v25, 0
	s_cbranch_vccnz .LBB90_80
; %bb.79:
	v_lshl_add_u64 v[26:27], v[0:1], 2, v[20:21]
	global_load_dword v23, v[26:27], off
	s_waitcnt vmcnt(0)
	v_mul_f32_e32 v25, s17, v23
.LBB90_80:
	v_mad_i64_i32 v[22:23], s[2:3], v22, s2, 0
	v_lshl_add_u64 v[22:23], v[22:23], 2, s[0:1]
	v_add_f32_e32 v18, v18, v19
	v_add_f32_e32 v18, v18, v25
	v_lshl_add_u64 v[0:1], v[0:1], 2, v[22:23]
	s_and_b64 vcc, exec, s[4:5]
	global_store_dword v[0:1], v18, off
	s_cbranch_vccnz .LBB90_82
; %bb.81:
	v_lshl_add_u64 v[0:1], v[2:3], 2, v[20:21]
	global_load_dword v0, v[0:1], off
	s_waitcnt vmcnt(0)
	v_mul_f32_e32 v24, s17, v0
.LBB90_82:
	v_add_f32_e32 v0, v16, v17
	v_add_f32_e32 v16, v0, v24
	v_lshl_add_u64 v[0:1], v[2:3], 2, v[22:23]
	global_store_dword v[0:1], v16, off
	v_mov_b32_e32 v0, 0
	s_and_b64 vcc, exec, s[4:5]
	v_mov_b32_e32 v1, 0
	s_cbranch_vccnz .LBB90_84
; %bb.83:
	v_lshl_add_u64 v[2:3], v[64:65], 2, v[20:21]
	global_load_dword v1, v[2:3], off
	s_waitcnt vmcnt(0)
	v_mul_f32_e32 v1, s17, v1
.LBB90_84:
	v_add_f32_e32 v2, v14, v15
	v_add_f32_e32 v1, v2, v1
	v_lshl_add_u64 v[2:3], v[64:65], 2, v[22:23]
	s_and_b64 vcc, exec, s[4:5]
	global_store_dword v[2:3], v1, off
	s_cbranch_vccnz .LBB90_86
; %bb.85:
	v_lshl_add_u64 v[0:1], v[62:63], 2, v[20:21]
	global_load_dword v0, v[0:1], off
	s_waitcnt vmcnt(0)
	v_mul_f32_e32 v0, s17, v0
.LBB90_86:
	v_add_f32_e32 v1, v12, v13
	v_add_f32_e32 v2, v1, v0
	v_lshl_add_u64 v[0:1], v[62:63], 2, v[22:23]
	global_store_dword v[0:1], v2, off
	v_mov_b32_e32 v0, 0
	s_and_b64 vcc, exec, s[4:5]
	v_mov_b32_e32 v1, 0
	s_cbranch_vccnz .LBB90_88
; %bb.87:
	v_lshl_add_u64 v[2:3], v[60:61], 2, v[20:21]
	global_load_dword v1, v[2:3], off
	s_waitcnt vmcnt(0)
	v_mul_f32_e32 v1, s17, v1
.LBB90_88:
	v_add_f32_e32 v2, v10, v11
	v_add_f32_e32 v1, v2, v1
	v_lshl_add_u64 v[2:3], v[60:61], 2, v[22:23]
	s_and_b64 vcc, exec, s[4:5]
	global_store_dword v[2:3], v1, off
	s_cbranch_vccnz .LBB90_90
; %bb.89:
	v_lshl_add_u64 v[0:1], v[58:59], 2, v[20:21]
	global_load_dword v0, v[0:1], off
	s_waitcnt vmcnt(0)
	v_mul_f32_e32 v0, s17, v0
.LBB90_90:
	v_add_f32_e32 v1, v8, v9
	v_add_f32_e32 v2, v1, v0
	v_lshl_add_u64 v[0:1], v[58:59], 2, v[22:23]
	global_store_dword v[0:1], v2, off
	v_add_f32_e32 v0, v6, v7
	s_mov_b64 s[0:1], -1
	s_mov_b64 vcc, s[8:9]
	s_cbranch_vccz .LBB90_92
; %bb.91:
	v_add_f32_e32 v1, 0, v0
	v_lshl_add_u64 v[2:3], v[56:57], 2, v[22:23]
	global_store_dword v[2:3], v1, off
	s_mov_b64 s[0:1], 0
.LBB90_92:
	s_andn2_b64 vcc, exec, s[0:1]
	v_mov_b32_e32 v1, 0
	s_cbranch_vccnz .LBB90_94
; %bb.93:
	v_lshlrev_b64 v[2:3], 2, v[56:57]
	v_lshl_add_u64 v[6:7], v[20:21], 0, v[2:3]
	global_load_dword v1, v[6:7], off
	v_lshl_add_u64 v[2:3], v[22:23], 0, v[2:3]
	s_waitcnt vmcnt(0)
	v_fmac_f32_e32 v0, s17, v1
	global_store_dword v[2:3], v0, off
	v_lshl_add_u64 v[0:1], v[54:55], 2, v[20:21]
	global_load_dword v0, v[0:1], off
	s_waitcnt vmcnt(0)
	v_mul_f32_e32 v1, s17, v0
.LBB90_94:
	v_add_f32_e32 v0, v4, v5
	v_add_f32_e32 v2, v0, v1
	v_lshl_add_u64 v[0:1], v[54:55], 2, v[22:23]
	global_store_dword v[0:1], v2, off
	s_endpgm
	.section	.rodata,"a",@progbits
	.p2align	6, 0x0
	.amdhsa_kernel _ZN12_GLOBAL__N_120geam_min_plus_kernelIf15HIP_vector_typeIfLj2EES2_Li8ELi32ELi64ELi128ELi4ELi64ELi4ELi64ELi4ELc78ELc84ELb0ELb0ELb0EPKfS3_fEEviiiT16_PT17_ilS7_ilS5_S7_ilPT18_ili26rocblas_geam_ex_operation_
		.amdhsa_group_segment_fixed_size 6144
		.amdhsa_private_segment_fixed_size 0
		.amdhsa_kernarg_size 136
		.amdhsa_user_sgpr_count 2
		.amdhsa_user_sgpr_dispatch_ptr 0
		.amdhsa_user_sgpr_queue_ptr 0
		.amdhsa_user_sgpr_kernarg_segment_ptr 1
		.amdhsa_user_sgpr_dispatch_id 0
		.amdhsa_user_sgpr_kernarg_preload_length 0
		.amdhsa_user_sgpr_kernarg_preload_offset 0
		.amdhsa_user_sgpr_private_segment_size 0
		.amdhsa_uses_dynamic_stack 0
		.amdhsa_enable_private_segment 0
		.amdhsa_system_sgpr_workgroup_id_x 1
		.amdhsa_system_sgpr_workgroup_id_y 0
		.amdhsa_system_sgpr_workgroup_id_z 1
		.amdhsa_system_sgpr_workgroup_info 0
		.amdhsa_system_vgpr_workitem_id 1
		.amdhsa_next_free_vgpr 109
		.amdhsa_next_free_sgpr 29
		.amdhsa_accum_offset 112
		.amdhsa_reserve_vcc 1
		.amdhsa_float_round_mode_32 0
		.amdhsa_float_round_mode_16_64 0
		.amdhsa_float_denorm_mode_32 3
		.amdhsa_float_denorm_mode_16_64 3
		.amdhsa_dx10_clamp 1
		.amdhsa_ieee_mode 1
		.amdhsa_fp16_overflow 0
		.amdhsa_tg_split 0
		.amdhsa_exception_fp_ieee_invalid_op 0
		.amdhsa_exception_fp_denorm_src 0
		.amdhsa_exception_fp_ieee_div_zero 0
		.amdhsa_exception_fp_ieee_overflow 0
		.amdhsa_exception_fp_ieee_underflow 0
		.amdhsa_exception_fp_ieee_inexact 0
		.amdhsa_exception_int_div_zero 0
	.end_amdhsa_kernel
	.section	.text._ZN12_GLOBAL__N_120geam_min_plus_kernelIf15HIP_vector_typeIfLj2EES2_Li8ELi32ELi64ELi128ELi4ELi64ELi4ELi64ELi4ELc78ELc84ELb0ELb0ELb0EPKfS3_fEEviiiT16_PT17_ilS7_ilS5_S7_ilPT18_ili26rocblas_geam_ex_operation_,"axG",@progbits,_ZN12_GLOBAL__N_120geam_min_plus_kernelIf15HIP_vector_typeIfLj2EES2_Li8ELi32ELi64ELi128ELi4ELi64ELi4ELi64ELi4ELc78ELc84ELb0ELb0ELb0EPKfS3_fEEviiiT16_PT17_ilS7_ilS5_S7_ilPT18_ili26rocblas_geam_ex_operation_,comdat
.Lfunc_end90:
	.size	_ZN12_GLOBAL__N_120geam_min_plus_kernelIf15HIP_vector_typeIfLj2EES2_Li8ELi32ELi64ELi128ELi4ELi64ELi4ELi64ELi4ELc78ELc84ELb0ELb0ELb0EPKfS3_fEEviiiT16_PT17_ilS7_ilS5_S7_ilPT18_ili26rocblas_geam_ex_operation_, .Lfunc_end90-_ZN12_GLOBAL__N_120geam_min_plus_kernelIf15HIP_vector_typeIfLj2EES2_Li8ELi32ELi64ELi128ELi4ELi64ELi4ELi64ELi4ELc78ELc84ELb0ELb0ELb0EPKfS3_fEEviiiT16_PT17_ilS7_ilS5_S7_ilPT18_ili26rocblas_geam_ex_operation_
                                        ; -- End function
	.set _ZN12_GLOBAL__N_120geam_min_plus_kernelIf15HIP_vector_typeIfLj2EES2_Li8ELi32ELi64ELi128ELi4ELi64ELi4ELi64ELi4ELc78ELc84ELb0ELb0ELb0EPKfS3_fEEviiiT16_PT17_ilS7_ilS5_S7_ilPT18_ili26rocblas_geam_ex_operation_.num_vgpr, 109
	.set _ZN12_GLOBAL__N_120geam_min_plus_kernelIf15HIP_vector_typeIfLj2EES2_Li8ELi32ELi64ELi128ELi4ELi64ELi4ELi64ELi4ELc78ELc84ELb0ELb0ELb0EPKfS3_fEEviiiT16_PT17_ilS7_ilS5_S7_ilPT18_ili26rocblas_geam_ex_operation_.num_agpr, 0
	.set _ZN12_GLOBAL__N_120geam_min_plus_kernelIf15HIP_vector_typeIfLj2EES2_Li8ELi32ELi64ELi128ELi4ELi64ELi4ELi64ELi4ELc78ELc84ELb0ELb0ELb0EPKfS3_fEEviiiT16_PT17_ilS7_ilS5_S7_ilPT18_ili26rocblas_geam_ex_operation_.numbered_sgpr, 29
	.set _ZN12_GLOBAL__N_120geam_min_plus_kernelIf15HIP_vector_typeIfLj2EES2_Li8ELi32ELi64ELi128ELi4ELi64ELi4ELi64ELi4ELc78ELc84ELb0ELb0ELb0EPKfS3_fEEviiiT16_PT17_ilS7_ilS5_S7_ilPT18_ili26rocblas_geam_ex_operation_.num_named_barrier, 0
	.set _ZN12_GLOBAL__N_120geam_min_plus_kernelIf15HIP_vector_typeIfLj2EES2_Li8ELi32ELi64ELi128ELi4ELi64ELi4ELi64ELi4ELc78ELc84ELb0ELb0ELb0EPKfS3_fEEviiiT16_PT17_ilS7_ilS5_S7_ilPT18_ili26rocblas_geam_ex_operation_.private_seg_size, 0
	.set _ZN12_GLOBAL__N_120geam_min_plus_kernelIf15HIP_vector_typeIfLj2EES2_Li8ELi32ELi64ELi128ELi4ELi64ELi4ELi64ELi4ELc78ELc84ELb0ELb0ELb0EPKfS3_fEEviiiT16_PT17_ilS7_ilS5_S7_ilPT18_ili26rocblas_geam_ex_operation_.uses_vcc, 1
	.set _ZN12_GLOBAL__N_120geam_min_plus_kernelIf15HIP_vector_typeIfLj2EES2_Li8ELi32ELi64ELi128ELi4ELi64ELi4ELi64ELi4ELc78ELc84ELb0ELb0ELb0EPKfS3_fEEviiiT16_PT17_ilS7_ilS5_S7_ilPT18_ili26rocblas_geam_ex_operation_.uses_flat_scratch, 0
	.set _ZN12_GLOBAL__N_120geam_min_plus_kernelIf15HIP_vector_typeIfLj2EES2_Li8ELi32ELi64ELi128ELi4ELi64ELi4ELi64ELi4ELc78ELc84ELb0ELb0ELb0EPKfS3_fEEviiiT16_PT17_ilS7_ilS5_S7_ilPT18_ili26rocblas_geam_ex_operation_.has_dyn_sized_stack, 0
	.set _ZN12_GLOBAL__N_120geam_min_plus_kernelIf15HIP_vector_typeIfLj2EES2_Li8ELi32ELi64ELi128ELi4ELi64ELi4ELi64ELi4ELc78ELc84ELb0ELb0ELb0EPKfS3_fEEviiiT16_PT17_ilS7_ilS5_S7_ilPT18_ili26rocblas_geam_ex_operation_.has_recursion, 0
	.set _ZN12_GLOBAL__N_120geam_min_plus_kernelIf15HIP_vector_typeIfLj2EES2_Li8ELi32ELi64ELi128ELi4ELi64ELi4ELi64ELi4ELc78ELc84ELb0ELb0ELb0EPKfS3_fEEviiiT16_PT17_ilS7_ilS5_S7_ilPT18_ili26rocblas_geam_ex_operation_.has_indirect_call, 0
	.section	.AMDGPU.csdata,"",@progbits
; Kernel info:
; codeLenInByte = 6660
; TotalNumSgprs: 35
; NumVgprs: 109
; NumAgprs: 0
; TotalNumVgprs: 109
; ScratchSize: 0
; MemoryBound: 0
; FloatMode: 240
; IeeeMode: 1
; LDSByteSize: 6144 bytes/workgroup (compile time only)
; SGPRBlocks: 4
; VGPRBlocks: 13
; NumSGPRsForWavesPerEU: 35
; NumVGPRsForWavesPerEU: 109
; AccumOffset: 112
; Occupancy: 4
; WaveLimiterHint : 1
; COMPUTE_PGM_RSRC2:SCRATCH_EN: 0
; COMPUTE_PGM_RSRC2:USER_SGPR: 2
; COMPUTE_PGM_RSRC2:TRAP_HANDLER: 0
; COMPUTE_PGM_RSRC2:TGID_X_EN: 1
; COMPUTE_PGM_RSRC2:TGID_Y_EN: 0
; COMPUTE_PGM_RSRC2:TGID_Z_EN: 1
; COMPUTE_PGM_RSRC2:TIDIG_COMP_CNT: 1
; COMPUTE_PGM_RSRC3_GFX90A:ACCUM_OFFSET: 27
; COMPUTE_PGM_RSRC3_GFX90A:TG_SPLIT: 0
	.section	.text._ZN12_GLOBAL__N_120geam_min_plus_kernelIf15HIP_vector_typeIfLj2EES2_Li8ELi32ELi64ELi128ELi4ELi64ELi4ELi64ELi4ELc78ELc84ELb1ELb0ELb0EfKffEEviiiT16_PT17_ilS6_ilS4_S6_ilPT18_ili26rocblas_geam_ex_operation_,"axG",@progbits,_ZN12_GLOBAL__N_120geam_min_plus_kernelIf15HIP_vector_typeIfLj2EES2_Li8ELi32ELi64ELi128ELi4ELi64ELi4ELi64ELi4ELc78ELc84ELb1ELb0ELb0EfKffEEviiiT16_PT17_ilS6_ilS4_S6_ilPT18_ili26rocblas_geam_ex_operation_,comdat
	.globl	_ZN12_GLOBAL__N_120geam_min_plus_kernelIf15HIP_vector_typeIfLj2EES2_Li8ELi32ELi64ELi128ELi4ELi64ELi4ELi64ELi4ELc78ELc84ELb1ELb0ELb0EfKffEEviiiT16_PT17_ilS6_ilS4_S6_ilPT18_ili26rocblas_geam_ex_operation_ ; -- Begin function _ZN12_GLOBAL__N_120geam_min_plus_kernelIf15HIP_vector_typeIfLj2EES2_Li8ELi32ELi64ELi128ELi4ELi64ELi4ELi64ELi4ELc78ELc84ELb1ELb0ELb0EfKffEEviiiT16_PT17_ilS6_ilS4_S6_ilPT18_ili26rocblas_geam_ex_operation_
	.p2align	8
	.type	_ZN12_GLOBAL__N_120geam_min_plus_kernelIf15HIP_vector_typeIfLj2EES2_Li8ELi32ELi64ELi128ELi4ELi64ELi4ELi64ELi4ELc78ELc84ELb1ELb0ELb0EfKffEEviiiT16_PT17_ilS6_ilS4_S6_ilPT18_ili26rocblas_geam_ex_operation_,@function
_ZN12_GLOBAL__N_120geam_min_plus_kernelIf15HIP_vector_typeIfLj2EES2_Li8ELi32ELi64ELi128ELi4ELi64ELi4ELi64ELi4ELc78ELc84ELb1ELb0ELb0EfKffEEviiiT16_PT17_ilS6_ilS4_S6_ilPT18_ili26rocblas_geam_ex_operation_: ; @_ZN12_GLOBAL__N_120geam_min_plus_kernelIf15HIP_vector_typeIfLj2EES2_Li8ELi32ELi64ELi128ELi4ELi64ELi4ELi64ELi4ELc78ELc84ELb1ELb0ELb0EfKffEEviiiT16_PT17_ilS6_ilS4_S6_ilPT18_ili26rocblas_geam_ex_operation_
; %bb.0:
	s_load_dwordx2 s[14:15], s[0:1], 0x8
	s_load_dwordx4 s[4:7], s[0:1], 0x20
	s_waitcnt lgkmcnt(0)
	v_cmp_eq_f32_e64 s[8:9], s15, 0
	s_and_b64 vcc, exec, s[8:9]
	s_cbranch_vccnz .LBB91_83
; %bb.1:
	s_load_dwordx2 s[10:11], s[0:1], 0x10
	s_mul_i32 s5, s5, s3
	s_mul_hi_u32 s12, s4, s3
	s_add_i32 s5, s12, s5
	s_mul_i32 s4, s4, s3
	s_lshl_b64 s[4:5], s[4:5], 2
	s_waitcnt lgkmcnt(0)
	s_add_u32 s4, s10, s4
	s_addc_u32 s5, s11, s5
	s_andn2_b64 vcc, exec, s[8:9]
	s_mov_b64 s[8:9], -1
	s_cbranch_vccnz .LBB91_3
.LBB91_2:
	s_mov_b64 s[8:9], 0
.LBB91_3:
	s_mov_b64 s[12:13], 0
	s_andn2_b64 vcc, exec, s[8:9]
	s_mov_b64 s[16:17], 0
	s_cbranch_vccnz .LBB91_5
; %bb.4:
	s_load_dwordx2 s[8:9], s[0:1], 0x38
	s_waitcnt lgkmcnt(0)
	s_mul_i32 s9, s9, s3
	s_mul_hi_u32 s10, s8, s3
	s_add_i32 s9, s10, s9
	s_mul_i32 s8, s8, s3
	s_lshl_b64 s[8:9], s[8:9], 2
	s_add_u32 s16, s6, s8
	s_addc_u32 s17, s7, s9
.LBB91_5:
	s_load_dword s15, s[0:1], 0x40
	s_load_dwordx4 s[8:11], s[0:1], 0x58
	s_mov_b32 s25, 0
	s_waitcnt lgkmcnt(0)
	v_cmp_eq_f32_e64 s[6:7], s15, 0
	s_and_b64 s[6:7], exec, s[6:7]
	s_mov_b64 vcc, s[6:7]
	s_cbranch_vccnz .LBB91_7
; %bb.6:
	s_load_dwordx2 s[12:13], s[0:1], 0x48
	s_mul_i32 s9, s9, s3
	s_mul_hi_u32 s18, s8, s3
	s_add_i32 s9, s18, s9
	s_mul_i32 s8, s8, s3
	s_lshl_b64 s[8:9], s[8:9], 2
	s_waitcnt lgkmcnt(0)
	s_add_u32 s12, s12, s8
	s_addc_u32 s13, s13, s9
.LBB91_7:
	s_load_dword s8, s[0:1], 0x0
	s_load_dword s21, s[0:1], 0x18
	;; [unrolled: 1-line block ×3, first 2 shown]
	v_and_b32_e32 v72, 0x3ff, v0
	v_bfe_u32 v73, v0, 10, 10
	s_waitcnt lgkmcnt(0)
	s_add_i32 s8, s8, -1
	s_ashr_i32 s9, s8, 31
	s_lshr_b32 s9, s9, 26
	s_add_i32 s8, s8, s9
	s_ashr_i32 s8, s8, 6
	s_add_i32 s9, s8, 1
	v_cvt_f32_u32_e32 v1, s9
	s_not_b32 s8, s8
	s_ashr_i32 s23, s21, 31
	s_ashr_i32 s24, s22, 31
	v_rcp_iflag_f32_e32 v0, v1
	v_lshl_add_u32 v1, v73, 3, v72
	v_and_b32_e32 v80, 63, v1
	v_lshrrev_b32_e32 v74, 6, v1
	v_mul_f32_e32 v0, 0x4f7ffffe, v0
	v_cvt_u32_f32_e32 v0, v0
	v_add_u32_e32 v75, 4, v74
	v_mov_b32_e32 v66, 0
	v_mov_b32_e32 v67, v66
	v_readfirstlane_b32 s18, v0
	s_mul_i32 s8, s8, s18
	s_mul_hi_u32 s8, s18, s8
	s_add_i32 s18, s18, s8
	s_mul_hi_u32 s8, s2, s18
	s_mul_i32 s18, s8, s9
	s_sub_i32 s18, s2, s18
	s_add_i32 s19, s8, 1
	s_sub_i32 s20, s18, s9
	s_cmp_ge_u32 s18, s9
	s_cselect_b32 s8, s19, s8
	s_cselect_b32 s18, s20, s18
	s_add_i32 s19, s8, 1
	s_cmp_ge_u32 s18, s9
	s_cselect_b32 s8, s19, s8
	s_mul_i32 s9, s8, s9
	s_lshl_b32 s20, s8, 7
	s_sub_i32 s2, s2, s9
	v_or_b32_e32 v70, s20, v80
	s_lshl_b32 s2, s2, 6
	v_mad_i64_i32 v[2:3], s[8:9], s22, v74, 0
	v_ashrrev_i32_e32 v71, 31, v70
	v_or_b32_e32 v68, s2, v80
	v_lshl_add_u64 v[2:3], v[2:3], 2, s[16:17]
	v_lshlrev_b64 v[4:5], 2, v[70:71]
	v_mad_i64_i32 v[0:1], s[8:9], s21, v74, 0
	v_ashrrev_i32_e32 v69, 31, v68
	v_lshl_add_u64 v[2:3], v[2:3], 0, v[4:5]
	v_lshl_add_u64 v[0:1], v[0:1], 2, s[4:5]
	global_load_dword v8, v[2:3], off
	global_load_dword v9, v[2:3], off offset:256
	v_lshlrev_b64 v[2:3], 2, v[68:69]
	v_lshl_add_u64 v[0:1], v[0:1], 0, v[2:3]
	global_load_dword v10, v[0:1], off
	v_mad_i64_i32 v[0:1], s[8:9], s21, v75, 0
	v_mad_i64_i32 v[6:7], s[8:9], s22, v75, 0
	v_lshl_add_u64 v[0:1], v[0:1], 2, s[4:5]
	v_lshl_add_u64 v[6:7], v[6:7], 2, s[16:17]
	;; [unrolled: 1-line block ×4, first 2 shown]
	global_load_dword v81, v[4:5], off
	global_load_dword v82, v[4:5], off offset:256
	global_load_dword v83, v[0:1], off
	v_mov_b32_e32 v0, 0x1000
	v_lshl_add_u32 v76, v72, 4, v0
	v_lshlrev_b32_e32 v0, 4, v80
	v_lshl_add_u32 v77, v74, 2, v0
	v_cmp_neq_f32_e64 s[8:9], s15, 0
	s_mov_b64 s[18:19], -1
	v_mov_b32_e32 v64, v66
	v_mov_b32_e32 v65, v66
	;; [unrolled: 1-line block ×48, first 2 shown]
	s_waitcnt vmcnt(4)
	ds_write2st64_b32 v77, v8, v9 offset1:4
	s_waitcnt vmcnt(3)
	ds_write_b32 v77, v10 offset:4096
	v_mov_b32_e32 v16, v66
	v_mov_b32_e32 v17, v66
	v_mov_b32_e32 v14, v66
	v_mov_b32_e32 v15, v66
	v_mov_b32_e32 v12, v66
	v_mov_b32_e32 v13, v66
	v_mov_b32_e32 v10, v66
	v_mov_b32_e32 v11, v66
	v_mov_b32_e32 v8, v66
	v_mov_b32_e32 v9, v66
	v_mov_b32_e32 v6, v66
	v_mov_b32_e32 v7, v66
	v_mov_b32_e32 v4, v66
	v_mov_b32_e32 v5, v66
	v_or_b32_e32 v78, 0x1000, v77
	v_lshlrev_b32_e32 v79, 4, v73
	s_waitcnt lgkmcnt(0)
	s_barrier
.LBB91_8:                               ; =>This Inner Loop Header: Depth=1
	v_cndmask_b32_e64 v0, 0, 1, s[18:19]
	s_lshl_b32 s18, s25, 2
	v_cmp_ne_u32_e32 vcc, 1, v0
	v_add_u32_e32 v0, s18, v76
	ds_read2_b64 v[84:87], v0 offset1:16
	ds_read2_b64 v[88:91], v0 offset0:32 offset1:48
	ds_read2_b64 v[92:95], v0 offset0:64 offset1:80
	;; [unrolled: 1-line block ×3, first 2 shown]
	v_add_u32_e32 v0, s18, v79
	ds_read2st64_b64 v[100:103], v0 offset1:1
	ds_read2st64_b64 v[0:3], v0 offset0:2 offset1:3
	s_waitcnt lgkmcnt(5)
	v_max_f32_e32 v104, v84, v84
	v_max_f32_e32 v105, v85, v85
	;; [unrolled: 1-line block ×3, first 2 shown]
	s_waitcnt lgkmcnt(1)
	v_max_f32_e32 v100, v100, v100
	v_max_f32_e32 v101, v101, v101
	v_min_f32_e32 v84, v104, v100
	v_min_f32_e32 v85, v105, v101
	v_max_f32_e32 v87, v87, v87
	v_pk_add_f32 v[66:67], v[84:85], v[66:67]
	v_min_f32_e32 v84, v86, v100
	v_min_f32_e32 v85, v87, v101
	v_max_f32_e32 v88, v88, v88
	v_max_f32_e32 v89, v89, v89
	v_pk_add_f32 v[64:65], v[84:85], v[64:65]
	v_min_f32_e32 v84, v88, v100
	v_min_f32_e32 v85, v89, v101
	v_max_f32_e32 v90, v90, v90
	;; [unrolled: 5-line block ×7, first 2 shown]
	v_max_f32_e32 v101, v103, v103
	v_pk_add_f32 v[52:53], v[84:85], v[52:53]
	v_min_f32_e32 v84, v104, v100
	v_min_f32_e32 v85, v105, v101
	v_pk_add_f32 v[50:51], v[84:85], v[50:51]
	v_min_f32_e32 v84, v86, v100
	v_min_f32_e32 v85, v87, v101
	;; [unrolled: 3-line block ×8, first 2 shown]
	v_pk_add_f32 v[36:37], v[84:85], v[36:37]
	s_waitcnt lgkmcnt(0)
	v_max_f32_e32 v84, v0, v0
	v_max_f32_e32 v85, v1, v1
	v_min_f32_e32 v0, v104, v84
	v_min_f32_e32 v1, v105, v85
	v_pk_add_f32 v[34:35], v[0:1], v[34:35]
	v_min_f32_e32 v0, v86, v84
	v_min_f32_e32 v1, v87, v85
	v_pk_add_f32 v[32:33], v[0:1], v[32:33]
	;; [unrolled: 3-line block ×7, first 2 shown]
	v_min_f32_e32 v0, v98, v84
	v_min_f32_e32 v1, v99, v85
	v_max_f32_e32 v2, v2, v2
	v_max_f32_e32 v3, v3, v3
	v_pk_add_f32 v[20:21], v[0:1], v[20:21]
	v_min_f32_e32 v0, v104, v2
	v_min_f32_e32 v1, v105, v3
	v_pk_add_f32 v[18:19], v[0:1], v[18:19]
	v_min_f32_e32 v0, v86, v2
	v_min_f32_e32 v1, v87, v3
	;; [unrolled: 3-line block ×8, first 2 shown]
	v_pk_add_f32 v[4:5], v[0:1], v[4:5]
	s_mov_b64 s[18:19], 0
	s_mov_b32 s25, 2
	s_cbranch_vccz .LBB91_8
; %bb.9:
	v_lshlrev_b32_e32 v0, 2, v74
	v_lshl_add_u32 v0, v80, 4, v0
	s_cmp_lt_i32 s14, 9
	s_waitcnt vmcnt(0)
	ds_write_b32 v0, v83 offset:5120
	ds_write2st64_b32 v0, v81, v82 offset0:8 offset1:12
	s_waitcnt lgkmcnt(0)
	s_barrier
	s_cbranch_scc1 .LBB91_16
; %bb.10:
	v_add_u32_e32 v80, 0x1400, v0
	v_or_b32_e32 v81, 0x800, v0
	v_mov_b32_e32 v0, 0x1400
	v_lshl_add_u32 v82, v72, 4, v0
	v_mov_b32_e32 v0, 0x800
	s_add_i32 s14, s14, -8
	v_lshl_add_u64 v[68:69], v[68:69], 2, s[4:5]
	v_lshl_add_u32 v83, v73, 4, v0
	v_lshl_add_u64 v[70:71], v[70:71], 2, s[16:17]
	s_mov_b32 s16, 8
	s_mov_b32 s17, 0
.LBB91_11:                              ; =>This Loop Header: Depth=1
                                        ;     Child Loop BB91_12 Depth 2
                                        ;     Child Loop BB91_14 Depth 2
	v_add_u32_e32 v85, s16, v74
	v_mad_u64_u32 v[0:1], s[4:5], v85, s21, 0
	v_mov_b32_e32 v2, v1
	v_mad_u64_u32 v[2:3], s[4:5], v85, s23, v[2:3]
	v_mov_b32_e32 v1, v2
	v_lshl_add_u64 v[0:1], v[0:1], 2, v[68:69]
	global_load_dword v84, v[0:1], off
	v_mad_u64_u32 v[0:1], s[4:5], v85, s22, 0
	v_mov_b32_e32 v2, v1
	v_mad_u64_u32 v[2:3], s[4:5], v85, s24, v[2:3]
	v_mov_b32_e32 v1, v2
	v_lshl_add_u64 v[0:1], v[0:1], 2, v[70:71]
	global_load_dword v85, v[0:1], off
	global_load_dword v86, v[0:1], off offset:256
	s_mov_b64 s[4:5], -1
	s_mov_b32 s18, 0
.LBB91_12:                              ;   Parent Loop BB91_11 Depth=1
                                        ; =>  This Inner Loop Header: Depth=2
	v_cndmask_b32_e64 v0, 0, 1, s[4:5]
	s_lshl_b32 s4, s18, 2
	v_cmp_ne_u32_e32 vcc, 1, v0
	v_add_u32_e32 v0, s4, v82
	ds_read2_b64 v[88:91], v0 offset1:16
	ds_read2_b64 v[92:95], v0 offset0:32 offset1:48
	ds_read2_b64 v[96:99], v0 offset0:64 offset1:80
	;; [unrolled: 1-line block ×3, first 2 shown]
	v_add_u32_e32 v0, s4, v83
	ds_read2st64_b64 v[104:107], v0 offset1:1
	ds_read2st64_b64 v[0:3], v0 offset0:2 offset1:3
	s_waitcnt lgkmcnt(5)
	v_max_f32_e32 v108, v89, v89
	v_max_f32_e32 v90, v90, v90
	;; [unrolled: 1-line block ×3, first 2 shown]
	s_waitcnt lgkmcnt(1)
	v_max_f32_e32 v87, v104, v104
	v_max_f32_e32 v104, v88, v88
	;; [unrolled: 1-line block ×3, first 2 shown]
	v_min_f32_e32 v88, v104, v87
	v_min_f32_e32 v89, v108, v105
	v_pk_add_f32 v[66:67], v[88:89], v[66:67]
	v_min_f32_e32 v88, v90, v87
	v_min_f32_e32 v89, v91, v105
	v_max_f32_e32 v92, v92, v92
	v_max_f32_e32 v93, v93, v93
	v_pk_add_f32 v[64:65], v[88:89], v[64:65]
	v_min_f32_e32 v88, v92, v87
	v_min_f32_e32 v89, v93, v105
	v_max_f32_e32 v94, v94, v94
	v_max_f32_e32 v95, v95, v95
	v_pk_add_f32 v[62:63], v[88:89], v[62:63]
	v_min_f32_e32 v88, v94, v87
	v_min_f32_e32 v89, v95, v105
	v_max_f32_e32 v96, v96, v96
	v_max_f32_e32 v97, v97, v97
	v_pk_add_f32 v[60:61], v[88:89], v[60:61]
	v_min_f32_e32 v88, v96, v87
	v_min_f32_e32 v89, v97, v105
	v_max_f32_e32 v98, v98, v98
	v_max_f32_e32 v99, v99, v99
	v_pk_add_f32 v[58:59], v[88:89], v[58:59]
	v_min_f32_e32 v88, v98, v87
	v_min_f32_e32 v89, v99, v105
	v_max_f32_e32 v100, v100, v100
	v_max_f32_e32 v101, v101, v101
	v_pk_add_f32 v[56:57], v[88:89], v[56:57]
	v_min_f32_e32 v88, v100, v87
	v_min_f32_e32 v89, v101, v105
	v_max_f32_e32 v102, v102, v102
	v_pk_add_f32 v[54:55], v[88:89], v[54:55]
	v_min_f32_e32 v88, v102, v87
	v_max_f32_e32 v87, v103, v103
	v_min_f32_e32 v89, v87, v105
	v_max_f32_e32 v103, v106, v106
	v_max_f32_e32 v105, v107, v107
	v_pk_add_f32 v[52:53], v[88:89], v[52:53]
	v_min_f32_e32 v88, v104, v103
	v_min_f32_e32 v89, v108, v105
	v_pk_add_f32 v[50:51], v[88:89], v[50:51]
	v_min_f32_e32 v88, v90, v103
	v_min_f32_e32 v89, v91, v105
	;; [unrolled: 3-line block ×8, first 2 shown]
	v_pk_add_f32 v[36:37], v[88:89], v[36:37]
	s_waitcnt lgkmcnt(0)
	v_max_f32_e32 v88, v0, v0
	v_max_f32_e32 v89, v1, v1
	v_min_f32_e32 v0, v104, v88
	v_min_f32_e32 v1, v108, v89
	v_pk_add_f32 v[34:35], v[0:1], v[34:35]
	v_min_f32_e32 v0, v90, v88
	v_min_f32_e32 v1, v91, v89
	v_pk_add_f32 v[32:33], v[0:1], v[32:33]
	v_min_f32_e32 v0, v92, v88
	v_min_f32_e32 v1, v93, v89
	v_pk_add_f32 v[30:31], v[0:1], v[30:31]
	v_min_f32_e32 v0, v94, v88
	v_min_f32_e32 v1, v95, v89
	v_pk_add_f32 v[28:29], v[0:1], v[28:29]
	v_min_f32_e32 v0, v96, v88
	v_min_f32_e32 v1, v97, v89
	v_pk_add_f32 v[26:27], v[0:1], v[26:27]
	v_min_f32_e32 v0, v98, v88
	v_min_f32_e32 v1, v99, v89
	v_pk_add_f32 v[24:25], v[0:1], v[24:25]
	v_min_f32_e32 v0, v100, v88
	v_min_f32_e32 v1, v101, v89
	v_pk_add_f32 v[22:23], v[0:1], v[22:23]
	v_min_f32_e32 v0, v102, v88
	v_min_f32_e32 v1, v87, v89
	v_max_f32_e32 v2, v2, v2
	v_max_f32_e32 v3, v3, v3
	v_pk_add_f32 v[20:21], v[0:1], v[20:21]
	v_min_f32_e32 v0, v104, v2
	v_min_f32_e32 v1, v108, v3
	v_pk_add_f32 v[18:19], v[0:1], v[18:19]
	v_min_f32_e32 v0, v90, v2
	v_min_f32_e32 v1, v91, v3
	;; [unrolled: 3-line block ×8, first 2 shown]
	v_pk_add_f32 v[4:5], v[0:1], v[4:5]
	s_mov_b64 s[4:5], 0
	s_mov_b32 s18, 2
	s_cbranch_vccz .LBB91_12
; %bb.13:                               ;   in Loop: Header=BB91_11 Depth=1
	s_waitcnt vmcnt(2)
	ds_write_b32 v78, v84
	s_waitcnt vmcnt(0)
	ds_write2st64_b32 v77, v85, v86 offset1:4
	v_add_u32_e32 v85, s16, v75
	v_mad_u64_u32 v[0:1], s[4:5], v85, s21, 0
	v_mov_b32_e32 v2, v1
	v_mad_u64_u32 v[2:3], s[4:5], v85, s23, v[2:3]
	v_mov_b32_e32 v1, v2
	v_lshl_add_u64 v[0:1], v[0:1], 2, v[68:69]
	s_waitcnt lgkmcnt(0)
	s_barrier
	global_load_dword v84, v[0:1], off
	v_mad_u64_u32 v[0:1], s[4:5], v85, s22, 0
	v_mov_b32_e32 v2, v1
	v_mad_u64_u32 v[2:3], s[4:5], v85, s24, v[2:3]
	v_mov_b32_e32 v1, v2
	v_lshl_add_u64 v[0:1], v[0:1], 2, v[70:71]
	global_load_dword v85, v[0:1], off
	global_load_dword v86, v[0:1], off offset:256
	s_mov_b32 s18, 0
	s_mov_b64 s[4:5], -1
.LBB91_14:                              ;   Parent Loop BB91_11 Depth=1
                                        ; =>  This Inner Loop Header: Depth=2
	v_cndmask_b32_e64 v0, 0, 1, s[4:5]
	s_lshl_b32 s4, s18, 2
	v_cmp_ne_u32_e32 vcc, 1, v0
	v_add_u32_e32 v0, s4, v76
	ds_read2_b64 v[88:91], v0 offset1:16
	ds_read2_b64 v[92:95], v0 offset0:32 offset1:48
	ds_read2_b64 v[96:99], v0 offset0:64 offset1:80
	;; [unrolled: 1-line block ×3, first 2 shown]
	v_add_u32_e32 v0, s4, v79
	ds_read2st64_b64 v[104:107], v0 offset1:1
	ds_read2st64_b64 v[0:3], v0 offset0:2 offset1:3
	s_waitcnt lgkmcnt(5)
	v_max_f32_e32 v108, v89, v89
	v_max_f32_e32 v90, v90, v90
	;; [unrolled: 1-line block ×3, first 2 shown]
	s_waitcnt lgkmcnt(1)
	v_max_f32_e32 v87, v104, v104
	v_max_f32_e32 v104, v88, v88
	;; [unrolled: 1-line block ×3, first 2 shown]
	v_min_f32_e32 v88, v104, v87
	v_min_f32_e32 v89, v108, v105
	v_pk_add_f32 v[66:67], v[88:89], v[66:67]
	v_min_f32_e32 v88, v90, v87
	v_min_f32_e32 v89, v91, v105
	v_max_f32_e32 v92, v92, v92
	v_max_f32_e32 v93, v93, v93
	v_pk_add_f32 v[64:65], v[88:89], v[64:65]
	v_min_f32_e32 v88, v92, v87
	v_min_f32_e32 v89, v93, v105
	v_max_f32_e32 v94, v94, v94
	v_max_f32_e32 v95, v95, v95
	;; [unrolled: 5-line block ×5, first 2 shown]
	v_pk_add_f32 v[56:57], v[88:89], v[56:57]
	v_min_f32_e32 v88, v100, v87
	v_min_f32_e32 v89, v101, v105
	v_max_f32_e32 v102, v102, v102
	v_pk_add_f32 v[54:55], v[88:89], v[54:55]
	v_min_f32_e32 v88, v102, v87
	v_max_f32_e32 v87, v103, v103
	v_min_f32_e32 v89, v87, v105
	v_max_f32_e32 v103, v106, v106
	v_max_f32_e32 v105, v107, v107
	v_pk_add_f32 v[52:53], v[88:89], v[52:53]
	v_min_f32_e32 v88, v104, v103
	v_min_f32_e32 v89, v108, v105
	v_pk_add_f32 v[50:51], v[88:89], v[50:51]
	v_min_f32_e32 v88, v90, v103
	v_min_f32_e32 v89, v91, v105
	;; [unrolled: 3-line block ×8, first 2 shown]
	v_pk_add_f32 v[36:37], v[88:89], v[36:37]
	s_waitcnt lgkmcnt(0)
	v_max_f32_e32 v88, v0, v0
	v_max_f32_e32 v89, v1, v1
	v_min_f32_e32 v0, v104, v88
	v_min_f32_e32 v1, v108, v89
	v_pk_add_f32 v[34:35], v[0:1], v[34:35]
	v_min_f32_e32 v0, v90, v88
	v_min_f32_e32 v1, v91, v89
	v_pk_add_f32 v[32:33], v[0:1], v[32:33]
	;; [unrolled: 3-line block ×7, first 2 shown]
	v_min_f32_e32 v0, v102, v88
	v_min_f32_e32 v1, v87, v89
	v_max_f32_e32 v2, v2, v2
	v_max_f32_e32 v3, v3, v3
	v_pk_add_f32 v[20:21], v[0:1], v[20:21]
	v_min_f32_e32 v0, v104, v2
	v_min_f32_e32 v1, v108, v3
	v_pk_add_f32 v[18:19], v[0:1], v[18:19]
	v_min_f32_e32 v0, v90, v2
	v_min_f32_e32 v1, v91, v3
	;; [unrolled: 3-line block ×8, first 2 shown]
	v_pk_add_f32 v[4:5], v[0:1], v[4:5]
	s_mov_b64 s[4:5], 0
	s_mov_b32 s18, 2
	s_cbranch_vccz .LBB91_14
; %bb.15:                               ;   in Loop: Header=BB91_11 Depth=1
	s_add_i32 s16, s16, 8
	s_add_i32 s17, s17, 8
	s_cmp_ge_i32 s17, s14
	s_waitcnt vmcnt(2)
	ds_write_b32 v80, v84
	s_waitcnt vmcnt(0)
	ds_write2st64_b32 v81, v85, v86 offset1:4
	s_waitcnt lgkmcnt(0)
	s_barrier
	s_cbranch_scc0 .LBB91_11
.LBB91_16:
	v_mov_b32_e32 v0, 0x1400
	v_lshl_add_u32 v68, v72, 4, v0
	v_mov_b32_e32 v0, 0x800
	v_lshl_add_u32 v69, v73, 4, v0
	s_mov_b32 s14, 0
	s_mov_b64 s[4:5], -1
.LBB91_17:                              ; =>This Inner Loop Header: Depth=1
	v_cndmask_b32_e64 v0, 0, 1, s[4:5]
	s_lshl_b32 s4, s14, 2
	v_cmp_ne_u32_e32 vcc, 1, v0
	v_add_u32_e32 v0, s4, v68
	ds_read2_b64 v[74:77], v0 offset1:16
	ds_read2_b64 v[78:81], v0 offset0:32 offset1:48
	ds_read2_b64 v[82:85], v0 offset0:64 offset1:80
	;; [unrolled: 1-line block ×3, first 2 shown]
	v_add_u32_e32 v0, s4, v69
	ds_read2st64_b64 v[90:93], v0 offset1:1
	ds_read2st64_b64 v[0:3], v0 offset0:2 offset1:3
	s_waitcnt lgkmcnt(5)
	v_max_f32_e32 v74, v74, v74
	v_max_f32_e32 v75, v75, v75
	;; [unrolled: 1-line block ×3, first 2 shown]
	s_waitcnt lgkmcnt(1)
	v_max_f32_e32 v90, v90, v90
	v_max_f32_e32 v91, v91, v91
	v_min_f32_e32 v70, v74, v90
	v_min_f32_e32 v71, v75, v91
	v_max_f32_e32 v77, v77, v77
	v_pk_add_f32 v[66:67], v[70:71], v[66:67]
	v_min_f32_e32 v70, v76, v90
	v_min_f32_e32 v71, v77, v91
	v_max_f32_e32 v78, v78, v78
	v_max_f32_e32 v79, v79, v79
	v_pk_add_f32 v[64:65], v[70:71], v[64:65]
	v_min_f32_e32 v70, v78, v90
	v_min_f32_e32 v71, v79, v91
	v_max_f32_e32 v80, v80, v80
	;; [unrolled: 5-line block ×7, first 2 shown]
	v_max_f32_e32 v91, v93, v93
	v_pk_add_f32 v[52:53], v[70:71], v[52:53]
	v_min_f32_e32 v70, v74, v90
	v_min_f32_e32 v71, v75, v91
	v_pk_add_f32 v[50:51], v[70:71], v[50:51]
	v_min_f32_e32 v70, v76, v90
	v_min_f32_e32 v71, v77, v91
	;; [unrolled: 3-line block ×8, first 2 shown]
	v_pk_add_f32 v[36:37], v[70:71], v[36:37]
	s_waitcnt lgkmcnt(0)
	v_max_f32_e32 v70, v0, v0
	v_max_f32_e32 v71, v1, v1
	v_min_f32_e32 v0, v74, v70
	v_min_f32_e32 v1, v75, v71
	v_pk_add_f32 v[34:35], v[0:1], v[34:35]
	v_min_f32_e32 v0, v76, v70
	v_min_f32_e32 v1, v77, v71
	v_pk_add_f32 v[32:33], v[0:1], v[32:33]
	;; [unrolled: 3-line block ×7, first 2 shown]
	v_min_f32_e32 v0, v88, v70
	v_min_f32_e32 v1, v89, v71
	v_max_f32_e32 v2, v2, v2
	v_max_f32_e32 v3, v3, v3
	v_pk_add_f32 v[20:21], v[0:1], v[20:21]
	v_min_f32_e32 v0, v74, v2
	v_min_f32_e32 v1, v75, v3
	v_pk_add_f32 v[18:19], v[0:1], v[18:19]
	v_min_f32_e32 v0, v76, v2
	v_min_f32_e32 v1, v77, v3
	;; [unrolled: 3-line block ×8, first 2 shown]
	v_pk_add_f32 v[4:5], v[0:1], v[4:5]
	s_mov_b64 s[4:5], 0
	s_mov_b32 s14, 2
	s_cbranch_vccz .LBB91_17
; %bb.18:
	s_load_dword s14, s[0:1], 0x50
	v_add_u32_e32 v0, s2, v72
	v_add_u32_e32 v72, s20, v73
	v_ashrrev_i32_e32 v1, 31, v0
	v_mov_b32_e32 v73, 0
	s_waitcnt lgkmcnt(0)
	v_mad_i64_i32 v[2:3], s[4:5], v72, s14, 0
	v_lshl_add_u64 v[68:69], v[2:3], 2, s[12:13]
	v_cndmask_b32_e64 v2, 0, 1, s[8:9]
	v_cmp_ne_u32_e64 s[4:5], 1, v2
	s_andn2_b64 vcc, exec, s[8:9]
	v_mov_b32_e32 v74, 0
	s_cbranch_vccnz .LBB91_20
; %bb.19:
	v_lshl_add_u64 v[2:3], v[0:1], 2, v[68:69]
	global_load_dword v2, v[2:3], off
	s_waitcnt vmcnt(0)
	v_mul_f32_e32 v74, s15, v2
.LBB91_20:
	s_load_dwordx2 s[8:9], s[0:1], 0x70
	s_load_dword s2, s[0:1], 0x68
	v_add_u32_e32 v2, 8, v0
	v_add_f32_e32 v66, v66, v67
	v_ashrrev_i32_e32 v3, 31, v2
	s_waitcnt lgkmcnt(0)
	s_mul_i32 s1, s9, s3
	s_mul_hi_u32 s9, s8, s3
	s_mul_i32 s0, s8, s3
	s_add_i32 s1, s9, s1
	s_lshl_b64 s[0:1], s[0:1], 2
	s_add_u32 s0, s10, s0
	s_addc_u32 s1, s11, s1
	v_mad_i64_i32 v[70:71], s[8:9], v72, s2, 0
	v_lshl_add_u64 v[70:71], v[70:71], 2, s[0:1]
	v_add_f32_e32 v74, v66, v74
	v_lshl_add_u64 v[66:67], v[0:1], 2, v[70:71]
	s_and_b64 vcc, exec, s[4:5]
	global_store_dword v[66:67], v74, off
	s_cbranch_vccnz .LBB91_22
; %bb.21:
	v_lshl_add_u64 v[66:67], v[2:3], 2, v[68:69]
	global_load_dword v66, v[66:67], off
	s_waitcnt vmcnt(0)
	v_mul_f32_e32 v73, s15, v66
.LBB91_22:
	v_add_f32_e32 v66, v64, v65
	v_add_u32_e32 v64, 16, v0
	v_add_f32_e32 v73, v66, v73
	v_lshl_add_u64 v[66:67], v[2:3], 2, v[70:71]
	v_ashrrev_i32_e32 v65, 31, v64
	global_store_dword v[66:67], v73, off
	v_mov_b32_e32 v66, 0
	s_and_b64 vcc, exec, s[4:5]
	v_mov_b32_e32 v67, 0
	s_cbranch_vccnz .LBB91_24
; %bb.23:
	v_lshl_add_u64 v[74:75], v[64:65], 2, v[68:69]
	global_load_dword v67, v[74:75], off
	s_waitcnt vmcnt(0)
	v_mul_f32_e32 v67, s15, v67
.LBB91_24:
	v_add_f32_e32 v73, v62, v63
	v_add_u32_e32 v62, 24, v0
	v_ashrrev_i32_e32 v63, 31, v62
	v_add_f32_e32 v67, v73, v67
	v_lshl_add_u64 v[74:75], v[64:65], 2, v[70:71]
	s_and_b64 vcc, exec, s[4:5]
	global_store_dword v[74:75], v67, off
	s_cbranch_vccnz .LBB91_26
; %bb.25:
	v_lshl_add_u64 v[66:67], v[62:63], 2, v[68:69]
	global_load_dword v66, v[66:67], off
	s_waitcnt vmcnt(0)
	v_mul_f32_e32 v66, s15, v66
.LBB91_26:
	v_add_f32_e32 v67, v60, v61
	v_add_u32_e32 v60, 32, v0
	v_add_f32_e32 v73, v67, v66
	v_lshl_add_u64 v[66:67], v[62:63], 2, v[70:71]
	v_ashrrev_i32_e32 v61, 31, v60
	global_store_dword v[66:67], v73, off
	v_mov_b32_e32 v66, 0
	s_and_b64 vcc, exec, s[4:5]
	v_mov_b32_e32 v67, 0
	s_cbranch_vccnz .LBB91_28
; %bb.27:
	v_lshl_add_u64 v[74:75], v[60:61], 2, v[68:69]
	global_load_dword v67, v[74:75], off
	s_waitcnt vmcnt(0)
	v_mul_f32_e32 v67, s15, v67
.LBB91_28:
	v_add_f32_e32 v73, v58, v59
	v_add_u32_e32 v58, 40, v0
	v_ashrrev_i32_e32 v59, 31, v58
	;; [unrolled: 30-line block ×3, first 2 shown]
	v_add_f32_e32 v67, v73, v67
	v_lshl_add_u64 v[74:75], v[56:57], 2, v[70:71]
	s_and_b64 vcc, exec, s[4:5]
	global_store_dword v[74:75], v67, off
	s_cbranch_vccnz .LBB91_34
; %bb.33:
	v_lshl_add_u64 v[66:67], v[54:55], 2, v[68:69]
	global_load_dword v66, v[66:67], off
	s_waitcnt vmcnt(0)
	v_mul_f32_e32 v66, s15, v66
.LBB91_34:
	v_add_f32_e32 v52, v52, v53
	v_add_f32_e32 v66, v52, v66
	v_lshl_add_u64 v[52:53], v[54:55], 2, v[70:71]
	global_store_dword v[52:53], v66, off
	v_add_u32_e32 v66, 32, v72
	v_mad_i64_i32 v[52:53], s[8:9], v66, s14, 0
	v_lshl_add_u64 v[52:53], v[52:53], 2, s[12:13]
	v_mov_b32_e32 v68, 0
	s_and_b64 vcc, exec, s[4:5]
	v_mov_b32_e32 v69, 0
	s_cbranch_vccnz .LBB91_36
; %bb.35:
	v_lshl_add_u64 v[70:71], v[0:1], 2, v[52:53]
	global_load_dword v67, v[70:71], off
	s_waitcnt vmcnt(0)
	v_mul_f32_e32 v69, s15, v67
.LBB91_36:
	v_mad_i64_i32 v[66:67], s[8:9], v66, s2, 0
	v_lshl_add_u64 v[66:67], v[66:67], 2, s[0:1]
	v_add_f32_e32 v50, v50, v51
	v_add_f32_e32 v69, v50, v69
	v_lshl_add_u64 v[50:51], v[0:1], 2, v[66:67]
	s_and_b64 vcc, exec, s[4:5]
	global_store_dword v[50:51], v69, off
	s_cbranch_vccnz .LBB91_38
; %bb.37:
	v_lshl_add_u64 v[50:51], v[2:3], 2, v[52:53]
	global_load_dword v50, v[50:51], off
	s_waitcnt vmcnt(0)
	v_mul_f32_e32 v68, s15, v50
.LBB91_38:
	v_add_f32_e32 v48, v48, v49
	v_add_f32_e32 v50, v48, v68
	v_lshl_add_u64 v[48:49], v[2:3], 2, v[66:67]
	global_store_dword v[48:49], v50, off
	v_mov_b32_e32 v48, 0
	s_and_b64 vcc, exec, s[4:5]
	v_mov_b32_e32 v49, 0
	s_cbranch_vccnz .LBB91_40
; %bb.39:
	v_lshl_add_u64 v[50:51], v[64:65], 2, v[52:53]
	global_load_dword v49, v[50:51], off
	s_waitcnt vmcnt(0)
	v_mul_f32_e32 v49, s15, v49
.LBB91_40:
	v_add_f32_e32 v46, v46, v47
	v_add_f32_e32 v49, v46, v49
	v_lshl_add_u64 v[46:47], v[64:65], 2, v[66:67]
	s_and_b64 vcc, exec, s[4:5]
	global_store_dword v[46:47], v49, off
	s_cbranch_vccnz .LBB91_42
; %bb.41:
	v_lshl_add_u64 v[46:47], v[62:63], 2, v[52:53]
	global_load_dword v46, v[46:47], off
	s_waitcnt vmcnt(0)
	v_mul_f32_e32 v48, s15, v46
.LBB91_42:
	v_add_f32_e32 v44, v44, v45
	v_add_f32_e32 v46, v44, v48
	v_lshl_add_u64 v[44:45], v[62:63], 2, v[66:67]
	global_store_dword v[44:45], v46, off
	v_mov_b32_e32 v44, 0
	s_and_b64 vcc, exec, s[4:5]
	v_mov_b32_e32 v45, 0
	s_cbranch_vccnz .LBB91_44
; %bb.43:
	v_lshl_add_u64 v[46:47], v[60:61], 2, v[52:53]
	global_load_dword v45, v[46:47], off
	s_waitcnt vmcnt(0)
	v_mul_f32_e32 v45, s15, v45
.LBB91_44:
	;; [unrolled: 26-line block ×3, first 2 shown]
	v_add_f32_e32 v38, v38, v39
	v_add_f32_e32 v41, v38, v41
	v_lshl_add_u64 v[38:39], v[56:57], 2, v[66:67]
	s_and_b64 vcc, exec, s[4:5]
	global_store_dword v[38:39], v41, off
	s_cbranch_vccnz .LBB91_50
; %bb.49:
	v_lshl_add_u64 v[38:39], v[54:55], 2, v[52:53]
	global_load_dword v38, v[38:39], off
	s_waitcnt vmcnt(0)
	v_mul_f32_e32 v40, s15, v38
.LBB91_50:
	v_add_f32_e32 v36, v36, v37
	v_add_f32_e32 v38, v36, v40
	v_lshl_add_u64 v[36:37], v[54:55], 2, v[66:67]
	global_store_dword v[36:37], v38, off
	v_add_u32_e32 v38, 64, v72
	v_mad_i64_i32 v[36:37], s[8:9], v38, s14, 0
	v_lshl_add_u64 v[36:37], v[36:37], 2, s[12:13]
	v_mov_b32_e32 v40, 0
	s_and_b64 vcc, exec, s[4:5]
	v_mov_b32_e32 v41, 0
	s_cbranch_vccnz .LBB91_52
; %bb.51:
	v_lshl_add_u64 v[42:43], v[0:1], 2, v[36:37]
	global_load_dword v39, v[42:43], off
	s_waitcnt vmcnt(0)
	v_mul_f32_e32 v41, s15, v39
.LBB91_52:
	v_mad_i64_i32 v[38:39], s[8:9], v38, s2, 0
	v_lshl_add_u64 v[38:39], v[38:39], 2, s[0:1]
	v_add_f32_e32 v34, v34, v35
	v_add_f32_e32 v41, v34, v41
	v_lshl_add_u64 v[34:35], v[0:1], 2, v[38:39]
	s_and_b64 vcc, exec, s[4:5]
	global_store_dword v[34:35], v41, off
	s_cbranch_vccnz .LBB91_54
; %bb.53:
	v_lshl_add_u64 v[34:35], v[2:3], 2, v[36:37]
	global_load_dword v34, v[34:35], off
	s_waitcnt vmcnt(0)
	v_mul_f32_e32 v40, s15, v34
.LBB91_54:
	v_add_f32_e32 v32, v32, v33
	v_add_f32_e32 v34, v32, v40
	v_lshl_add_u64 v[32:33], v[2:3], 2, v[38:39]
	global_store_dword v[32:33], v34, off
	v_mov_b32_e32 v32, 0
	s_and_b64 vcc, exec, s[4:5]
	v_mov_b32_e32 v33, 0
	s_cbranch_vccnz .LBB91_56
; %bb.55:
	v_lshl_add_u64 v[34:35], v[64:65], 2, v[36:37]
	global_load_dword v33, v[34:35], off
	s_waitcnt vmcnt(0)
	v_mul_f32_e32 v33, s15, v33
.LBB91_56:
	v_add_f32_e32 v30, v30, v31
	v_add_f32_e32 v33, v30, v33
	v_lshl_add_u64 v[30:31], v[64:65], 2, v[38:39]
	s_and_b64 vcc, exec, s[4:5]
	global_store_dword v[30:31], v33, off
	s_cbranch_vccnz .LBB91_58
; %bb.57:
	v_lshl_add_u64 v[30:31], v[62:63], 2, v[36:37]
	global_load_dword v30, v[30:31], off
	s_waitcnt vmcnt(0)
	v_mul_f32_e32 v32, s15, v30
.LBB91_58:
	v_add_f32_e32 v28, v28, v29
	v_add_f32_e32 v30, v28, v32
	v_lshl_add_u64 v[28:29], v[62:63], 2, v[38:39]
	global_store_dword v[28:29], v30, off
	v_mov_b32_e32 v28, 0
	s_and_b64 vcc, exec, s[4:5]
	v_mov_b32_e32 v29, 0
	s_cbranch_vccnz .LBB91_60
; %bb.59:
	v_lshl_add_u64 v[30:31], v[60:61], 2, v[36:37]
	global_load_dword v29, v[30:31], off
	s_waitcnt vmcnt(0)
	v_mul_f32_e32 v29, s15, v29
.LBB91_60:
	;; [unrolled: 26-line block ×3, first 2 shown]
	v_add_f32_e32 v22, v22, v23
	v_add_f32_e32 v25, v22, v25
	v_lshl_add_u64 v[22:23], v[56:57], 2, v[38:39]
	s_and_b64 vcc, exec, s[4:5]
	global_store_dword v[22:23], v25, off
	s_cbranch_vccnz .LBB91_66
; %bb.65:
	v_lshl_add_u64 v[22:23], v[54:55], 2, v[36:37]
	global_load_dword v22, v[22:23], off
	s_waitcnt vmcnt(0)
	v_mul_f32_e32 v24, s15, v22
.LBB91_66:
	v_add_f32_e32 v20, v20, v21
	v_add_f32_e32 v22, v20, v24
	v_lshl_add_u64 v[20:21], v[54:55], 2, v[38:39]
	global_store_dword v[20:21], v22, off
	v_add_u32_e32 v22, 0x60, v72
	v_mad_i64_i32 v[20:21], s[8:9], v22, s14, 0
	v_lshl_add_u64 v[20:21], v[20:21], 2, s[12:13]
	v_mov_b32_e32 v24, 0
	s_and_b64 vcc, exec, s[4:5]
	v_mov_b32_e32 v25, 0
	s_cbranch_vccnz .LBB91_68
; %bb.67:
	v_lshl_add_u64 v[26:27], v[0:1], 2, v[20:21]
	global_load_dword v23, v[26:27], off
	s_waitcnt vmcnt(0)
	v_mul_f32_e32 v25, s15, v23
.LBB91_68:
	v_mad_i64_i32 v[22:23], s[2:3], v22, s2, 0
	v_lshl_add_u64 v[22:23], v[22:23], 2, s[0:1]
	v_add_f32_e32 v18, v18, v19
	v_add_f32_e32 v18, v18, v25
	v_lshl_add_u64 v[0:1], v[0:1], 2, v[22:23]
	s_and_b64 vcc, exec, s[4:5]
	global_store_dword v[0:1], v18, off
	s_cbranch_vccnz .LBB91_70
; %bb.69:
	v_lshl_add_u64 v[0:1], v[2:3], 2, v[20:21]
	global_load_dword v0, v[0:1], off
	s_waitcnt vmcnt(0)
	v_mul_f32_e32 v24, s15, v0
.LBB91_70:
	v_add_f32_e32 v0, v16, v17
	v_add_f32_e32 v16, v0, v24
	v_lshl_add_u64 v[0:1], v[2:3], 2, v[22:23]
	global_store_dword v[0:1], v16, off
	v_mov_b32_e32 v0, 0
	s_and_b64 vcc, exec, s[4:5]
	v_mov_b32_e32 v1, 0
	s_cbranch_vccnz .LBB91_72
; %bb.71:
	v_lshl_add_u64 v[2:3], v[64:65], 2, v[20:21]
	global_load_dword v1, v[2:3], off
	s_waitcnt vmcnt(0)
	v_mul_f32_e32 v1, s15, v1
.LBB91_72:
	v_add_f32_e32 v2, v14, v15
	v_add_f32_e32 v1, v2, v1
	v_lshl_add_u64 v[2:3], v[64:65], 2, v[22:23]
	s_and_b64 vcc, exec, s[4:5]
	global_store_dword v[2:3], v1, off
	s_cbranch_vccnz .LBB91_74
; %bb.73:
	v_lshl_add_u64 v[0:1], v[62:63], 2, v[20:21]
	global_load_dword v0, v[0:1], off
	s_waitcnt vmcnt(0)
	v_mul_f32_e32 v0, s15, v0
.LBB91_74:
	v_add_f32_e32 v1, v12, v13
	v_add_f32_e32 v2, v1, v0
	v_lshl_add_u64 v[0:1], v[62:63], 2, v[22:23]
	global_store_dword v[0:1], v2, off
	v_mov_b32_e32 v0, 0
	s_and_b64 vcc, exec, s[4:5]
	v_mov_b32_e32 v1, 0
	s_cbranch_vccnz .LBB91_76
; %bb.75:
	v_lshl_add_u64 v[2:3], v[60:61], 2, v[20:21]
	global_load_dword v1, v[2:3], off
	s_waitcnt vmcnt(0)
	v_mul_f32_e32 v1, s15, v1
.LBB91_76:
	v_add_f32_e32 v2, v10, v11
	v_add_f32_e32 v1, v2, v1
	v_lshl_add_u64 v[2:3], v[60:61], 2, v[22:23]
	s_and_b64 vcc, exec, s[4:5]
	global_store_dword v[2:3], v1, off
	s_cbranch_vccnz .LBB91_78
; %bb.77:
	v_lshl_add_u64 v[0:1], v[58:59], 2, v[20:21]
	global_load_dword v0, v[0:1], off
	s_waitcnt vmcnt(0)
	v_mul_f32_e32 v0, s15, v0
.LBB91_78:
	v_add_f32_e32 v1, v8, v9
	v_add_f32_e32 v2, v1, v0
	v_lshl_add_u64 v[0:1], v[58:59], 2, v[22:23]
	global_store_dword v[0:1], v2, off
	v_add_f32_e32 v0, v6, v7
	s_mov_b64 s[0:1], -1
	s_mov_b64 vcc, s[6:7]
	s_cbranch_vccz .LBB91_80
; %bb.79:
	v_add_f32_e32 v1, 0, v0
	v_lshl_add_u64 v[2:3], v[56:57], 2, v[22:23]
	global_store_dword v[2:3], v1, off
	s_mov_b64 s[0:1], 0
.LBB91_80:
	s_andn2_b64 vcc, exec, s[0:1]
	v_mov_b32_e32 v1, 0
	s_cbranch_vccnz .LBB91_82
; %bb.81:
	v_lshlrev_b64 v[2:3], 2, v[56:57]
	v_lshl_add_u64 v[6:7], v[20:21], 0, v[2:3]
	global_load_dword v1, v[6:7], off
	v_lshl_add_u64 v[2:3], v[22:23], 0, v[2:3]
	s_waitcnt vmcnt(0)
	v_fmac_f32_e32 v0, s15, v1
	global_store_dword v[2:3], v0, off
	v_lshl_add_u64 v[0:1], v[54:55], 2, v[20:21]
	global_load_dword v0, v[0:1], off
	s_waitcnt vmcnt(0)
	v_mul_f32_e32 v1, s15, v0
.LBB91_82:
	v_add_f32_e32 v0, v4, v5
	v_add_f32_e32 v2, v0, v1
	v_lshl_add_u64 v[0:1], v[54:55], 2, v[22:23]
	global_store_dword v[0:1], v2, off
	s_endpgm
.LBB91_83:
	s_mov_b64 s[4:5], 0
	s_andn2_b64 vcc, exec, s[8:9]
	s_mov_b64 s[8:9], -1
	s_cbranch_vccz .LBB91_2
	s_branch .LBB91_3
	.section	.rodata,"a",@progbits
	.p2align	6, 0x0
	.amdhsa_kernel _ZN12_GLOBAL__N_120geam_min_plus_kernelIf15HIP_vector_typeIfLj2EES2_Li8ELi32ELi64ELi128ELi4ELi64ELi4ELi64ELi4ELc78ELc84ELb1ELb0ELb0EfKffEEviiiT16_PT17_ilS6_ilS4_S6_ilPT18_ili26rocblas_geam_ex_operation_
		.amdhsa_group_segment_fixed_size 6144
		.amdhsa_private_segment_fixed_size 0
		.amdhsa_kernarg_size 128
		.amdhsa_user_sgpr_count 2
		.amdhsa_user_sgpr_dispatch_ptr 0
		.amdhsa_user_sgpr_queue_ptr 0
		.amdhsa_user_sgpr_kernarg_segment_ptr 1
		.amdhsa_user_sgpr_dispatch_id 0
		.amdhsa_user_sgpr_kernarg_preload_length 0
		.amdhsa_user_sgpr_kernarg_preload_offset 0
		.amdhsa_user_sgpr_private_segment_size 0
		.amdhsa_uses_dynamic_stack 0
		.amdhsa_enable_private_segment 0
		.amdhsa_system_sgpr_workgroup_id_x 1
		.amdhsa_system_sgpr_workgroup_id_y 0
		.amdhsa_system_sgpr_workgroup_id_z 1
		.amdhsa_system_sgpr_workgroup_info 0
		.amdhsa_system_vgpr_workitem_id 1
		.amdhsa_next_free_vgpr 109
		.amdhsa_next_free_sgpr 26
		.amdhsa_accum_offset 112
		.amdhsa_reserve_vcc 1
		.amdhsa_float_round_mode_32 0
		.amdhsa_float_round_mode_16_64 0
		.amdhsa_float_denorm_mode_32 3
		.amdhsa_float_denorm_mode_16_64 3
		.amdhsa_dx10_clamp 1
		.amdhsa_ieee_mode 1
		.amdhsa_fp16_overflow 0
		.amdhsa_tg_split 0
		.amdhsa_exception_fp_ieee_invalid_op 0
		.amdhsa_exception_fp_denorm_src 0
		.amdhsa_exception_fp_ieee_div_zero 0
		.amdhsa_exception_fp_ieee_overflow 0
		.amdhsa_exception_fp_ieee_underflow 0
		.amdhsa_exception_fp_ieee_inexact 0
		.amdhsa_exception_int_div_zero 0
	.end_amdhsa_kernel
	.section	.text._ZN12_GLOBAL__N_120geam_min_plus_kernelIf15HIP_vector_typeIfLj2EES2_Li8ELi32ELi64ELi128ELi4ELi64ELi4ELi64ELi4ELc78ELc84ELb1ELb0ELb0EfKffEEviiiT16_PT17_ilS6_ilS4_S6_ilPT18_ili26rocblas_geam_ex_operation_,"axG",@progbits,_ZN12_GLOBAL__N_120geam_min_plus_kernelIf15HIP_vector_typeIfLj2EES2_Li8ELi32ELi64ELi128ELi4ELi64ELi4ELi64ELi4ELc78ELc84ELb1ELb0ELb0EfKffEEviiiT16_PT17_ilS6_ilS4_S6_ilPT18_ili26rocblas_geam_ex_operation_,comdat
.Lfunc_end91:
	.size	_ZN12_GLOBAL__N_120geam_min_plus_kernelIf15HIP_vector_typeIfLj2EES2_Li8ELi32ELi64ELi128ELi4ELi64ELi4ELi64ELi4ELc78ELc84ELb1ELb0ELb0EfKffEEviiiT16_PT17_ilS6_ilS4_S6_ilPT18_ili26rocblas_geam_ex_operation_, .Lfunc_end91-_ZN12_GLOBAL__N_120geam_min_plus_kernelIf15HIP_vector_typeIfLj2EES2_Li8ELi32ELi64ELi128ELi4ELi64ELi4ELi64ELi4ELc78ELc84ELb1ELb0ELb0EfKffEEviiiT16_PT17_ilS6_ilS4_S6_ilPT18_ili26rocblas_geam_ex_operation_
                                        ; -- End function
	.set _ZN12_GLOBAL__N_120geam_min_plus_kernelIf15HIP_vector_typeIfLj2EES2_Li8ELi32ELi64ELi128ELi4ELi64ELi4ELi64ELi4ELc78ELc84ELb1ELb0ELb0EfKffEEviiiT16_PT17_ilS6_ilS4_S6_ilPT18_ili26rocblas_geam_ex_operation_.num_vgpr, 109
	.set _ZN12_GLOBAL__N_120geam_min_plus_kernelIf15HIP_vector_typeIfLj2EES2_Li8ELi32ELi64ELi128ELi4ELi64ELi4ELi64ELi4ELc78ELc84ELb1ELb0ELb0EfKffEEviiiT16_PT17_ilS6_ilS4_S6_ilPT18_ili26rocblas_geam_ex_operation_.num_agpr, 0
	.set _ZN12_GLOBAL__N_120geam_min_plus_kernelIf15HIP_vector_typeIfLj2EES2_Li8ELi32ELi64ELi128ELi4ELi64ELi4ELi64ELi4ELc78ELc84ELb1ELb0ELb0EfKffEEviiiT16_PT17_ilS6_ilS4_S6_ilPT18_ili26rocblas_geam_ex_operation_.numbered_sgpr, 26
	.set _ZN12_GLOBAL__N_120geam_min_plus_kernelIf15HIP_vector_typeIfLj2EES2_Li8ELi32ELi64ELi128ELi4ELi64ELi4ELi64ELi4ELc78ELc84ELb1ELb0ELb0EfKffEEviiiT16_PT17_ilS6_ilS4_S6_ilPT18_ili26rocblas_geam_ex_operation_.num_named_barrier, 0
	.set _ZN12_GLOBAL__N_120geam_min_plus_kernelIf15HIP_vector_typeIfLj2EES2_Li8ELi32ELi64ELi128ELi4ELi64ELi4ELi64ELi4ELc78ELc84ELb1ELb0ELb0EfKffEEviiiT16_PT17_ilS6_ilS4_S6_ilPT18_ili26rocblas_geam_ex_operation_.private_seg_size, 0
	.set _ZN12_GLOBAL__N_120geam_min_plus_kernelIf15HIP_vector_typeIfLj2EES2_Li8ELi32ELi64ELi128ELi4ELi64ELi4ELi64ELi4ELc78ELc84ELb1ELb0ELb0EfKffEEviiiT16_PT17_ilS6_ilS4_S6_ilPT18_ili26rocblas_geam_ex_operation_.uses_vcc, 1
	.set _ZN12_GLOBAL__N_120geam_min_plus_kernelIf15HIP_vector_typeIfLj2EES2_Li8ELi32ELi64ELi128ELi4ELi64ELi4ELi64ELi4ELc78ELc84ELb1ELb0ELb0EfKffEEviiiT16_PT17_ilS6_ilS4_S6_ilPT18_ili26rocblas_geam_ex_operation_.uses_flat_scratch, 0
	.set _ZN12_GLOBAL__N_120geam_min_plus_kernelIf15HIP_vector_typeIfLj2EES2_Li8ELi32ELi64ELi128ELi4ELi64ELi4ELi64ELi4ELc78ELc84ELb1ELb0ELb0EfKffEEviiiT16_PT17_ilS6_ilS4_S6_ilPT18_ili26rocblas_geam_ex_operation_.has_dyn_sized_stack, 0
	.set _ZN12_GLOBAL__N_120geam_min_plus_kernelIf15HIP_vector_typeIfLj2EES2_Li8ELi32ELi64ELi128ELi4ELi64ELi4ELi64ELi4ELc78ELc84ELb1ELb0ELb0EfKffEEviiiT16_PT17_ilS6_ilS4_S6_ilPT18_ili26rocblas_geam_ex_operation_.has_recursion, 0
	.set _ZN12_GLOBAL__N_120geam_min_plus_kernelIf15HIP_vector_typeIfLj2EES2_Li8ELi32ELi64ELi128ELi4ELi64ELi4ELi64ELi4ELc78ELc84ELb1ELb0ELb0EfKffEEviiiT16_PT17_ilS6_ilS4_S6_ilPT18_ili26rocblas_geam_ex_operation_.has_indirect_call, 0
	.section	.AMDGPU.csdata,"",@progbits
; Kernel info:
; codeLenInByte = 6464
; TotalNumSgprs: 32
; NumVgprs: 109
; NumAgprs: 0
; TotalNumVgprs: 109
; ScratchSize: 0
; MemoryBound: 0
; FloatMode: 240
; IeeeMode: 1
; LDSByteSize: 6144 bytes/workgroup (compile time only)
; SGPRBlocks: 3
; VGPRBlocks: 13
; NumSGPRsForWavesPerEU: 32
; NumVGPRsForWavesPerEU: 109
; AccumOffset: 112
; Occupancy: 4
; WaveLimiterHint : 1
; COMPUTE_PGM_RSRC2:SCRATCH_EN: 0
; COMPUTE_PGM_RSRC2:USER_SGPR: 2
; COMPUTE_PGM_RSRC2:TRAP_HANDLER: 0
; COMPUTE_PGM_RSRC2:TGID_X_EN: 1
; COMPUTE_PGM_RSRC2:TGID_Y_EN: 0
; COMPUTE_PGM_RSRC2:TGID_Z_EN: 1
; COMPUTE_PGM_RSRC2:TIDIG_COMP_CNT: 1
; COMPUTE_PGM_RSRC3_GFX90A:ACCUM_OFFSET: 27
; COMPUTE_PGM_RSRC3_GFX90A:TG_SPLIT: 0
	.section	.text._ZN12_GLOBAL__N_120geam_min_plus_kernelIf15HIP_vector_typeIfLj2EES2_Li8ELi32ELi64ELi128ELi4ELi64ELi4ELi64ELi4ELc78ELc84ELb0ELb0ELb0EfKffEEviiiT16_PT17_ilS6_ilS4_S6_ilPT18_ili26rocblas_geam_ex_operation_,"axG",@progbits,_ZN12_GLOBAL__N_120geam_min_plus_kernelIf15HIP_vector_typeIfLj2EES2_Li8ELi32ELi64ELi128ELi4ELi64ELi4ELi64ELi4ELc78ELc84ELb0ELb0ELb0EfKffEEviiiT16_PT17_ilS6_ilS4_S6_ilPT18_ili26rocblas_geam_ex_operation_,comdat
	.globl	_ZN12_GLOBAL__N_120geam_min_plus_kernelIf15HIP_vector_typeIfLj2EES2_Li8ELi32ELi64ELi128ELi4ELi64ELi4ELi64ELi4ELc78ELc84ELb0ELb0ELb0EfKffEEviiiT16_PT17_ilS6_ilS4_S6_ilPT18_ili26rocblas_geam_ex_operation_ ; -- Begin function _ZN12_GLOBAL__N_120geam_min_plus_kernelIf15HIP_vector_typeIfLj2EES2_Li8ELi32ELi64ELi128ELi4ELi64ELi4ELi64ELi4ELc78ELc84ELb0ELb0ELb0EfKffEEviiiT16_PT17_ilS6_ilS4_S6_ilPT18_ili26rocblas_geam_ex_operation_
	.p2align	8
	.type	_ZN12_GLOBAL__N_120geam_min_plus_kernelIf15HIP_vector_typeIfLj2EES2_Li8ELi32ELi64ELi128ELi4ELi64ELi4ELi64ELi4ELc78ELc84ELb0ELb0ELb0EfKffEEviiiT16_PT17_ilS6_ilS4_S6_ilPT18_ili26rocblas_geam_ex_operation_,@function
_ZN12_GLOBAL__N_120geam_min_plus_kernelIf15HIP_vector_typeIfLj2EES2_Li8ELi32ELi64ELi128ELi4ELi64ELi4ELi64ELi4ELc78ELc84ELb0ELb0ELb0EfKffEEviiiT16_PT17_ilS6_ilS4_S6_ilPT18_ili26rocblas_geam_ex_operation_: ; @_ZN12_GLOBAL__N_120geam_min_plus_kernelIf15HIP_vector_typeIfLj2EES2_Li8ELi32ELi64ELi128ELi4ELi64ELi4ELi64ELi4ELc78ELc84ELb0ELb0ELb0EfKffEEviiiT16_PT17_ilS6_ilS4_S6_ilPT18_ili26rocblas_geam_ex_operation_
; %bb.0:
	s_load_dwordx2 s[18:19], s[0:1], 0x8
	s_load_dwordx4 s[8:11], s[0:1], 0x20
	s_waitcnt lgkmcnt(0)
	v_cmp_eq_f32_e64 s[6:7], s19, 0
	s_and_b64 s[4:5], exec, s[6:7]
	s_mov_b64 vcc, s[4:5]
	s_cbranch_vccnz .LBB92_95
; %bb.1:
	s_load_dwordx2 s[12:13], s[0:1], 0x10
	s_mul_i32 s9, s9, s3
	s_mul_hi_u32 s14, s8, s3
	s_add_i32 s9, s14, s9
	s_mul_i32 s8, s8, s3
	s_lshl_b64 s[8:9], s[8:9], 2
	s_waitcnt lgkmcnt(0)
	s_add_u32 s20, s12, s8
	s_addc_u32 s21, s13, s9
	s_andn2_b64 vcc, exec, s[6:7]
	s_mov_b64 s[6:7], -1
	s_cbranch_vccnz .LBB92_3
.LBB92_2:
	s_mov_b64 s[6:7], 0
.LBB92_3:
	s_mov_b64 s[16:17], 0
	s_andn2_b64 vcc, exec, s[6:7]
	s_mov_b64 s[22:23], 0
	s_cbranch_vccnz .LBB92_5
; %bb.4:
	s_load_dwordx2 s[6:7], s[0:1], 0x38
	s_waitcnt lgkmcnt(0)
	s_mul_i32 s7, s7, s3
	s_mul_hi_u32 s8, s6, s3
	s_add_i32 s7, s8, s7
	s_mul_i32 s6, s6, s3
	s_lshl_b64 s[6:7], s[6:7], 2
	s_add_u32 s22, s10, s6
	s_addc_u32 s23, s11, s7
.LBB92_5:
	s_load_dword s24, s[0:1], 0x40
	s_load_dwordx4 s[12:15], s[0:1], 0x58
	v_cmp_neq_f32_e64 s[10:11], s19, 0
	s_waitcnt lgkmcnt(0)
	v_cmp_eq_f32_e64 s[6:7], s24, 0
	s_and_b64 s[8:9], exec, s[6:7]
	s_mov_b64 vcc, s[8:9]
	s_cbranch_vccnz .LBB92_7
; %bb.6:
	s_load_dwordx2 s[6:7], s[0:1], 0x48
	s_mul_i32 s13, s13, s3
	s_mul_hi_u32 s16, s12, s3
	s_add_i32 s13, s16, s13
	s_mul_i32 s12, s12, s3
	s_lshl_b64 s[12:13], s[12:13], 2
	s_waitcnt lgkmcnt(0)
	s_add_u32 s16, s6, s12
	s_addc_u32 s17, s7, s13
.LBB92_7:
	s_load_dword s6, s[0:1], 0x0
	s_load_dword s13, s[0:1], 0x18
	;; [unrolled: 1-line block ×3, first 2 shown]
	v_and_b32_e32 v76, 0x3ff, v0
	v_bfe_u32 v77, v0, 10, 10
	s_waitcnt lgkmcnt(0)
	s_add_i32 s6, s6, -1
	s_ashr_i32 s7, s6, 31
	s_lshr_b32 s7, s7, 26
	s_add_i32 s6, s6, s7
	s_ashr_i32 s6, s6, 6
	s_add_i32 s7, s6, 1
	v_cvt_f32_u32_e32 v1, s7
	s_not_b32 s6, s6
	s_ashr_i32 s26, s13, 31
	s_ashr_i32 s27, s25, 31
	v_rcp_iflag_f32_e32 v0, v1
	v_lshl_add_u32 v1, v77, 3, v76
	v_and_b32_e32 v74, 63, v1
	v_lshrrev_b32_e32 v78, 6, v1
	v_mul_f32_e32 v0, 0x4f7ffffe, v0
	v_cvt_u32_f32_e32 v0, v0
	v_mov_b32_e32 v75, 0
	v_mov_b32_e32 v2, 0
	;; [unrolled: 1-line block ×3, first 2 shown]
	v_readfirstlane_b32 s12, v0
	s_mul_i32 s6, s6, s12
	s_mul_hi_u32 s6, s12, s6
	s_add_i32 s12, s12, s6
	s_mul_hi_u32 s6, s2, s12
	s_mul_i32 s12, s6, s7
	s_sub_i32 s12, s2, s12
	s_add_i32 s28, s6, 1
	s_sub_i32 s29, s12, s7
	s_cmp_ge_u32 s12, s7
	s_cselect_b32 s6, s28, s6
	s_cselect_b32 s12, s29, s12
	s_add_i32 s28, s6, 1
	s_cmp_ge_u32 s12, s7
	s_cselect_b32 s6, s28, s6
	s_mul_i32 s7, s6, s7
	s_sub_i32 s2, s2, s7
	s_lshl_b32 s12, s6, 7
	s_lshl_b32 s2, s2, 6
	v_cndmask_b32_e64 v0, 0, 1, s[10:11]
	v_or_b32_e32 v68, s2, v74
	v_or_b32_e32 v70, s12, v74
	v_cmp_ne_u32_e64 s[6:7], 1, v0
	s_andn2_b64 vcc, exec, s[10:11]
	v_ashrrev_i32_e32 v69, 31, v68
	v_ashrrev_i32_e32 v71, 31, v70
	v_mov_b32_e32 v0, 0
	s_cbranch_vccnz .LBB92_9
; %bb.8:
	v_mad_i64_i32 v[0:1], s[10:11], s13, v78, 0
	v_mad_i64_i32 v[2:3], s[10:11], s25, v78, 0
	v_lshl_add_u64 v[0:1], v[0:1], 2, s[20:21]
	v_lshl_add_u64 v[2:3], v[2:3], 2, s[22:23]
	;; [unrolled: 1-line block ×4, first 2 shown]
	global_load_dword v0, v[0:1], off
	s_nop 0
	global_load_dword v4, v[2:3], off
	global_load_dword v1, v[2:3], off offset:256
	s_mov_b32 s10, s19
	s_waitcnt vmcnt(1)
	v_mul_f32_e32 v2, s19, v4
	s_waitcnt vmcnt(0)
	v_pk_mul_f32 v[0:1], s[10:11], v[0:1] op_sel_hi:[0,1]
.LBB92_9:
	s_and_b64 vcc, exec, s[6:7]
	v_add_u32_e32 v79, 4, v78
	v_mov_b32_e32 v72, 0
	v_mov_b32_e32 v73, 0
	s_cbranch_vccnz .LBB92_11
; %bb.10:
	v_mad_i64_i32 v[4:5], s[6:7], s13, v79, 0
	v_mad_i64_i32 v[6:7], s[6:7], s25, v79, 0
	v_lshl_add_u64 v[4:5], v[4:5], 2, s[20:21]
	v_lshl_add_u64 v[6:7], v[6:7], 2, s[22:23]
	;; [unrolled: 1-line block ×4, first 2 shown]
	global_load_dword v4, v[4:5], off
	s_nop 0
	global_load_dword v3, v[6:7], off
	global_load_dword v5, v[6:7], off offset:256
	s_mov_b32 s6, s19
	s_waitcnt vmcnt(1)
	v_mul_f32_e32 v75, s19, v3
	s_waitcnt vmcnt(0)
	v_pk_mul_f32 v[72:73], s[6:7], v[4:5] op_sel_hi:[0,1]
.LBB92_11:
	v_lshlrev_b32_e32 v3, 4, v74
	v_lshl_add_u32 v80, v78, 2, v3
	ds_write_b32 v80, v0 offset:4096
	ds_write2st64_b32 v80, v2, v1 offset1:4
	v_mov_b32_e32 v0, 0x1000
	v_mov_b32_e32 v66, 0
	v_cmp_neq_f32_e64 s[6:7], s24, 0
	v_lshl_add_u32 v81, v76, 4, v0
	s_mov_b32 s28, 0
	s_mov_b64 s[10:11], -1
	v_mov_b32_e32 v67, v66
	v_mov_b32_e32 v64, v66
	;; [unrolled: 1-line block ×63, first 2 shown]
	v_or_b32_e32 v82, 0x1000, v80
	v_lshlrev_b32_e32 v83, 4, v77
	s_waitcnt lgkmcnt(0)
	s_barrier
.LBB92_12:                              ; =>This Inner Loop Header: Depth=1
	v_cndmask_b32_e64 v0, 0, 1, s[10:11]
	s_lshl_b32 s10, s28, 2
	v_cmp_ne_u32_e32 vcc, 1, v0
	v_add_u32_e32 v0, s10, v81
	ds_read2_b64 v[84:87], v0 offset1:16
	ds_read2_b64 v[88:91], v0 offset0:32 offset1:48
	ds_read2_b64 v[92:95], v0 offset0:64 offset1:80
	;; [unrolled: 1-line block ×3, first 2 shown]
	v_add_u32_e32 v0, s10, v83
	ds_read2st64_b64 v[100:103], v0 offset1:1
	ds_read2st64_b64 v[0:3], v0 offset0:2 offset1:3
	s_waitcnt lgkmcnt(5)
	v_max_f32_e32 v104, v84, v84
	v_max_f32_e32 v105, v85, v85
	;; [unrolled: 1-line block ×3, first 2 shown]
	s_waitcnt lgkmcnt(1)
	v_max_f32_e32 v100, v100, v100
	v_max_f32_e32 v101, v101, v101
	v_min_f32_e32 v84, v104, v100
	v_min_f32_e32 v85, v105, v101
	v_max_f32_e32 v87, v87, v87
	v_pk_add_f32 v[66:67], v[84:85], v[66:67]
	v_min_f32_e32 v84, v86, v100
	v_min_f32_e32 v85, v87, v101
	v_max_f32_e32 v88, v88, v88
	v_max_f32_e32 v89, v89, v89
	v_pk_add_f32 v[64:65], v[84:85], v[64:65]
	v_min_f32_e32 v84, v88, v100
	v_min_f32_e32 v85, v89, v101
	v_max_f32_e32 v90, v90, v90
	;; [unrolled: 5-line block ×7, first 2 shown]
	v_max_f32_e32 v101, v103, v103
	v_pk_add_f32 v[52:53], v[84:85], v[52:53]
	v_min_f32_e32 v84, v104, v100
	v_min_f32_e32 v85, v105, v101
	v_pk_add_f32 v[50:51], v[84:85], v[50:51]
	v_min_f32_e32 v84, v86, v100
	v_min_f32_e32 v85, v87, v101
	;; [unrolled: 3-line block ×8, first 2 shown]
	v_pk_add_f32 v[36:37], v[84:85], v[36:37]
	s_waitcnt lgkmcnt(0)
	v_max_f32_e32 v84, v0, v0
	v_max_f32_e32 v85, v1, v1
	v_min_f32_e32 v0, v104, v84
	v_min_f32_e32 v1, v105, v85
	v_pk_add_f32 v[34:35], v[0:1], v[34:35]
	v_min_f32_e32 v0, v86, v84
	v_min_f32_e32 v1, v87, v85
	v_pk_add_f32 v[32:33], v[0:1], v[32:33]
	;; [unrolled: 3-line block ×7, first 2 shown]
	v_min_f32_e32 v0, v98, v84
	v_min_f32_e32 v1, v99, v85
	v_max_f32_e32 v2, v2, v2
	v_max_f32_e32 v3, v3, v3
	v_pk_add_f32 v[20:21], v[0:1], v[20:21]
	v_min_f32_e32 v0, v104, v2
	v_min_f32_e32 v1, v105, v3
	v_pk_add_f32 v[18:19], v[0:1], v[18:19]
	v_min_f32_e32 v0, v86, v2
	v_min_f32_e32 v1, v87, v3
	;; [unrolled: 3-line block ×8, first 2 shown]
	v_pk_add_f32 v[4:5], v[0:1], v[4:5]
	s_mov_b64 s[10:11], 0
	s_mov_b32 s28, 2
	s_cbranch_vccz .LBB92_12
; %bb.13:
	v_lshlrev_b32_e32 v0, 2, v78
	v_lshl_add_u32 v0, v74, 4, v0
	s_cmp_lt_i32 s18, 9
	ds_write_b32 v0, v72 offset:5120
	ds_write2st64_b32 v0, v75, v73 offset0:8 offset1:12
	s_waitcnt lgkmcnt(0)
	s_barrier
	s_cbranch_scc1 .LBB92_28
; %bb.14:
	v_add_u32_e32 v84, 0x1400, v0
	v_or_b32_e32 v85, 0x800, v0
	v_mov_b32_e32 v0, 0x1400
	v_lshl_add_u32 v86, v76, 4, v0
	v_mov_b32_e32 v0, 0x800
	s_add_i32 s28, s18, -8
	v_lshl_add_u64 v[68:69], v[68:69], 2, s[20:21]
	v_lshl_add_u32 v87, v77, 4, v0
	v_lshl_add_u64 v[70:71], v[70:71], 2, s[22:23]
	s_mov_b32 s18, s19
	s_mov_b32 s20, 8
	;; [unrolled: 1-line block ×3, first 2 shown]
.LBB92_15:                              ; =>This Loop Header: Depth=1
                                        ;     Child Loop BB92_20 Depth 2
                                        ;     Child Loop BB92_26 Depth 2
	s_mov_b64 s[10:11], -1
	s_mov_b64 vcc, s[4:5]
                                        ; implicit-def: $vgpr72_vgpr73
	s_cbranch_vccz .LBB92_17
; %bb.16:                               ;   in Loop: Header=BB92_15 Depth=1
	s_mov_b64 s[10:11], 0
	v_mov_b32_e32 v72, 0
.LBB92_17:                              ;   in Loop: Header=BB92_15 Depth=1
	v_mov_b32_e32 v74, 0
	s_andn2_b64 vcc, exec, s[10:11]
	v_mov_b32_e32 v75, 0
	s_cbranch_vccnz .LBB92_19
; %bb.18:                               ;   in Loop: Header=BB92_15 Depth=1
	v_add_u32_e32 v73, s20, v78
	v_mad_u64_u32 v[0:1], s[10:11], v73, s13, 0
	v_mov_b32_e32 v2, v1
	v_mad_u64_u32 v[2:3], s[10:11], v73, s26, v[2:3]
	v_mov_b32_e32 v1, v2
	;; [unrolled: 2-line block ×4, first 2 shown]
	v_lshl_add_u64 v[0:1], v[0:1], 2, v[68:69]
	v_lshl_add_u64 v[2:3], v[2:3], 2, v[70:71]
	global_load_dword v0, v[0:1], off
	s_nop 0
	global_load_dword v72, v[2:3], off
	global_load_dword v1, v[2:3], off offset:256
	s_waitcnt vmcnt(1)
	v_mul_f32_e32 v72, s19, v72
	s_waitcnt vmcnt(0)
	v_pk_mul_f32 v[74:75], s[18:19], v[0:1]
.LBB92_19:                              ;   in Loop: Header=BB92_15 Depth=1
	s_mov_b32 s22, 0
	s_mov_b64 s[10:11], -1
.LBB92_20:                              ;   Parent Loop BB92_15 Depth=1
                                        ; =>  This Inner Loop Header: Depth=2
	v_cndmask_b32_e64 v0, 0, 1, s[10:11]
	s_lshl_b32 s10, s22, 2
	v_cmp_ne_u32_e32 vcc, 1, v0
	v_add_u32_e32 v0, s10, v86
	ds_read2_b64 v[88:91], v0 offset1:16
	ds_read2_b64 v[92:95], v0 offset0:32 offset1:48
	ds_read2_b64 v[96:99], v0 offset0:64 offset1:80
	;; [unrolled: 1-line block ×3, first 2 shown]
	v_add_u32_e32 v0, s10, v87
	ds_read2st64_b64 v[104:107], v0 offset1:1
	ds_read2st64_b64 v[0:3], v0 offset0:2 offset1:3
	s_waitcnt lgkmcnt(5)
	v_max_f32_e32 v108, v89, v89
	v_max_f32_e32 v90, v90, v90
	;; [unrolled: 1-line block ×3, first 2 shown]
	s_waitcnt lgkmcnt(1)
	v_max_f32_e32 v73, v104, v104
	v_max_f32_e32 v104, v88, v88
	;; [unrolled: 1-line block ×3, first 2 shown]
	v_min_f32_e32 v88, v104, v73
	v_min_f32_e32 v89, v108, v105
	v_pk_add_f32 v[66:67], v[88:89], v[66:67]
	v_min_f32_e32 v88, v90, v73
	v_min_f32_e32 v89, v91, v105
	v_max_f32_e32 v92, v92, v92
	v_max_f32_e32 v93, v93, v93
	v_pk_add_f32 v[64:65], v[88:89], v[64:65]
	v_min_f32_e32 v88, v92, v73
	v_min_f32_e32 v89, v93, v105
	v_max_f32_e32 v94, v94, v94
	v_max_f32_e32 v95, v95, v95
	;; [unrolled: 5-line block ×5, first 2 shown]
	v_pk_add_f32 v[56:57], v[88:89], v[56:57]
	v_min_f32_e32 v88, v100, v73
	v_min_f32_e32 v89, v101, v105
	v_max_f32_e32 v102, v102, v102
	v_pk_add_f32 v[54:55], v[88:89], v[54:55]
	v_min_f32_e32 v88, v102, v73
	v_max_f32_e32 v73, v103, v103
	v_min_f32_e32 v89, v73, v105
	v_max_f32_e32 v103, v106, v106
	v_max_f32_e32 v105, v107, v107
	v_pk_add_f32 v[52:53], v[88:89], v[52:53]
	v_min_f32_e32 v88, v104, v103
	v_min_f32_e32 v89, v108, v105
	v_pk_add_f32 v[50:51], v[88:89], v[50:51]
	v_min_f32_e32 v88, v90, v103
	v_min_f32_e32 v89, v91, v105
	;; [unrolled: 3-line block ×8, first 2 shown]
	v_pk_add_f32 v[36:37], v[88:89], v[36:37]
	s_waitcnt lgkmcnt(0)
	v_max_f32_e32 v88, v0, v0
	v_max_f32_e32 v89, v1, v1
	v_min_f32_e32 v0, v104, v88
	v_min_f32_e32 v1, v108, v89
	v_pk_add_f32 v[34:35], v[0:1], v[34:35]
	v_min_f32_e32 v0, v90, v88
	v_min_f32_e32 v1, v91, v89
	v_pk_add_f32 v[32:33], v[0:1], v[32:33]
	;; [unrolled: 3-line block ×7, first 2 shown]
	v_min_f32_e32 v0, v102, v88
	v_min_f32_e32 v1, v73, v89
	v_max_f32_e32 v2, v2, v2
	v_max_f32_e32 v3, v3, v3
	v_pk_add_f32 v[20:21], v[0:1], v[20:21]
	v_min_f32_e32 v0, v104, v2
	v_min_f32_e32 v1, v108, v3
	v_pk_add_f32 v[18:19], v[0:1], v[18:19]
	v_min_f32_e32 v0, v90, v2
	v_min_f32_e32 v1, v91, v3
	;; [unrolled: 3-line block ×8, first 2 shown]
	v_pk_add_f32 v[4:5], v[0:1], v[4:5]
	s_mov_b64 s[10:11], 0
	s_mov_b32 s22, 2
	s_cbranch_vccz .LBB92_20
; %bb.21:                               ;   in Loop: Header=BB92_15 Depth=1
	s_mov_b64 s[10:11], -1
	s_mov_b64 vcc, s[4:5]
	ds_write_b32 v82, v74
	ds_write2st64_b32 v80, v72, v75 offset1:4
	s_waitcnt lgkmcnt(0)
	s_barrier
                                        ; implicit-def: $vgpr72_vgpr73
	s_cbranch_vccz .LBB92_23
; %bb.22:                               ;   in Loop: Header=BB92_15 Depth=1
	s_mov_b64 s[10:11], 0
	v_mov_b32_e32 v72, 0
.LBB92_23:                              ;   in Loop: Header=BB92_15 Depth=1
	v_mov_b32_e32 v74, 0
	s_andn2_b64 vcc, exec, s[10:11]
	v_mov_b32_e32 v75, 0
	s_cbranch_vccnz .LBB92_25
; %bb.24:                               ;   in Loop: Header=BB92_15 Depth=1
	v_add_u32_e32 v73, s20, v79
	v_mad_u64_u32 v[0:1], s[10:11], v73, s13, 0
	v_mov_b32_e32 v2, v1
	v_mad_u64_u32 v[2:3], s[10:11], v73, s26, v[2:3]
	v_mov_b32_e32 v1, v2
	;; [unrolled: 2-line block ×4, first 2 shown]
	v_lshl_add_u64 v[0:1], v[0:1], 2, v[68:69]
	v_lshl_add_u64 v[2:3], v[2:3], 2, v[70:71]
	global_load_dword v0, v[0:1], off
	s_nop 0
	global_load_dword v72, v[2:3], off
	global_load_dword v1, v[2:3], off offset:256
	s_waitcnt vmcnt(1)
	v_mul_f32_e32 v72, s19, v72
	s_waitcnt vmcnt(0)
	v_pk_mul_f32 v[74:75], s[18:19], v[0:1]
.LBB92_25:                              ;   in Loop: Header=BB92_15 Depth=1
	s_mov_b32 s22, 0
	s_mov_b64 s[10:11], -1
.LBB92_26:                              ;   Parent Loop BB92_15 Depth=1
                                        ; =>  This Inner Loop Header: Depth=2
	v_cndmask_b32_e64 v0, 0, 1, s[10:11]
	s_lshl_b32 s10, s22, 2
	v_cmp_ne_u32_e32 vcc, 1, v0
	v_add_u32_e32 v0, s10, v81
	ds_read2_b64 v[88:91], v0 offset1:16
	ds_read2_b64 v[92:95], v0 offset0:32 offset1:48
	ds_read2_b64 v[96:99], v0 offset0:64 offset1:80
	ds_read2_b64 v[100:103], v0 offset0:96 offset1:112
	v_add_u32_e32 v0, s10, v83
	ds_read2st64_b64 v[104:107], v0 offset1:1
	ds_read2st64_b64 v[0:3], v0 offset0:2 offset1:3
	s_waitcnt lgkmcnt(5)
	v_max_f32_e32 v108, v89, v89
	v_max_f32_e32 v90, v90, v90
	;; [unrolled: 1-line block ×3, first 2 shown]
	s_waitcnt lgkmcnt(1)
	v_max_f32_e32 v73, v104, v104
	v_max_f32_e32 v104, v88, v88
	;; [unrolled: 1-line block ×3, first 2 shown]
	v_min_f32_e32 v88, v104, v73
	v_min_f32_e32 v89, v108, v105
	v_pk_add_f32 v[66:67], v[88:89], v[66:67]
	v_min_f32_e32 v88, v90, v73
	v_min_f32_e32 v89, v91, v105
	v_max_f32_e32 v92, v92, v92
	v_max_f32_e32 v93, v93, v93
	v_pk_add_f32 v[64:65], v[88:89], v[64:65]
	v_min_f32_e32 v88, v92, v73
	v_min_f32_e32 v89, v93, v105
	v_max_f32_e32 v94, v94, v94
	v_max_f32_e32 v95, v95, v95
	;; [unrolled: 5-line block ×5, first 2 shown]
	v_pk_add_f32 v[56:57], v[88:89], v[56:57]
	v_min_f32_e32 v88, v100, v73
	v_min_f32_e32 v89, v101, v105
	v_max_f32_e32 v102, v102, v102
	v_pk_add_f32 v[54:55], v[88:89], v[54:55]
	v_min_f32_e32 v88, v102, v73
	v_max_f32_e32 v73, v103, v103
	v_min_f32_e32 v89, v73, v105
	v_max_f32_e32 v103, v106, v106
	v_max_f32_e32 v105, v107, v107
	v_pk_add_f32 v[52:53], v[88:89], v[52:53]
	v_min_f32_e32 v88, v104, v103
	v_min_f32_e32 v89, v108, v105
	v_pk_add_f32 v[50:51], v[88:89], v[50:51]
	v_min_f32_e32 v88, v90, v103
	v_min_f32_e32 v89, v91, v105
	;; [unrolled: 3-line block ×8, first 2 shown]
	v_pk_add_f32 v[36:37], v[88:89], v[36:37]
	s_waitcnt lgkmcnt(0)
	v_max_f32_e32 v88, v0, v0
	v_max_f32_e32 v89, v1, v1
	v_min_f32_e32 v0, v104, v88
	v_min_f32_e32 v1, v108, v89
	v_pk_add_f32 v[34:35], v[0:1], v[34:35]
	v_min_f32_e32 v0, v90, v88
	v_min_f32_e32 v1, v91, v89
	v_pk_add_f32 v[32:33], v[0:1], v[32:33]
	v_min_f32_e32 v0, v92, v88
	v_min_f32_e32 v1, v93, v89
	v_pk_add_f32 v[30:31], v[0:1], v[30:31]
	v_min_f32_e32 v0, v94, v88
	v_min_f32_e32 v1, v95, v89
	v_pk_add_f32 v[28:29], v[0:1], v[28:29]
	v_min_f32_e32 v0, v96, v88
	v_min_f32_e32 v1, v97, v89
	v_pk_add_f32 v[26:27], v[0:1], v[26:27]
	v_min_f32_e32 v0, v98, v88
	v_min_f32_e32 v1, v99, v89
	v_pk_add_f32 v[24:25], v[0:1], v[24:25]
	v_min_f32_e32 v0, v100, v88
	v_min_f32_e32 v1, v101, v89
	v_pk_add_f32 v[22:23], v[0:1], v[22:23]
	v_min_f32_e32 v0, v102, v88
	v_min_f32_e32 v1, v73, v89
	v_max_f32_e32 v2, v2, v2
	v_max_f32_e32 v3, v3, v3
	v_pk_add_f32 v[20:21], v[0:1], v[20:21]
	v_min_f32_e32 v0, v104, v2
	v_min_f32_e32 v1, v108, v3
	v_pk_add_f32 v[18:19], v[0:1], v[18:19]
	v_min_f32_e32 v0, v90, v2
	v_min_f32_e32 v1, v91, v3
	;; [unrolled: 3-line block ×8, first 2 shown]
	v_pk_add_f32 v[4:5], v[0:1], v[4:5]
	s_mov_b64 s[10:11], 0
	s_mov_b32 s22, 2
	s_cbranch_vccz .LBB92_26
; %bb.27:                               ;   in Loop: Header=BB92_15 Depth=1
	s_add_i32 s20, s20, 8
	s_add_i32 s21, s21, 8
	s_cmp_ge_i32 s21, s28
	ds_write_b32 v84, v74
	ds_write2st64_b32 v85, v72, v75 offset1:4
	s_waitcnt lgkmcnt(0)
	s_barrier
	s_cbranch_scc0 .LBB92_15
.LBB92_28:
	v_mov_b32_e32 v0, 0x1400
	v_lshl_add_u32 v68, v76, 4, v0
	v_mov_b32_e32 v0, 0x800
	v_lshl_add_u32 v69, v77, 4, v0
	s_mov_b32 s10, 0
	s_mov_b64 s[4:5], -1
.LBB92_29:                              ; =>This Inner Loop Header: Depth=1
	v_cndmask_b32_e64 v0, 0, 1, s[4:5]
	s_lshl_b32 s4, s10, 2
	v_cmp_ne_u32_e32 vcc, 1, v0
	v_add_u32_e32 v0, s4, v68
	ds_read2_b64 v[70:73], v0 offset1:16
	ds_read2_b64 v[78:81], v0 offset0:32 offset1:48
	ds_read2_b64 v[82:85], v0 offset0:64 offset1:80
	;; [unrolled: 1-line block ×3, first 2 shown]
	v_add_u32_e32 v0, s4, v69
	ds_read2st64_b64 v[90:93], v0 offset1:1
	ds_read2st64_b64 v[0:3], v0 offset0:2 offset1:3
	s_waitcnt lgkmcnt(5)
	v_max_f32_e32 v75, v70, v70
	v_max_f32_e32 v72, v72, v72
	;; [unrolled: 1-line block ×3, first 2 shown]
	s_waitcnt lgkmcnt(1)
	v_max_f32_e32 v74, v90, v90
	v_max_f32_e32 v90, v91, v91
	;; [unrolled: 1-line block ×3, first 2 shown]
	v_min_f32_e32 v70, v75, v74
	v_min_f32_e32 v71, v91, v90
	v_pk_add_f32 v[66:67], v[70:71], v[66:67]
	v_min_f32_e32 v70, v72, v74
	v_min_f32_e32 v71, v73, v90
	v_max_f32_e32 v78, v78, v78
	v_max_f32_e32 v79, v79, v79
	v_pk_add_f32 v[64:65], v[70:71], v[64:65]
	v_min_f32_e32 v70, v78, v74
	v_min_f32_e32 v71, v79, v90
	v_max_f32_e32 v80, v80, v80
	v_max_f32_e32 v81, v81, v81
	;; [unrolled: 5-line block ×5, first 2 shown]
	v_pk_add_f32 v[56:57], v[70:71], v[56:57]
	v_min_f32_e32 v70, v86, v74
	v_min_f32_e32 v71, v87, v90
	v_max_f32_e32 v88, v88, v88
	v_pk_add_f32 v[54:55], v[70:71], v[54:55]
	v_min_f32_e32 v70, v88, v74
	v_max_f32_e32 v74, v89, v89
	v_min_f32_e32 v71, v74, v90
	v_max_f32_e32 v89, v92, v92
	v_max_f32_e32 v90, v93, v93
	v_pk_add_f32 v[52:53], v[70:71], v[52:53]
	v_min_f32_e32 v70, v75, v89
	v_min_f32_e32 v71, v91, v90
	v_pk_add_f32 v[50:51], v[70:71], v[50:51]
	v_min_f32_e32 v70, v72, v89
	v_min_f32_e32 v71, v73, v90
	;; [unrolled: 3-line block ×8, first 2 shown]
	v_pk_add_f32 v[36:37], v[70:71], v[36:37]
	s_waitcnt lgkmcnt(0)
	v_max_f32_e32 v70, v0, v0
	v_max_f32_e32 v71, v1, v1
	v_min_f32_e32 v0, v75, v70
	v_min_f32_e32 v1, v91, v71
	v_pk_add_f32 v[34:35], v[0:1], v[34:35]
	v_min_f32_e32 v0, v72, v70
	v_min_f32_e32 v1, v73, v71
	v_pk_add_f32 v[32:33], v[0:1], v[32:33]
	;; [unrolled: 3-line block ×7, first 2 shown]
	v_min_f32_e32 v0, v88, v70
	v_min_f32_e32 v1, v74, v71
	v_max_f32_e32 v2, v2, v2
	v_max_f32_e32 v3, v3, v3
	v_pk_add_f32 v[20:21], v[0:1], v[20:21]
	v_min_f32_e32 v0, v75, v2
	v_min_f32_e32 v1, v91, v3
	v_pk_add_f32 v[18:19], v[0:1], v[18:19]
	v_min_f32_e32 v0, v72, v2
	v_min_f32_e32 v1, v73, v3
	;; [unrolled: 3-line block ×8, first 2 shown]
	v_pk_add_f32 v[4:5], v[0:1], v[4:5]
	s_mov_b64 s[4:5], 0
	s_mov_b32 s10, 2
	s_cbranch_vccz .LBB92_29
; %bb.30:
	s_load_dword s10, s[0:1], 0x50
	v_add_u32_e32 v72, s12, v77
	v_add_u32_e32 v0, s2, v76
	v_ashrrev_i32_e32 v1, 31, v0
	v_mov_b32_e32 v73, 0
	s_waitcnt lgkmcnt(0)
	v_mad_i64_i32 v[2:3], s[4:5], v72, s10, 0
	v_lshl_add_u64 v[68:69], v[2:3], 2, s[16:17]
	v_cndmask_b32_e64 v2, 0, 1, s[6:7]
	v_cmp_ne_u32_e64 s[4:5], 1, v2
	s_andn2_b64 vcc, exec, s[6:7]
	v_mov_b32_e32 v74, 0
	s_cbranch_vccnz .LBB92_32
; %bb.31:
	v_lshl_add_u64 v[2:3], v[0:1], 2, v[68:69]
	global_load_dword v2, v[2:3], off
	s_waitcnt vmcnt(0)
	v_mul_f32_e32 v74, s24, v2
.LBB92_32:
	s_load_dwordx2 s[6:7], s[0:1], 0x70
	s_load_dword s2, s[0:1], 0x68
	v_add_u32_e32 v2, 8, v0
	v_add_f32_e32 v66, v66, v67
	v_ashrrev_i32_e32 v3, 31, v2
	s_waitcnt lgkmcnt(0)
	s_mul_i32 s1, s7, s3
	s_mul_hi_u32 s7, s6, s3
	s_mul_i32 s0, s6, s3
	s_add_i32 s1, s7, s1
	s_lshl_b64 s[0:1], s[0:1], 2
	s_add_u32 s0, s14, s0
	s_addc_u32 s1, s15, s1
	v_mad_i64_i32 v[70:71], s[6:7], v72, s2, 0
	v_lshl_add_u64 v[70:71], v[70:71], 2, s[0:1]
	v_add_f32_e32 v74, v66, v74
	v_lshl_add_u64 v[66:67], v[0:1], 2, v[70:71]
	s_and_b64 vcc, exec, s[4:5]
	global_store_dword v[66:67], v74, off
	s_cbranch_vccnz .LBB92_34
; %bb.33:
	v_lshl_add_u64 v[66:67], v[2:3], 2, v[68:69]
	global_load_dword v66, v[66:67], off
	s_waitcnt vmcnt(0)
	v_mul_f32_e32 v73, s24, v66
.LBB92_34:
	v_add_f32_e32 v66, v64, v65
	v_add_u32_e32 v64, 16, v0
	v_add_f32_e32 v73, v66, v73
	v_lshl_add_u64 v[66:67], v[2:3], 2, v[70:71]
	v_ashrrev_i32_e32 v65, 31, v64
	global_store_dword v[66:67], v73, off
	v_mov_b32_e32 v66, 0
	s_and_b64 vcc, exec, s[4:5]
	v_mov_b32_e32 v67, 0
	s_cbranch_vccnz .LBB92_36
; %bb.35:
	v_lshl_add_u64 v[74:75], v[64:65], 2, v[68:69]
	global_load_dword v67, v[74:75], off
	s_waitcnt vmcnt(0)
	v_mul_f32_e32 v67, s24, v67
.LBB92_36:
	v_add_f32_e32 v73, v62, v63
	v_add_u32_e32 v62, 24, v0
	v_ashrrev_i32_e32 v63, 31, v62
	v_add_f32_e32 v67, v73, v67
	v_lshl_add_u64 v[74:75], v[64:65], 2, v[70:71]
	s_and_b64 vcc, exec, s[4:5]
	global_store_dword v[74:75], v67, off
	s_cbranch_vccnz .LBB92_38
; %bb.37:
	v_lshl_add_u64 v[66:67], v[62:63], 2, v[68:69]
	global_load_dword v66, v[66:67], off
	s_waitcnt vmcnt(0)
	v_mul_f32_e32 v66, s24, v66
.LBB92_38:
	v_add_f32_e32 v67, v60, v61
	v_add_u32_e32 v60, 32, v0
	v_add_f32_e32 v73, v67, v66
	v_lshl_add_u64 v[66:67], v[62:63], 2, v[70:71]
	v_ashrrev_i32_e32 v61, 31, v60
	global_store_dword v[66:67], v73, off
	v_mov_b32_e32 v66, 0
	s_and_b64 vcc, exec, s[4:5]
	v_mov_b32_e32 v67, 0
	s_cbranch_vccnz .LBB92_40
; %bb.39:
	v_lshl_add_u64 v[74:75], v[60:61], 2, v[68:69]
	global_load_dword v67, v[74:75], off
	s_waitcnt vmcnt(0)
	v_mul_f32_e32 v67, s24, v67
.LBB92_40:
	v_add_f32_e32 v73, v58, v59
	v_add_u32_e32 v58, 40, v0
	v_ashrrev_i32_e32 v59, 31, v58
	;; [unrolled: 30-line block ×3, first 2 shown]
	v_add_f32_e32 v67, v73, v67
	v_lshl_add_u64 v[74:75], v[56:57], 2, v[70:71]
	s_and_b64 vcc, exec, s[4:5]
	global_store_dword v[74:75], v67, off
	s_cbranch_vccnz .LBB92_46
; %bb.45:
	v_lshl_add_u64 v[66:67], v[54:55], 2, v[68:69]
	global_load_dword v66, v[66:67], off
	s_waitcnt vmcnt(0)
	v_mul_f32_e32 v66, s24, v66
.LBB92_46:
	v_add_f32_e32 v52, v52, v53
	v_add_f32_e32 v66, v52, v66
	v_lshl_add_u64 v[52:53], v[54:55], 2, v[70:71]
	global_store_dword v[52:53], v66, off
	v_add_u32_e32 v66, 32, v72
	v_mad_i64_i32 v[52:53], s[6:7], v66, s10, 0
	v_lshl_add_u64 v[52:53], v[52:53], 2, s[16:17]
	v_mov_b32_e32 v68, 0
	s_and_b64 vcc, exec, s[4:5]
	v_mov_b32_e32 v69, 0
	s_cbranch_vccnz .LBB92_48
; %bb.47:
	v_lshl_add_u64 v[70:71], v[0:1], 2, v[52:53]
	global_load_dword v67, v[70:71], off
	s_waitcnt vmcnt(0)
	v_mul_f32_e32 v69, s24, v67
.LBB92_48:
	v_mad_i64_i32 v[66:67], s[6:7], v66, s2, 0
	v_lshl_add_u64 v[66:67], v[66:67], 2, s[0:1]
	v_add_f32_e32 v50, v50, v51
	v_add_f32_e32 v69, v50, v69
	v_lshl_add_u64 v[50:51], v[0:1], 2, v[66:67]
	s_and_b64 vcc, exec, s[4:5]
	global_store_dword v[50:51], v69, off
	s_cbranch_vccnz .LBB92_50
; %bb.49:
	v_lshl_add_u64 v[50:51], v[2:3], 2, v[52:53]
	global_load_dword v50, v[50:51], off
	s_waitcnt vmcnt(0)
	v_mul_f32_e32 v68, s24, v50
.LBB92_50:
	v_add_f32_e32 v48, v48, v49
	v_add_f32_e32 v50, v48, v68
	v_lshl_add_u64 v[48:49], v[2:3], 2, v[66:67]
	global_store_dword v[48:49], v50, off
	v_mov_b32_e32 v48, 0
	s_and_b64 vcc, exec, s[4:5]
	v_mov_b32_e32 v49, 0
	s_cbranch_vccnz .LBB92_52
; %bb.51:
	v_lshl_add_u64 v[50:51], v[64:65], 2, v[52:53]
	global_load_dword v49, v[50:51], off
	s_waitcnt vmcnt(0)
	v_mul_f32_e32 v49, s24, v49
.LBB92_52:
	v_add_f32_e32 v46, v46, v47
	v_add_f32_e32 v49, v46, v49
	v_lshl_add_u64 v[46:47], v[64:65], 2, v[66:67]
	s_and_b64 vcc, exec, s[4:5]
	global_store_dword v[46:47], v49, off
	s_cbranch_vccnz .LBB92_54
; %bb.53:
	v_lshl_add_u64 v[46:47], v[62:63], 2, v[52:53]
	global_load_dword v46, v[46:47], off
	s_waitcnt vmcnt(0)
	v_mul_f32_e32 v48, s24, v46
.LBB92_54:
	v_add_f32_e32 v44, v44, v45
	v_add_f32_e32 v46, v44, v48
	v_lshl_add_u64 v[44:45], v[62:63], 2, v[66:67]
	global_store_dword v[44:45], v46, off
	v_mov_b32_e32 v44, 0
	s_and_b64 vcc, exec, s[4:5]
	v_mov_b32_e32 v45, 0
	s_cbranch_vccnz .LBB92_56
; %bb.55:
	v_lshl_add_u64 v[46:47], v[60:61], 2, v[52:53]
	global_load_dword v45, v[46:47], off
	s_waitcnt vmcnt(0)
	v_mul_f32_e32 v45, s24, v45
.LBB92_56:
	;; [unrolled: 26-line block ×3, first 2 shown]
	v_add_f32_e32 v38, v38, v39
	v_add_f32_e32 v41, v38, v41
	v_lshl_add_u64 v[38:39], v[56:57], 2, v[66:67]
	s_and_b64 vcc, exec, s[4:5]
	global_store_dword v[38:39], v41, off
	s_cbranch_vccnz .LBB92_62
; %bb.61:
	v_lshl_add_u64 v[38:39], v[54:55], 2, v[52:53]
	global_load_dword v38, v[38:39], off
	s_waitcnt vmcnt(0)
	v_mul_f32_e32 v40, s24, v38
.LBB92_62:
	v_add_f32_e32 v36, v36, v37
	v_add_f32_e32 v38, v36, v40
	v_lshl_add_u64 v[36:37], v[54:55], 2, v[66:67]
	global_store_dword v[36:37], v38, off
	v_add_u32_e32 v38, 64, v72
	v_mad_i64_i32 v[36:37], s[6:7], v38, s10, 0
	v_lshl_add_u64 v[36:37], v[36:37], 2, s[16:17]
	v_mov_b32_e32 v40, 0
	s_and_b64 vcc, exec, s[4:5]
	v_mov_b32_e32 v41, 0
	s_cbranch_vccnz .LBB92_64
; %bb.63:
	v_lshl_add_u64 v[42:43], v[0:1], 2, v[36:37]
	global_load_dword v39, v[42:43], off
	s_waitcnt vmcnt(0)
	v_mul_f32_e32 v41, s24, v39
.LBB92_64:
	v_mad_i64_i32 v[38:39], s[6:7], v38, s2, 0
	v_lshl_add_u64 v[38:39], v[38:39], 2, s[0:1]
	v_add_f32_e32 v34, v34, v35
	v_add_f32_e32 v41, v34, v41
	v_lshl_add_u64 v[34:35], v[0:1], 2, v[38:39]
	s_and_b64 vcc, exec, s[4:5]
	global_store_dword v[34:35], v41, off
	s_cbranch_vccnz .LBB92_66
; %bb.65:
	v_lshl_add_u64 v[34:35], v[2:3], 2, v[36:37]
	global_load_dword v34, v[34:35], off
	s_waitcnt vmcnt(0)
	v_mul_f32_e32 v40, s24, v34
.LBB92_66:
	v_add_f32_e32 v32, v32, v33
	v_add_f32_e32 v34, v32, v40
	v_lshl_add_u64 v[32:33], v[2:3], 2, v[38:39]
	global_store_dword v[32:33], v34, off
	v_mov_b32_e32 v32, 0
	s_and_b64 vcc, exec, s[4:5]
	v_mov_b32_e32 v33, 0
	s_cbranch_vccnz .LBB92_68
; %bb.67:
	v_lshl_add_u64 v[34:35], v[64:65], 2, v[36:37]
	global_load_dword v33, v[34:35], off
	s_waitcnt vmcnt(0)
	v_mul_f32_e32 v33, s24, v33
.LBB92_68:
	v_add_f32_e32 v30, v30, v31
	v_add_f32_e32 v33, v30, v33
	v_lshl_add_u64 v[30:31], v[64:65], 2, v[38:39]
	s_and_b64 vcc, exec, s[4:5]
	global_store_dword v[30:31], v33, off
	s_cbranch_vccnz .LBB92_70
; %bb.69:
	v_lshl_add_u64 v[30:31], v[62:63], 2, v[36:37]
	global_load_dword v30, v[30:31], off
	s_waitcnt vmcnt(0)
	v_mul_f32_e32 v32, s24, v30
.LBB92_70:
	v_add_f32_e32 v28, v28, v29
	v_add_f32_e32 v30, v28, v32
	v_lshl_add_u64 v[28:29], v[62:63], 2, v[38:39]
	global_store_dword v[28:29], v30, off
	v_mov_b32_e32 v28, 0
	s_and_b64 vcc, exec, s[4:5]
	v_mov_b32_e32 v29, 0
	s_cbranch_vccnz .LBB92_72
; %bb.71:
	v_lshl_add_u64 v[30:31], v[60:61], 2, v[36:37]
	global_load_dword v29, v[30:31], off
	s_waitcnt vmcnt(0)
	v_mul_f32_e32 v29, s24, v29
.LBB92_72:
	;; [unrolled: 26-line block ×3, first 2 shown]
	v_add_f32_e32 v22, v22, v23
	v_add_f32_e32 v25, v22, v25
	v_lshl_add_u64 v[22:23], v[56:57], 2, v[38:39]
	s_and_b64 vcc, exec, s[4:5]
	global_store_dword v[22:23], v25, off
	s_cbranch_vccnz .LBB92_78
; %bb.77:
	v_lshl_add_u64 v[22:23], v[54:55], 2, v[36:37]
	global_load_dword v22, v[22:23], off
	s_waitcnt vmcnt(0)
	v_mul_f32_e32 v24, s24, v22
.LBB92_78:
	v_add_f32_e32 v20, v20, v21
	v_add_f32_e32 v22, v20, v24
	v_lshl_add_u64 v[20:21], v[54:55], 2, v[38:39]
	global_store_dword v[20:21], v22, off
	v_add_u32_e32 v22, 0x60, v72
	v_mad_i64_i32 v[20:21], s[6:7], v22, s10, 0
	v_lshl_add_u64 v[20:21], v[20:21], 2, s[16:17]
	v_mov_b32_e32 v24, 0
	s_and_b64 vcc, exec, s[4:5]
	v_mov_b32_e32 v25, 0
	s_cbranch_vccnz .LBB92_80
; %bb.79:
	v_lshl_add_u64 v[26:27], v[0:1], 2, v[20:21]
	global_load_dword v23, v[26:27], off
	s_waitcnt vmcnt(0)
	v_mul_f32_e32 v25, s24, v23
.LBB92_80:
	v_mad_i64_i32 v[22:23], s[2:3], v22, s2, 0
	v_lshl_add_u64 v[22:23], v[22:23], 2, s[0:1]
	v_add_f32_e32 v18, v18, v19
	v_add_f32_e32 v18, v18, v25
	v_lshl_add_u64 v[0:1], v[0:1], 2, v[22:23]
	s_and_b64 vcc, exec, s[4:5]
	global_store_dword v[0:1], v18, off
	s_cbranch_vccnz .LBB92_82
; %bb.81:
	v_lshl_add_u64 v[0:1], v[2:3], 2, v[20:21]
	global_load_dword v0, v[0:1], off
	s_waitcnt vmcnt(0)
	v_mul_f32_e32 v24, s24, v0
.LBB92_82:
	v_add_f32_e32 v0, v16, v17
	v_add_f32_e32 v16, v0, v24
	v_lshl_add_u64 v[0:1], v[2:3], 2, v[22:23]
	global_store_dword v[0:1], v16, off
	v_mov_b32_e32 v0, 0
	s_and_b64 vcc, exec, s[4:5]
	v_mov_b32_e32 v1, 0
	s_cbranch_vccnz .LBB92_84
; %bb.83:
	v_lshl_add_u64 v[2:3], v[64:65], 2, v[20:21]
	global_load_dword v1, v[2:3], off
	s_waitcnt vmcnt(0)
	v_mul_f32_e32 v1, s24, v1
.LBB92_84:
	v_add_f32_e32 v2, v14, v15
	v_add_f32_e32 v1, v2, v1
	v_lshl_add_u64 v[2:3], v[64:65], 2, v[22:23]
	s_and_b64 vcc, exec, s[4:5]
	global_store_dword v[2:3], v1, off
	s_cbranch_vccnz .LBB92_86
; %bb.85:
	v_lshl_add_u64 v[0:1], v[62:63], 2, v[20:21]
	global_load_dword v0, v[0:1], off
	s_waitcnt vmcnt(0)
	v_mul_f32_e32 v0, s24, v0
.LBB92_86:
	v_add_f32_e32 v1, v12, v13
	v_add_f32_e32 v2, v1, v0
	v_lshl_add_u64 v[0:1], v[62:63], 2, v[22:23]
	global_store_dword v[0:1], v2, off
	v_mov_b32_e32 v0, 0
	s_and_b64 vcc, exec, s[4:5]
	v_mov_b32_e32 v1, 0
	s_cbranch_vccnz .LBB92_88
; %bb.87:
	v_lshl_add_u64 v[2:3], v[60:61], 2, v[20:21]
	global_load_dword v1, v[2:3], off
	s_waitcnt vmcnt(0)
	v_mul_f32_e32 v1, s24, v1
.LBB92_88:
	v_add_f32_e32 v2, v10, v11
	v_add_f32_e32 v1, v2, v1
	v_lshl_add_u64 v[2:3], v[60:61], 2, v[22:23]
	s_and_b64 vcc, exec, s[4:5]
	global_store_dword v[2:3], v1, off
	s_cbranch_vccnz .LBB92_90
; %bb.89:
	v_lshl_add_u64 v[0:1], v[58:59], 2, v[20:21]
	global_load_dword v0, v[0:1], off
	s_waitcnt vmcnt(0)
	v_mul_f32_e32 v0, s24, v0
.LBB92_90:
	v_add_f32_e32 v1, v8, v9
	v_add_f32_e32 v2, v1, v0
	v_lshl_add_u64 v[0:1], v[58:59], 2, v[22:23]
	global_store_dword v[0:1], v2, off
	v_add_f32_e32 v0, v6, v7
	s_mov_b64 s[0:1], -1
	s_mov_b64 vcc, s[8:9]
	s_cbranch_vccz .LBB92_92
; %bb.91:
	v_add_f32_e32 v1, 0, v0
	v_lshl_add_u64 v[2:3], v[56:57], 2, v[22:23]
	global_store_dword v[2:3], v1, off
	s_mov_b64 s[0:1], 0
.LBB92_92:
	s_andn2_b64 vcc, exec, s[0:1]
	v_mov_b32_e32 v1, 0
	s_cbranch_vccnz .LBB92_94
; %bb.93:
	v_lshlrev_b64 v[2:3], 2, v[56:57]
	v_lshl_add_u64 v[6:7], v[20:21], 0, v[2:3]
	global_load_dword v1, v[6:7], off
	v_lshl_add_u64 v[2:3], v[22:23], 0, v[2:3]
	s_waitcnt vmcnt(0)
	v_fmac_f32_e32 v0, s24, v1
	global_store_dword v[2:3], v0, off
	v_lshl_add_u64 v[0:1], v[54:55], 2, v[20:21]
	global_load_dword v0, v[0:1], off
	s_waitcnt vmcnt(0)
	v_mul_f32_e32 v1, s24, v0
.LBB92_94:
	v_add_f32_e32 v0, v4, v5
	v_add_f32_e32 v2, v0, v1
	v_lshl_add_u64 v[0:1], v[54:55], 2, v[22:23]
	global_store_dword v[0:1], v2, off
	s_endpgm
.LBB92_95:
	s_mov_b64 s[20:21], 0
	s_andn2_b64 vcc, exec, s[6:7]
	s_mov_b64 s[6:7], -1
	s_cbranch_vccz .LBB92_2
	s_branch .LBB92_3
	.section	.rodata,"a",@progbits
	.p2align	6, 0x0
	.amdhsa_kernel _ZN12_GLOBAL__N_120geam_min_plus_kernelIf15HIP_vector_typeIfLj2EES2_Li8ELi32ELi64ELi128ELi4ELi64ELi4ELi64ELi4ELc78ELc84ELb0ELb0ELb0EfKffEEviiiT16_PT17_ilS6_ilS4_S6_ilPT18_ili26rocblas_geam_ex_operation_
		.amdhsa_group_segment_fixed_size 6144
		.amdhsa_private_segment_fixed_size 0
		.amdhsa_kernarg_size 128
		.amdhsa_user_sgpr_count 2
		.amdhsa_user_sgpr_dispatch_ptr 0
		.amdhsa_user_sgpr_queue_ptr 0
		.amdhsa_user_sgpr_kernarg_segment_ptr 1
		.amdhsa_user_sgpr_dispatch_id 0
		.amdhsa_user_sgpr_kernarg_preload_length 0
		.amdhsa_user_sgpr_kernarg_preload_offset 0
		.amdhsa_user_sgpr_private_segment_size 0
		.amdhsa_uses_dynamic_stack 0
		.amdhsa_enable_private_segment 0
		.amdhsa_system_sgpr_workgroup_id_x 1
		.amdhsa_system_sgpr_workgroup_id_y 0
		.amdhsa_system_sgpr_workgroup_id_z 1
		.amdhsa_system_sgpr_workgroup_info 0
		.amdhsa_system_vgpr_workitem_id 1
		.amdhsa_next_free_vgpr 109
		.amdhsa_next_free_sgpr 30
		.amdhsa_accum_offset 112
		.amdhsa_reserve_vcc 1
		.amdhsa_float_round_mode_32 0
		.amdhsa_float_round_mode_16_64 0
		.amdhsa_float_denorm_mode_32 3
		.amdhsa_float_denorm_mode_16_64 3
		.amdhsa_dx10_clamp 1
		.amdhsa_ieee_mode 1
		.amdhsa_fp16_overflow 0
		.amdhsa_tg_split 0
		.amdhsa_exception_fp_ieee_invalid_op 0
		.amdhsa_exception_fp_denorm_src 0
		.amdhsa_exception_fp_ieee_div_zero 0
		.amdhsa_exception_fp_ieee_overflow 0
		.amdhsa_exception_fp_ieee_underflow 0
		.amdhsa_exception_fp_ieee_inexact 0
		.amdhsa_exception_int_div_zero 0
	.end_amdhsa_kernel
	.section	.text._ZN12_GLOBAL__N_120geam_min_plus_kernelIf15HIP_vector_typeIfLj2EES2_Li8ELi32ELi64ELi128ELi4ELi64ELi4ELi64ELi4ELc78ELc84ELb0ELb0ELb0EfKffEEviiiT16_PT17_ilS6_ilS4_S6_ilPT18_ili26rocblas_geam_ex_operation_,"axG",@progbits,_ZN12_GLOBAL__N_120geam_min_plus_kernelIf15HIP_vector_typeIfLj2EES2_Li8ELi32ELi64ELi128ELi4ELi64ELi4ELi64ELi4ELc78ELc84ELb0ELb0ELb0EfKffEEviiiT16_PT17_ilS6_ilS4_S6_ilPT18_ili26rocblas_geam_ex_operation_,comdat
.Lfunc_end92:
	.size	_ZN12_GLOBAL__N_120geam_min_plus_kernelIf15HIP_vector_typeIfLj2EES2_Li8ELi32ELi64ELi128ELi4ELi64ELi4ELi64ELi4ELc78ELc84ELb0ELb0ELb0EfKffEEviiiT16_PT17_ilS6_ilS4_S6_ilPT18_ili26rocblas_geam_ex_operation_, .Lfunc_end92-_ZN12_GLOBAL__N_120geam_min_plus_kernelIf15HIP_vector_typeIfLj2EES2_Li8ELi32ELi64ELi128ELi4ELi64ELi4ELi64ELi4ELc78ELc84ELb0ELb0ELb0EfKffEEviiiT16_PT17_ilS6_ilS4_S6_ilPT18_ili26rocblas_geam_ex_operation_
                                        ; -- End function
	.set _ZN12_GLOBAL__N_120geam_min_plus_kernelIf15HIP_vector_typeIfLj2EES2_Li8ELi32ELi64ELi128ELi4ELi64ELi4ELi64ELi4ELc78ELc84ELb0ELb0ELb0EfKffEEviiiT16_PT17_ilS6_ilS4_S6_ilPT18_ili26rocblas_geam_ex_operation_.num_vgpr, 109
	.set _ZN12_GLOBAL__N_120geam_min_plus_kernelIf15HIP_vector_typeIfLj2EES2_Li8ELi32ELi64ELi128ELi4ELi64ELi4ELi64ELi4ELc78ELc84ELb0ELb0ELb0EfKffEEviiiT16_PT17_ilS6_ilS4_S6_ilPT18_ili26rocblas_geam_ex_operation_.num_agpr, 0
	.set _ZN12_GLOBAL__N_120geam_min_plus_kernelIf15HIP_vector_typeIfLj2EES2_Li8ELi32ELi64ELi128ELi4ELi64ELi4ELi64ELi4ELc78ELc84ELb0ELb0ELb0EfKffEEviiiT16_PT17_ilS6_ilS4_S6_ilPT18_ili26rocblas_geam_ex_operation_.numbered_sgpr, 30
	.set _ZN12_GLOBAL__N_120geam_min_plus_kernelIf15HIP_vector_typeIfLj2EES2_Li8ELi32ELi64ELi128ELi4ELi64ELi4ELi64ELi4ELc78ELc84ELb0ELb0ELb0EfKffEEviiiT16_PT17_ilS6_ilS4_S6_ilPT18_ili26rocblas_geam_ex_operation_.num_named_barrier, 0
	.set _ZN12_GLOBAL__N_120geam_min_plus_kernelIf15HIP_vector_typeIfLj2EES2_Li8ELi32ELi64ELi128ELi4ELi64ELi4ELi64ELi4ELc78ELc84ELb0ELb0ELb0EfKffEEviiiT16_PT17_ilS6_ilS4_S6_ilPT18_ili26rocblas_geam_ex_operation_.private_seg_size, 0
	.set _ZN12_GLOBAL__N_120geam_min_plus_kernelIf15HIP_vector_typeIfLj2EES2_Li8ELi32ELi64ELi128ELi4ELi64ELi4ELi64ELi4ELc78ELc84ELb0ELb0ELb0EfKffEEviiiT16_PT17_ilS6_ilS4_S6_ilPT18_ili26rocblas_geam_ex_operation_.uses_vcc, 1
	.set _ZN12_GLOBAL__N_120geam_min_plus_kernelIf15HIP_vector_typeIfLj2EES2_Li8ELi32ELi64ELi128ELi4ELi64ELi4ELi64ELi4ELc78ELc84ELb0ELb0ELb0EfKffEEviiiT16_PT17_ilS6_ilS4_S6_ilPT18_ili26rocblas_geam_ex_operation_.uses_flat_scratch, 0
	.set _ZN12_GLOBAL__N_120geam_min_plus_kernelIf15HIP_vector_typeIfLj2EES2_Li8ELi32ELi64ELi128ELi4ELi64ELi4ELi64ELi4ELc78ELc84ELb0ELb0ELb0EfKffEEviiiT16_PT17_ilS6_ilS4_S6_ilPT18_ili26rocblas_geam_ex_operation_.has_dyn_sized_stack, 0
	.set _ZN12_GLOBAL__N_120geam_min_plus_kernelIf15HIP_vector_typeIfLj2EES2_Li8ELi32ELi64ELi128ELi4ELi64ELi4ELi64ELi4ELc78ELc84ELb0ELb0ELb0EfKffEEviiiT16_PT17_ilS6_ilS4_S6_ilPT18_ili26rocblas_geam_ex_operation_.has_recursion, 0
	.set _ZN12_GLOBAL__N_120geam_min_plus_kernelIf15HIP_vector_typeIfLj2EES2_Li8ELi32ELi64ELi128ELi4ELi64ELi4ELi64ELi4ELc78ELc84ELb0ELb0ELb0EfKffEEviiiT16_PT17_ilS6_ilS4_S6_ilPT18_ili26rocblas_geam_ex_operation_.has_indirect_call, 0
	.section	.AMDGPU.csdata,"",@progbits
; Kernel info:
; codeLenInByte = 6668
; TotalNumSgprs: 36
; NumVgprs: 109
; NumAgprs: 0
; TotalNumVgprs: 109
; ScratchSize: 0
; MemoryBound: 0
; FloatMode: 240
; IeeeMode: 1
; LDSByteSize: 6144 bytes/workgroup (compile time only)
; SGPRBlocks: 4
; VGPRBlocks: 13
; NumSGPRsForWavesPerEU: 36
; NumVGPRsForWavesPerEU: 109
; AccumOffset: 112
; Occupancy: 4
; WaveLimiterHint : 1
; COMPUTE_PGM_RSRC2:SCRATCH_EN: 0
; COMPUTE_PGM_RSRC2:USER_SGPR: 2
; COMPUTE_PGM_RSRC2:TRAP_HANDLER: 0
; COMPUTE_PGM_RSRC2:TGID_X_EN: 1
; COMPUTE_PGM_RSRC2:TGID_Y_EN: 0
; COMPUTE_PGM_RSRC2:TGID_Z_EN: 1
; COMPUTE_PGM_RSRC2:TIDIG_COMP_CNT: 1
; COMPUTE_PGM_RSRC3_GFX90A:ACCUM_OFFSET: 27
; COMPUTE_PGM_RSRC3_GFX90A:TG_SPLIT: 0
	.section	.text._ZN12_GLOBAL__N_120geam_min_plus_kernelIf15HIP_vector_typeIfLj2EES2_Li8ELi32ELi64ELi128ELi4ELi64ELi4ELi64ELi4ELc78ELc84ELb0ELb1ELb0EPKfS3_fEEviiiT16_PT17_ilS7_ilS5_S7_ilPT18_ili26rocblas_geam_ex_operation_,"axG",@progbits,_ZN12_GLOBAL__N_120geam_min_plus_kernelIf15HIP_vector_typeIfLj2EES2_Li8ELi32ELi64ELi128ELi4ELi64ELi4ELi64ELi4ELc78ELc84ELb0ELb1ELb0EPKfS3_fEEviiiT16_PT17_ilS7_ilS5_S7_ilPT18_ili26rocblas_geam_ex_operation_,comdat
	.globl	_ZN12_GLOBAL__N_120geam_min_plus_kernelIf15HIP_vector_typeIfLj2EES2_Li8ELi32ELi64ELi128ELi4ELi64ELi4ELi64ELi4ELc78ELc84ELb0ELb1ELb0EPKfS3_fEEviiiT16_PT17_ilS7_ilS5_S7_ilPT18_ili26rocblas_geam_ex_operation_ ; -- Begin function _ZN12_GLOBAL__N_120geam_min_plus_kernelIf15HIP_vector_typeIfLj2EES2_Li8ELi32ELi64ELi128ELi4ELi64ELi4ELi64ELi4ELc78ELc84ELb0ELb1ELb0EPKfS3_fEEviiiT16_PT17_ilS7_ilS5_S7_ilPT18_ili26rocblas_geam_ex_operation_
	.p2align	8
	.type	_ZN12_GLOBAL__N_120geam_min_plus_kernelIf15HIP_vector_typeIfLj2EES2_Li8ELi32ELi64ELi128ELi4ELi64ELi4ELi64ELi4ELc78ELc84ELb0ELb1ELb0EPKfS3_fEEviiiT16_PT17_ilS7_ilS5_S7_ilPT18_ili26rocblas_geam_ex_operation_,@function
_ZN12_GLOBAL__N_120geam_min_plus_kernelIf15HIP_vector_typeIfLj2EES2_Li8ELi32ELi64ELi128ELi4ELi64ELi4ELi64ELi4ELc78ELc84ELb0ELb1ELb0EPKfS3_fEEviiiT16_PT17_ilS7_ilS5_S7_ilPT18_ili26rocblas_geam_ex_operation_: ; @_ZN12_GLOBAL__N_120geam_min_plus_kernelIf15HIP_vector_typeIfLj2EES2_Li8ELi32ELi64ELi128ELi4ELi64ELi4ELi64ELi4ELc78ELc84ELb0ELb1ELb0EPKfS3_fEEviiiT16_PT17_ilS7_ilS5_S7_ilPT18_ili26rocblas_geam_ex_operation_
; %bb.0:
	s_load_dwordx4 s[12:15], s[0:1], 0x10
	s_load_dwordx4 s[4:7], s[0:1], 0x28
	;; [unrolled: 1-line block ×3, first 2 shown]
	s_mov_b32 s16, s3
	s_mov_b32 s17, 0
	s_lshl_b64 s[18:19], s[16:17], 2
	s_waitcnt lgkmcnt(0)
	s_add_u32 s12, s12, s18
	s_addc_u32 s13, s13, s19
	s_load_dword s33, s[12:13], 0x0
	s_load_dwordx2 s[20:21], s[0:1], 0x50
	s_add_u32 s10, s10, s18
	s_addc_u32 s11, s11, s19
	s_mov_b64 s[26:27], 0
	s_waitcnt lgkmcnt(0)
	v_cmp_eq_f32_e64 s[12:13], s33, 0
	v_cmp_neq_f32_e64 s[18:19], s33, 0
	s_and_b64 vcc, exec, s[12:13]
	s_mov_b64 s[28:29], 0
	s_cbranch_vccnz .LBB93_2
; %bb.1:
	s_mul_i32 s3, s5, s16
	s_mul_hi_u32 s5, s4, s16
	s_add_i32 s5, s5, s3
	s_mul_i32 s4, s4, s16
	s_lshl_b64 s[4:5], s[4:5], 2
	s_add_u32 s28, s14, s4
	s_addc_u32 s29, s15, s5
.LBB93_2:
	s_load_dword s30, s[10:11], 0x0
	s_andn2_b64 vcc, exec, s[18:19]
	s_cbranch_vccnz .LBB93_4
; %bb.3:
	s_mul_i32 s3, s9, s16
	s_mul_hi_u32 s4, s8, s16
	s_add_i32 s5, s4, s3
	s_mul_i32 s4, s8, s16
	s_lshl_b64 s[4:5], s[4:5], 2
	s_add_u32 s26, s6, s4
	s_addc_u32 s27, s7, s5
.LBB93_4:
	s_load_dwordx4 s[8:11], s[0:1], 0x60
	s_waitcnt lgkmcnt(0)
	v_cmp_eq_f32_e64 s[4:5], s30, 0
	v_cmp_neq_f32_e64 s[12:13], s30, 0
	s_and_b64 vcc, exec, s[4:5]
	s_cbranch_vccnz .LBB93_6
; %bb.5:
	s_mul_i32 s3, s9, s16
	s_mul_hi_u32 s4, s8, s16
	s_add_i32 s5, s4, s3
	s_mul_i32 s4, s8, s16
	s_lshl_b64 s[4:5], s[4:5], 2
	s_add_u32 s24, s20, s4
	s_addc_u32 s25, s21, s5
	s_branch .LBB93_7
.LBB93_6:
	s_mov_b64 s[24:25], 0
.LBB93_7:
	s_load_dwordx4 s[20:23], s[0:1], 0x0
	v_and_b32_e32 v72, 0x3ff, v0
	v_bfe_u32 v73, v0, 10, 10
	s_waitcnt lgkmcnt(0)
	s_load_dword s23, s[0:1], 0x20
	v_mov_b32_e32 v2, 0
	s_add_i32 s3, s20, -1
	s_ashr_i32 s4, s3, 31
	s_lshr_b32 s4, s4, 26
	s_add_i32 s3, s3, s4
	s_ashr_i32 s3, s3, 6
	s_add_i32 s4, s3, 1
	v_cvt_f32_u32_e32 v1, s4
	s_not_b32 s3, s3
	s_waitcnt lgkmcnt(0)
	s_ashr_i32 s34, s23, 31
	v_mov_b32_e32 v3, 0
	v_rcp_iflag_f32_e32 v0, v1
	v_lshl_add_u32 v1, v73, 3, v72
	v_and_b32_e32 v79, 63, v1
	v_lshrrev_b32_e32 v74, 6, v1
	v_mul_f32_e32 v0, 0x4f7ffffe, v0
	v_cvt_u32_f32_e32 v0, v0
	v_cmp_gt_i32_e32 vcc, s22, v74
	v_readfirstlane_b32 s5, v0
	s_mul_i32 s3, s3, s5
	s_mul_hi_u32 s3, s5, s3
	s_add_i32 s5, s5, s3
	s_mul_hi_u32 s3, s2, s5
	s_mul_i32 s5, s3, s4
	s_sub_i32 s5, s2, s5
	s_add_i32 s6, s3, 1
	s_sub_i32 s7, s5, s4
	s_cmp_ge_u32 s5, s4
	s_cselect_b32 s3, s6, s3
	s_cselect_b32 s5, s7, s5
	s_add_i32 s6, s3, 1
	s_cmp_ge_u32 s5, s4
	s_cselect_b32 s6, s6, s3
	s_mul_i32 s3, s6, s4
	s_sub_i32 s2, s2, s3
	s_lshl_b32 s17, s2, 6
	v_or_b32_e32 v70, s17, v79
	v_cmp_gt_i32_e64 s[2:3], s20, v70
	s_and_b64 s[4:5], vcc, s[2:3]
	v_ashrrev_i32_e32 v71, 31, v70
	s_and_b64 s[8:9], s[18:19], s[4:5]
	s_and_saveexec_b64 s[4:5], s[8:9]
	s_cbranch_execz .LBB93_9
; %bb.8:
	v_mad_i64_i32 v[0:1], s[8:9], s23, v74, 0
	v_lshl_add_u64 v[0:1], v[0:1], 2, s[28:29]
	v_lshl_add_u64 v[0:1], v[70:71], 2, v[0:1]
	global_load_dword v0, v[0:1], off
	s_waitcnt vmcnt(0)
	v_mul_f32_e32 v3, s33, v0
.LBB93_9:
	s_or_b64 exec, exec, s[4:5]
	s_load_dword s35, s[0:1], 0x38
	s_add_i32 s36, s22, -1
	s_lshl_b32 s31, s6, 7
	v_min_i32_e32 v0, s36, v74
	v_or_b32_e32 v68, s31, v79
	s_waitcnt lgkmcnt(0)
	v_mad_i64_i32 v[0:1], s[4:5], s35, v0, 0
	v_cmp_le_i32_e32 vcc, s22, v74
	v_cmp_le_i32_e64 s[4:5], s21, v68
	s_or_b64 s[6:7], vcc, s[4:5]
	s_xor_b64 s[8:9], s[18:19], -1
	v_lshl_add_u64 v[0:1], v[0:1], 2, s[26:27]
	s_nor_b64 s[14:15], s[6:7], s[8:9]
	v_ashrrev_i32_e32 v69, 31, v68
	s_and_saveexec_b64 s[6:7], s[14:15]
	s_cbranch_execz .LBB93_11
; %bb.10:
	v_lshl_add_u64 v[4:5], v[68:69], 2, v[0:1]
	global_load_dword v2, v[4:5], off
	s_waitcnt vmcnt(0)
	v_mul_f32_e32 v2, s33, v2
.LBB93_11:
	s_or_b64 exec, exec, s[6:7]
	v_or_b32_e32 v4, 64, v68
	v_cmp_le_i32_e64 s[6:7], s21, v4
	s_or_b64 s[14:15], vcc, s[6:7]
	s_nor_b64 s[38:39], s[14:15], s[8:9]
	v_mov_b32_e32 v80, 0
	v_mov_b32_e32 v4, 0
	s_and_saveexec_b64 s[14:15], s[38:39]
	s_cbranch_execz .LBB93_13
; %bb.12:
	v_lshl_add_u64 v[0:1], v[68:69], 2, v[0:1]
	global_load_dword v0, v[0:1], off offset:256
	s_waitcnt vmcnt(0)
	v_mul_f32_e32 v4, s33, v0
.LBB93_13:
	s_or_b64 exec, exec, s[14:15]
	v_add_u32_e32 v0, 4, v74
	v_cmp_gt_i32_e32 vcc, s22, v0
	s_and_b64 s[14:15], s[2:3], vcc
	s_and_b64 s[38:39], s[18:19], s[14:15]
	s_and_saveexec_b64 s[14:15], s[38:39]
	s_cbranch_execz .LBB93_15
; %bb.14:
	v_mad_u64_u32 v[6:7], s[38:39], s23, v0, 0
	v_mov_b32_e32 v8, v7
	v_mad_u64_u32 v[8:9], s[38:39], s34, v0, v[8:9]
	v_mov_b32_e32 v7, v8
	v_lshl_add_u64 v[6:7], v[6:7], 2, s[28:29]
	v_lshl_add_u64 v[6:7], v[70:71], 2, v[6:7]
	global_load_dword v1, v[6:7], off
	s_waitcnt vmcnt(0)
	v_mul_f32_e32 v80, s33, v1
.LBB93_15:
	s_or_b64 exec, exec, s[14:15]
	v_cmp_le_i32_e32 vcc, s22, v0
	v_min_i32_e32 v0, s36, v0
	v_mad_i64_i32 v[0:1], s[14:15], s35, v0, 0
	s_or_b64 s[14:15], s[4:5], vcc
	v_lshl_add_u64 v[0:1], v[0:1], 2, s[26:27]
	s_nor_b64 s[38:39], s[14:15], s[8:9]
	v_mov_b32_e32 v81, 0
	v_mov_b32_e32 v82, 0
	s_and_saveexec_b64 s[14:15], s[38:39]
	s_cbranch_execz .LBB93_17
; %bb.16:
	v_lshl_add_u64 v[6:7], v[68:69], 2, v[0:1]
	global_load_dword v5, v[6:7], off
	s_waitcnt vmcnt(0)
	v_mul_f32_e32 v82, s33, v5
.LBB93_17:
	s_or_b64 exec, exec, s[14:15]
	s_or_b64 s[14:15], s[6:7], vcc
	s_nor_b64 s[38:39], s[14:15], s[8:9]
	s_and_saveexec_b64 s[14:15], s[38:39]
	s_cbranch_execz .LBB93_19
; %bb.18:
	v_lshl_add_u64 v[0:1], v[68:69], 2, v[0:1]
	global_load_dword v0, v[0:1], off offset:256
	s_waitcnt vmcnt(0)
	v_mul_f32_e32 v81, s33, v0
.LBB93_19:
	s_or_b64 exec, exec, s[14:15]
	v_lshlrev_b32_e32 v0, 4, v79
	v_lshl_add_u32 v75, v74, 2, v0
	v_mov_b32_e32 v0, 0x1000
	v_mov_b32_e32 v66, 0
	ds_write_b32 v75, v3 offset:4096
	ds_write2st64_b32 v75, v2, v4 offset1:4
	v_lshl_add_u32 v76, v72, 4, v0
	s_mov_b32 s37, 0
	s_mov_b64 s[14:15], -1
	v_mov_b32_e32 v67, v66
	v_mov_b32_e32 v64, v66
	;; [unrolled: 1-line block ×63, first 2 shown]
	v_or_b32_e32 v77, 0x1000, v75
	v_lshlrev_b32_e32 v78, 4, v73
	s_waitcnt lgkmcnt(0)
	s_barrier
.LBB93_20:                              ; =>This Inner Loop Header: Depth=1
	v_cndmask_b32_e64 v0, 0, 1, s[14:15]
	s_lshl_b32 s14, s37, 2
	v_cmp_ne_u32_e32 vcc, 1, v0
	v_add_u32_e32 v0, s14, v76
	ds_read2_b64 v[84:87], v0 offset1:16
	ds_read2_b64 v[88:91], v0 offset0:32 offset1:48
	ds_read2_b64 v[92:95], v0 offset0:64 offset1:80
	;; [unrolled: 1-line block ×3, first 2 shown]
	v_add_u32_e32 v0, s14, v78
	ds_read2st64_b64 v[100:103], v0 offset1:1
	ds_read2st64_b64 v[0:3], v0 offset0:2 offset1:3
	s_waitcnt lgkmcnt(5)
	v_max_f32_e32 v104, v85, v85
	v_max_f32_e32 v86, v86, v86
	v_max_f32_e32 v87, v87, v87
	s_waitcnt lgkmcnt(1)
	v_max_f32_e32 v83, v100, v100
	v_max_f32_e32 v100, v84, v84
	;; [unrolled: 1-line block ×3, first 2 shown]
	v_min_f32_e32 v84, v100, v83
	v_min_f32_e32 v85, v104, v101
	v_pk_add_f32 v[66:67], v[66:67], v[84:85]
	v_min_f32_e32 v84, v86, v83
	v_min_f32_e32 v85, v87, v101
	v_max_f32_e32 v88, v88, v88
	v_max_f32_e32 v89, v89, v89
	v_pk_add_f32 v[64:65], v[64:65], v[84:85]
	v_min_f32_e32 v84, v88, v83
	v_min_f32_e32 v85, v89, v101
	v_max_f32_e32 v90, v90, v90
	v_max_f32_e32 v91, v91, v91
	v_pk_add_f32 v[62:63], v[62:63], v[84:85]
	v_min_f32_e32 v84, v90, v83
	v_min_f32_e32 v85, v91, v101
	v_max_f32_e32 v92, v92, v92
	v_max_f32_e32 v93, v93, v93
	v_pk_add_f32 v[60:61], v[60:61], v[84:85]
	v_min_f32_e32 v84, v92, v83
	v_min_f32_e32 v85, v93, v101
	v_max_f32_e32 v94, v94, v94
	v_max_f32_e32 v95, v95, v95
	v_pk_add_f32 v[58:59], v[58:59], v[84:85]
	v_min_f32_e32 v84, v94, v83
	v_min_f32_e32 v85, v95, v101
	v_max_f32_e32 v96, v96, v96
	v_max_f32_e32 v97, v97, v97
	v_pk_add_f32 v[56:57], v[56:57], v[84:85]
	v_min_f32_e32 v84, v96, v83
	v_min_f32_e32 v85, v97, v101
	v_max_f32_e32 v98, v98, v98
	v_pk_add_f32 v[54:55], v[54:55], v[84:85]
	v_min_f32_e32 v84, v98, v83
	v_max_f32_e32 v83, v99, v99
	v_min_f32_e32 v85, v83, v101
	v_max_f32_e32 v99, v102, v102
	v_max_f32_e32 v101, v103, v103
	v_pk_add_f32 v[52:53], v[52:53], v[84:85]
	v_min_f32_e32 v84, v100, v99
	v_min_f32_e32 v85, v104, v101
	v_pk_add_f32 v[50:51], v[50:51], v[84:85]
	v_min_f32_e32 v84, v86, v99
	v_min_f32_e32 v85, v87, v101
	;; [unrolled: 3-line block ×8, first 2 shown]
	v_pk_add_f32 v[36:37], v[36:37], v[84:85]
	s_waitcnt lgkmcnt(0)
	v_max_f32_e32 v84, v0, v0
	v_max_f32_e32 v85, v1, v1
	v_min_f32_e32 v0, v100, v84
	v_min_f32_e32 v1, v104, v85
	v_pk_add_f32 v[34:35], v[34:35], v[0:1]
	v_min_f32_e32 v0, v86, v84
	v_min_f32_e32 v1, v87, v85
	v_pk_add_f32 v[32:33], v[32:33], v[0:1]
	;; [unrolled: 3-line block ×7, first 2 shown]
	v_min_f32_e32 v0, v98, v84
	v_min_f32_e32 v1, v83, v85
	v_max_f32_e32 v2, v2, v2
	v_max_f32_e32 v3, v3, v3
	v_pk_add_f32 v[20:21], v[20:21], v[0:1]
	v_min_f32_e32 v0, v100, v2
	v_min_f32_e32 v1, v104, v3
	v_pk_add_f32 v[18:19], v[18:19], v[0:1]
	v_min_f32_e32 v0, v86, v2
	v_min_f32_e32 v1, v87, v3
	;; [unrolled: 3-line block ×8, first 2 shown]
	v_pk_add_f32 v[4:5], v[4:5], v[0:1]
	s_mov_b64 s[14:15], 0
	s_mov_b32 s37, 2
	s_cbranch_vccz .LBB93_20
; %bb.21:
	v_lshlrev_b32_e32 v0, 2, v74
	v_lshl_add_u32 v0, v79, 4, v0
	s_cmp_lt_i32 s22, 9
	ds_write_b32 v0, v80 offset:5120
	ds_write2st64_b32 v0, v82, v81 offset0:8 offset1:12
	s_waitcnt lgkmcnt(0)
	s_barrier
	s_cbranch_scc1 .LBB93_40
; %bb.22:
	v_add_u32_e32 v79, 0x1400, v0
	v_or_b32_e32 v80, 0x800, v0
	v_mov_b32_e32 v0, 0x1400
	v_lshl_add_u32 v81, v72, 4, v0
	v_mov_b32_e32 v0, 0x800
	s_add_i32 s37, s22, -8
	v_lshl_add_u64 v[70:71], v[70:71], 2, s[28:29]
	v_lshl_add_u32 v82, v73, 4, v0
	s_mov_b32 s28, 8
	s_mov_b32 s29, 0
.LBB93_23:                              ; =>This Loop Header: Depth=1
                                        ;     Child Loop BB93_30 Depth 2
                                        ;     Child Loop BB93_38 Depth 2
	v_add_u32_e32 v0, s28, v74
	v_cmp_gt_i32_e32 vcc, s22, v0
	s_and_b64 s[14:15], s[2:3], vcc
	s_and_b64 s[38:39], s[18:19], s[14:15]
	v_mov_b32_e32 v83, 0
	v_mov_b32_e32 v84, 0
	s_and_saveexec_b64 s[14:15], s[38:39]
	s_cbranch_execz .LBB93_25
; %bb.24:                               ;   in Loop: Header=BB93_23 Depth=1
	v_mad_u64_u32 v[2:3], s[38:39], v0, s23, 0
	v_mov_b32_e32 v84, v3
	v_mad_u64_u32 v[84:85], s[38:39], v0, s34, v[84:85]
	v_mov_b32_e32 v3, v84
	v_lshl_add_u64 v[2:3], v[2:3], 2, v[70:71]
	global_load_dword v1, v[2:3], off
	s_waitcnt vmcnt(0)
	v_mul_f32_e32 v84, s33, v1
.LBB93_25:                              ;   in Loop: Header=BB93_23 Depth=1
	s_or_b64 exec, exec, s[14:15]
	v_cmp_le_i32_e32 vcc, s22, v0
	v_min_i32_e32 v0, s36, v0
	v_mad_i64_i32 v[0:1], s[14:15], v0, s35, 0
	v_lshl_add_u64 v[0:1], v[0:1], 2, s[26:27]
	s_or_b64 s[14:15], s[4:5], vcc
	s_nor_b64 s[38:39], s[14:15], s[8:9]
	v_lshl_add_u64 v[0:1], v[68:69], 2, v[0:1]
	s_and_saveexec_b64 s[14:15], s[38:39]
	s_cbranch_execz .LBB93_27
; %bb.26:                               ;   in Loop: Header=BB93_23 Depth=1
	global_load_dword v2, v[0:1], off
	s_waitcnt vmcnt(0)
	v_mul_f32_e32 v83, s33, v2
.LBB93_27:                              ;   in Loop: Header=BB93_23 Depth=1
	s_or_b64 exec, exec, s[14:15]
	s_or_b64 s[14:15], s[6:7], vcc
	s_nor_b64 s[38:39], s[14:15], s[8:9]
	v_mov_b32_e32 v85, 0
	s_and_saveexec_b64 s[14:15], s[38:39]
	s_cbranch_execz .LBB93_29
; %bb.28:                               ;   in Loop: Header=BB93_23 Depth=1
	global_load_dword v0, v[0:1], off offset:256
	s_waitcnt vmcnt(0)
	v_mul_f32_e32 v85, s33, v0
.LBB93_29:                              ;   in Loop: Header=BB93_23 Depth=1
	s_or_b64 exec, exec, s[14:15]
	s_mov_b32 s38, 0
	s_mov_b64 s[14:15], -1
.LBB93_30:                              ;   Parent Loop BB93_23 Depth=1
                                        ; =>  This Inner Loop Header: Depth=2
	v_cndmask_b32_e64 v0, 0, 1, s[14:15]
	s_lshl_b32 s14, s38, 2
	v_cmp_ne_u32_e32 vcc, 1, v0
	v_add_u32_e32 v0, s14, v81
	ds_read2_b64 v[86:89], v0 offset1:16
	ds_read2_b64 v[90:93], v0 offset0:32 offset1:48
	ds_read2_b64 v[94:97], v0 offset0:64 offset1:80
	;; [unrolled: 1-line block ×3, first 2 shown]
	v_add_u32_e32 v0, s14, v82
	ds_read2st64_b64 v[102:105], v0 offset1:1
	ds_read2st64_b64 v[0:3], v0 offset0:2 offset1:3
	s_waitcnt lgkmcnt(5)
	v_max_f32_e32 v106, v86, v86
	v_max_f32_e32 v107, v87, v87
	;; [unrolled: 1-line block ×3, first 2 shown]
	s_waitcnt lgkmcnt(1)
	v_max_f32_e32 v102, v102, v102
	v_max_f32_e32 v103, v103, v103
	v_min_f32_e32 v86, v106, v102
	v_min_f32_e32 v87, v107, v103
	v_max_f32_e32 v89, v89, v89
	v_pk_add_f32 v[66:67], v[66:67], v[86:87]
	v_min_f32_e32 v86, v88, v102
	v_min_f32_e32 v87, v89, v103
	v_max_f32_e32 v90, v90, v90
	v_max_f32_e32 v91, v91, v91
	v_pk_add_f32 v[64:65], v[64:65], v[86:87]
	v_min_f32_e32 v86, v90, v102
	v_min_f32_e32 v87, v91, v103
	v_max_f32_e32 v92, v92, v92
	;; [unrolled: 5-line block ×7, first 2 shown]
	v_max_f32_e32 v103, v105, v105
	v_pk_add_f32 v[52:53], v[52:53], v[86:87]
	v_min_f32_e32 v86, v106, v102
	v_min_f32_e32 v87, v107, v103
	v_pk_add_f32 v[50:51], v[50:51], v[86:87]
	v_min_f32_e32 v86, v88, v102
	v_min_f32_e32 v87, v89, v103
	;; [unrolled: 3-line block ×8, first 2 shown]
	v_pk_add_f32 v[36:37], v[36:37], v[86:87]
	s_waitcnt lgkmcnt(0)
	v_max_f32_e32 v86, v0, v0
	v_max_f32_e32 v87, v1, v1
	v_min_f32_e32 v0, v106, v86
	v_min_f32_e32 v1, v107, v87
	v_pk_add_f32 v[34:35], v[34:35], v[0:1]
	v_min_f32_e32 v0, v88, v86
	v_min_f32_e32 v1, v89, v87
	v_pk_add_f32 v[32:33], v[32:33], v[0:1]
	;; [unrolled: 3-line block ×7, first 2 shown]
	v_min_f32_e32 v0, v100, v86
	v_min_f32_e32 v1, v101, v87
	v_max_f32_e32 v2, v2, v2
	v_max_f32_e32 v3, v3, v3
	v_pk_add_f32 v[20:21], v[20:21], v[0:1]
	v_min_f32_e32 v0, v106, v2
	v_min_f32_e32 v1, v107, v3
	v_pk_add_f32 v[18:19], v[18:19], v[0:1]
	v_min_f32_e32 v0, v88, v2
	v_min_f32_e32 v1, v89, v3
	;; [unrolled: 3-line block ×8, first 2 shown]
	v_pk_add_f32 v[4:5], v[4:5], v[0:1]
	s_mov_b64 s[14:15], 0
	s_mov_b32 s38, 2
	s_cbranch_vccz .LBB93_30
; %bb.31:                               ;   in Loop: Header=BB93_23 Depth=1
	v_add3_u32 v0, v74, s28, 4
	v_cmp_gt_i32_e32 vcc, s22, v0
	s_and_b64 s[14:15], s[2:3], vcc
	ds_write_b32 v77, v84
	ds_write2st64_b32 v75, v83, v85 offset1:4
	s_and_b64 s[38:39], s[18:19], s[14:15]
	v_mov_b32_e32 v83, 0
	v_mov_b32_e32 v84, 0
	s_waitcnt lgkmcnt(0)
	s_barrier
	s_and_saveexec_b64 s[14:15], s[38:39]
	s_cbranch_execz .LBB93_33
; %bb.32:                               ;   in Loop: Header=BB93_23 Depth=1
	v_mad_u64_u32 v[2:3], s[38:39], v0, s23, 0
	v_mov_b32_e32 v84, v3
	v_mad_u64_u32 v[84:85], s[38:39], v0, s34, v[84:85]
	v_mov_b32_e32 v3, v84
	v_lshl_add_u64 v[2:3], v[2:3], 2, v[70:71]
	global_load_dword v1, v[2:3], off
	s_waitcnt vmcnt(0)
	v_mul_f32_e32 v84, s33, v1
.LBB93_33:                              ;   in Loop: Header=BB93_23 Depth=1
	s_or_b64 exec, exec, s[14:15]
	v_cmp_le_i32_e32 vcc, s22, v0
	v_min_i32_e32 v0, s36, v0
	v_mad_i64_i32 v[0:1], s[14:15], v0, s35, 0
	v_lshl_add_u64 v[0:1], v[0:1], 2, s[26:27]
	s_or_b64 s[14:15], s[4:5], vcc
	s_nor_b64 s[38:39], s[14:15], s[8:9]
	v_lshl_add_u64 v[0:1], v[68:69], 2, v[0:1]
	s_and_saveexec_b64 s[14:15], s[38:39]
	s_cbranch_execz .LBB93_35
; %bb.34:                               ;   in Loop: Header=BB93_23 Depth=1
	global_load_dword v2, v[0:1], off
	s_waitcnt vmcnt(0)
	v_mul_f32_e32 v83, s33, v2
.LBB93_35:                              ;   in Loop: Header=BB93_23 Depth=1
	s_or_b64 exec, exec, s[14:15]
	s_or_b64 s[14:15], s[6:7], vcc
	s_nor_b64 s[38:39], s[14:15], s[8:9]
	v_mov_b32_e32 v85, 0
	s_and_saveexec_b64 s[14:15], s[38:39]
	s_cbranch_execz .LBB93_37
; %bb.36:                               ;   in Loop: Header=BB93_23 Depth=1
	global_load_dword v0, v[0:1], off offset:256
	s_waitcnt vmcnt(0)
	v_mul_f32_e32 v85, s33, v0
.LBB93_37:                              ;   in Loop: Header=BB93_23 Depth=1
	s_or_b64 exec, exec, s[14:15]
	s_mov_b32 s38, 0
	s_mov_b64 s[14:15], -1
.LBB93_38:                              ;   Parent Loop BB93_23 Depth=1
                                        ; =>  This Inner Loop Header: Depth=2
	v_cndmask_b32_e64 v0, 0, 1, s[14:15]
	s_lshl_b32 s14, s38, 2
	v_cmp_ne_u32_e32 vcc, 1, v0
	v_add_u32_e32 v0, s14, v76
	ds_read2_b64 v[86:89], v0 offset1:16
	ds_read2_b64 v[90:93], v0 offset0:32 offset1:48
	ds_read2_b64 v[94:97], v0 offset0:64 offset1:80
	;; [unrolled: 1-line block ×3, first 2 shown]
	v_add_u32_e32 v0, s14, v78
	ds_read2st64_b64 v[102:105], v0 offset1:1
	ds_read2st64_b64 v[0:3], v0 offset0:2 offset1:3
	s_waitcnt lgkmcnt(5)
	v_max_f32_e32 v106, v86, v86
	v_max_f32_e32 v107, v87, v87
	;; [unrolled: 1-line block ×3, first 2 shown]
	s_waitcnt lgkmcnt(1)
	v_max_f32_e32 v102, v102, v102
	v_max_f32_e32 v103, v103, v103
	v_min_f32_e32 v86, v106, v102
	v_min_f32_e32 v87, v107, v103
	v_max_f32_e32 v89, v89, v89
	v_pk_add_f32 v[66:67], v[66:67], v[86:87]
	v_min_f32_e32 v86, v88, v102
	v_min_f32_e32 v87, v89, v103
	v_max_f32_e32 v90, v90, v90
	v_max_f32_e32 v91, v91, v91
	v_pk_add_f32 v[64:65], v[64:65], v[86:87]
	v_min_f32_e32 v86, v90, v102
	v_min_f32_e32 v87, v91, v103
	v_max_f32_e32 v92, v92, v92
	;; [unrolled: 5-line block ×7, first 2 shown]
	v_max_f32_e32 v103, v105, v105
	v_pk_add_f32 v[52:53], v[52:53], v[86:87]
	v_min_f32_e32 v86, v106, v102
	v_min_f32_e32 v87, v107, v103
	v_pk_add_f32 v[50:51], v[50:51], v[86:87]
	v_min_f32_e32 v86, v88, v102
	v_min_f32_e32 v87, v89, v103
	;; [unrolled: 3-line block ×8, first 2 shown]
	v_pk_add_f32 v[36:37], v[36:37], v[86:87]
	s_waitcnt lgkmcnt(0)
	v_max_f32_e32 v86, v0, v0
	v_max_f32_e32 v87, v1, v1
	v_min_f32_e32 v0, v106, v86
	v_min_f32_e32 v1, v107, v87
	v_pk_add_f32 v[34:35], v[34:35], v[0:1]
	v_min_f32_e32 v0, v88, v86
	v_min_f32_e32 v1, v89, v87
	v_pk_add_f32 v[32:33], v[32:33], v[0:1]
	;; [unrolled: 3-line block ×7, first 2 shown]
	v_min_f32_e32 v0, v100, v86
	v_min_f32_e32 v1, v101, v87
	v_max_f32_e32 v2, v2, v2
	v_max_f32_e32 v3, v3, v3
	v_pk_add_f32 v[20:21], v[20:21], v[0:1]
	v_min_f32_e32 v0, v106, v2
	v_min_f32_e32 v1, v107, v3
	v_pk_add_f32 v[18:19], v[18:19], v[0:1]
	v_min_f32_e32 v0, v88, v2
	v_min_f32_e32 v1, v89, v3
	;; [unrolled: 3-line block ×8, first 2 shown]
	v_pk_add_f32 v[4:5], v[4:5], v[0:1]
	s_mov_b64 s[14:15], 0
	s_mov_b32 s38, 2
	s_cbranch_vccz .LBB93_38
; %bb.39:                               ;   in Loop: Header=BB93_23 Depth=1
	s_add_i32 s28, s28, 8
	s_add_i32 s29, s29, 8
	s_cmp_ge_i32 s29, s37
	ds_write_b32 v79, v84
	ds_write2st64_b32 v80, v83, v85 offset1:4
	s_waitcnt lgkmcnt(0)
	s_barrier
	s_cbranch_scc0 .LBB93_23
.LBB93_40:
	v_mov_b32_e32 v0, 0x1400
	v_lshl_add_u32 v68, v72, 4, v0
	v_mov_b32_e32 v0, 0x800
	v_lshl_add_u32 v69, v73, 4, v0
	s_mov_b32 s4, 0
	s_mov_b64 s[2:3], -1
.LBB93_41:                              ; =>This Inner Loop Header: Depth=1
	v_cndmask_b32_e64 v0, 0, 1, s[2:3]
	s_lshl_b32 s2, s4, 2
	v_cmp_ne_u32_e32 vcc, 1, v0
	v_add_u32_e32 v0, s2, v68
	ds_read2_b64 v[74:77], v0 offset1:16
	ds_read2_b64 v[78:81], v0 offset0:32 offset1:48
	ds_read2_b64 v[82:85], v0 offset0:64 offset1:80
	;; [unrolled: 1-line block ×3, first 2 shown]
	v_add_u32_e32 v0, s2, v69
	ds_read2st64_b64 v[90:93], v0 offset1:1
	ds_read2st64_b64 v[0:3], v0 offset0:2 offset1:3
	s_waitcnt lgkmcnt(5)
	v_max_f32_e32 v74, v74, v74
	v_max_f32_e32 v75, v75, v75
	;; [unrolled: 1-line block ×3, first 2 shown]
	s_waitcnt lgkmcnt(1)
	v_max_f32_e32 v90, v90, v90
	v_max_f32_e32 v91, v91, v91
	v_min_f32_e32 v70, v74, v90
	v_min_f32_e32 v71, v75, v91
	v_max_f32_e32 v77, v77, v77
	v_pk_add_f32 v[66:67], v[66:67], v[70:71]
	v_min_f32_e32 v70, v76, v90
	v_min_f32_e32 v71, v77, v91
	v_max_f32_e32 v78, v78, v78
	v_max_f32_e32 v79, v79, v79
	v_pk_add_f32 v[64:65], v[64:65], v[70:71]
	v_min_f32_e32 v70, v78, v90
	v_min_f32_e32 v71, v79, v91
	v_max_f32_e32 v80, v80, v80
	;; [unrolled: 5-line block ×7, first 2 shown]
	v_max_f32_e32 v91, v93, v93
	v_pk_add_f32 v[52:53], v[52:53], v[70:71]
	v_min_f32_e32 v70, v74, v90
	v_min_f32_e32 v71, v75, v91
	v_pk_add_f32 v[50:51], v[50:51], v[70:71]
	v_min_f32_e32 v70, v76, v90
	v_min_f32_e32 v71, v77, v91
	;; [unrolled: 3-line block ×8, first 2 shown]
	v_pk_add_f32 v[36:37], v[36:37], v[70:71]
	s_waitcnt lgkmcnt(0)
	v_max_f32_e32 v70, v0, v0
	v_max_f32_e32 v71, v1, v1
	v_min_f32_e32 v0, v74, v70
	v_min_f32_e32 v1, v75, v71
	v_pk_add_f32 v[34:35], v[34:35], v[0:1]
	v_min_f32_e32 v0, v76, v70
	v_min_f32_e32 v1, v77, v71
	v_pk_add_f32 v[32:33], v[32:33], v[0:1]
	;; [unrolled: 3-line block ×7, first 2 shown]
	v_min_f32_e32 v0, v88, v70
	v_min_f32_e32 v1, v89, v71
	v_max_f32_e32 v2, v2, v2
	v_max_f32_e32 v3, v3, v3
	v_pk_add_f32 v[20:21], v[20:21], v[0:1]
	v_min_f32_e32 v0, v74, v2
	v_min_f32_e32 v1, v75, v3
	v_pk_add_f32 v[18:19], v[18:19], v[0:1]
	v_min_f32_e32 v0, v76, v2
	v_min_f32_e32 v1, v77, v3
	;; [unrolled: 3-line block ×8, first 2 shown]
	v_pk_add_f32 v[4:5], v[4:5], v[0:1]
	s_mov_b64 s[2:3], 0
	s_mov_b32 s4, 2
	s_cbranch_vccz .LBB93_41
; %bb.42:
	s_load_dwordx2 s[2:3], s[0:1], 0x78
	s_load_dword s29, s[0:1], 0x58
	s_load_dword s28, s[0:1], 0x70
	v_add_u32_e32 v0, s17, v72
	v_add_u32_e32 v72, s31, v73
	s_waitcnt lgkmcnt(0)
	s_mul_i32 s1, s3, s16
	s_mul_hi_u32 s3, s2, s16
	s_mul_i32 s0, s2, s16
	s_add_i32 s1, s3, s1
	s_lshl_b64 s[0:1], s[0:1], 2
	s_add_u32 s22, s10, s0
	s_addc_u32 s23, s11, s1
	v_mad_i64_i32 v[2:3], s[0:1], v72, s29, 0
	v_lshl_add_u64 v[70:71], v[2:3], 2, s[24:25]
	v_mad_i64_i32 v[2:3], s[0:1], v72, s28, 0
	v_cmp_gt_i32_e64 s[18:19], s21, v72
	v_lshl_add_u64 v[68:69], v[2:3], 2, s[22:23]
	v_cmp_gt_i32_e64 s[2:3], s20, v0
	v_cndmask_b32_e64 v2, 0, 1, s[12:13]
	s_and_b64 s[6:7], s[2:3], s[18:19]
	v_ashrrev_i32_e32 v1, 31, v0
	v_cmp_ne_u32_e64 s[0:1], 1, v2
	s_and_saveexec_b64 s[4:5], s[6:7]
	s_cbranch_execz .LBB93_47
; %bb.43:
	s_and_b64 vcc, exec, s[0:1]
	s_cbranch_vccnz .LBB93_45
; %bb.44:
	v_lshl_add_u64 v[2:3], v[0:1], 2, v[70:71]
	global_load_dword v2, v[2:3], off
	s_waitcnt vmcnt(0)
	v_mul_f32_e32 v2, s30, v2
	s_branch .LBB93_46
.LBB93_45:
	v_mov_b32_e32 v2, 0
.LBB93_46:
	v_add_f32_e32 v3, v66, v67
	v_add_f32_e32 v66, v3, v2
	v_lshl_add_u64 v[2:3], v[0:1], 2, v[68:69]
	global_store_dword v[2:3], v66, off
.LBB93_47:
	s_or_b64 exec, exec, s[4:5]
	v_add_u32_e32 v2, 8, v0
	v_cmp_gt_i32_e64 s[4:5], s20, v2
	s_and_b64 s[8:9], s[4:5], s[18:19]
	v_ashrrev_i32_e32 v3, 31, v2
	s_and_saveexec_b64 s[6:7], s[8:9]
	s_cbranch_execz .LBB93_52
; %bb.48:
	s_and_b64 vcc, exec, s[0:1]
	s_cbranch_vccnz .LBB93_50
; %bb.49:
	v_lshl_add_u64 v[66:67], v[2:3], 2, v[70:71]
	global_load_dword v66, v[66:67], off
	s_waitcnt vmcnt(0)
	v_mul_f32_e32 v66, s30, v66
	s_branch .LBB93_51
.LBB93_50:
	v_mov_b32_e32 v66, 0
.LBB93_51:
	v_add_f32_e32 v64, v64, v65
	v_add_f32_e32 v66, v64, v66
	v_lshl_add_u64 v[64:65], v[2:3], 2, v[68:69]
	global_store_dword v[64:65], v66, off
.LBB93_52:
	s_or_b64 exec, exec, s[6:7]
	v_add_u32_e32 v64, 16, v0
	v_cmp_gt_i32_e64 s[6:7], s20, v64
	s_and_b64 s[10:11], s[6:7], s[18:19]
	v_ashrrev_i32_e32 v65, 31, v64
	;; [unrolled: 24-line block ×7, first 2 shown]
	s_and_saveexec_b64 s[18:19], s[26:27]
	s_cbranch_execz .LBB93_82
; %bb.78:
	s_and_b64 vcc, exec, s[0:1]
	s_cbranch_vccnz .LBB93_80
; %bb.79:
	v_lshl_add_u64 v[66:67], v[54:55], 2, v[70:71]
	global_load_dword v66, v[66:67], off
	s_waitcnt vmcnt(0)
	v_mul_f32_e32 v66, s30, v66
	s_branch .LBB93_81
.LBB93_80:
	v_mov_b32_e32 v66, 0
.LBB93_81:
	v_add_f32_e32 v52, v52, v53
	v_add_f32_e32 v66, v52, v66
	v_lshl_add_u64 v[52:53], v[54:55], 2, v[68:69]
	global_store_dword v[52:53], v66, off
.LBB93_82:
	s_or_b64 exec, exec, s[18:19]
	v_add_u32_e32 v68, 32, v72
	v_mad_i64_i32 v[52:53], s[26:27], v68, s29, 0
	v_cmp_gt_i32_e64 s[18:19], s21, v68
	v_lshl_add_u64 v[66:67], v[52:53], 2, s[24:25]
	v_mad_i64_i32 v[52:53], s[26:27], v68, s28, 0
	v_lshl_add_u64 v[52:53], v[52:53], 2, s[22:23]
	s_and_b64 s[34:35], s[2:3], s[18:19]
	s_and_saveexec_b64 s[26:27], s[34:35]
	s_cbranch_execnz .LBB93_90
; %bb.83:
	s_or_b64 exec, exec, s[26:27]
	s_and_b64 s[34:35], s[4:5], s[18:19]
	s_and_saveexec_b64 s[26:27], s[34:35]
	s_cbranch_execnz .LBB93_94
.LBB93_84:
	s_or_b64 exec, exec, s[26:27]
	s_and_b64 s[34:35], s[6:7], s[18:19]
	s_and_saveexec_b64 s[26:27], s[34:35]
	s_cbranch_execnz .LBB93_98
.LBB93_85:
	s_or_b64 exec, exec, s[26:27]
	s_and_b64 s[34:35], s[8:9], s[18:19]
	s_and_saveexec_b64 s[26:27], s[34:35]
	s_cbranch_execnz .LBB93_102
.LBB93_86:
	s_or_b64 exec, exec, s[26:27]
	s_and_b64 s[34:35], s[10:11], s[18:19]
	s_and_saveexec_b64 s[26:27], s[34:35]
	s_cbranch_execnz .LBB93_106
.LBB93_87:
	s_or_b64 exec, exec, s[26:27]
	s_and_b64 s[34:35], s[12:13], s[18:19]
	s_and_saveexec_b64 s[26:27], s[34:35]
	s_cbranch_execnz .LBB93_110
.LBB93_88:
	s_or_b64 exec, exec, s[26:27]
	s_and_b64 s[34:35], s[14:15], s[18:19]
	s_and_saveexec_b64 s[26:27], s[34:35]
	s_cbranch_execnz .LBB93_114
.LBB93_89:
	s_or_b64 exec, exec, s[26:27]
	s_and_b64 s[26:27], s[16:17], s[18:19]
	s_and_saveexec_b64 s[18:19], s[26:27]
	s_cbranch_execnz .LBB93_118
	s_branch .LBB93_122
.LBB93_90:
	s_and_b64 vcc, exec, s[0:1]
	s_cbranch_vccnz .LBB93_92
; %bb.91:
	v_lshl_add_u64 v[68:69], v[0:1], 2, v[66:67]
	global_load_dword v68, v[68:69], off
	s_waitcnt vmcnt(0)
	v_mul_f32_e32 v68, s30, v68
	s_branch .LBB93_93
.LBB93_92:
	v_mov_b32_e32 v68, 0
.LBB93_93:
	v_add_f32_e32 v50, v50, v51
	v_add_f32_e32 v68, v50, v68
	v_lshl_add_u64 v[50:51], v[0:1], 2, v[52:53]
	global_store_dword v[50:51], v68, off
	s_or_b64 exec, exec, s[26:27]
	s_and_b64 s[34:35], s[4:5], s[18:19]
	s_and_saveexec_b64 s[26:27], s[34:35]
	s_cbranch_execz .LBB93_84
.LBB93_94:
	s_and_b64 vcc, exec, s[0:1]
	s_cbranch_vccnz .LBB93_96
; %bb.95:
	v_lshl_add_u64 v[50:51], v[2:3], 2, v[66:67]
	global_load_dword v50, v[50:51], off
	s_waitcnt vmcnt(0)
	v_mul_f32_e32 v50, s30, v50
	s_branch .LBB93_97
.LBB93_96:
	v_mov_b32_e32 v50, 0
.LBB93_97:
	v_add_f32_e32 v48, v48, v49
	v_add_f32_e32 v50, v48, v50
	v_lshl_add_u64 v[48:49], v[2:3], 2, v[52:53]
	global_store_dword v[48:49], v50, off
	s_or_b64 exec, exec, s[26:27]
	s_and_b64 s[34:35], s[6:7], s[18:19]
	s_and_saveexec_b64 s[26:27], s[34:35]
	s_cbranch_execz .LBB93_85
.LBB93_98:
	s_and_b64 vcc, exec, s[0:1]
	s_cbranch_vccnz .LBB93_100
; %bb.99:
	v_lshl_add_u64 v[48:49], v[64:65], 2, v[66:67]
	global_load_dword v48, v[48:49], off
	s_waitcnt vmcnt(0)
	v_mul_f32_e32 v48, s30, v48
	s_branch .LBB93_101
.LBB93_100:
	v_mov_b32_e32 v48, 0
.LBB93_101:
	v_add_f32_e32 v46, v46, v47
	v_add_f32_e32 v48, v46, v48
	v_lshl_add_u64 v[46:47], v[64:65], 2, v[52:53]
	global_store_dword v[46:47], v48, off
	s_or_b64 exec, exec, s[26:27]
	s_and_b64 s[34:35], s[8:9], s[18:19]
	s_and_saveexec_b64 s[26:27], s[34:35]
	s_cbranch_execz .LBB93_86
.LBB93_102:
	s_and_b64 vcc, exec, s[0:1]
	s_cbranch_vccnz .LBB93_104
; %bb.103:
	v_lshl_add_u64 v[46:47], v[62:63], 2, v[66:67]
	global_load_dword v46, v[46:47], off
	s_waitcnt vmcnt(0)
	v_mul_f32_e32 v46, s30, v46
	s_branch .LBB93_105
.LBB93_104:
	v_mov_b32_e32 v46, 0
.LBB93_105:
	v_add_f32_e32 v44, v44, v45
	v_add_f32_e32 v46, v44, v46
	v_lshl_add_u64 v[44:45], v[62:63], 2, v[52:53]
	global_store_dword v[44:45], v46, off
	s_or_b64 exec, exec, s[26:27]
	s_and_b64 s[34:35], s[10:11], s[18:19]
	s_and_saveexec_b64 s[26:27], s[34:35]
	s_cbranch_execz .LBB93_87
.LBB93_106:
	s_and_b64 vcc, exec, s[0:1]
	s_cbranch_vccnz .LBB93_108
; %bb.107:
	v_lshl_add_u64 v[44:45], v[60:61], 2, v[66:67]
	global_load_dword v44, v[44:45], off
	s_waitcnt vmcnt(0)
	v_mul_f32_e32 v44, s30, v44
	s_branch .LBB93_109
.LBB93_108:
	v_mov_b32_e32 v44, 0
.LBB93_109:
	v_add_f32_e32 v42, v42, v43
	v_add_f32_e32 v44, v42, v44
	v_lshl_add_u64 v[42:43], v[60:61], 2, v[52:53]
	global_store_dword v[42:43], v44, off
	s_or_b64 exec, exec, s[26:27]
	s_and_b64 s[34:35], s[12:13], s[18:19]
	s_and_saveexec_b64 s[26:27], s[34:35]
	s_cbranch_execz .LBB93_88
.LBB93_110:
	s_and_b64 vcc, exec, s[0:1]
	s_cbranch_vccnz .LBB93_112
; %bb.111:
	v_lshl_add_u64 v[42:43], v[58:59], 2, v[66:67]
	global_load_dword v42, v[42:43], off
	s_waitcnt vmcnt(0)
	v_mul_f32_e32 v42, s30, v42
	s_branch .LBB93_113
.LBB93_112:
	v_mov_b32_e32 v42, 0
.LBB93_113:
	v_add_f32_e32 v40, v40, v41
	v_add_f32_e32 v42, v40, v42
	v_lshl_add_u64 v[40:41], v[58:59], 2, v[52:53]
	global_store_dword v[40:41], v42, off
	s_or_b64 exec, exec, s[26:27]
	s_and_b64 s[34:35], s[14:15], s[18:19]
	s_and_saveexec_b64 s[26:27], s[34:35]
	s_cbranch_execz .LBB93_89
.LBB93_114:
	s_and_b64 vcc, exec, s[0:1]
	s_cbranch_vccnz .LBB93_116
; %bb.115:
	v_lshl_add_u64 v[40:41], v[56:57], 2, v[66:67]
	global_load_dword v40, v[40:41], off
	s_waitcnt vmcnt(0)
	v_mul_f32_e32 v40, s30, v40
	s_branch .LBB93_117
.LBB93_116:
	v_mov_b32_e32 v40, 0
.LBB93_117:
	v_add_f32_e32 v38, v38, v39
	v_add_f32_e32 v40, v38, v40
	v_lshl_add_u64 v[38:39], v[56:57], 2, v[52:53]
	global_store_dword v[38:39], v40, off
	s_or_b64 exec, exec, s[26:27]
	s_and_b64 s[26:27], s[16:17], s[18:19]
	s_and_saveexec_b64 s[18:19], s[26:27]
	s_cbranch_execz .LBB93_122
.LBB93_118:
	s_and_b64 vcc, exec, s[0:1]
	s_cbranch_vccnz .LBB93_120
; %bb.119:
	v_lshl_add_u64 v[38:39], v[54:55], 2, v[66:67]
	global_load_dword v38, v[38:39], off
	s_waitcnt vmcnt(0)
	v_mul_f32_e32 v38, s30, v38
	s_branch .LBB93_121
.LBB93_120:
	v_mov_b32_e32 v38, 0
.LBB93_121:
	v_add_f32_e32 v36, v36, v37
	v_add_f32_e32 v38, v36, v38
	v_lshl_add_u64 v[36:37], v[54:55], 2, v[52:53]
	global_store_dword v[36:37], v38, off
.LBB93_122:
	s_or_b64 exec, exec, s[18:19]
	v_add_u32_e32 v40, 64, v72
	v_mad_i64_i32 v[36:37], s[26:27], v40, s29, 0
	v_cmp_gt_i32_e64 s[18:19], s21, v40
	v_lshl_add_u64 v[38:39], v[36:37], 2, s[24:25]
	v_mad_i64_i32 v[36:37], s[26:27], v40, s28, 0
	v_lshl_add_u64 v[36:37], v[36:37], 2, s[22:23]
	s_and_b64 s[34:35], s[2:3], s[18:19]
	s_and_saveexec_b64 s[26:27], s[34:35]
	s_cbranch_execnz .LBB93_130
; %bb.123:
	s_or_b64 exec, exec, s[26:27]
	s_and_b64 s[34:35], s[4:5], s[18:19]
	s_and_saveexec_b64 s[26:27], s[34:35]
	s_cbranch_execnz .LBB93_134
.LBB93_124:
	s_or_b64 exec, exec, s[26:27]
	s_and_b64 s[34:35], s[6:7], s[18:19]
	s_and_saveexec_b64 s[26:27], s[34:35]
	s_cbranch_execnz .LBB93_138
.LBB93_125:
	s_or_b64 exec, exec, s[26:27]
	s_and_b64 s[34:35], s[8:9], s[18:19]
	s_and_saveexec_b64 s[26:27], s[34:35]
	s_cbranch_execnz .LBB93_142
.LBB93_126:
	s_or_b64 exec, exec, s[26:27]
	s_and_b64 s[34:35], s[10:11], s[18:19]
	s_and_saveexec_b64 s[26:27], s[34:35]
	s_cbranch_execnz .LBB93_146
.LBB93_127:
	s_or_b64 exec, exec, s[26:27]
	s_and_b64 s[34:35], s[12:13], s[18:19]
	s_and_saveexec_b64 s[26:27], s[34:35]
	s_cbranch_execnz .LBB93_150
.LBB93_128:
	s_or_b64 exec, exec, s[26:27]
	s_and_b64 s[34:35], s[14:15], s[18:19]
	s_and_saveexec_b64 s[26:27], s[34:35]
	s_cbranch_execnz .LBB93_154
.LBB93_129:
	s_or_b64 exec, exec, s[26:27]
	s_and_b64 s[26:27], s[16:17], s[18:19]
	s_and_saveexec_b64 s[18:19], s[26:27]
	s_cbranch_execnz .LBB93_158
	s_branch .LBB93_162
.LBB93_130:
	s_and_b64 vcc, exec, s[0:1]
	s_cbranch_vccnz .LBB93_132
; %bb.131:
	v_lshl_add_u64 v[40:41], v[0:1], 2, v[38:39]
	global_load_dword v40, v[40:41], off
	s_waitcnt vmcnt(0)
	v_mul_f32_e32 v40, s30, v40
	s_branch .LBB93_133
.LBB93_132:
	v_mov_b32_e32 v40, 0
.LBB93_133:
	v_add_f32_e32 v34, v34, v35
	v_add_f32_e32 v40, v34, v40
	v_lshl_add_u64 v[34:35], v[0:1], 2, v[36:37]
	global_store_dword v[34:35], v40, off
	s_or_b64 exec, exec, s[26:27]
	s_and_b64 s[34:35], s[4:5], s[18:19]
	s_and_saveexec_b64 s[26:27], s[34:35]
	s_cbranch_execz .LBB93_124
.LBB93_134:
	s_and_b64 vcc, exec, s[0:1]
	s_cbranch_vccnz .LBB93_136
; %bb.135:
	v_lshl_add_u64 v[34:35], v[2:3], 2, v[38:39]
	global_load_dword v34, v[34:35], off
	s_waitcnt vmcnt(0)
	v_mul_f32_e32 v34, s30, v34
	s_branch .LBB93_137
.LBB93_136:
	v_mov_b32_e32 v34, 0
.LBB93_137:
	v_add_f32_e32 v32, v32, v33
	v_add_f32_e32 v34, v32, v34
	v_lshl_add_u64 v[32:33], v[2:3], 2, v[36:37]
	global_store_dword v[32:33], v34, off
	s_or_b64 exec, exec, s[26:27]
	s_and_b64 s[34:35], s[6:7], s[18:19]
	s_and_saveexec_b64 s[26:27], s[34:35]
	s_cbranch_execz .LBB93_125
.LBB93_138:
	s_and_b64 vcc, exec, s[0:1]
	s_cbranch_vccnz .LBB93_140
; %bb.139:
	v_lshl_add_u64 v[32:33], v[64:65], 2, v[38:39]
	global_load_dword v32, v[32:33], off
	s_waitcnt vmcnt(0)
	v_mul_f32_e32 v32, s30, v32
	s_branch .LBB93_141
.LBB93_140:
	v_mov_b32_e32 v32, 0
.LBB93_141:
	v_add_f32_e32 v30, v30, v31
	v_add_f32_e32 v32, v30, v32
	v_lshl_add_u64 v[30:31], v[64:65], 2, v[36:37]
	global_store_dword v[30:31], v32, off
	s_or_b64 exec, exec, s[26:27]
	s_and_b64 s[34:35], s[8:9], s[18:19]
	s_and_saveexec_b64 s[26:27], s[34:35]
	s_cbranch_execz .LBB93_126
.LBB93_142:
	s_and_b64 vcc, exec, s[0:1]
	s_cbranch_vccnz .LBB93_144
; %bb.143:
	v_lshl_add_u64 v[30:31], v[62:63], 2, v[38:39]
	global_load_dword v30, v[30:31], off
	s_waitcnt vmcnt(0)
	v_mul_f32_e32 v30, s30, v30
	s_branch .LBB93_145
.LBB93_144:
	v_mov_b32_e32 v30, 0
.LBB93_145:
	v_add_f32_e32 v28, v28, v29
	v_add_f32_e32 v30, v28, v30
	v_lshl_add_u64 v[28:29], v[62:63], 2, v[36:37]
	global_store_dword v[28:29], v30, off
	s_or_b64 exec, exec, s[26:27]
	s_and_b64 s[34:35], s[10:11], s[18:19]
	s_and_saveexec_b64 s[26:27], s[34:35]
	s_cbranch_execz .LBB93_127
.LBB93_146:
	s_and_b64 vcc, exec, s[0:1]
	s_cbranch_vccnz .LBB93_148
; %bb.147:
	v_lshl_add_u64 v[28:29], v[60:61], 2, v[38:39]
	global_load_dword v28, v[28:29], off
	s_waitcnt vmcnt(0)
	v_mul_f32_e32 v28, s30, v28
	s_branch .LBB93_149
.LBB93_148:
	v_mov_b32_e32 v28, 0
.LBB93_149:
	v_add_f32_e32 v26, v26, v27
	v_add_f32_e32 v28, v26, v28
	v_lshl_add_u64 v[26:27], v[60:61], 2, v[36:37]
	global_store_dword v[26:27], v28, off
	s_or_b64 exec, exec, s[26:27]
	s_and_b64 s[34:35], s[12:13], s[18:19]
	s_and_saveexec_b64 s[26:27], s[34:35]
	s_cbranch_execz .LBB93_128
.LBB93_150:
	s_and_b64 vcc, exec, s[0:1]
	s_cbranch_vccnz .LBB93_152
; %bb.151:
	v_lshl_add_u64 v[26:27], v[58:59], 2, v[38:39]
	global_load_dword v26, v[26:27], off
	s_waitcnt vmcnt(0)
	v_mul_f32_e32 v26, s30, v26
	s_branch .LBB93_153
.LBB93_152:
	v_mov_b32_e32 v26, 0
.LBB93_153:
	v_add_f32_e32 v24, v24, v25
	v_add_f32_e32 v26, v24, v26
	v_lshl_add_u64 v[24:25], v[58:59], 2, v[36:37]
	global_store_dword v[24:25], v26, off
	s_or_b64 exec, exec, s[26:27]
	s_and_b64 s[34:35], s[14:15], s[18:19]
	s_and_saveexec_b64 s[26:27], s[34:35]
	s_cbranch_execz .LBB93_129
.LBB93_154:
	s_and_b64 vcc, exec, s[0:1]
	s_cbranch_vccnz .LBB93_156
; %bb.155:
	v_lshl_add_u64 v[24:25], v[56:57], 2, v[38:39]
	global_load_dword v24, v[24:25], off
	s_waitcnt vmcnt(0)
	v_mul_f32_e32 v24, s30, v24
	s_branch .LBB93_157
.LBB93_156:
	v_mov_b32_e32 v24, 0
.LBB93_157:
	v_add_f32_e32 v22, v22, v23
	v_add_f32_e32 v24, v22, v24
	v_lshl_add_u64 v[22:23], v[56:57], 2, v[36:37]
	global_store_dword v[22:23], v24, off
	s_or_b64 exec, exec, s[26:27]
	s_and_b64 s[26:27], s[16:17], s[18:19]
	s_and_saveexec_b64 s[18:19], s[26:27]
	s_cbranch_execz .LBB93_162
.LBB93_158:
	s_and_b64 vcc, exec, s[0:1]
	s_cbranch_vccnz .LBB93_160
; %bb.159:
	v_lshl_add_u64 v[22:23], v[54:55], 2, v[38:39]
	global_load_dword v22, v[22:23], off
	s_waitcnt vmcnt(0)
	v_mul_f32_e32 v22, s30, v22
	s_branch .LBB93_161
.LBB93_160:
	v_mov_b32_e32 v22, 0
.LBB93_161:
	v_add_f32_e32 v20, v20, v21
	v_add_f32_e32 v22, v20, v22
	v_lshl_add_u64 v[20:21], v[54:55], 2, v[36:37]
	global_store_dword v[20:21], v22, off
.LBB93_162:
	s_or_b64 exec, exec, s[18:19]
	v_add_u32_e32 v24, 0x60, v72
	v_cmp_gt_i32_e64 s[18:19], s21, v24
	v_mad_i64_i32 v[20:21], s[20:21], v24, s29, 0
	v_lshl_add_u64 v[22:23], v[20:21], 2, s[24:25]
	v_mad_i64_i32 v[20:21], s[20:21], v24, s28, 0
	v_lshl_add_u64 v[20:21], v[20:21], 2, s[22:23]
	s_and_b64 s[20:21], s[2:3], s[18:19]
	s_and_saveexec_b64 s[2:3], s[20:21]
	s_cbranch_execnz .LBB93_171
; %bb.163:
	s_or_b64 exec, exec, s[2:3]
	s_and_b64 s[4:5], s[4:5], s[18:19]
	s_and_saveexec_b64 s[2:3], s[4:5]
	s_cbranch_execnz .LBB93_175
.LBB93_164:
	s_or_b64 exec, exec, s[2:3]
	s_and_b64 s[4:5], s[6:7], s[18:19]
	s_and_saveexec_b64 s[2:3], s[4:5]
	s_cbranch_execnz .LBB93_179
.LBB93_165:
	s_or_b64 exec, exec, s[2:3]
	s_and_b64 s[4:5], s[8:9], s[18:19]
	s_and_saveexec_b64 s[2:3], s[4:5]
	s_cbranch_execnz .LBB93_183
.LBB93_166:
	s_or_b64 exec, exec, s[2:3]
	s_and_b64 s[4:5], s[10:11], s[18:19]
	s_and_saveexec_b64 s[2:3], s[4:5]
	s_cbranch_execnz .LBB93_187
.LBB93_167:
	s_or_b64 exec, exec, s[2:3]
	s_and_b64 s[4:5], s[12:13], s[18:19]
	s_and_saveexec_b64 s[2:3], s[4:5]
	s_cbranch_execnz .LBB93_191
.LBB93_168:
	s_or_b64 exec, exec, s[2:3]
	s_and_b64 s[4:5], s[14:15], s[18:19]
	s_and_saveexec_b64 s[2:3], s[4:5]
	s_cbranch_execnz .LBB93_195
.LBB93_169:
	s_or_b64 exec, exec, s[2:3]
	s_and_b64 s[2:3], s[16:17], s[18:19]
	s_and_saveexec_b64 s[4:5], s[2:3]
	s_cbranch_execnz .LBB93_199
.LBB93_170:
	s_endpgm
.LBB93_171:
	s_and_b64 vcc, exec, s[0:1]
	s_cbranch_vccnz .LBB93_173
; %bb.172:
	v_lshl_add_u64 v[24:25], v[0:1], 2, v[22:23]
	global_load_dword v24, v[24:25], off
	s_waitcnt vmcnt(0)
	v_mul_f32_e32 v24, s30, v24
	s_branch .LBB93_174
.LBB93_173:
	v_mov_b32_e32 v24, 0
.LBB93_174:
	v_add_f32_e32 v18, v18, v19
	v_add_f32_e32 v18, v18, v24
	v_lshl_add_u64 v[0:1], v[0:1], 2, v[20:21]
	global_store_dword v[0:1], v18, off
	s_or_b64 exec, exec, s[2:3]
	s_and_b64 s[4:5], s[4:5], s[18:19]
	s_and_saveexec_b64 s[2:3], s[4:5]
	s_cbranch_execz .LBB93_164
.LBB93_175:
	s_and_b64 vcc, exec, s[0:1]
	s_cbranch_vccnz .LBB93_177
; %bb.176:
	v_lshl_add_u64 v[0:1], v[2:3], 2, v[22:23]
	global_load_dword v0, v[0:1], off
	s_waitcnt vmcnt(0)
	v_mul_f32_e32 v0, s30, v0
	s_branch .LBB93_178
.LBB93_177:
	v_mov_b32_e32 v0, 0
.LBB93_178:
	v_add_f32_e32 v1, v16, v17
	v_add_f32_e32 v16, v1, v0
	v_lshl_add_u64 v[0:1], v[2:3], 2, v[20:21]
	global_store_dword v[0:1], v16, off
	s_or_b64 exec, exec, s[2:3]
	s_and_b64 s[4:5], s[6:7], s[18:19]
	s_and_saveexec_b64 s[2:3], s[4:5]
	s_cbranch_execz .LBB93_165
.LBB93_179:
	s_and_b64 vcc, exec, s[0:1]
	s_cbranch_vccnz .LBB93_181
; %bb.180:
	v_lshl_add_u64 v[0:1], v[64:65], 2, v[22:23]
	global_load_dword v0, v[0:1], off
	s_waitcnt vmcnt(0)
	v_mul_f32_e32 v0, s30, v0
	s_branch .LBB93_182
.LBB93_181:
	v_mov_b32_e32 v0, 0
.LBB93_182:
	v_add_f32_e32 v1, v14, v15
	v_add_f32_e32 v2, v1, v0
	v_lshl_add_u64 v[0:1], v[64:65], 2, v[20:21]
	global_store_dword v[0:1], v2, off
	s_or_b64 exec, exec, s[2:3]
	s_and_b64 s[4:5], s[8:9], s[18:19]
	s_and_saveexec_b64 s[2:3], s[4:5]
	s_cbranch_execz .LBB93_166
.LBB93_183:
	s_and_b64 vcc, exec, s[0:1]
	s_cbranch_vccnz .LBB93_185
; %bb.184:
	v_lshl_add_u64 v[0:1], v[62:63], 2, v[22:23]
	global_load_dword v0, v[0:1], off
	s_waitcnt vmcnt(0)
	v_mul_f32_e32 v0, s30, v0
	s_branch .LBB93_186
.LBB93_185:
	v_mov_b32_e32 v0, 0
.LBB93_186:
	v_add_f32_e32 v1, v12, v13
	v_add_f32_e32 v2, v1, v0
	v_lshl_add_u64 v[0:1], v[62:63], 2, v[20:21]
	global_store_dword v[0:1], v2, off
	s_or_b64 exec, exec, s[2:3]
	s_and_b64 s[4:5], s[10:11], s[18:19]
	s_and_saveexec_b64 s[2:3], s[4:5]
	s_cbranch_execz .LBB93_167
.LBB93_187:
	s_and_b64 vcc, exec, s[0:1]
	s_cbranch_vccnz .LBB93_189
; %bb.188:
	v_lshl_add_u64 v[0:1], v[60:61], 2, v[22:23]
	global_load_dword v0, v[0:1], off
	s_waitcnt vmcnt(0)
	v_mul_f32_e32 v0, s30, v0
	s_branch .LBB93_190
.LBB93_189:
	v_mov_b32_e32 v0, 0
.LBB93_190:
	v_add_f32_e32 v1, v10, v11
	v_add_f32_e32 v2, v1, v0
	v_lshl_add_u64 v[0:1], v[60:61], 2, v[20:21]
	global_store_dword v[0:1], v2, off
	s_or_b64 exec, exec, s[2:3]
	s_and_b64 s[4:5], s[12:13], s[18:19]
	s_and_saveexec_b64 s[2:3], s[4:5]
	s_cbranch_execz .LBB93_168
.LBB93_191:
	s_and_b64 vcc, exec, s[0:1]
	s_cbranch_vccnz .LBB93_193
; %bb.192:
	v_lshl_add_u64 v[0:1], v[58:59], 2, v[22:23]
	global_load_dword v0, v[0:1], off
	s_waitcnt vmcnt(0)
	v_mul_f32_e32 v0, s30, v0
	s_branch .LBB93_194
.LBB93_193:
	v_mov_b32_e32 v0, 0
.LBB93_194:
	v_add_f32_e32 v1, v8, v9
	v_add_f32_e32 v2, v1, v0
	v_lshl_add_u64 v[0:1], v[58:59], 2, v[20:21]
	global_store_dword v[0:1], v2, off
	s_or_b64 exec, exec, s[2:3]
	s_and_b64 s[4:5], s[14:15], s[18:19]
	s_and_saveexec_b64 s[2:3], s[4:5]
	s_cbranch_execz .LBB93_169
.LBB93_195:
	s_and_b64 vcc, exec, s[0:1]
	s_cbranch_vccnz .LBB93_197
; %bb.196:
	v_lshl_add_u64 v[0:1], v[56:57], 2, v[22:23]
	global_load_dword v0, v[0:1], off
	s_waitcnt vmcnt(0)
	v_mul_f32_e32 v0, s30, v0
	s_branch .LBB93_198
.LBB93_197:
	v_mov_b32_e32 v0, 0
.LBB93_198:
	v_add_f32_e32 v1, v6, v7
	v_add_f32_e32 v2, v1, v0
	v_lshl_add_u64 v[0:1], v[56:57], 2, v[20:21]
	global_store_dword v[0:1], v2, off
	s_or_b64 exec, exec, s[2:3]
	s_and_b64 s[2:3], s[16:17], s[18:19]
	s_and_saveexec_b64 s[4:5], s[2:3]
	s_cbranch_execz .LBB93_170
.LBB93_199:
	s_and_b64 vcc, exec, s[0:1]
	s_cbranch_vccnz .LBB93_201
; %bb.200:
	v_lshl_add_u64 v[0:1], v[54:55], 2, v[22:23]
	global_load_dword v0, v[0:1], off
	s_waitcnt vmcnt(0)
	v_mul_f32_e32 v0, s30, v0
	s_branch .LBB93_202
.LBB93_201:
	v_mov_b32_e32 v0, 0
.LBB93_202:
	v_add_f32_e32 v1, v4, v5
	v_add_f32_e32 v2, v1, v0
	v_lshl_add_u64 v[0:1], v[54:55], 2, v[20:21]
	global_store_dword v[0:1], v2, off
	s_endpgm
	.section	.rodata,"a",@progbits
	.p2align	6, 0x0
	.amdhsa_kernel _ZN12_GLOBAL__N_120geam_min_plus_kernelIf15HIP_vector_typeIfLj2EES2_Li8ELi32ELi64ELi128ELi4ELi64ELi4ELi64ELi4ELc78ELc84ELb0ELb1ELb0EPKfS3_fEEviiiT16_PT17_ilS7_ilS5_S7_ilPT18_ili26rocblas_geam_ex_operation_
		.amdhsa_group_segment_fixed_size 6144
		.amdhsa_private_segment_fixed_size 0
		.amdhsa_kernarg_size 136
		.amdhsa_user_sgpr_count 2
		.amdhsa_user_sgpr_dispatch_ptr 0
		.amdhsa_user_sgpr_queue_ptr 0
		.amdhsa_user_sgpr_kernarg_segment_ptr 1
		.amdhsa_user_sgpr_dispatch_id 0
		.amdhsa_user_sgpr_kernarg_preload_length 0
		.amdhsa_user_sgpr_kernarg_preload_offset 0
		.amdhsa_user_sgpr_private_segment_size 0
		.amdhsa_uses_dynamic_stack 0
		.amdhsa_enable_private_segment 0
		.amdhsa_system_sgpr_workgroup_id_x 1
		.amdhsa_system_sgpr_workgroup_id_y 0
		.amdhsa_system_sgpr_workgroup_id_z 1
		.amdhsa_system_sgpr_workgroup_info 0
		.amdhsa_system_vgpr_workitem_id 1
		.amdhsa_next_free_vgpr 108
		.amdhsa_next_free_sgpr 40
		.amdhsa_accum_offset 108
		.amdhsa_reserve_vcc 1
		.amdhsa_float_round_mode_32 0
		.amdhsa_float_round_mode_16_64 0
		.amdhsa_float_denorm_mode_32 3
		.amdhsa_float_denorm_mode_16_64 3
		.amdhsa_dx10_clamp 1
		.amdhsa_ieee_mode 1
		.amdhsa_fp16_overflow 0
		.amdhsa_tg_split 0
		.amdhsa_exception_fp_ieee_invalid_op 0
		.amdhsa_exception_fp_denorm_src 0
		.amdhsa_exception_fp_ieee_div_zero 0
		.amdhsa_exception_fp_ieee_overflow 0
		.amdhsa_exception_fp_ieee_underflow 0
		.amdhsa_exception_fp_ieee_inexact 0
		.amdhsa_exception_int_div_zero 0
	.end_amdhsa_kernel
	.section	.text._ZN12_GLOBAL__N_120geam_min_plus_kernelIf15HIP_vector_typeIfLj2EES2_Li8ELi32ELi64ELi128ELi4ELi64ELi4ELi64ELi4ELc78ELc84ELb0ELb1ELb0EPKfS3_fEEviiiT16_PT17_ilS7_ilS5_S7_ilPT18_ili26rocblas_geam_ex_operation_,"axG",@progbits,_ZN12_GLOBAL__N_120geam_min_plus_kernelIf15HIP_vector_typeIfLj2EES2_Li8ELi32ELi64ELi128ELi4ELi64ELi4ELi64ELi4ELc78ELc84ELb0ELb1ELb0EPKfS3_fEEviiiT16_PT17_ilS7_ilS5_S7_ilPT18_ili26rocblas_geam_ex_operation_,comdat
.Lfunc_end93:
	.size	_ZN12_GLOBAL__N_120geam_min_plus_kernelIf15HIP_vector_typeIfLj2EES2_Li8ELi32ELi64ELi128ELi4ELi64ELi4ELi64ELi4ELc78ELc84ELb0ELb1ELb0EPKfS3_fEEviiiT16_PT17_ilS7_ilS5_S7_ilPT18_ili26rocblas_geam_ex_operation_, .Lfunc_end93-_ZN12_GLOBAL__N_120geam_min_plus_kernelIf15HIP_vector_typeIfLj2EES2_Li8ELi32ELi64ELi128ELi4ELi64ELi4ELi64ELi4ELc78ELc84ELb0ELb1ELb0EPKfS3_fEEviiiT16_PT17_ilS7_ilS5_S7_ilPT18_ili26rocblas_geam_ex_operation_
                                        ; -- End function
	.set _ZN12_GLOBAL__N_120geam_min_plus_kernelIf15HIP_vector_typeIfLj2EES2_Li8ELi32ELi64ELi128ELi4ELi64ELi4ELi64ELi4ELc78ELc84ELb0ELb1ELb0EPKfS3_fEEviiiT16_PT17_ilS7_ilS5_S7_ilPT18_ili26rocblas_geam_ex_operation_.num_vgpr, 108
	.set _ZN12_GLOBAL__N_120geam_min_plus_kernelIf15HIP_vector_typeIfLj2EES2_Li8ELi32ELi64ELi128ELi4ELi64ELi4ELi64ELi4ELc78ELc84ELb0ELb1ELb0EPKfS3_fEEviiiT16_PT17_ilS7_ilS5_S7_ilPT18_ili26rocblas_geam_ex_operation_.num_agpr, 0
	.set _ZN12_GLOBAL__N_120geam_min_plus_kernelIf15HIP_vector_typeIfLj2EES2_Li8ELi32ELi64ELi128ELi4ELi64ELi4ELi64ELi4ELc78ELc84ELb0ELb1ELb0EPKfS3_fEEviiiT16_PT17_ilS7_ilS5_S7_ilPT18_ili26rocblas_geam_ex_operation_.numbered_sgpr, 40
	.set _ZN12_GLOBAL__N_120geam_min_plus_kernelIf15HIP_vector_typeIfLj2EES2_Li8ELi32ELi64ELi128ELi4ELi64ELi4ELi64ELi4ELc78ELc84ELb0ELb1ELb0EPKfS3_fEEviiiT16_PT17_ilS7_ilS5_S7_ilPT18_ili26rocblas_geam_ex_operation_.num_named_barrier, 0
	.set _ZN12_GLOBAL__N_120geam_min_plus_kernelIf15HIP_vector_typeIfLj2EES2_Li8ELi32ELi64ELi128ELi4ELi64ELi4ELi64ELi4ELc78ELc84ELb0ELb1ELb0EPKfS3_fEEviiiT16_PT17_ilS7_ilS5_S7_ilPT18_ili26rocblas_geam_ex_operation_.private_seg_size, 0
	.set _ZN12_GLOBAL__N_120geam_min_plus_kernelIf15HIP_vector_typeIfLj2EES2_Li8ELi32ELi64ELi128ELi4ELi64ELi4ELi64ELi4ELc78ELc84ELb0ELb1ELb0EPKfS3_fEEviiiT16_PT17_ilS7_ilS5_S7_ilPT18_ili26rocblas_geam_ex_operation_.uses_vcc, 1
	.set _ZN12_GLOBAL__N_120geam_min_plus_kernelIf15HIP_vector_typeIfLj2EES2_Li8ELi32ELi64ELi128ELi4ELi64ELi4ELi64ELi4ELc78ELc84ELb0ELb1ELb0EPKfS3_fEEviiiT16_PT17_ilS7_ilS5_S7_ilPT18_ili26rocblas_geam_ex_operation_.uses_flat_scratch, 0
	.set _ZN12_GLOBAL__N_120geam_min_plus_kernelIf15HIP_vector_typeIfLj2EES2_Li8ELi32ELi64ELi128ELi4ELi64ELi4ELi64ELi4ELc78ELc84ELb0ELb1ELb0EPKfS3_fEEviiiT16_PT17_ilS7_ilS5_S7_ilPT18_ili26rocblas_geam_ex_operation_.has_dyn_sized_stack, 0
	.set _ZN12_GLOBAL__N_120geam_min_plus_kernelIf15HIP_vector_typeIfLj2EES2_Li8ELi32ELi64ELi128ELi4ELi64ELi4ELi64ELi4ELc78ELc84ELb0ELb1ELb0EPKfS3_fEEviiiT16_PT17_ilS7_ilS5_S7_ilPT18_ili26rocblas_geam_ex_operation_.has_recursion, 0
	.set _ZN12_GLOBAL__N_120geam_min_plus_kernelIf15HIP_vector_typeIfLj2EES2_Li8ELi32ELi64ELi128ELi4ELi64ELi4ELi64ELi4ELc78ELc84ELb0ELb1ELb0EPKfS3_fEEviiiT16_PT17_ilS7_ilS5_S7_ilPT18_ili26rocblas_geam_ex_operation_.has_indirect_call, 0
	.section	.AMDGPU.csdata,"",@progbits
; Kernel info:
; codeLenInByte = 7948
; TotalNumSgprs: 46
; NumVgprs: 108
; NumAgprs: 0
; TotalNumVgprs: 108
; ScratchSize: 0
; MemoryBound: 0
; FloatMode: 240
; IeeeMode: 1
; LDSByteSize: 6144 bytes/workgroup (compile time only)
; SGPRBlocks: 5
; VGPRBlocks: 13
; NumSGPRsForWavesPerEU: 46
; NumVGPRsForWavesPerEU: 108
; AccumOffset: 108
; Occupancy: 4
; WaveLimiterHint : 0
; COMPUTE_PGM_RSRC2:SCRATCH_EN: 0
; COMPUTE_PGM_RSRC2:USER_SGPR: 2
; COMPUTE_PGM_RSRC2:TRAP_HANDLER: 0
; COMPUTE_PGM_RSRC2:TGID_X_EN: 1
; COMPUTE_PGM_RSRC2:TGID_Y_EN: 0
; COMPUTE_PGM_RSRC2:TGID_Z_EN: 1
; COMPUTE_PGM_RSRC2:TIDIG_COMP_CNT: 1
; COMPUTE_PGM_RSRC3_GFX90A:ACCUM_OFFSET: 26
; COMPUTE_PGM_RSRC3_GFX90A:TG_SPLIT: 0
	.section	.text._ZN12_GLOBAL__N_120geam_min_plus_kernelIf15HIP_vector_typeIfLj2EES2_Li8ELi32ELi64ELi128ELi4ELi64ELi4ELi64ELi4ELc78ELc84ELb1ELb1ELb0EfKffEEviiiT16_PT17_ilS6_ilS4_S6_ilPT18_ili26rocblas_geam_ex_operation_,"axG",@progbits,_ZN12_GLOBAL__N_120geam_min_plus_kernelIf15HIP_vector_typeIfLj2EES2_Li8ELi32ELi64ELi128ELi4ELi64ELi4ELi64ELi4ELc78ELc84ELb1ELb1ELb0EfKffEEviiiT16_PT17_ilS6_ilS4_S6_ilPT18_ili26rocblas_geam_ex_operation_,comdat
	.globl	_ZN12_GLOBAL__N_120geam_min_plus_kernelIf15HIP_vector_typeIfLj2EES2_Li8ELi32ELi64ELi128ELi4ELi64ELi4ELi64ELi4ELc78ELc84ELb1ELb1ELb0EfKffEEviiiT16_PT17_ilS6_ilS4_S6_ilPT18_ili26rocblas_geam_ex_operation_ ; -- Begin function _ZN12_GLOBAL__N_120geam_min_plus_kernelIf15HIP_vector_typeIfLj2EES2_Li8ELi32ELi64ELi128ELi4ELi64ELi4ELi64ELi4ELc78ELc84ELb1ELb1ELb0EfKffEEviiiT16_PT17_ilS6_ilS4_S6_ilPT18_ili26rocblas_geam_ex_operation_
	.p2align	8
	.type	_ZN12_GLOBAL__N_120geam_min_plus_kernelIf15HIP_vector_typeIfLj2EES2_Li8ELi32ELi64ELi128ELi4ELi64ELi4ELi64ELi4ELc78ELc84ELb1ELb1ELb0EfKffEEviiiT16_PT17_ilS6_ilS4_S6_ilPT18_ili26rocblas_geam_ex_operation_,@function
_ZN12_GLOBAL__N_120geam_min_plus_kernelIf15HIP_vector_typeIfLj2EES2_Li8ELi32ELi64ELi128ELi4ELi64ELi4ELi64ELi4ELc78ELc84ELb1ELb1ELb0EfKffEEviiiT16_PT17_ilS6_ilS4_S6_ilPT18_ili26rocblas_geam_ex_operation_: ; @_ZN12_GLOBAL__N_120geam_min_plus_kernelIf15HIP_vector_typeIfLj2EES2_Li8ELi32ELi64ELi128ELi4ELi64ELi4ELi64ELi4ELc78ELc84ELb1ELb1ELb0EfKffEEviiiT16_PT17_ilS6_ilS4_S6_ilPT18_ili26rocblas_geam_ex_operation_
; %bb.0:
	s_load_dwordx4 s[20:23], s[0:1], 0x0
	s_load_dwordx4 s[4:7], s[0:1], 0x20
	s_waitcnt lgkmcnt(0)
	v_cmp_eq_f32_e64 s[8:9], s23, 0
	s_and_b64 vcc, exec, s[8:9]
	s_cbranch_vccnz .LBB94_45
; %bb.1:
	s_load_dwordx2 s[10:11], s[0:1], 0x10
	s_mul_i32 s5, s5, s3
	s_mul_hi_u32 s12, s4, s3
	s_add_i32 s5, s12, s5
	s_mul_i32 s4, s4, s3
	s_lshl_b64 s[4:5], s[4:5], 2
	s_waitcnt lgkmcnt(0)
	s_add_u32 s16, s10, s4
	s_addc_u32 s17, s11, s5
	s_andn2_b64 vcc, exec, s[8:9]
	s_mov_b64 s[4:5], -1
	s_cbranch_vccnz .LBB94_3
.LBB94_2:
	s_mov_b64 s[4:5], 0
.LBB94_3:
	s_mov_b64 s[24:25], 0
	s_andn2_b64 vcc, exec, s[4:5]
	s_mov_b64 s[14:15], 0
	s_cbranch_vccnz .LBB94_5
; %bb.4:
	s_load_dwordx2 s[4:5], s[0:1], 0x38
	s_waitcnt lgkmcnt(0)
	s_mul_i32 s5, s5, s3
	s_mul_hi_u32 s8, s4, s3
	s_add_i32 s5, s8, s5
	s_mul_i32 s4, s4, s3
	s_lshl_b64 s[4:5], s[4:5], 2
	s_add_u32 s14, s6, s4
	s_addc_u32 s15, s7, s5
.LBB94_5:
	s_load_dword s28, s[0:1], 0x40
	s_load_dwordx4 s[8:11], s[0:1], 0x58
	s_waitcnt lgkmcnt(0)
	v_cmp_eq_f32_e64 s[4:5], s28, 0
	v_cmp_neq_f32_e64 s[12:13], s28, 0
	s_and_b64 vcc, exec, s[4:5]
	s_cbranch_vccnz .LBB94_7
; %bb.6:
	s_load_dwordx2 s[4:5], s[0:1], 0x48
	s_mul_i32 s6, s9, s3
	s_mul_hi_u32 s7, s8, s3
	s_add_i32 s7, s7, s6
	s_mul_i32 s6, s8, s3
	s_lshl_b64 s[6:7], s[6:7], 2
	s_waitcnt lgkmcnt(0)
	s_add_u32 s24, s4, s6
	s_addc_u32 s25, s5, s7
.LBB94_7:
	s_add_i32 s4, s20, -1
	s_ashr_i32 s5, s4, 31
	s_lshr_b32 s5, s5, 26
	s_add_i32 s4, s4, s5
	s_ashr_i32 s4, s4, 6
	s_add_i32 s5, s4, 1
	v_cvt_f32_u32_e32 v1, s5
	s_not_b32 s4, s4
	s_load_dword s23, s[0:1], 0x18
	v_and_b32_e32 v69, 0x3ff, v0
	v_rcp_iflag_f32_e32 v1, v1
	v_bfe_u32 v74, v0, 10, 10
	v_lshl_add_u32 v0, v74, 3, v69
	s_waitcnt lgkmcnt(0)
	s_ashr_i32 s27, s23, 31
	v_mul_f32_e32 v1, 0x4f7ffffe, v1
	v_cvt_u32_f32_e32 v1, v1
	v_and_b32_e32 v79, 63, v0
	v_lshrrev_b32_e32 v68, 6, v0
	v_cmp_le_i32_e32 vcc, s22, v68
	v_readfirstlane_b32 s6, v1
	s_mul_i32 s4, s4, s6
	s_mul_hi_u32 s4, s6, s4
	s_add_i32 s6, s6, s4
	s_mul_hi_u32 s4, s2, s6
	s_mul_i32 s6, s4, s5
	s_sub_i32 s6, s2, s6
	s_add_i32 s7, s4, 1
	s_sub_i32 s8, s6, s5
	s_cmp_ge_u32 s6, s5
	s_cselect_b32 s4, s7, s4
	s_cselect_b32 s6, s8, s6
	s_add_i32 s7, s4, 1
	s_cmp_ge_u32 s6, s5
	s_cselect_b32 s6, s7, s4
	s_mul_i32 s4, s6, s5
	s_sub_i32 s2, s2, s4
	s_lshl_b32 s2, s2, 6
	v_or_b32_e32 v72, s2, v79
	v_cmp_le_i32_e64 s[8:9], s20, v72
	s_nor_b64 s[18:19], vcc, s[8:9]
	v_mov_b32_e32 v2, 0
	v_ashrrev_i32_e32 v73, 31, v72
	v_mov_b32_e32 v4, 0
	s_and_saveexec_b64 s[4:5], s[18:19]
	s_cbranch_execz .LBB94_9
; %bb.8:
	v_mad_i64_i32 v[0:1], s[18:19], s23, v68, 0
	v_lshl_add_u64 v[0:1], v[0:1], 2, s[16:17]
	v_lshl_add_u64 v[0:1], v[72:73], 2, v[0:1]
	global_load_dword v4, v[0:1], off
.LBB94_9:
	s_or_b64 exec, exec, s[4:5]
	s_load_dword s29, s[0:1], 0x30
	s_lshl_b32 s26, s6, 7
	v_or_b32_e32 v70, s26, v79
	v_ashrrev_i32_e32 v71, 31, v70
	s_waitcnt lgkmcnt(0)
	v_mad_i64_i32 v[0:1], s[4:5], v68, s29, 0
	v_cmp_le_i32_e64 s[4:5], s21, v70
	s_ashr_i32 s30, s29, 31
	v_lshl_add_u64 v[0:1], v[0:1], 2, s[14:15]
	s_nor_b64 s[18:19], vcc, s[4:5]
	s_and_saveexec_b64 s[6:7], s[18:19]
	s_cbranch_execz .LBB94_11
; %bb.10:
	v_lshl_add_u64 v[2:3], v[70:71], 2, v[0:1]
	global_load_dword v2, v[2:3], off
.LBB94_11:
	s_or_b64 exec, exec, s[6:7]
	v_or_b32_e32 v3, 64, v70
	v_cmp_le_i32_e64 s[6:7], s21, v3
	s_nor_b64 s[34:35], vcc, s[6:7]
	v_mov_b32_e32 v82, 0
	v_mov_b32_e32 v3, 0
	s_and_saveexec_b64 s[18:19], s[34:35]
	s_cbranch_execz .LBB94_13
; %bb.12:
	v_lshl_add_u64 v[0:1], v[70:71], 2, v[0:1]
	global_load_dword v3, v[0:1], off offset:256
.LBB94_13:
	s_or_b64 exec, exec, s[18:19]
	v_add_u32_e32 v0, 4, v68
	v_cmp_le_i32_e32 vcc, s22, v0
	s_nor_b64 s[34:35], s[8:9], vcc
	s_and_saveexec_b64 s[18:19], s[34:35]
	s_cbranch_execz .LBB94_15
; %bb.14:
	v_mad_u64_u32 v[6:7], s[34:35], s23, v0, 0
	v_mov_b32_e32 v8, v7
	v_mad_u64_u32 v[8:9], s[34:35], s27, v0, v[8:9]
	v_mov_b32_e32 v7, v8
	v_lshl_add_u64 v[6:7], v[6:7], 2, s[16:17]
	v_lshl_add_u64 v[6:7], v[72:73], 2, v[6:7]
	global_load_dword v82, v[6:7], off
.LBB94_15:
	s_or_b64 exec, exec, s[18:19]
	v_mad_u64_u32 v[6:7], s[18:19], v0, s29, 0
	v_mov_b32_e32 v8, v7
	v_mad_u64_u32 v[0:1], s[18:19], v0, s30, v[8:9]
	v_mov_b32_e32 v7, v0
	v_lshl_add_u64 v[0:1], v[6:7], 2, s[14:15]
	s_nor_b64 s[34:35], s[4:5], vcc
	v_mov_b32_e32 v80, 0
	v_mov_b32_e32 v81, 0
	s_and_saveexec_b64 s[18:19], s[34:35]
	s_cbranch_execz .LBB94_17
; %bb.16:
	v_lshl_add_u64 v[6:7], v[70:71], 2, v[0:1]
	global_load_dword v81, v[6:7], off
.LBB94_17:
	s_or_b64 exec, exec, s[18:19]
	s_nor_b64 s[34:35], s[6:7], vcc
	s_and_saveexec_b64 s[18:19], s[34:35]
	s_cbranch_execz .LBB94_19
; %bb.18:
	v_lshl_add_u64 v[0:1], v[70:71], 2, v[0:1]
	global_load_dword v80, v[0:1], off offset:256
.LBB94_19:
	s_or_b64 exec, exec, s[18:19]
	v_lshlrev_b32_e32 v0, 4, v79
	v_lshl_add_u32 v75, v68, 2, v0
	v_mov_b32_e32 v0, 0x1000
	v_mov_b32_e32 v66, 0
	s_waitcnt vmcnt(0)
	ds_write_b32 v75, v4 offset:4096
	ds_write2st64_b32 v75, v2, v3 offset1:4
	v_lshl_add_u32 v76, v69, 4, v0
	s_mov_b32 s31, 0
	s_mov_b64 s[18:19], -1
	v_mov_b32_e32 v67, v66
	v_mov_b32_e32 v64, v66
	;; [unrolled: 1-line block ×63, first 2 shown]
	v_or_b32_e32 v77, 0x1000, v75
	v_lshlrev_b32_e32 v78, 4, v74
	s_waitcnt lgkmcnt(0)
	s_barrier
.LBB94_20:                              ; =>This Inner Loop Header: Depth=1
	v_cndmask_b32_e64 v0, 0, 1, s[18:19]
	s_lshl_b32 s18, s31, 2
	v_cmp_ne_u32_e32 vcc, 1, v0
	v_add_u32_e32 v0, s18, v76
	ds_read2_b64 v[84:87], v0 offset1:16
	ds_read2_b64 v[88:91], v0 offset0:32 offset1:48
	ds_read2_b64 v[92:95], v0 offset0:64 offset1:80
	;; [unrolled: 1-line block ×3, first 2 shown]
	v_add_u32_e32 v0, s18, v78
	ds_read2st64_b64 v[100:103], v0 offset1:1
	ds_read2st64_b64 v[0:3], v0 offset0:2 offset1:3
	s_waitcnt lgkmcnt(5)
	v_max_f32_e32 v104, v85, v85
	v_max_f32_e32 v86, v86, v86
	;; [unrolled: 1-line block ×3, first 2 shown]
	s_waitcnt lgkmcnt(1)
	v_max_f32_e32 v83, v100, v100
	v_max_f32_e32 v100, v84, v84
	v_max_f32_e32 v101, v101, v101
	v_min_f32_e32 v84, v100, v83
	v_min_f32_e32 v85, v104, v101
	v_pk_add_f32 v[66:67], v[66:67], v[84:85]
	v_min_f32_e32 v84, v86, v83
	v_min_f32_e32 v85, v87, v101
	v_max_f32_e32 v88, v88, v88
	v_max_f32_e32 v89, v89, v89
	v_pk_add_f32 v[64:65], v[64:65], v[84:85]
	v_min_f32_e32 v84, v88, v83
	v_min_f32_e32 v85, v89, v101
	v_max_f32_e32 v90, v90, v90
	v_max_f32_e32 v91, v91, v91
	;; [unrolled: 5-line block ×5, first 2 shown]
	v_pk_add_f32 v[56:57], v[56:57], v[84:85]
	v_min_f32_e32 v84, v96, v83
	v_min_f32_e32 v85, v97, v101
	v_max_f32_e32 v98, v98, v98
	v_pk_add_f32 v[54:55], v[54:55], v[84:85]
	v_min_f32_e32 v84, v98, v83
	v_max_f32_e32 v83, v99, v99
	v_min_f32_e32 v85, v83, v101
	v_max_f32_e32 v99, v102, v102
	v_max_f32_e32 v101, v103, v103
	v_pk_add_f32 v[52:53], v[52:53], v[84:85]
	v_min_f32_e32 v84, v100, v99
	v_min_f32_e32 v85, v104, v101
	v_pk_add_f32 v[50:51], v[50:51], v[84:85]
	v_min_f32_e32 v84, v86, v99
	v_min_f32_e32 v85, v87, v101
	;; [unrolled: 3-line block ×8, first 2 shown]
	v_pk_add_f32 v[36:37], v[36:37], v[84:85]
	s_waitcnt lgkmcnt(0)
	v_max_f32_e32 v84, v0, v0
	v_max_f32_e32 v85, v1, v1
	v_min_f32_e32 v0, v100, v84
	v_min_f32_e32 v1, v104, v85
	v_pk_add_f32 v[34:35], v[34:35], v[0:1]
	v_min_f32_e32 v0, v86, v84
	v_min_f32_e32 v1, v87, v85
	v_pk_add_f32 v[32:33], v[32:33], v[0:1]
	;; [unrolled: 3-line block ×7, first 2 shown]
	v_min_f32_e32 v0, v98, v84
	v_min_f32_e32 v1, v83, v85
	v_max_f32_e32 v2, v2, v2
	v_max_f32_e32 v3, v3, v3
	v_pk_add_f32 v[20:21], v[20:21], v[0:1]
	v_min_f32_e32 v0, v100, v2
	v_min_f32_e32 v1, v104, v3
	v_pk_add_f32 v[18:19], v[18:19], v[0:1]
	v_min_f32_e32 v0, v86, v2
	v_min_f32_e32 v1, v87, v3
	;; [unrolled: 3-line block ×8, first 2 shown]
	v_pk_add_f32 v[4:5], v[4:5], v[0:1]
	s_mov_b64 s[18:19], 0
	s_mov_b32 s31, 2
	s_cbranch_vccz .LBB94_20
; %bb.21:
	v_lshlrev_b32_e32 v0, 2, v68
	v_lshl_add_u32 v0, v79, 4, v0
	s_cmp_lt_i32 s22, 9
	ds_write_b32 v0, v82 offset:5120
	ds_write2st64_b32 v0, v81, v80 offset0:8 offset1:12
	s_waitcnt lgkmcnt(0)
	s_barrier
	s_cbranch_scc1 .LBB94_40
; %bb.22:
	v_add_u32_e32 v79, 0x1400, v0
	v_or_b32_e32 v80, 0x800, v0
	v_mov_b32_e32 v0, 0x1400
	v_lshl_add_u32 v81, v69, 4, v0
	v_mov_b32_e32 v0, 0x800
	s_add_i32 s18, s22, -8
	v_lshl_add_u64 v[72:73], v[72:73], 2, s[16:17]
	v_lshl_add_u32 v82, v74, 4, v0
	s_mov_b32 s19, 8
	s_mov_b32 s31, 0
.LBB94_23:                              ; =>This Loop Header: Depth=1
                                        ;     Child Loop BB94_30 Depth 2
                                        ;     Child Loop BB94_38 Depth 2
	v_add_u32_e32 v0, s19, v68
	v_cmp_le_i32_e32 vcc, s22, v0
	s_nor_b64 s[34:35], s[8:9], vcc
	v_mov_b32_e32 v85, 0
	s_and_saveexec_b64 s[16:17], s[34:35]
	s_cbranch_execz .LBB94_25
; %bb.24:                               ;   in Loop: Header=BB94_23 Depth=1
	v_mad_u64_u32 v[2:3], s[34:35], v0, s23, 0
	v_mov_b32_e32 v84, v3
	v_mad_u64_u32 v[84:85], s[34:35], v0, s27, v[84:85]
	v_mov_b32_e32 v3, v84
	v_lshl_add_u64 v[2:3], v[2:3], 2, v[72:73]
	global_load_dword v85, v[2:3], off
.LBB94_25:                              ;   in Loop: Header=BB94_23 Depth=1
	s_or_b64 exec, exec, s[16:17]
	v_mad_u64_u32 v[2:3], s[16:17], v0, s29, 0
	v_mov_b32_e32 v84, v3
	s_waitcnt vmcnt(0)
	v_mad_u64_u32 v[0:1], s[16:17], v0, s30, v[84:85]
	v_mov_b32_e32 v3, v0
	v_lshl_add_u64 v[0:1], v[2:3], 2, s[14:15]
	s_nor_b64 s[34:35], s[4:5], vcc
	v_mov_b32_e32 v83, 0
	v_lshl_add_u64 v[0:1], v[70:71], 2, v[0:1]
	v_mov_b32_e32 v84, 0
	s_and_saveexec_b64 s[16:17], s[34:35]
	s_cbranch_execz .LBB94_27
; %bb.26:                               ;   in Loop: Header=BB94_23 Depth=1
	global_load_dword v84, v[0:1], off
.LBB94_27:                              ;   in Loop: Header=BB94_23 Depth=1
	s_or_b64 exec, exec, s[16:17]
	s_nor_b64 s[34:35], s[6:7], vcc
	s_and_saveexec_b64 s[16:17], s[34:35]
	s_cbranch_execz .LBB94_29
; %bb.28:                               ;   in Loop: Header=BB94_23 Depth=1
	global_load_dword v83, v[0:1], off offset:256
.LBB94_29:                              ;   in Loop: Header=BB94_23 Depth=1
	s_or_b64 exec, exec, s[16:17]
	s_mov_b32 s33, 0
	s_mov_b64 s[16:17], -1
.LBB94_30:                              ;   Parent Loop BB94_23 Depth=1
                                        ; =>  This Inner Loop Header: Depth=2
	v_cndmask_b32_e64 v0, 0, 1, s[16:17]
	s_lshl_b32 s16, s33, 2
	v_cmp_ne_u32_e32 vcc, 1, v0
	v_add_u32_e32 v0, s16, v81
	ds_read2_b64 v[86:89], v0 offset1:16
	ds_read2_b64 v[90:93], v0 offset0:32 offset1:48
	ds_read2_b64 v[94:97], v0 offset0:64 offset1:80
	;; [unrolled: 1-line block ×3, first 2 shown]
	v_add_u32_e32 v0, s16, v82
	ds_read2st64_b64 v[102:105], v0 offset1:1
	ds_read2st64_b64 v[0:3], v0 offset0:2 offset1:3
	s_waitcnt lgkmcnt(5)
	v_max_f32_e32 v106, v86, v86
	v_max_f32_e32 v107, v87, v87
	;; [unrolled: 1-line block ×3, first 2 shown]
	s_waitcnt lgkmcnt(1)
	v_max_f32_e32 v102, v102, v102
	v_max_f32_e32 v103, v103, v103
	v_min_f32_e32 v86, v106, v102
	v_min_f32_e32 v87, v107, v103
	v_max_f32_e32 v89, v89, v89
	v_pk_add_f32 v[66:67], v[66:67], v[86:87]
	v_min_f32_e32 v86, v88, v102
	v_min_f32_e32 v87, v89, v103
	v_max_f32_e32 v90, v90, v90
	v_max_f32_e32 v91, v91, v91
	v_pk_add_f32 v[64:65], v[64:65], v[86:87]
	v_min_f32_e32 v86, v90, v102
	v_min_f32_e32 v87, v91, v103
	v_max_f32_e32 v92, v92, v92
	v_max_f32_e32 v93, v93, v93
	v_pk_add_f32 v[62:63], v[62:63], v[86:87]
	v_min_f32_e32 v86, v92, v102
	v_min_f32_e32 v87, v93, v103
	v_max_f32_e32 v94, v94, v94
	v_max_f32_e32 v95, v95, v95
	v_pk_add_f32 v[60:61], v[60:61], v[86:87]
	v_min_f32_e32 v86, v94, v102
	v_min_f32_e32 v87, v95, v103
	v_max_f32_e32 v96, v96, v96
	v_max_f32_e32 v97, v97, v97
	v_pk_add_f32 v[58:59], v[58:59], v[86:87]
	v_min_f32_e32 v86, v96, v102
	v_min_f32_e32 v87, v97, v103
	v_max_f32_e32 v98, v98, v98
	v_max_f32_e32 v99, v99, v99
	v_pk_add_f32 v[56:57], v[56:57], v[86:87]
	v_min_f32_e32 v86, v98, v102
	v_min_f32_e32 v87, v99, v103
	v_max_f32_e32 v100, v100, v100
	v_max_f32_e32 v101, v101, v101
	v_pk_add_f32 v[54:55], v[54:55], v[86:87]
	v_min_f32_e32 v86, v100, v102
	v_min_f32_e32 v87, v101, v103
	v_max_f32_e32 v102, v104, v104
	v_max_f32_e32 v103, v105, v105
	v_pk_add_f32 v[52:53], v[52:53], v[86:87]
	v_min_f32_e32 v86, v106, v102
	v_min_f32_e32 v87, v107, v103
	v_pk_add_f32 v[50:51], v[50:51], v[86:87]
	v_min_f32_e32 v86, v88, v102
	v_min_f32_e32 v87, v89, v103
	;; [unrolled: 3-line block ×8, first 2 shown]
	v_pk_add_f32 v[36:37], v[36:37], v[86:87]
	s_waitcnt lgkmcnt(0)
	v_max_f32_e32 v86, v0, v0
	v_max_f32_e32 v87, v1, v1
	v_min_f32_e32 v0, v106, v86
	v_min_f32_e32 v1, v107, v87
	v_pk_add_f32 v[34:35], v[34:35], v[0:1]
	v_min_f32_e32 v0, v88, v86
	v_min_f32_e32 v1, v89, v87
	v_pk_add_f32 v[32:33], v[32:33], v[0:1]
	;; [unrolled: 3-line block ×7, first 2 shown]
	v_min_f32_e32 v0, v100, v86
	v_min_f32_e32 v1, v101, v87
	v_max_f32_e32 v2, v2, v2
	v_max_f32_e32 v3, v3, v3
	v_pk_add_f32 v[20:21], v[20:21], v[0:1]
	v_min_f32_e32 v0, v106, v2
	v_min_f32_e32 v1, v107, v3
	v_pk_add_f32 v[18:19], v[18:19], v[0:1]
	v_min_f32_e32 v0, v88, v2
	v_min_f32_e32 v1, v89, v3
	;; [unrolled: 3-line block ×8, first 2 shown]
	v_pk_add_f32 v[4:5], v[4:5], v[0:1]
	s_mov_b64 s[16:17], 0
	s_mov_b32 s33, 2
	s_cbranch_vccz .LBB94_30
; %bb.31:                               ;   in Loop: Header=BB94_23 Depth=1
	v_add3_u32 v0, v68, s19, 4
	v_cmp_le_i32_e32 vcc, s22, v0
	ds_write_b32 v77, v85
	s_waitcnt vmcnt(0)
	ds_write2st64_b32 v75, v84, v83 offset1:4
	s_nor_b64 s[34:35], s[8:9], vcc
	v_mov_b32_e32 v83, 0
	v_mov_b32_e32 v85, 0
	s_waitcnt lgkmcnt(0)
	s_barrier
	s_and_saveexec_b64 s[16:17], s[34:35]
	s_cbranch_execz .LBB94_33
; %bb.32:                               ;   in Loop: Header=BB94_23 Depth=1
	v_mad_u64_u32 v[2:3], s[34:35], v0, s23, 0
	v_mov_b32_e32 v84, v3
	v_mad_u64_u32 v[84:85], s[34:35], v0, s27, v[84:85]
	v_mov_b32_e32 v3, v84
	v_lshl_add_u64 v[2:3], v[2:3], 2, v[72:73]
	global_load_dword v85, v[2:3], off
.LBB94_33:                              ;   in Loop: Header=BB94_23 Depth=1
	s_or_b64 exec, exec, s[16:17]
	v_mad_u64_u32 v[2:3], s[16:17], v0, s29, 0
	v_mov_b32_e32 v84, v3
	s_waitcnt vmcnt(0)
	v_mad_u64_u32 v[0:1], s[16:17], v0, s30, v[84:85]
	v_mov_b32_e32 v3, v0
	v_lshl_add_u64 v[0:1], v[2:3], 2, s[14:15]
	s_nor_b64 s[34:35], s[4:5], vcc
	v_lshl_add_u64 v[0:1], v[70:71], 2, v[0:1]
	s_and_saveexec_b64 s[16:17], s[34:35]
	s_cbranch_execz .LBB94_35
; %bb.34:                               ;   in Loop: Header=BB94_23 Depth=1
	global_load_dword v83, v[0:1], off
.LBB94_35:                              ;   in Loop: Header=BB94_23 Depth=1
	s_or_b64 exec, exec, s[16:17]
	s_nor_b64 s[34:35], s[6:7], vcc
	v_mov_b32_e32 v84, 0
	s_and_saveexec_b64 s[16:17], s[34:35]
	s_cbranch_execz .LBB94_37
; %bb.36:                               ;   in Loop: Header=BB94_23 Depth=1
	global_load_dword v84, v[0:1], off offset:256
.LBB94_37:                              ;   in Loop: Header=BB94_23 Depth=1
	s_or_b64 exec, exec, s[16:17]
	s_mov_b32 s33, 0
	s_mov_b64 s[16:17], -1
.LBB94_38:                              ;   Parent Loop BB94_23 Depth=1
                                        ; =>  This Inner Loop Header: Depth=2
	v_cndmask_b32_e64 v0, 0, 1, s[16:17]
	s_lshl_b32 s16, s33, 2
	v_cmp_ne_u32_e32 vcc, 1, v0
	v_add_u32_e32 v0, s16, v76
	ds_read2_b64 v[86:89], v0 offset1:16
	ds_read2_b64 v[90:93], v0 offset0:32 offset1:48
	ds_read2_b64 v[94:97], v0 offset0:64 offset1:80
	;; [unrolled: 1-line block ×3, first 2 shown]
	v_add_u32_e32 v0, s16, v78
	ds_read2st64_b64 v[102:105], v0 offset1:1
	ds_read2st64_b64 v[0:3], v0 offset0:2 offset1:3
	s_waitcnt lgkmcnt(5)
	v_max_f32_e32 v106, v86, v86
	v_max_f32_e32 v107, v87, v87
	;; [unrolled: 1-line block ×3, first 2 shown]
	s_waitcnt lgkmcnt(1)
	v_max_f32_e32 v102, v102, v102
	v_max_f32_e32 v103, v103, v103
	v_min_f32_e32 v86, v106, v102
	v_min_f32_e32 v87, v107, v103
	v_max_f32_e32 v89, v89, v89
	v_pk_add_f32 v[66:67], v[66:67], v[86:87]
	v_min_f32_e32 v86, v88, v102
	v_min_f32_e32 v87, v89, v103
	v_max_f32_e32 v90, v90, v90
	v_max_f32_e32 v91, v91, v91
	v_pk_add_f32 v[64:65], v[64:65], v[86:87]
	v_min_f32_e32 v86, v90, v102
	v_min_f32_e32 v87, v91, v103
	v_max_f32_e32 v92, v92, v92
	;; [unrolled: 5-line block ×7, first 2 shown]
	v_max_f32_e32 v103, v105, v105
	v_pk_add_f32 v[52:53], v[52:53], v[86:87]
	v_min_f32_e32 v86, v106, v102
	v_min_f32_e32 v87, v107, v103
	v_pk_add_f32 v[50:51], v[50:51], v[86:87]
	v_min_f32_e32 v86, v88, v102
	v_min_f32_e32 v87, v89, v103
	;; [unrolled: 3-line block ×8, first 2 shown]
	v_pk_add_f32 v[36:37], v[36:37], v[86:87]
	s_waitcnt lgkmcnt(0)
	v_max_f32_e32 v86, v0, v0
	v_max_f32_e32 v87, v1, v1
	v_min_f32_e32 v0, v106, v86
	v_min_f32_e32 v1, v107, v87
	v_pk_add_f32 v[34:35], v[34:35], v[0:1]
	v_min_f32_e32 v0, v88, v86
	v_min_f32_e32 v1, v89, v87
	v_pk_add_f32 v[32:33], v[32:33], v[0:1]
	;; [unrolled: 3-line block ×7, first 2 shown]
	v_min_f32_e32 v0, v100, v86
	v_min_f32_e32 v1, v101, v87
	v_max_f32_e32 v2, v2, v2
	v_max_f32_e32 v3, v3, v3
	v_pk_add_f32 v[20:21], v[20:21], v[0:1]
	v_min_f32_e32 v0, v106, v2
	v_min_f32_e32 v1, v107, v3
	v_pk_add_f32 v[18:19], v[18:19], v[0:1]
	v_min_f32_e32 v0, v88, v2
	v_min_f32_e32 v1, v89, v3
	;; [unrolled: 3-line block ×8, first 2 shown]
	v_pk_add_f32 v[4:5], v[4:5], v[0:1]
	s_mov_b64 s[16:17], 0
	s_mov_b32 s33, 2
	s_cbranch_vccz .LBB94_38
; %bb.39:                               ;   in Loop: Header=BB94_23 Depth=1
	s_add_i32 s19, s19, 8
	s_add_i32 s31, s31, 8
	s_cmp_ge_i32 s31, s18
	ds_write_b32 v79, v85
	s_waitcnt vmcnt(0)
	ds_write2st64_b32 v80, v83, v84 offset1:4
	s_waitcnt lgkmcnt(0)
	s_barrier
	s_cbranch_scc0 .LBB94_23
.LBB94_40:
	v_mov_b32_e32 v0, 0x1400
	v_lshl_add_u32 v68, v69, 4, v0
	v_mov_b32_e32 v0, 0x800
	v_lshl_add_u32 v70, v74, 4, v0
	s_mov_b32 s6, 0
	s_mov_b64 s[4:5], -1
.LBB94_41:                              ; =>This Inner Loop Header: Depth=1
	v_cndmask_b32_e64 v0, 0, 1, s[4:5]
	s_lshl_b32 s4, s6, 2
	v_cmp_ne_u32_e32 vcc, 1, v0
	v_add_u32_e32 v0, s4, v68
	ds_read2_b64 v[76:79], v0 offset1:16
	ds_read2_b64 v[80:83], v0 offset0:32 offset1:48
	ds_read2_b64 v[84:87], v0 offset0:64 offset1:80
	;; [unrolled: 1-line block ×3, first 2 shown]
	v_add_u32_e32 v0, s4, v70
	ds_read2st64_b64 v[92:95], v0 offset1:1
	ds_read2st64_b64 v[0:3], v0 offset0:2 offset1:3
	s_waitcnt lgkmcnt(5)
	v_max_f32_e32 v75, v76, v76
	v_max_f32_e32 v77, v77, v77
	;; [unrolled: 1-line block ×3, first 2 shown]
	s_waitcnt lgkmcnt(1)
	v_max_f32_e32 v71, v92, v92
	v_max_f32_e32 v76, v93, v93
	v_min_f32_e32 v72, v75, v71
	v_min_f32_e32 v73, v77, v76
	v_max_f32_e32 v79, v79, v79
	v_pk_add_f32 v[66:67], v[66:67], v[72:73]
	v_min_f32_e32 v72, v78, v71
	v_min_f32_e32 v73, v79, v76
	v_max_f32_e32 v80, v80, v80
	v_max_f32_e32 v81, v81, v81
	v_pk_add_f32 v[64:65], v[64:65], v[72:73]
	v_min_f32_e32 v72, v80, v71
	v_min_f32_e32 v73, v81, v76
	v_max_f32_e32 v82, v82, v82
	;; [unrolled: 5-line block ×6, first 2 shown]
	v_pk_add_f32 v[54:55], v[54:55], v[72:73]
	v_min_f32_e32 v72, v90, v71
	v_max_f32_e32 v71, v91, v91
	v_min_f32_e32 v73, v71, v76
	v_max_f32_e32 v76, v94, v94
	v_max_f32_e32 v91, v95, v95
	v_pk_add_f32 v[52:53], v[52:53], v[72:73]
	v_min_f32_e32 v72, v75, v76
	v_min_f32_e32 v73, v77, v91
	v_pk_add_f32 v[50:51], v[50:51], v[72:73]
	v_min_f32_e32 v72, v78, v76
	v_min_f32_e32 v73, v79, v91
	;; [unrolled: 3-line block ×8, first 2 shown]
	v_pk_add_f32 v[36:37], v[36:37], v[72:73]
	s_waitcnt lgkmcnt(0)
	v_max_f32_e32 v72, v0, v0
	v_max_f32_e32 v73, v1, v1
	v_min_f32_e32 v0, v75, v72
	v_min_f32_e32 v1, v77, v73
	v_pk_add_f32 v[34:35], v[34:35], v[0:1]
	v_min_f32_e32 v0, v78, v72
	v_min_f32_e32 v1, v79, v73
	v_pk_add_f32 v[32:33], v[32:33], v[0:1]
	;; [unrolled: 3-line block ×7, first 2 shown]
	v_min_f32_e32 v0, v90, v72
	v_min_f32_e32 v1, v71, v73
	v_max_f32_e32 v2, v2, v2
	v_max_f32_e32 v3, v3, v3
	v_pk_add_f32 v[20:21], v[20:21], v[0:1]
	v_min_f32_e32 v0, v75, v2
	v_min_f32_e32 v1, v77, v3
	v_pk_add_f32 v[18:19], v[18:19], v[0:1]
	v_min_f32_e32 v0, v78, v2
	v_min_f32_e32 v1, v79, v3
	;; [unrolled: 3-line block ×8, first 2 shown]
	v_pk_add_f32 v[4:5], v[4:5], v[0:1]
	s_mov_b64 s[4:5], 0
	s_mov_b32 s6, 2
	s_cbranch_vccz .LBB94_41
; %bb.42:
	s_load_dwordx2 s[4:5], s[0:1], 0x70
	s_load_dword s30, s[0:1], 0x50
	s_load_dword s29, s[0:1], 0x68
	v_add_u32_e32 v72, s26, v74
	v_add_u32_e32 v0, s2, v69
	s_waitcnt lgkmcnt(0)
	s_mul_i32 s1, s5, s3
	s_mul_hi_u32 s5, s4, s3
	s_mul_i32 s0, s4, s3
	s_add_i32 s1, s5, s1
	s_lshl_b64 s[0:1], s[0:1], 2
	s_add_u32 s22, s10, s0
	s_addc_u32 s23, s11, s1
	v_mad_i64_i32 v[2:3], s[0:1], v72, s30, 0
	v_lshl_add_u64 v[70:71], v[2:3], 2, s[24:25]
	v_mad_i64_i32 v[2:3], s[0:1], v72, s29, 0
	v_cmp_gt_i32_e64 s[18:19], s21, v72
	v_lshl_add_u64 v[68:69], v[2:3], 2, s[22:23]
	v_cmp_gt_i32_e64 s[2:3], s20, v0
	v_cndmask_b32_e64 v2, 0, 1, s[12:13]
	s_and_b64 s[6:7], s[2:3], s[18:19]
	v_ashrrev_i32_e32 v1, 31, v0
	v_cmp_ne_u32_e64 s[0:1], 1, v2
	s_and_saveexec_b64 s[4:5], s[6:7]
	s_cbranch_execz .LBB94_48
; %bb.43:
	s_and_b64 vcc, exec, s[0:1]
	s_cbranch_vccnz .LBB94_46
; %bb.44:
	v_lshl_add_u64 v[2:3], v[0:1], 2, v[70:71]
	global_load_dword v2, v[2:3], off
	s_waitcnt vmcnt(0)
	v_mul_f32_e32 v2, s28, v2
	s_branch .LBB94_47
.LBB94_45:
	s_mov_b64 s[16:17], 0
	s_andn2_b64 vcc, exec, s[8:9]
	s_mov_b64 s[4:5], -1
	s_cbranch_vccz .LBB94_2
	s_branch .LBB94_3
.LBB94_46:
	v_mov_b32_e32 v2, 0
.LBB94_47:
	v_add_f32_e32 v3, v66, v67
	v_add_f32_e32 v66, v3, v2
	v_lshl_add_u64 v[2:3], v[0:1], 2, v[68:69]
	global_store_dword v[2:3], v66, off
.LBB94_48:
	s_or_b64 exec, exec, s[4:5]
	v_add_u32_e32 v2, 8, v0
	v_cmp_gt_i32_e64 s[4:5], s20, v2
	s_and_b64 s[8:9], s[4:5], s[18:19]
	v_ashrrev_i32_e32 v3, 31, v2
	s_and_saveexec_b64 s[6:7], s[8:9]
	s_cbranch_execz .LBB94_53
; %bb.49:
	s_and_b64 vcc, exec, s[0:1]
	s_cbranch_vccnz .LBB94_51
; %bb.50:
	v_lshl_add_u64 v[66:67], v[2:3], 2, v[70:71]
	global_load_dword v66, v[66:67], off
	s_waitcnt vmcnt(0)
	v_mul_f32_e32 v66, s28, v66
	s_branch .LBB94_52
.LBB94_51:
	v_mov_b32_e32 v66, 0
.LBB94_52:
	v_add_f32_e32 v64, v64, v65
	v_add_f32_e32 v66, v64, v66
	v_lshl_add_u64 v[64:65], v[2:3], 2, v[68:69]
	global_store_dword v[64:65], v66, off
.LBB94_53:
	s_or_b64 exec, exec, s[6:7]
	v_add_u32_e32 v64, 16, v0
	v_cmp_gt_i32_e64 s[6:7], s20, v64
	s_and_b64 s[10:11], s[6:7], s[18:19]
	v_ashrrev_i32_e32 v65, 31, v64
	s_and_saveexec_b64 s[8:9], s[10:11]
	s_cbranch_execz .LBB94_58
; %bb.54:
	s_and_b64 vcc, exec, s[0:1]
	s_cbranch_vccnz .LBB94_56
; %bb.55:
	v_lshl_add_u64 v[66:67], v[64:65], 2, v[70:71]
	global_load_dword v66, v[66:67], off
	s_waitcnt vmcnt(0)
	v_mul_f32_e32 v66, s28, v66
	s_branch .LBB94_57
.LBB94_56:
	v_mov_b32_e32 v66, 0
.LBB94_57:
	v_add_f32_e32 v62, v62, v63
	v_add_f32_e32 v66, v62, v66
	v_lshl_add_u64 v[62:63], v[64:65], 2, v[68:69]
	global_store_dword v[62:63], v66, off
.LBB94_58:
	;; [unrolled: 24-line block ×7, first 2 shown]
	s_or_b64 exec, exec, s[18:19]
	v_add_u32_e32 v68, 32, v72
	v_mad_i64_i32 v[52:53], s[26:27], v68, s30, 0
	v_cmp_gt_i32_e64 s[18:19], s21, v68
	v_lshl_add_u64 v[66:67], v[52:53], 2, s[24:25]
	v_mad_i64_i32 v[52:53], s[26:27], v68, s29, 0
	v_lshl_add_u64 v[52:53], v[52:53], 2, s[22:23]
	s_and_b64 s[34:35], s[2:3], s[18:19]
	s_and_saveexec_b64 s[26:27], s[34:35]
	s_cbranch_execnz .LBB94_91
; %bb.84:
	s_or_b64 exec, exec, s[26:27]
	s_and_b64 s[34:35], s[4:5], s[18:19]
	s_and_saveexec_b64 s[26:27], s[34:35]
	s_cbranch_execnz .LBB94_95
.LBB94_85:
	s_or_b64 exec, exec, s[26:27]
	s_and_b64 s[34:35], s[6:7], s[18:19]
	s_and_saveexec_b64 s[26:27], s[34:35]
	s_cbranch_execnz .LBB94_99
.LBB94_86:
	s_or_b64 exec, exec, s[26:27]
	s_and_b64 s[34:35], s[8:9], s[18:19]
	s_and_saveexec_b64 s[26:27], s[34:35]
	s_cbranch_execnz .LBB94_103
.LBB94_87:
	s_or_b64 exec, exec, s[26:27]
	s_and_b64 s[34:35], s[10:11], s[18:19]
	s_and_saveexec_b64 s[26:27], s[34:35]
	s_cbranch_execnz .LBB94_107
.LBB94_88:
	s_or_b64 exec, exec, s[26:27]
	s_and_b64 s[34:35], s[12:13], s[18:19]
	s_and_saveexec_b64 s[26:27], s[34:35]
	s_cbranch_execnz .LBB94_111
.LBB94_89:
	s_or_b64 exec, exec, s[26:27]
	s_and_b64 s[34:35], s[14:15], s[18:19]
	s_and_saveexec_b64 s[26:27], s[34:35]
	s_cbranch_execnz .LBB94_115
.LBB94_90:
	s_or_b64 exec, exec, s[26:27]
	s_and_b64 s[26:27], s[16:17], s[18:19]
	s_and_saveexec_b64 s[18:19], s[26:27]
	s_cbranch_execnz .LBB94_119
	s_branch .LBB94_123
.LBB94_91:
	s_and_b64 vcc, exec, s[0:1]
	s_cbranch_vccnz .LBB94_93
; %bb.92:
	v_lshl_add_u64 v[68:69], v[0:1], 2, v[66:67]
	global_load_dword v68, v[68:69], off
	s_waitcnt vmcnt(0)
	v_mul_f32_e32 v68, s28, v68
	s_branch .LBB94_94
.LBB94_93:
	v_mov_b32_e32 v68, 0
.LBB94_94:
	v_add_f32_e32 v50, v50, v51
	v_add_f32_e32 v68, v50, v68
	v_lshl_add_u64 v[50:51], v[0:1], 2, v[52:53]
	global_store_dword v[50:51], v68, off
	s_or_b64 exec, exec, s[26:27]
	s_and_b64 s[34:35], s[4:5], s[18:19]
	s_and_saveexec_b64 s[26:27], s[34:35]
	s_cbranch_execz .LBB94_85
.LBB94_95:
	s_and_b64 vcc, exec, s[0:1]
	s_cbranch_vccnz .LBB94_97
; %bb.96:
	v_lshl_add_u64 v[50:51], v[2:3], 2, v[66:67]
	global_load_dword v50, v[50:51], off
	s_waitcnt vmcnt(0)
	v_mul_f32_e32 v50, s28, v50
	s_branch .LBB94_98
.LBB94_97:
	v_mov_b32_e32 v50, 0
.LBB94_98:
	v_add_f32_e32 v48, v48, v49
	v_add_f32_e32 v50, v48, v50
	v_lshl_add_u64 v[48:49], v[2:3], 2, v[52:53]
	global_store_dword v[48:49], v50, off
	s_or_b64 exec, exec, s[26:27]
	s_and_b64 s[34:35], s[6:7], s[18:19]
	s_and_saveexec_b64 s[26:27], s[34:35]
	s_cbranch_execz .LBB94_86
.LBB94_99:
	s_and_b64 vcc, exec, s[0:1]
	s_cbranch_vccnz .LBB94_101
; %bb.100:
	v_lshl_add_u64 v[48:49], v[64:65], 2, v[66:67]
	global_load_dword v48, v[48:49], off
	s_waitcnt vmcnt(0)
	v_mul_f32_e32 v48, s28, v48
	s_branch .LBB94_102
.LBB94_101:
	v_mov_b32_e32 v48, 0
.LBB94_102:
	v_add_f32_e32 v46, v46, v47
	v_add_f32_e32 v48, v46, v48
	v_lshl_add_u64 v[46:47], v[64:65], 2, v[52:53]
	global_store_dword v[46:47], v48, off
	s_or_b64 exec, exec, s[26:27]
	s_and_b64 s[34:35], s[8:9], s[18:19]
	s_and_saveexec_b64 s[26:27], s[34:35]
	s_cbranch_execz .LBB94_87
.LBB94_103:
	s_and_b64 vcc, exec, s[0:1]
	s_cbranch_vccnz .LBB94_105
; %bb.104:
	v_lshl_add_u64 v[46:47], v[62:63], 2, v[66:67]
	global_load_dword v46, v[46:47], off
	s_waitcnt vmcnt(0)
	v_mul_f32_e32 v46, s28, v46
	s_branch .LBB94_106
.LBB94_105:
	v_mov_b32_e32 v46, 0
.LBB94_106:
	v_add_f32_e32 v44, v44, v45
	v_add_f32_e32 v46, v44, v46
	v_lshl_add_u64 v[44:45], v[62:63], 2, v[52:53]
	global_store_dword v[44:45], v46, off
	s_or_b64 exec, exec, s[26:27]
	s_and_b64 s[34:35], s[10:11], s[18:19]
	s_and_saveexec_b64 s[26:27], s[34:35]
	s_cbranch_execz .LBB94_88
.LBB94_107:
	s_and_b64 vcc, exec, s[0:1]
	s_cbranch_vccnz .LBB94_109
; %bb.108:
	v_lshl_add_u64 v[44:45], v[60:61], 2, v[66:67]
	global_load_dword v44, v[44:45], off
	s_waitcnt vmcnt(0)
	v_mul_f32_e32 v44, s28, v44
	s_branch .LBB94_110
.LBB94_109:
	v_mov_b32_e32 v44, 0
.LBB94_110:
	v_add_f32_e32 v42, v42, v43
	v_add_f32_e32 v44, v42, v44
	v_lshl_add_u64 v[42:43], v[60:61], 2, v[52:53]
	global_store_dword v[42:43], v44, off
	s_or_b64 exec, exec, s[26:27]
	s_and_b64 s[34:35], s[12:13], s[18:19]
	s_and_saveexec_b64 s[26:27], s[34:35]
	s_cbranch_execz .LBB94_89
.LBB94_111:
	s_and_b64 vcc, exec, s[0:1]
	s_cbranch_vccnz .LBB94_113
; %bb.112:
	v_lshl_add_u64 v[42:43], v[58:59], 2, v[66:67]
	global_load_dword v42, v[42:43], off
	s_waitcnt vmcnt(0)
	v_mul_f32_e32 v42, s28, v42
	s_branch .LBB94_114
.LBB94_113:
	v_mov_b32_e32 v42, 0
.LBB94_114:
	v_add_f32_e32 v40, v40, v41
	v_add_f32_e32 v42, v40, v42
	v_lshl_add_u64 v[40:41], v[58:59], 2, v[52:53]
	global_store_dword v[40:41], v42, off
	s_or_b64 exec, exec, s[26:27]
	s_and_b64 s[34:35], s[14:15], s[18:19]
	s_and_saveexec_b64 s[26:27], s[34:35]
	s_cbranch_execz .LBB94_90
.LBB94_115:
	s_and_b64 vcc, exec, s[0:1]
	s_cbranch_vccnz .LBB94_117
; %bb.116:
	v_lshl_add_u64 v[40:41], v[56:57], 2, v[66:67]
	global_load_dword v40, v[40:41], off
	s_waitcnt vmcnt(0)
	v_mul_f32_e32 v40, s28, v40
	s_branch .LBB94_118
.LBB94_117:
	v_mov_b32_e32 v40, 0
.LBB94_118:
	v_add_f32_e32 v38, v38, v39
	v_add_f32_e32 v40, v38, v40
	v_lshl_add_u64 v[38:39], v[56:57], 2, v[52:53]
	global_store_dword v[38:39], v40, off
	s_or_b64 exec, exec, s[26:27]
	s_and_b64 s[26:27], s[16:17], s[18:19]
	s_and_saveexec_b64 s[18:19], s[26:27]
	s_cbranch_execz .LBB94_123
.LBB94_119:
	s_and_b64 vcc, exec, s[0:1]
	s_cbranch_vccnz .LBB94_121
; %bb.120:
	v_lshl_add_u64 v[38:39], v[54:55], 2, v[66:67]
	global_load_dword v38, v[38:39], off
	s_waitcnt vmcnt(0)
	v_mul_f32_e32 v38, s28, v38
	s_branch .LBB94_122
.LBB94_121:
	v_mov_b32_e32 v38, 0
.LBB94_122:
	v_add_f32_e32 v36, v36, v37
	v_add_f32_e32 v38, v36, v38
	v_lshl_add_u64 v[36:37], v[54:55], 2, v[52:53]
	global_store_dword v[36:37], v38, off
.LBB94_123:
	s_or_b64 exec, exec, s[18:19]
	v_add_u32_e32 v40, 64, v72
	v_mad_i64_i32 v[36:37], s[26:27], v40, s30, 0
	v_cmp_gt_i32_e64 s[18:19], s21, v40
	v_lshl_add_u64 v[38:39], v[36:37], 2, s[24:25]
	v_mad_i64_i32 v[36:37], s[26:27], v40, s29, 0
	v_lshl_add_u64 v[36:37], v[36:37], 2, s[22:23]
	s_and_b64 s[34:35], s[2:3], s[18:19]
	s_and_saveexec_b64 s[26:27], s[34:35]
	s_cbranch_execnz .LBB94_131
; %bb.124:
	s_or_b64 exec, exec, s[26:27]
	s_and_b64 s[34:35], s[4:5], s[18:19]
	s_and_saveexec_b64 s[26:27], s[34:35]
	s_cbranch_execnz .LBB94_135
.LBB94_125:
	s_or_b64 exec, exec, s[26:27]
	s_and_b64 s[34:35], s[6:7], s[18:19]
	s_and_saveexec_b64 s[26:27], s[34:35]
	s_cbranch_execnz .LBB94_139
.LBB94_126:
	s_or_b64 exec, exec, s[26:27]
	s_and_b64 s[34:35], s[8:9], s[18:19]
	s_and_saveexec_b64 s[26:27], s[34:35]
	s_cbranch_execnz .LBB94_143
.LBB94_127:
	s_or_b64 exec, exec, s[26:27]
	s_and_b64 s[34:35], s[10:11], s[18:19]
	s_and_saveexec_b64 s[26:27], s[34:35]
	s_cbranch_execnz .LBB94_147
.LBB94_128:
	s_or_b64 exec, exec, s[26:27]
	s_and_b64 s[34:35], s[12:13], s[18:19]
	s_and_saveexec_b64 s[26:27], s[34:35]
	s_cbranch_execnz .LBB94_151
.LBB94_129:
	s_or_b64 exec, exec, s[26:27]
	s_and_b64 s[34:35], s[14:15], s[18:19]
	s_and_saveexec_b64 s[26:27], s[34:35]
	s_cbranch_execnz .LBB94_155
.LBB94_130:
	s_or_b64 exec, exec, s[26:27]
	s_and_b64 s[26:27], s[16:17], s[18:19]
	s_and_saveexec_b64 s[18:19], s[26:27]
	s_cbranch_execnz .LBB94_159
	s_branch .LBB94_163
.LBB94_131:
	s_and_b64 vcc, exec, s[0:1]
	s_cbranch_vccnz .LBB94_133
; %bb.132:
	v_lshl_add_u64 v[40:41], v[0:1], 2, v[38:39]
	global_load_dword v40, v[40:41], off
	s_waitcnt vmcnt(0)
	v_mul_f32_e32 v40, s28, v40
	s_branch .LBB94_134
.LBB94_133:
	v_mov_b32_e32 v40, 0
.LBB94_134:
	v_add_f32_e32 v34, v34, v35
	v_add_f32_e32 v40, v34, v40
	v_lshl_add_u64 v[34:35], v[0:1], 2, v[36:37]
	global_store_dword v[34:35], v40, off
	s_or_b64 exec, exec, s[26:27]
	s_and_b64 s[34:35], s[4:5], s[18:19]
	s_and_saveexec_b64 s[26:27], s[34:35]
	s_cbranch_execz .LBB94_125
.LBB94_135:
	s_and_b64 vcc, exec, s[0:1]
	s_cbranch_vccnz .LBB94_137
; %bb.136:
	v_lshl_add_u64 v[34:35], v[2:3], 2, v[38:39]
	global_load_dword v34, v[34:35], off
	s_waitcnt vmcnt(0)
	v_mul_f32_e32 v34, s28, v34
	s_branch .LBB94_138
.LBB94_137:
	v_mov_b32_e32 v34, 0
.LBB94_138:
	v_add_f32_e32 v32, v32, v33
	v_add_f32_e32 v34, v32, v34
	v_lshl_add_u64 v[32:33], v[2:3], 2, v[36:37]
	global_store_dword v[32:33], v34, off
	s_or_b64 exec, exec, s[26:27]
	s_and_b64 s[34:35], s[6:7], s[18:19]
	s_and_saveexec_b64 s[26:27], s[34:35]
	s_cbranch_execz .LBB94_126
.LBB94_139:
	s_and_b64 vcc, exec, s[0:1]
	s_cbranch_vccnz .LBB94_141
; %bb.140:
	v_lshl_add_u64 v[32:33], v[64:65], 2, v[38:39]
	global_load_dword v32, v[32:33], off
	s_waitcnt vmcnt(0)
	v_mul_f32_e32 v32, s28, v32
	s_branch .LBB94_142
.LBB94_141:
	v_mov_b32_e32 v32, 0
.LBB94_142:
	v_add_f32_e32 v30, v30, v31
	v_add_f32_e32 v32, v30, v32
	v_lshl_add_u64 v[30:31], v[64:65], 2, v[36:37]
	global_store_dword v[30:31], v32, off
	s_or_b64 exec, exec, s[26:27]
	s_and_b64 s[34:35], s[8:9], s[18:19]
	s_and_saveexec_b64 s[26:27], s[34:35]
	s_cbranch_execz .LBB94_127
.LBB94_143:
	s_and_b64 vcc, exec, s[0:1]
	s_cbranch_vccnz .LBB94_145
; %bb.144:
	v_lshl_add_u64 v[30:31], v[62:63], 2, v[38:39]
	global_load_dword v30, v[30:31], off
	s_waitcnt vmcnt(0)
	v_mul_f32_e32 v30, s28, v30
	s_branch .LBB94_146
.LBB94_145:
	v_mov_b32_e32 v30, 0
.LBB94_146:
	v_add_f32_e32 v28, v28, v29
	v_add_f32_e32 v30, v28, v30
	v_lshl_add_u64 v[28:29], v[62:63], 2, v[36:37]
	global_store_dword v[28:29], v30, off
	s_or_b64 exec, exec, s[26:27]
	s_and_b64 s[34:35], s[10:11], s[18:19]
	s_and_saveexec_b64 s[26:27], s[34:35]
	s_cbranch_execz .LBB94_128
.LBB94_147:
	s_and_b64 vcc, exec, s[0:1]
	s_cbranch_vccnz .LBB94_149
; %bb.148:
	v_lshl_add_u64 v[28:29], v[60:61], 2, v[38:39]
	global_load_dword v28, v[28:29], off
	s_waitcnt vmcnt(0)
	v_mul_f32_e32 v28, s28, v28
	s_branch .LBB94_150
.LBB94_149:
	v_mov_b32_e32 v28, 0
.LBB94_150:
	v_add_f32_e32 v26, v26, v27
	v_add_f32_e32 v28, v26, v28
	v_lshl_add_u64 v[26:27], v[60:61], 2, v[36:37]
	global_store_dword v[26:27], v28, off
	s_or_b64 exec, exec, s[26:27]
	s_and_b64 s[34:35], s[12:13], s[18:19]
	s_and_saveexec_b64 s[26:27], s[34:35]
	s_cbranch_execz .LBB94_129
.LBB94_151:
	s_and_b64 vcc, exec, s[0:1]
	s_cbranch_vccnz .LBB94_153
; %bb.152:
	v_lshl_add_u64 v[26:27], v[58:59], 2, v[38:39]
	global_load_dword v26, v[26:27], off
	s_waitcnt vmcnt(0)
	v_mul_f32_e32 v26, s28, v26
	s_branch .LBB94_154
.LBB94_153:
	v_mov_b32_e32 v26, 0
.LBB94_154:
	v_add_f32_e32 v24, v24, v25
	v_add_f32_e32 v26, v24, v26
	v_lshl_add_u64 v[24:25], v[58:59], 2, v[36:37]
	global_store_dword v[24:25], v26, off
	s_or_b64 exec, exec, s[26:27]
	s_and_b64 s[34:35], s[14:15], s[18:19]
	s_and_saveexec_b64 s[26:27], s[34:35]
	s_cbranch_execz .LBB94_130
.LBB94_155:
	s_and_b64 vcc, exec, s[0:1]
	s_cbranch_vccnz .LBB94_157
; %bb.156:
	v_lshl_add_u64 v[24:25], v[56:57], 2, v[38:39]
	global_load_dword v24, v[24:25], off
	s_waitcnt vmcnt(0)
	v_mul_f32_e32 v24, s28, v24
	s_branch .LBB94_158
.LBB94_157:
	v_mov_b32_e32 v24, 0
.LBB94_158:
	v_add_f32_e32 v22, v22, v23
	v_add_f32_e32 v24, v22, v24
	v_lshl_add_u64 v[22:23], v[56:57], 2, v[36:37]
	global_store_dword v[22:23], v24, off
	s_or_b64 exec, exec, s[26:27]
	s_and_b64 s[26:27], s[16:17], s[18:19]
	s_and_saveexec_b64 s[18:19], s[26:27]
	s_cbranch_execz .LBB94_163
.LBB94_159:
	s_and_b64 vcc, exec, s[0:1]
	s_cbranch_vccnz .LBB94_161
; %bb.160:
	v_lshl_add_u64 v[22:23], v[54:55], 2, v[38:39]
	global_load_dword v22, v[22:23], off
	s_waitcnt vmcnt(0)
	v_mul_f32_e32 v22, s28, v22
	s_branch .LBB94_162
.LBB94_161:
	v_mov_b32_e32 v22, 0
.LBB94_162:
	v_add_f32_e32 v20, v20, v21
	v_add_f32_e32 v22, v20, v22
	v_lshl_add_u64 v[20:21], v[54:55], 2, v[36:37]
	global_store_dword v[20:21], v22, off
.LBB94_163:
	s_or_b64 exec, exec, s[18:19]
	v_add_u32_e32 v24, 0x60, v72
	v_cmp_gt_i32_e64 s[18:19], s21, v24
	v_mad_i64_i32 v[20:21], s[20:21], v24, s30, 0
	v_lshl_add_u64 v[22:23], v[20:21], 2, s[24:25]
	v_mad_i64_i32 v[20:21], s[20:21], v24, s29, 0
	v_lshl_add_u64 v[20:21], v[20:21], 2, s[22:23]
	s_and_b64 s[20:21], s[2:3], s[18:19]
	s_and_saveexec_b64 s[2:3], s[20:21]
	s_cbranch_execnz .LBB94_172
; %bb.164:
	s_or_b64 exec, exec, s[2:3]
	s_and_b64 s[4:5], s[4:5], s[18:19]
	s_and_saveexec_b64 s[2:3], s[4:5]
	s_cbranch_execnz .LBB94_176
.LBB94_165:
	s_or_b64 exec, exec, s[2:3]
	s_and_b64 s[4:5], s[6:7], s[18:19]
	s_and_saveexec_b64 s[2:3], s[4:5]
	s_cbranch_execnz .LBB94_180
.LBB94_166:
	s_or_b64 exec, exec, s[2:3]
	s_and_b64 s[4:5], s[8:9], s[18:19]
	s_and_saveexec_b64 s[2:3], s[4:5]
	s_cbranch_execnz .LBB94_184
.LBB94_167:
	s_or_b64 exec, exec, s[2:3]
	s_and_b64 s[4:5], s[10:11], s[18:19]
	s_and_saveexec_b64 s[2:3], s[4:5]
	s_cbranch_execnz .LBB94_188
.LBB94_168:
	s_or_b64 exec, exec, s[2:3]
	s_and_b64 s[4:5], s[12:13], s[18:19]
	s_and_saveexec_b64 s[2:3], s[4:5]
	s_cbranch_execnz .LBB94_192
.LBB94_169:
	s_or_b64 exec, exec, s[2:3]
	s_and_b64 s[4:5], s[14:15], s[18:19]
	s_and_saveexec_b64 s[2:3], s[4:5]
	s_cbranch_execnz .LBB94_196
.LBB94_170:
	s_or_b64 exec, exec, s[2:3]
	s_and_b64 s[2:3], s[16:17], s[18:19]
	s_and_saveexec_b64 s[4:5], s[2:3]
	s_cbranch_execnz .LBB94_200
.LBB94_171:
	s_endpgm
.LBB94_172:
	s_and_b64 vcc, exec, s[0:1]
	s_cbranch_vccnz .LBB94_174
; %bb.173:
	v_lshl_add_u64 v[24:25], v[0:1], 2, v[22:23]
	global_load_dword v24, v[24:25], off
	s_waitcnt vmcnt(0)
	v_mul_f32_e32 v24, s28, v24
	s_branch .LBB94_175
.LBB94_174:
	v_mov_b32_e32 v24, 0
.LBB94_175:
	v_add_f32_e32 v18, v18, v19
	v_add_f32_e32 v18, v18, v24
	v_lshl_add_u64 v[0:1], v[0:1], 2, v[20:21]
	global_store_dword v[0:1], v18, off
	s_or_b64 exec, exec, s[2:3]
	s_and_b64 s[4:5], s[4:5], s[18:19]
	s_and_saveexec_b64 s[2:3], s[4:5]
	s_cbranch_execz .LBB94_165
.LBB94_176:
	s_and_b64 vcc, exec, s[0:1]
	s_cbranch_vccnz .LBB94_178
; %bb.177:
	v_lshl_add_u64 v[0:1], v[2:3], 2, v[22:23]
	global_load_dword v0, v[0:1], off
	s_waitcnt vmcnt(0)
	v_mul_f32_e32 v0, s28, v0
	s_branch .LBB94_179
.LBB94_178:
	v_mov_b32_e32 v0, 0
.LBB94_179:
	v_add_f32_e32 v1, v16, v17
	v_add_f32_e32 v16, v1, v0
	v_lshl_add_u64 v[0:1], v[2:3], 2, v[20:21]
	global_store_dword v[0:1], v16, off
	s_or_b64 exec, exec, s[2:3]
	s_and_b64 s[4:5], s[6:7], s[18:19]
	s_and_saveexec_b64 s[2:3], s[4:5]
	s_cbranch_execz .LBB94_166
.LBB94_180:
	s_and_b64 vcc, exec, s[0:1]
	s_cbranch_vccnz .LBB94_182
; %bb.181:
	v_lshl_add_u64 v[0:1], v[64:65], 2, v[22:23]
	global_load_dword v0, v[0:1], off
	s_waitcnt vmcnt(0)
	v_mul_f32_e32 v0, s28, v0
	s_branch .LBB94_183
.LBB94_182:
	v_mov_b32_e32 v0, 0
.LBB94_183:
	v_add_f32_e32 v1, v14, v15
	v_add_f32_e32 v2, v1, v0
	v_lshl_add_u64 v[0:1], v[64:65], 2, v[20:21]
	global_store_dword v[0:1], v2, off
	s_or_b64 exec, exec, s[2:3]
	s_and_b64 s[4:5], s[8:9], s[18:19]
	s_and_saveexec_b64 s[2:3], s[4:5]
	s_cbranch_execz .LBB94_167
.LBB94_184:
	s_and_b64 vcc, exec, s[0:1]
	s_cbranch_vccnz .LBB94_186
; %bb.185:
	v_lshl_add_u64 v[0:1], v[62:63], 2, v[22:23]
	global_load_dword v0, v[0:1], off
	s_waitcnt vmcnt(0)
	v_mul_f32_e32 v0, s28, v0
	s_branch .LBB94_187
.LBB94_186:
	v_mov_b32_e32 v0, 0
.LBB94_187:
	v_add_f32_e32 v1, v12, v13
	v_add_f32_e32 v2, v1, v0
	v_lshl_add_u64 v[0:1], v[62:63], 2, v[20:21]
	global_store_dword v[0:1], v2, off
	s_or_b64 exec, exec, s[2:3]
	s_and_b64 s[4:5], s[10:11], s[18:19]
	s_and_saveexec_b64 s[2:3], s[4:5]
	s_cbranch_execz .LBB94_168
.LBB94_188:
	s_and_b64 vcc, exec, s[0:1]
	s_cbranch_vccnz .LBB94_190
; %bb.189:
	v_lshl_add_u64 v[0:1], v[60:61], 2, v[22:23]
	global_load_dword v0, v[0:1], off
	s_waitcnt vmcnt(0)
	v_mul_f32_e32 v0, s28, v0
	s_branch .LBB94_191
.LBB94_190:
	v_mov_b32_e32 v0, 0
.LBB94_191:
	v_add_f32_e32 v1, v10, v11
	v_add_f32_e32 v2, v1, v0
	v_lshl_add_u64 v[0:1], v[60:61], 2, v[20:21]
	global_store_dword v[0:1], v2, off
	s_or_b64 exec, exec, s[2:3]
	s_and_b64 s[4:5], s[12:13], s[18:19]
	s_and_saveexec_b64 s[2:3], s[4:5]
	s_cbranch_execz .LBB94_169
.LBB94_192:
	s_and_b64 vcc, exec, s[0:1]
	s_cbranch_vccnz .LBB94_194
; %bb.193:
	v_lshl_add_u64 v[0:1], v[58:59], 2, v[22:23]
	global_load_dword v0, v[0:1], off
	s_waitcnt vmcnt(0)
	v_mul_f32_e32 v0, s28, v0
	s_branch .LBB94_195
.LBB94_194:
	v_mov_b32_e32 v0, 0
.LBB94_195:
	v_add_f32_e32 v1, v8, v9
	v_add_f32_e32 v2, v1, v0
	v_lshl_add_u64 v[0:1], v[58:59], 2, v[20:21]
	global_store_dword v[0:1], v2, off
	s_or_b64 exec, exec, s[2:3]
	s_and_b64 s[4:5], s[14:15], s[18:19]
	s_and_saveexec_b64 s[2:3], s[4:5]
	s_cbranch_execz .LBB94_170
.LBB94_196:
	s_and_b64 vcc, exec, s[0:1]
	s_cbranch_vccnz .LBB94_198
; %bb.197:
	v_lshl_add_u64 v[0:1], v[56:57], 2, v[22:23]
	global_load_dword v0, v[0:1], off
	s_waitcnt vmcnt(0)
	v_mul_f32_e32 v0, s28, v0
	s_branch .LBB94_199
.LBB94_198:
	v_mov_b32_e32 v0, 0
.LBB94_199:
	v_add_f32_e32 v1, v6, v7
	v_add_f32_e32 v2, v1, v0
	v_lshl_add_u64 v[0:1], v[56:57], 2, v[20:21]
	global_store_dword v[0:1], v2, off
	s_or_b64 exec, exec, s[2:3]
	s_and_b64 s[2:3], s[16:17], s[18:19]
	s_and_saveexec_b64 s[4:5], s[2:3]
	s_cbranch_execz .LBB94_171
.LBB94_200:
	s_and_b64 vcc, exec, s[0:1]
	s_cbranch_vccnz .LBB94_202
; %bb.201:
	v_lshl_add_u64 v[0:1], v[54:55], 2, v[22:23]
	global_load_dword v0, v[0:1], off
	s_waitcnt vmcnt(0)
	v_mul_f32_e32 v0, s28, v0
	s_branch .LBB94_203
.LBB94_202:
	v_mov_b32_e32 v0, 0
.LBB94_203:
	v_add_f32_e32 v1, v4, v5
	v_add_f32_e32 v2, v1, v0
	v_lshl_add_u64 v[0:1], v[54:55], 2, v[20:21]
	global_store_dword v[0:1], v2, off
	s_endpgm
	.section	.rodata,"a",@progbits
	.p2align	6, 0x0
	.amdhsa_kernel _ZN12_GLOBAL__N_120geam_min_plus_kernelIf15HIP_vector_typeIfLj2EES2_Li8ELi32ELi64ELi128ELi4ELi64ELi4ELi64ELi4ELc78ELc84ELb1ELb1ELb0EfKffEEviiiT16_PT17_ilS6_ilS4_S6_ilPT18_ili26rocblas_geam_ex_operation_
		.amdhsa_group_segment_fixed_size 6144
		.amdhsa_private_segment_fixed_size 0
		.amdhsa_kernarg_size 128
		.amdhsa_user_sgpr_count 2
		.amdhsa_user_sgpr_dispatch_ptr 0
		.amdhsa_user_sgpr_queue_ptr 0
		.amdhsa_user_sgpr_kernarg_segment_ptr 1
		.amdhsa_user_sgpr_dispatch_id 0
		.amdhsa_user_sgpr_kernarg_preload_length 0
		.amdhsa_user_sgpr_kernarg_preload_offset 0
		.amdhsa_user_sgpr_private_segment_size 0
		.amdhsa_uses_dynamic_stack 0
		.amdhsa_enable_private_segment 0
		.amdhsa_system_sgpr_workgroup_id_x 1
		.amdhsa_system_sgpr_workgroup_id_y 0
		.amdhsa_system_sgpr_workgroup_id_z 1
		.amdhsa_system_sgpr_workgroup_info 0
		.amdhsa_system_vgpr_workitem_id 1
		.amdhsa_next_free_vgpr 108
		.amdhsa_next_free_sgpr 36
		.amdhsa_accum_offset 108
		.amdhsa_reserve_vcc 1
		.amdhsa_float_round_mode_32 0
		.amdhsa_float_round_mode_16_64 0
		.amdhsa_float_denorm_mode_32 3
		.amdhsa_float_denorm_mode_16_64 3
		.amdhsa_dx10_clamp 1
		.amdhsa_ieee_mode 1
		.amdhsa_fp16_overflow 0
		.amdhsa_tg_split 0
		.amdhsa_exception_fp_ieee_invalid_op 0
		.amdhsa_exception_fp_denorm_src 0
		.amdhsa_exception_fp_ieee_div_zero 0
		.amdhsa_exception_fp_ieee_overflow 0
		.amdhsa_exception_fp_ieee_underflow 0
		.amdhsa_exception_fp_ieee_inexact 0
		.amdhsa_exception_int_div_zero 0
	.end_amdhsa_kernel
	.section	.text._ZN12_GLOBAL__N_120geam_min_plus_kernelIf15HIP_vector_typeIfLj2EES2_Li8ELi32ELi64ELi128ELi4ELi64ELi4ELi64ELi4ELc78ELc84ELb1ELb1ELb0EfKffEEviiiT16_PT17_ilS6_ilS4_S6_ilPT18_ili26rocblas_geam_ex_operation_,"axG",@progbits,_ZN12_GLOBAL__N_120geam_min_plus_kernelIf15HIP_vector_typeIfLj2EES2_Li8ELi32ELi64ELi128ELi4ELi64ELi4ELi64ELi4ELc78ELc84ELb1ELb1ELb0EfKffEEviiiT16_PT17_ilS6_ilS4_S6_ilPT18_ili26rocblas_geam_ex_operation_,comdat
.Lfunc_end94:
	.size	_ZN12_GLOBAL__N_120geam_min_plus_kernelIf15HIP_vector_typeIfLj2EES2_Li8ELi32ELi64ELi128ELi4ELi64ELi4ELi64ELi4ELc78ELc84ELb1ELb1ELb0EfKffEEviiiT16_PT17_ilS6_ilS4_S6_ilPT18_ili26rocblas_geam_ex_operation_, .Lfunc_end94-_ZN12_GLOBAL__N_120geam_min_plus_kernelIf15HIP_vector_typeIfLj2EES2_Li8ELi32ELi64ELi128ELi4ELi64ELi4ELi64ELi4ELc78ELc84ELb1ELb1ELb0EfKffEEviiiT16_PT17_ilS6_ilS4_S6_ilPT18_ili26rocblas_geam_ex_operation_
                                        ; -- End function
	.set _ZN12_GLOBAL__N_120geam_min_plus_kernelIf15HIP_vector_typeIfLj2EES2_Li8ELi32ELi64ELi128ELi4ELi64ELi4ELi64ELi4ELc78ELc84ELb1ELb1ELb0EfKffEEviiiT16_PT17_ilS6_ilS4_S6_ilPT18_ili26rocblas_geam_ex_operation_.num_vgpr, 108
	.set _ZN12_GLOBAL__N_120geam_min_plus_kernelIf15HIP_vector_typeIfLj2EES2_Li8ELi32ELi64ELi128ELi4ELi64ELi4ELi64ELi4ELc78ELc84ELb1ELb1ELb0EfKffEEviiiT16_PT17_ilS6_ilS4_S6_ilPT18_ili26rocblas_geam_ex_operation_.num_agpr, 0
	.set _ZN12_GLOBAL__N_120geam_min_plus_kernelIf15HIP_vector_typeIfLj2EES2_Li8ELi32ELi64ELi128ELi4ELi64ELi4ELi64ELi4ELc78ELc84ELb1ELb1ELb0EfKffEEviiiT16_PT17_ilS6_ilS4_S6_ilPT18_ili26rocblas_geam_ex_operation_.numbered_sgpr, 36
	.set _ZN12_GLOBAL__N_120geam_min_plus_kernelIf15HIP_vector_typeIfLj2EES2_Li8ELi32ELi64ELi128ELi4ELi64ELi4ELi64ELi4ELc78ELc84ELb1ELb1ELb0EfKffEEviiiT16_PT17_ilS6_ilS4_S6_ilPT18_ili26rocblas_geam_ex_operation_.num_named_barrier, 0
	.set _ZN12_GLOBAL__N_120geam_min_plus_kernelIf15HIP_vector_typeIfLj2EES2_Li8ELi32ELi64ELi128ELi4ELi64ELi4ELi64ELi4ELc78ELc84ELb1ELb1ELb0EfKffEEviiiT16_PT17_ilS6_ilS4_S6_ilPT18_ili26rocblas_geam_ex_operation_.private_seg_size, 0
	.set _ZN12_GLOBAL__N_120geam_min_plus_kernelIf15HIP_vector_typeIfLj2EES2_Li8ELi32ELi64ELi128ELi4ELi64ELi4ELi64ELi4ELc78ELc84ELb1ELb1ELb0EfKffEEviiiT16_PT17_ilS6_ilS4_S6_ilPT18_ili26rocblas_geam_ex_operation_.uses_vcc, 1
	.set _ZN12_GLOBAL__N_120geam_min_plus_kernelIf15HIP_vector_typeIfLj2EES2_Li8ELi32ELi64ELi128ELi4ELi64ELi4ELi64ELi4ELc78ELc84ELb1ELb1ELb0EfKffEEviiiT16_PT17_ilS6_ilS4_S6_ilPT18_ili26rocblas_geam_ex_operation_.uses_flat_scratch, 0
	.set _ZN12_GLOBAL__N_120geam_min_plus_kernelIf15HIP_vector_typeIfLj2EES2_Li8ELi32ELi64ELi128ELi4ELi64ELi4ELi64ELi4ELc78ELc84ELb1ELb1ELb0EfKffEEviiiT16_PT17_ilS6_ilS4_S6_ilPT18_ili26rocblas_geam_ex_operation_.has_dyn_sized_stack, 0
	.set _ZN12_GLOBAL__N_120geam_min_plus_kernelIf15HIP_vector_typeIfLj2EES2_Li8ELi32ELi64ELi128ELi4ELi64ELi4ELi64ELi4ELc78ELc84ELb1ELb1ELb0EfKffEEviiiT16_PT17_ilS6_ilS4_S6_ilPT18_ili26rocblas_geam_ex_operation_.has_recursion, 0
	.set _ZN12_GLOBAL__N_120geam_min_plus_kernelIf15HIP_vector_typeIfLj2EES2_Li8ELi32ELi64ELi128ELi4ELi64ELi4ELi64ELi4ELc78ELc84ELb1ELb1ELb0EfKffEEviiiT16_PT17_ilS6_ilS4_S6_ilPT18_ili26rocblas_geam_ex_operation_.has_indirect_call, 0
	.section	.AMDGPU.csdata,"",@progbits
; Kernel info:
; codeLenInByte = 7824
; TotalNumSgprs: 42
; NumVgprs: 108
; NumAgprs: 0
; TotalNumVgprs: 108
; ScratchSize: 0
; MemoryBound: 0
; FloatMode: 240
; IeeeMode: 1
; LDSByteSize: 6144 bytes/workgroup (compile time only)
; SGPRBlocks: 5
; VGPRBlocks: 13
; NumSGPRsForWavesPerEU: 42
; NumVGPRsForWavesPerEU: 108
; AccumOffset: 108
; Occupancy: 4
; WaveLimiterHint : 0
; COMPUTE_PGM_RSRC2:SCRATCH_EN: 0
; COMPUTE_PGM_RSRC2:USER_SGPR: 2
; COMPUTE_PGM_RSRC2:TRAP_HANDLER: 0
; COMPUTE_PGM_RSRC2:TGID_X_EN: 1
; COMPUTE_PGM_RSRC2:TGID_Y_EN: 0
; COMPUTE_PGM_RSRC2:TGID_Z_EN: 1
; COMPUTE_PGM_RSRC2:TIDIG_COMP_CNT: 1
; COMPUTE_PGM_RSRC3_GFX90A:ACCUM_OFFSET: 26
; COMPUTE_PGM_RSRC3_GFX90A:TG_SPLIT: 0
	.section	.text._ZN12_GLOBAL__N_120geam_min_plus_kernelIf15HIP_vector_typeIfLj2EES2_Li8ELi32ELi64ELi128ELi4ELi64ELi4ELi64ELi4ELc78ELc84ELb0ELb1ELb0EfKffEEviiiT16_PT17_ilS6_ilS4_S6_ilPT18_ili26rocblas_geam_ex_operation_,"axG",@progbits,_ZN12_GLOBAL__N_120geam_min_plus_kernelIf15HIP_vector_typeIfLj2EES2_Li8ELi32ELi64ELi128ELi4ELi64ELi4ELi64ELi4ELc78ELc84ELb0ELb1ELb0EfKffEEviiiT16_PT17_ilS6_ilS4_S6_ilPT18_ili26rocblas_geam_ex_operation_,comdat
	.globl	_ZN12_GLOBAL__N_120geam_min_plus_kernelIf15HIP_vector_typeIfLj2EES2_Li8ELi32ELi64ELi128ELi4ELi64ELi4ELi64ELi4ELc78ELc84ELb0ELb1ELb0EfKffEEviiiT16_PT17_ilS6_ilS4_S6_ilPT18_ili26rocblas_geam_ex_operation_ ; -- Begin function _ZN12_GLOBAL__N_120geam_min_plus_kernelIf15HIP_vector_typeIfLj2EES2_Li8ELi32ELi64ELi128ELi4ELi64ELi4ELi64ELi4ELc78ELc84ELb0ELb1ELb0EfKffEEviiiT16_PT17_ilS6_ilS4_S6_ilPT18_ili26rocblas_geam_ex_operation_
	.p2align	8
	.type	_ZN12_GLOBAL__N_120geam_min_plus_kernelIf15HIP_vector_typeIfLj2EES2_Li8ELi32ELi64ELi128ELi4ELi64ELi4ELi64ELi4ELc78ELc84ELb0ELb1ELb0EfKffEEviiiT16_PT17_ilS6_ilS4_S6_ilPT18_ili26rocblas_geam_ex_operation_,@function
_ZN12_GLOBAL__N_120geam_min_plus_kernelIf15HIP_vector_typeIfLj2EES2_Li8ELi32ELi64ELi128ELi4ELi64ELi4ELi64ELi4ELc78ELc84ELb0ELb1ELb0EfKffEEviiiT16_PT17_ilS6_ilS4_S6_ilPT18_ili26rocblas_geam_ex_operation_: ; @_ZN12_GLOBAL__N_120geam_min_plus_kernelIf15HIP_vector_typeIfLj2EES2_Li8ELi32ELi64ELi128ELi4ELi64ELi4ELi64ELi4ELc78ELc84ELb0ELb1ELb0EfKffEEviiiT16_PT17_ilS6_ilS4_S6_ilPT18_ili26rocblas_geam_ex_operation_
; %bb.0:
	s_load_dwordx4 s[20:23], s[0:1], 0x0
	s_load_dwordx4 s[4:7], s[0:1], 0x20
	s_waitcnt lgkmcnt(0)
	v_cmp_eq_f32_e64 s[8:9], s23, 0
	v_cmp_neq_f32_e64 s[14:15], s23, 0
	s_and_b64 vcc, exec, s[8:9]
	s_cbranch_vccnz .LBB95_45
; %bb.1:
	s_load_dwordx2 s[10:11], s[0:1], 0x10
	s_mul_i32 s5, s5, s3
	s_mul_hi_u32 s12, s4, s3
	s_add_i32 s5, s12, s5
	s_mul_i32 s4, s4, s3
	s_lshl_b64 s[4:5], s[4:5], 2
	s_waitcnt lgkmcnt(0)
	s_add_u32 s26, s10, s4
	s_addc_u32 s27, s11, s5
	s_andn2_b64 vcc, exec, s[8:9]
	s_mov_b64 s[4:5], -1
	s_cbranch_vccnz .LBB95_3
.LBB95_2:
	s_mov_b64 s[4:5], 0
.LBB95_3:
	s_mov_b64 s[24:25], 0
	s_andn2_b64 vcc, exec, s[4:5]
	s_mov_b64 s[16:17], 0
	s_cbranch_vccnz .LBB95_5
; %bb.4:
	s_load_dwordx2 s[4:5], s[0:1], 0x38
	s_waitcnt lgkmcnt(0)
	s_mul_i32 s5, s5, s3
	s_mul_hi_u32 s8, s4, s3
	s_add_i32 s5, s8, s5
	s_mul_i32 s4, s4, s3
	s_lshl_b64 s[4:5], s[4:5], 2
	s_add_u32 s16, s6, s4
	s_addc_u32 s17, s7, s5
.LBB95_5:
	s_load_dword s30, s[0:1], 0x40
	s_load_dwordx4 s[8:11], s[0:1], 0x58
	s_waitcnt lgkmcnt(0)
	v_cmp_eq_f32_e64 s[4:5], s30, 0
	v_cmp_neq_f32_e64 s[12:13], s30, 0
	s_and_b64 vcc, exec, s[4:5]
	s_cbranch_vccnz .LBB95_7
; %bb.6:
	s_load_dwordx2 s[4:5], s[0:1], 0x48
	s_mul_i32 s6, s9, s3
	s_mul_hi_u32 s7, s8, s3
	s_add_i32 s7, s7, s6
	s_mul_i32 s6, s8, s3
	s_lshl_b64 s[6:7], s[6:7], 2
	s_waitcnt lgkmcnt(0)
	s_add_u32 s24, s4, s6
	s_addc_u32 s25, s5, s7
.LBB95_7:
	s_add_i32 s4, s20, -1
	s_ashr_i32 s5, s4, 31
	s_lshr_b32 s5, s5, 26
	s_add_i32 s4, s4, s5
	s_ashr_i32 s4, s4, 6
	s_add_i32 s5, s4, 1
	v_cvt_f32_u32_e32 v1, s5
	s_not_b32 s4, s4
	s_load_dword s33, s[0:1], 0x18
	v_and_b32_e32 v72, 0x3ff, v0
	v_rcp_iflag_f32_e32 v1, v1
	v_bfe_u32 v73, v0, 10, 10
	v_lshl_add_u32 v0, v73, 3, v72
	s_waitcnt lgkmcnt(0)
	s_ashr_i32 s34, s33, 31
	v_mul_f32_e32 v1, 0x4f7ffffe, v1
	v_cvt_u32_f32_e32 v1, v1
	v_and_b32_e32 v79, 63, v0
	v_lshrrev_b32_e32 v74, 6, v0
	v_cmp_gt_i32_e32 vcc, s22, v74
	v_readfirstlane_b32 s6, v1
	s_mul_i32 s4, s4, s6
	s_mul_hi_u32 s4, s6, s4
	s_add_i32 s6, s6, s4
	s_mul_hi_u32 s4, s2, s6
	s_mul_i32 s6, s4, s5
	s_sub_i32 s6, s2, s6
	s_add_i32 s7, s4, 1
	s_sub_i32 s8, s6, s5
	s_cmp_ge_u32 s6, s5
	s_cselect_b32 s4, s7, s4
	s_cselect_b32 s6, s8, s6
	s_add_i32 s7, s4, 1
	s_cmp_ge_u32 s6, s5
	s_cselect_b32 s6, s7, s4
	s_mul_i32 s4, s6, s5
	s_sub_i32 s2, s2, s4
	s_lshl_b32 s2, s2, 6
	v_or_b32_e32 v70, s2, v79
	v_cmp_gt_i32_e64 s[8:9], s20, v70
	s_and_b64 s[4:5], vcc, s[8:9]
	s_and_b64 s[18:19], s[14:15], s[4:5]
	v_mov_b32_e32 v2, 0
	v_ashrrev_i32_e32 v71, 31, v70
	v_mov_b32_e32 v3, 0
	s_and_saveexec_b64 s[4:5], s[18:19]
	s_cbranch_execz .LBB95_9
; %bb.8:
	v_mad_i64_i32 v[0:1], s[18:19], s33, v74, 0
	v_lshl_add_u64 v[0:1], v[0:1], 2, s[26:27]
	v_lshl_add_u64 v[0:1], v[70:71], 2, v[0:1]
	global_load_dword v0, v[0:1], off
	s_waitcnt vmcnt(0)
	v_mul_f32_e32 v3, s23, v0
.LBB95_9:
	s_or_b64 exec, exec, s[4:5]
	s_load_dword s35, s[0:1], 0x30
	s_add_i32 s36, s22, -1
	s_lshl_b32 s31, s6, 7
	v_min_i32_e32 v0, s36, v74
	v_or_b32_e32 v68, s31, v79
	s_waitcnt lgkmcnt(0)
	v_mad_i64_i32 v[0:1], s[4:5], s35, v0, 0
	v_cmp_le_i32_e32 vcc, s22, v74
	v_cmp_le_i32_e64 s[4:5], s21, v68
	s_or_b64 s[6:7], vcc, s[4:5]
	s_xor_b64 s[18:19], s[14:15], -1
	v_lshl_add_u64 v[0:1], v[0:1], 2, s[16:17]
	s_nor_b64 s[28:29], s[6:7], s[18:19]
	v_ashrrev_i32_e32 v69, 31, v68
	s_and_saveexec_b64 s[6:7], s[28:29]
	s_cbranch_execz .LBB95_11
; %bb.10:
	v_lshl_add_u64 v[4:5], v[68:69], 2, v[0:1]
	global_load_dword v2, v[4:5], off
	s_waitcnt vmcnt(0)
	v_mul_f32_e32 v2, s23, v2
.LBB95_11:
	s_or_b64 exec, exec, s[6:7]
	v_or_b32_e32 v4, 64, v68
	v_cmp_le_i32_e64 s[6:7], s21, v4
	s_or_b64 s[28:29], vcc, s[6:7]
	s_nor_b64 s[38:39], s[28:29], s[18:19]
	v_mov_b32_e32 v80, 0
	v_mov_b32_e32 v4, 0
	s_and_saveexec_b64 s[28:29], s[38:39]
	s_cbranch_execz .LBB95_13
; %bb.12:
	v_lshl_add_u64 v[0:1], v[68:69], 2, v[0:1]
	global_load_dword v0, v[0:1], off offset:256
	s_waitcnt vmcnt(0)
	v_mul_f32_e32 v4, s23, v0
.LBB95_13:
	s_or_b64 exec, exec, s[28:29]
	v_add_u32_e32 v0, 4, v74
	v_cmp_gt_i32_e32 vcc, s22, v0
	s_and_b64 s[28:29], s[8:9], vcc
	s_and_b64 s[38:39], s[14:15], s[28:29]
	s_and_saveexec_b64 s[28:29], s[38:39]
	s_cbranch_execz .LBB95_15
; %bb.14:
	v_mad_u64_u32 v[6:7], s[38:39], s33, v0, 0
	v_mov_b32_e32 v8, v7
	v_mad_u64_u32 v[8:9], s[38:39], s34, v0, v[8:9]
	v_mov_b32_e32 v7, v8
	v_lshl_add_u64 v[6:7], v[6:7], 2, s[26:27]
	v_lshl_add_u64 v[6:7], v[70:71], 2, v[6:7]
	global_load_dword v1, v[6:7], off
	s_waitcnt vmcnt(0)
	v_mul_f32_e32 v80, s23, v1
.LBB95_15:
	s_or_b64 exec, exec, s[28:29]
	v_cmp_le_i32_e32 vcc, s22, v0
	v_min_i32_e32 v0, s36, v0
	v_mad_i64_i32 v[0:1], s[28:29], s35, v0, 0
	s_or_b64 s[28:29], s[4:5], vcc
	v_lshl_add_u64 v[0:1], v[0:1], 2, s[16:17]
	s_nor_b64 s[38:39], s[28:29], s[18:19]
	v_mov_b32_e32 v81, 0
	v_mov_b32_e32 v82, 0
	s_and_saveexec_b64 s[28:29], s[38:39]
	s_cbranch_execz .LBB95_17
; %bb.16:
	v_lshl_add_u64 v[6:7], v[68:69], 2, v[0:1]
	global_load_dword v5, v[6:7], off
	s_waitcnt vmcnt(0)
	v_mul_f32_e32 v82, s23, v5
.LBB95_17:
	s_or_b64 exec, exec, s[28:29]
	s_or_b64 s[28:29], s[6:7], vcc
	s_nor_b64 s[38:39], s[28:29], s[18:19]
	s_and_saveexec_b64 s[28:29], s[38:39]
	s_cbranch_execz .LBB95_19
; %bb.18:
	v_lshl_add_u64 v[0:1], v[68:69], 2, v[0:1]
	global_load_dword v0, v[0:1], off offset:256
	s_waitcnt vmcnt(0)
	v_mul_f32_e32 v81, s23, v0
.LBB95_19:
	s_or_b64 exec, exec, s[28:29]
	v_lshlrev_b32_e32 v0, 4, v79
	v_lshl_add_u32 v75, v74, 2, v0
	v_mov_b32_e32 v0, 0x1000
	v_mov_b32_e32 v66, 0
	ds_write_b32 v75, v3 offset:4096
	ds_write2st64_b32 v75, v2, v4 offset1:4
	v_lshl_add_u32 v76, v72, 4, v0
	s_mov_b32 s37, 0
	s_mov_b64 s[28:29], -1
	v_mov_b32_e32 v67, v66
	v_mov_b32_e32 v64, v66
	;; [unrolled: 1-line block ×63, first 2 shown]
	v_or_b32_e32 v77, 0x1000, v75
	v_lshlrev_b32_e32 v78, 4, v73
	s_waitcnt lgkmcnt(0)
	s_barrier
.LBB95_20:                              ; =>This Inner Loop Header: Depth=1
	v_cndmask_b32_e64 v0, 0, 1, s[28:29]
	s_lshl_b32 s28, s37, 2
	v_cmp_ne_u32_e32 vcc, 1, v0
	v_add_u32_e32 v0, s28, v76
	ds_read2_b64 v[84:87], v0 offset1:16
	ds_read2_b64 v[88:91], v0 offset0:32 offset1:48
	ds_read2_b64 v[92:95], v0 offset0:64 offset1:80
	;; [unrolled: 1-line block ×3, first 2 shown]
	v_add_u32_e32 v0, s28, v78
	ds_read2st64_b64 v[100:103], v0 offset1:1
	ds_read2st64_b64 v[0:3], v0 offset0:2 offset1:3
	s_waitcnt lgkmcnt(5)
	v_max_f32_e32 v104, v85, v85
	v_max_f32_e32 v86, v86, v86
	v_max_f32_e32 v87, v87, v87
	s_waitcnt lgkmcnt(1)
	v_max_f32_e32 v83, v100, v100
	v_max_f32_e32 v100, v84, v84
	;; [unrolled: 1-line block ×3, first 2 shown]
	v_min_f32_e32 v84, v100, v83
	v_min_f32_e32 v85, v104, v101
	v_pk_add_f32 v[66:67], v[66:67], v[84:85]
	v_min_f32_e32 v84, v86, v83
	v_min_f32_e32 v85, v87, v101
	v_max_f32_e32 v88, v88, v88
	v_max_f32_e32 v89, v89, v89
	v_pk_add_f32 v[64:65], v[64:65], v[84:85]
	v_min_f32_e32 v84, v88, v83
	v_min_f32_e32 v85, v89, v101
	v_max_f32_e32 v90, v90, v90
	v_max_f32_e32 v91, v91, v91
	;; [unrolled: 5-line block ×5, first 2 shown]
	v_pk_add_f32 v[56:57], v[56:57], v[84:85]
	v_min_f32_e32 v84, v96, v83
	v_min_f32_e32 v85, v97, v101
	v_max_f32_e32 v98, v98, v98
	v_pk_add_f32 v[54:55], v[54:55], v[84:85]
	v_min_f32_e32 v84, v98, v83
	v_max_f32_e32 v83, v99, v99
	v_min_f32_e32 v85, v83, v101
	v_max_f32_e32 v99, v102, v102
	v_max_f32_e32 v101, v103, v103
	v_pk_add_f32 v[52:53], v[52:53], v[84:85]
	v_min_f32_e32 v84, v100, v99
	v_min_f32_e32 v85, v104, v101
	v_pk_add_f32 v[50:51], v[50:51], v[84:85]
	v_min_f32_e32 v84, v86, v99
	v_min_f32_e32 v85, v87, v101
	;; [unrolled: 3-line block ×8, first 2 shown]
	v_pk_add_f32 v[36:37], v[36:37], v[84:85]
	s_waitcnt lgkmcnt(0)
	v_max_f32_e32 v84, v0, v0
	v_max_f32_e32 v85, v1, v1
	v_min_f32_e32 v0, v100, v84
	v_min_f32_e32 v1, v104, v85
	v_pk_add_f32 v[34:35], v[34:35], v[0:1]
	v_min_f32_e32 v0, v86, v84
	v_min_f32_e32 v1, v87, v85
	v_pk_add_f32 v[32:33], v[32:33], v[0:1]
	;; [unrolled: 3-line block ×7, first 2 shown]
	v_min_f32_e32 v0, v98, v84
	v_min_f32_e32 v1, v83, v85
	v_max_f32_e32 v2, v2, v2
	v_max_f32_e32 v3, v3, v3
	v_pk_add_f32 v[20:21], v[20:21], v[0:1]
	v_min_f32_e32 v0, v100, v2
	v_min_f32_e32 v1, v104, v3
	v_pk_add_f32 v[18:19], v[18:19], v[0:1]
	v_min_f32_e32 v0, v86, v2
	v_min_f32_e32 v1, v87, v3
	;; [unrolled: 3-line block ×8, first 2 shown]
	v_pk_add_f32 v[4:5], v[4:5], v[0:1]
	s_mov_b64 s[28:29], 0
	s_mov_b32 s37, 2
	s_cbranch_vccz .LBB95_20
; %bb.21:
	v_lshlrev_b32_e32 v0, 2, v74
	v_lshl_add_u32 v0, v79, 4, v0
	s_cmp_lt_i32 s22, 9
	ds_write_b32 v0, v80 offset:5120
	ds_write2st64_b32 v0, v82, v81 offset0:8 offset1:12
	s_waitcnt lgkmcnt(0)
	s_barrier
	s_cbranch_scc1 .LBB95_40
; %bb.22:
	v_add_u32_e32 v79, 0x1400, v0
	v_or_b32_e32 v80, 0x800, v0
	v_mov_b32_e32 v0, 0x1400
	v_lshl_add_u32 v81, v72, 4, v0
	v_mov_b32_e32 v0, 0x800
	s_add_i32 s28, s22, -8
	v_lshl_add_u64 v[70:71], v[70:71], 2, s[26:27]
	v_lshl_add_u32 v82, v73, 4, v0
	s_mov_b32 s29, 8
	s_mov_b32 s37, 0
.LBB95_23:                              ; =>This Loop Header: Depth=1
                                        ;     Child Loop BB95_30 Depth 2
                                        ;     Child Loop BB95_38 Depth 2
	v_add_u32_e32 v0, s29, v74
	v_cmp_gt_i32_e32 vcc, s22, v0
	s_and_b64 s[26:27], s[8:9], vcc
	s_and_b64 s[38:39], s[14:15], s[26:27]
	v_mov_b32_e32 v83, 0
	v_mov_b32_e32 v84, 0
	s_and_saveexec_b64 s[26:27], s[38:39]
	s_cbranch_execz .LBB95_25
; %bb.24:                               ;   in Loop: Header=BB95_23 Depth=1
	v_mad_u64_u32 v[2:3], s[38:39], v0, s33, 0
	v_mov_b32_e32 v84, v3
	v_mad_u64_u32 v[84:85], s[38:39], v0, s34, v[84:85]
	v_mov_b32_e32 v3, v84
	v_lshl_add_u64 v[2:3], v[2:3], 2, v[70:71]
	global_load_dword v1, v[2:3], off
	s_waitcnt vmcnt(0)
	v_mul_f32_e32 v84, s23, v1
.LBB95_25:                              ;   in Loop: Header=BB95_23 Depth=1
	s_or_b64 exec, exec, s[26:27]
	v_cmp_le_i32_e32 vcc, s22, v0
	v_min_i32_e32 v0, s36, v0
	v_mad_i64_i32 v[0:1], s[26:27], v0, s35, 0
	v_lshl_add_u64 v[0:1], v[0:1], 2, s[16:17]
	s_or_b64 s[26:27], s[4:5], vcc
	s_nor_b64 s[38:39], s[26:27], s[18:19]
	v_lshl_add_u64 v[0:1], v[68:69], 2, v[0:1]
	s_and_saveexec_b64 s[26:27], s[38:39]
	s_cbranch_execz .LBB95_27
; %bb.26:                               ;   in Loop: Header=BB95_23 Depth=1
	global_load_dword v2, v[0:1], off
	s_waitcnt vmcnt(0)
	v_mul_f32_e32 v83, s23, v2
.LBB95_27:                              ;   in Loop: Header=BB95_23 Depth=1
	s_or_b64 exec, exec, s[26:27]
	s_or_b64 s[26:27], s[6:7], vcc
	s_nor_b64 s[38:39], s[26:27], s[18:19]
	v_mov_b32_e32 v85, 0
	s_and_saveexec_b64 s[26:27], s[38:39]
	s_cbranch_execz .LBB95_29
; %bb.28:                               ;   in Loop: Header=BB95_23 Depth=1
	global_load_dword v0, v[0:1], off offset:256
	s_waitcnt vmcnt(0)
	v_mul_f32_e32 v85, s23, v0
.LBB95_29:                              ;   in Loop: Header=BB95_23 Depth=1
	s_or_b64 exec, exec, s[26:27]
	s_mov_b32 s38, 0
	s_mov_b64 s[26:27], -1
.LBB95_30:                              ;   Parent Loop BB95_23 Depth=1
                                        ; =>  This Inner Loop Header: Depth=2
	v_cndmask_b32_e64 v0, 0, 1, s[26:27]
	s_lshl_b32 s26, s38, 2
	v_cmp_ne_u32_e32 vcc, 1, v0
	v_add_u32_e32 v0, s26, v81
	ds_read2_b64 v[86:89], v0 offset1:16
	ds_read2_b64 v[90:93], v0 offset0:32 offset1:48
	ds_read2_b64 v[94:97], v0 offset0:64 offset1:80
	;; [unrolled: 1-line block ×3, first 2 shown]
	v_add_u32_e32 v0, s26, v82
	ds_read2st64_b64 v[102:105], v0 offset1:1
	ds_read2st64_b64 v[0:3], v0 offset0:2 offset1:3
	s_waitcnt lgkmcnt(5)
	v_max_f32_e32 v106, v86, v86
	v_max_f32_e32 v107, v87, v87
	;; [unrolled: 1-line block ×3, first 2 shown]
	s_waitcnt lgkmcnt(1)
	v_max_f32_e32 v102, v102, v102
	v_max_f32_e32 v103, v103, v103
	v_min_f32_e32 v86, v106, v102
	v_min_f32_e32 v87, v107, v103
	v_max_f32_e32 v89, v89, v89
	v_pk_add_f32 v[66:67], v[66:67], v[86:87]
	v_min_f32_e32 v86, v88, v102
	v_min_f32_e32 v87, v89, v103
	v_max_f32_e32 v90, v90, v90
	v_max_f32_e32 v91, v91, v91
	v_pk_add_f32 v[64:65], v[64:65], v[86:87]
	v_min_f32_e32 v86, v90, v102
	v_min_f32_e32 v87, v91, v103
	v_max_f32_e32 v92, v92, v92
	;; [unrolled: 5-line block ×7, first 2 shown]
	v_max_f32_e32 v103, v105, v105
	v_pk_add_f32 v[52:53], v[52:53], v[86:87]
	v_min_f32_e32 v86, v106, v102
	v_min_f32_e32 v87, v107, v103
	v_pk_add_f32 v[50:51], v[50:51], v[86:87]
	v_min_f32_e32 v86, v88, v102
	v_min_f32_e32 v87, v89, v103
	;; [unrolled: 3-line block ×8, first 2 shown]
	v_pk_add_f32 v[36:37], v[36:37], v[86:87]
	s_waitcnt lgkmcnt(0)
	v_max_f32_e32 v86, v0, v0
	v_max_f32_e32 v87, v1, v1
	v_min_f32_e32 v0, v106, v86
	v_min_f32_e32 v1, v107, v87
	v_pk_add_f32 v[34:35], v[34:35], v[0:1]
	v_min_f32_e32 v0, v88, v86
	v_min_f32_e32 v1, v89, v87
	v_pk_add_f32 v[32:33], v[32:33], v[0:1]
	;; [unrolled: 3-line block ×7, first 2 shown]
	v_min_f32_e32 v0, v100, v86
	v_min_f32_e32 v1, v101, v87
	v_max_f32_e32 v2, v2, v2
	v_max_f32_e32 v3, v3, v3
	v_pk_add_f32 v[20:21], v[20:21], v[0:1]
	v_min_f32_e32 v0, v106, v2
	v_min_f32_e32 v1, v107, v3
	v_pk_add_f32 v[18:19], v[18:19], v[0:1]
	v_min_f32_e32 v0, v88, v2
	v_min_f32_e32 v1, v89, v3
	;; [unrolled: 3-line block ×8, first 2 shown]
	v_pk_add_f32 v[4:5], v[4:5], v[0:1]
	s_mov_b64 s[26:27], 0
	s_mov_b32 s38, 2
	s_cbranch_vccz .LBB95_30
; %bb.31:                               ;   in Loop: Header=BB95_23 Depth=1
	v_add3_u32 v0, v74, s29, 4
	v_cmp_gt_i32_e32 vcc, s22, v0
	s_and_b64 s[26:27], s[8:9], vcc
	ds_write_b32 v77, v84
	ds_write2st64_b32 v75, v83, v85 offset1:4
	s_and_b64 s[38:39], s[14:15], s[26:27]
	v_mov_b32_e32 v83, 0
	v_mov_b32_e32 v84, 0
	s_waitcnt lgkmcnt(0)
	s_barrier
	s_and_saveexec_b64 s[26:27], s[38:39]
	s_cbranch_execz .LBB95_33
; %bb.32:                               ;   in Loop: Header=BB95_23 Depth=1
	v_mad_u64_u32 v[2:3], s[38:39], v0, s33, 0
	v_mov_b32_e32 v84, v3
	v_mad_u64_u32 v[84:85], s[38:39], v0, s34, v[84:85]
	v_mov_b32_e32 v3, v84
	v_lshl_add_u64 v[2:3], v[2:3], 2, v[70:71]
	global_load_dword v1, v[2:3], off
	s_waitcnt vmcnt(0)
	v_mul_f32_e32 v84, s23, v1
.LBB95_33:                              ;   in Loop: Header=BB95_23 Depth=1
	s_or_b64 exec, exec, s[26:27]
	v_cmp_le_i32_e32 vcc, s22, v0
	v_min_i32_e32 v0, s36, v0
	v_mad_i64_i32 v[0:1], s[26:27], v0, s35, 0
	v_lshl_add_u64 v[0:1], v[0:1], 2, s[16:17]
	s_or_b64 s[26:27], s[4:5], vcc
	s_nor_b64 s[38:39], s[26:27], s[18:19]
	v_lshl_add_u64 v[0:1], v[68:69], 2, v[0:1]
	s_and_saveexec_b64 s[26:27], s[38:39]
	s_cbranch_execz .LBB95_35
; %bb.34:                               ;   in Loop: Header=BB95_23 Depth=1
	global_load_dword v2, v[0:1], off
	s_waitcnt vmcnt(0)
	v_mul_f32_e32 v83, s23, v2
.LBB95_35:                              ;   in Loop: Header=BB95_23 Depth=1
	s_or_b64 exec, exec, s[26:27]
	s_or_b64 s[26:27], s[6:7], vcc
	s_nor_b64 s[38:39], s[26:27], s[18:19]
	v_mov_b32_e32 v85, 0
	s_and_saveexec_b64 s[26:27], s[38:39]
	s_cbranch_execz .LBB95_37
; %bb.36:                               ;   in Loop: Header=BB95_23 Depth=1
	global_load_dword v0, v[0:1], off offset:256
	s_waitcnt vmcnt(0)
	v_mul_f32_e32 v85, s23, v0
.LBB95_37:                              ;   in Loop: Header=BB95_23 Depth=1
	s_or_b64 exec, exec, s[26:27]
	s_mov_b32 s38, 0
	s_mov_b64 s[26:27], -1
.LBB95_38:                              ;   Parent Loop BB95_23 Depth=1
                                        ; =>  This Inner Loop Header: Depth=2
	v_cndmask_b32_e64 v0, 0, 1, s[26:27]
	s_lshl_b32 s26, s38, 2
	v_cmp_ne_u32_e32 vcc, 1, v0
	v_add_u32_e32 v0, s26, v76
	ds_read2_b64 v[86:89], v0 offset1:16
	ds_read2_b64 v[90:93], v0 offset0:32 offset1:48
	ds_read2_b64 v[94:97], v0 offset0:64 offset1:80
	;; [unrolled: 1-line block ×3, first 2 shown]
	v_add_u32_e32 v0, s26, v78
	ds_read2st64_b64 v[102:105], v0 offset1:1
	ds_read2st64_b64 v[0:3], v0 offset0:2 offset1:3
	s_waitcnt lgkmcnt(5)
	v_max_f32_e32 v106, v86, v86
	v_max_f32_e32 v107, v87, v87
	;; [unrolled: 1-line block ×3, first 2 shown]
	s_waitcnt lgkmcnt(1)
	v_max_f32_e32 v102, v102, v102
	v_max_f32_e32 v103, v103, v103
	v_min_f32_e32 v86, v106, v102
	v_min_f32_e32 v87, v107, v103
	v_max_f32_e32 v89, v89, v89
	v_pk_add_f32 v[66:67], v[66:67], v[86:87]
	v_min_f32_e32 v86, v88, v102
	v_min_f32_e32 v87, v89, v103
	v_max_f32_e32 v90, v90, v90
	v_max_f32_e32 v91, v91, v91
	v_pk_add_f32 v[64:65], v[64:65], v[86:87]
	v_min_f32_e32 v86, v90, v102
	v_min_f32_e32 v87, v91, v103
	v_max_f32_e32 v92, v92, v92
	;; [unrolled: 5-line block ×7, first 2 shown]
	v_max_f32_e32 v103, v105, v105
	v_pk_add_f32 v[52:53], v[52:53], v[86:87]
	v_min_f32_e32 v86, v106, v102
	v_min_f32_e32 v87, v107, v103
	v_pk_add_f32 v[50:51], v[50:51], v[86:87]
	v_min_f32_e32 v86, v88, v102
	v_min_f32_e32 v87, v89, v103
	;; [unrolled: 3-line block ×8, first 2 shown]
	v_pk_add_f32 v[36:37], v[36:37], v[86:87]
	s_waitcnt lgkmcnt(0)
	v_max_f32_e32 v86, v0, v0
	v_max_f32_e32 v87, v1, v1
	v_min_f32_e32 v0, v106, v86
	v_min_f32_e32 v1, v107, v87
	v_pk_add_f32 v[34:35], v[34:35], v[0:1]
	v_min_f32_e32 v0, v88, v86
	v_min_f32_e32 v1, v89, v87
	v_pk_add_f32 v[32:33], v[32:33], v[0:1]
	;; [unrolled: 3-line block ×7, first 2 shown]
	v_min_f32_e32 v0, v100, v86
	v_min_f32_e32 v1, v101, v87
	v_max_f32_e32 v2, v2, v2
	v_max_f32_e32 v3, v3, v3
	v_pk_add_f32 v[20:21], v[20:21], v[0:1]
	v_min_f32_e32 v0, v106, v2
	v_min_f32_e32 v1, v107, v3
	v_pk_add_f32 v[18:19], v[18:19], v[0:1]
	v_min_f32_e32 v0, v88, v2
	v_min_f32_e32 v1, v89, v3
	;; [unrolled: 3-line block ×8, first 2 shown]
	v_pk_add_f32 v[4:5], v[4:5], v[0:1]
	s_mov_b64 s[26:27], 0
	s_mov_b32 s38, 2
	s_cbranch_vccz .LBB95_38
; %bb.39:                               ;   in Loop: Header=BB95_23 Depth=1
	s_add_i32 s29, s29, 8
	s_add_i32 s37, s37, 8
	s_cmp_ge_i32 s37, s28
	ds_write_b32 v79, v84
	ds_write2st64_b32 v80, v83, v85 offset1:4
	s_waitcnt lgkmcnt(0)
	s_barrier
	s_cbranch_scc0 .LBB95_23
.LBB95_40:
	v_mov_b32_e32 v0, 0x1400
	v_lshl_add_u32 v68, v72, 4, v0
	v_mov_b32_e32 v0, 0x800
	v_lshl_add_u32 v69, v73, 4, v0
	s_mov_b32 s6, 0
	s_mov_b64 s[4:5], -1
.LBB95_41:                              ; =>This Inner Loop Header: Depth=1
	v_cndmask_b32_e64 v0, 0, 1, s[4:5]
	s_lshl_b32 s4, s6, 2
	v_cmp_ne_u32_e32 vcc, 1, v0
	v_add_u32_e32 v0, s4, v68
	ds_read2_b64 v[74:77], v0 offset1:16
	ds_read2_b64 v[78:81], v0 offset0:32 offset1:48
	ds_read2_b64 v[82:85], v0 offset0:64 offset1:80
	ds_read2_b64 v[86:89], v0 offset0:96 offset1:112
	v_add_u32_e32 v0, s4, v69
	ds_read2st64_b64 v[90:93], v0 offset1:1
	ds_read2st64_b64 v[0:3], v0 offset0:2 offset1:3
	s_waitcnt lgkmcnt(5)
	v_max_f32_e32 v74, v74, v74
	v_max_f32_e32 v75, v75, v75
	;; [unrolled: 1-line block ×3, first 2 shown]
	s_waitcnt lgkmcnt(1)
	v_max_f32_e32 v90, v90, v90
	v_max_f32_e32 v91, v91, v91
	v_min_f32_e32 v70, v74, v90
	v_min_f32_e32 v71, v75, v91
	v_max_f32_e32 v77, v77, v77
	v_pk_add_f32 v[66:67], v[66:67], v[70:71]
	v_min_f32_e32 v70, v76, v90
	v_min_f32_e32 v71, v77, v91
	v_max_f32_e32 v78, v78, v78
	v_max_f32_e32 v79, v79, v79
	v_pk_add_f32 v[64:65], v[64:65], v[70:71]
	v_min_f32_e32 v70, v78, v90
	v_min_f32_e32 v71, v79, v91
	v_max_f32_e32 v80, v80, v80
	;; [unrolled: 5-line block ×7, first 2 shown]
	v_max_f32_e32 v91, v93, v93
	v_pk_add_f32 v[52:53], v[52:53], v[70:71]
	v_min_f32_e32 v70, v74, v90
	v_min_f32_e32 v71, v75, v91
	v_pk_add_f32 v[50:51], v[50:51], v[70:71]
	v_min_f32_e32 v70, v76, v90
	v_min_f32_e32 v71, v77, v91
	;; [unrolled: 3-line block ×8, first 2 shown]
	v_pk_add_f32 v[36:37], v[36:37], v[70:71]
	s_waitcnt lgkmcnt(0)
	v_max_f32_e32 v70, v0, v0
	v_max_f32_e32 v71, v1, v1
	v_min_f32_e32 v0, v74, v70
	v_min_f32_e32 v1, v75, v71
	v_pk_add_f32 v[34:35], v[34:35], v[0:1]
	v_min_f32_e32 v0, v76, v70
	v_min_f32_e32 v1, v77, v71
	v_pk_add_f32 v[32:33], v[32:33], v[0:1]
	v_min_f32_e32 v0, v78, v70
	v_min_f32_e32 v1, v79, v71
	v_pk_add_f32 v[30:31], v[30:31], v[0:1]
	v_min_f32_e32 v0, v80, v70
	v_min_f32_e32 v1, v81, v71
	v_pk_add_f32 v[28:29], v[28:29], v[0:1]
	v_min_f32_e32 v0, v82, v70
	v_min_f32_e32 v1, v83, v71
	v_pk_add_f32 v[26:27], v[26:27], v[0:1]
	v_min_f32_e32 v0, v84, v70
	v_min_f32_e32 v1, v85, v71
	v_pk_add_f32 v[24:25], v[24:25], v[0:1]
	v_min_f32_e32 v0, v86, v70
	v_min_f32_e32 v1, v87, v71
	v_pk_add_f32 v[22:23], v[22:23], v[0:1]
	v_min_f32_e32 v0, v88, v70
	v_min_f32_e32 v1, v89, v71
	v_max_f32_e32 v2, v2, v2
	v_max_f32_e32 v3, v3, v3
	v_pk_add_f32 v[20:21], v[20:21], v[0:1]
	v_min_f32_e32 v0, v74, v2
	v_min_f32_e32 v1, v75, v3
	v_pk_add_f32 v[18:19], v[18:19], v[0:1]
	v_min_f32_e32 v0, v76, v2
	v_min_f32_e32 v1, v77, v3
	;; [unrolled: 3-line block ×8, first 2 shown]
	v_pk_add_f32 v[4:5], v[4:5], v[0:1]
	s_mov_b64 s[4:5], 0
	s_mov_b32 s6, 2
	s_cbranch_vccz .LBB95_41
; %bb.42:
	s_load_dwordx2 s[4:5], s[0:1], 0x70
	s_load_dword s29, s[0:1], 0x50
	s_load_dword s28, s[0:1], 0x68
	v_add_u32_e32 v0, s2, v72
	v_add_u32_e32 v72, s31, v73
	s_waitcnt lgkmcnt(0)
	s_mul_i32 s1, s5, s3
	s_mul_hi_u32 s5, s4, s3
	s_mul_i32 s0, s4, s3
	s_add_i32 s1, s5, s1
	s_lshl_b64 s[0:1], s[0:1], 2
	s_add_u32 s22, s10, s0
	s_addc_u32 s23, s11, s1
	v_mad_i64_i32 v[2:3], s[0:1], v72, s29, 0
	v_lshl_add_u64 v[70:71], v[2:3], 2, s[24:25]
	v_mad_i64_i32 v[2:3], s[0:1], v72, s28, 0
	v_cmp_gt_i32_e64 s[18:19], s21, v72
	v_lshl_add_u64 v[68:69], v[2:3], 2, s[22:23]
	v_cmp_gt_i32_e64 s[2:3], s20, v0
	v_cndmask_b32_e64 v2, 0, 1, s[12:13]
	s_and_b64 s[6:7], s[2:3], s[18:19]
	v_ashrrev_i32_e32 v1, 31, v0
	v_cmp_ne_u32_e64 s[0:1], 1, v2
	s_and_saveexec_b64 s[4:5], s[6:7]
	s_cbranch_execz .LBB95_48
; %bb.43:
	s_and_b64 vcc, exec, s[0:1]
	s_cbranch_vccnz .LBB95_46
; %bb.44:
	v_lshl_add_u64 v[2:3], v[0:1], 2, v[70:71]
	global_load_dword v2, v[2:3], off
	s_waitcnt vmcnt(0)
	v_mul_f32_e32 v2, s30, v2
	s_branch .LBB95_47
.LBB95_45:
	s_mov_b64 s[26:27], 0
	s_andn2_b64 vcc, exec, s[8:9]
	s_mov_b64 s[4:5], -1
	s_cbranch_vccz .LBB95_2
	s_branch .LBB95_3
.LBB95_46:
	v_mov_b32_e32 v2, 0
.LBB95_47:
	v_add_f32_e32 v3, v66, v67
	v_add_f32_e32 v66, v3, v2
	v_lshl_add_u64 v[2:3], v[0:1], 2, v[68:69]
	global_store_dword v[2:3], v66, off
.LBB95_48:
	s_or_b64 exec, exec, s[4:5]
	v_add_u32_e32 v2, 8, v0
	v_cmp_gt_i32_e64 s[4:5], s20, v2
	s_and_b64 s[8:9], s[4:5], s[18:19]
	v_ashrrev_i32_e32 v3, 31, v2
	s_and_saveexec_b64 s[6:7], s[8:9]
	s_cbranch_execz .LBB95_53
; %bb.49:
	s_and_b64 vcc, exec, s[0:1]
	s_cbranch_vccnz .LBB95_51
; %bb.50:
	v_lshl_add_u64 v[66:67], v[2:3], 2, v[70:71]
	global_load_dword v66, v[66:67], off
	s_waitcnt vmcnt(0)
	v_mul_f32_e32 v66, s30, v66
	s_branch .LBB95_52
.LBB95_51:
	v_mov_b32_e32 v66, 0
.LBB95_52:
	v_add_f32_e32 v64, v64, v65
	v_add_f32_e32 v66, v64, v66
	v_lshl_add_u64 v[64:65], v[2:3], 2, v[68:69]
	global_store_dword v[64:65], v66, off
.LBB95_53:
	s_or_b64 exec, exec, s[6:7]
	v_add_u32_e32 v64, 16, v0
	v_cmp_gt_i32_e64 s[6:7], s20, v64
	s_and_b64 s[10:11], s[6:7], s[18:19]
	v_ashrrev_i32_e32 v65, 31, v64
	s_and_saveexec_b64 s[8:9], s[10:11]
	s_cbranch_execz .LBB95_58
; %bb.54:
	s_and_b64 vcc, exec, s[0:1]
	s_cbranch_vccnz .LBB95_56
; %bb.55:
	v_lshl_add_u64 v[66:67], v[64:65], 2, v[70:71]
	global_load_dword v66, v[66:67], off
	s_waitcnt vmcnt(0)
	v_mul_f32_e32 v66, s30, v66
	s_branch .LBB95_57
.LBB95_56:
	v_mov_b32_e32 v66, 0
.LBB95_57:
	v_add_f32_e32 v62, v62, v63
	v_add_f32_e32 v66, v62, v66
	v_lshl_add_u64 v[62:63], v[64:65], 2, v[68:69]
	global_store_dword v[62:63], v66, off
.LBB95_58:
	;; [unrolled: 24-line block ×7, first 2 shown]
	s_or_b64 exec, exec, s[18:19]
	v_add_u32_e32 v68, 32, v72
	v_mad_i64_i32 v[52:53], s[26:27], v68, s29, 0
	v_cmp_gt_i32_e64 s[18:19], s21, v68
	v_lshl_add_u64 v[66:67], v[52:53], 2, s[24:25]
	v_mad_i64_i32 v[52:53], s[26:27], v68, s28, 0
	v_lshl_add_u64 v[52:53], v[52:53], 2, s[22:23]
	s_and_b64 s[34:35], s[2:3], s[18:19]
	s_and_saveexec_b64 s[26:27], s[34:35]
	s_cbranch_execnz .LBB95_91
; %bb.84:
	s_or_b64 exec, exec, s[26:27]
	s_and_b64 s[34:35], s[4:5], s[18:19]
	s_and_saveexec_b64 s[26:27], s[34:35]
	s_cbranch_execnz .LBB95_95
.LBB95_85:
	s_or_b64 exec, exec, s[26:27]
	s_and_b64 s[34:35], s[6:7], s[18:19]
	s_and_saveexec_b64 s[26:27], s[34:35]
	s_cbranch_execnz .LBB95_99
.LBB95_86:
	s_or_b64 exec, exec, s[26:27]
	s_and_b64 s[34:35], s[8:9], s[18:19]
	s_and_saveexec_b64 s[26:27], s[34:35]
	s_cbranch_execnz .LBB95_103
.LBB95_87:
	s_or_b64 exec, exec, s[26:27]
	s_and_b64 s[34:35], s[10:11], s[18:19]
	s_and_saveexec_b64 s[26:27], s[34:35]
	s_cbranch_execnz .LBB95_107
.LBB95_88:
	s_or_b64 exec, exec, s[26:27]
	s_and_b64 s[34:35], s[12:13], s[18:19]
	s_and_saveexec_b64 s[26:27], s[34:35]
	s_cbranch_execnz .LBB95_111
.LBB95_89:
	s_or_b64 exec, exec, s[26:27]
	s_and_b64 s[34:35], s[14:15], s[18:19]
	s_and_saveexec_b64 s[26:27], s[34:35]
	s_cbranch_execnz .LBB95_115
.LBB95_90:
	s_or_b64 exec, exec, s[26:27]
	s_and_b64 s[26:27], s[16:17], s[18:19]
	s_and_saveexec_b64 s[18:19], s[26:27]
	s_cbranch_execnz .LBB95_119
	s_branch .LBB95_123
.LBB95_91:
	s_and_b64 vcc, exec, s[0:1]
	s_cbranch_vccnz .LBB95_93
; %bb.92:
	v_lshl_add_u64 v[68:69], v[0:1], 2, v[66:67]
	global_load_dword v68, v[68:69], off
	s_waitcnt vmcnt(0)
	v_mul_f32_e32 v68, s30, v68
	s_branch .LBB95_94
.LBB95_93:
	v_mov_b32_e32 v68, 0
.LBB95_94:
	v_add_f32_e32 v50, v50, v51
	v_add_f32_e32 v68, v50, v68
	v_lshl_add_u64 v[50:51], v[0:1], 2, v[52:53]
	global_store_dword v[50:51], v68, off
	s_or_b64 exec, exec, s[26:27]
	s_and_b64 s[34:35], s[4:5], s[18:19]
	s_and_saveexec_b64 s[26:27], s[34:35]
	s_cbranch_execz .LBB95_85
.LBB95_95:
	s_and_b64 vcc, exec, s[0:1]
	s_cbranch_vccnz .LBB95_97
; %bb.96:
	v_lshl_add_u64 v[50:51], v[2:3], 2, v[66:67]
	global_load_dword v50, v[50:51], off
	s_waitcnt vmcnt(0)
	v_mul_f32_e32 v50, s30, v50
	s_branch .LBB95_98
.LBB95_97:
	v_mov_b32_e32 v50, 0
.LBB95_98:
	v_add_f32_e32 v48, v48, v49
	v_add_f32_e32 v50, v48, v50
	v_lshl_add_u64 v[48:49], v[2:3], 2, v[52:53]
	global_store_dword v[48:49], v50, off
	s_or_b64 exec, exec, s[26:27]
	s_and_b64 s[34:35], s[6:7], s[18:19]
	s_and_saveexec_b64 s[26:27], s[34:35]
	s_cbranch_execz .LBB95_86
.LBB95_99:
	s_and_b64 vcc, exec, s[0:1]
	s_cbranch_vccnz .LBB95_101
; %bb.100:
	v_lshl_add_u64 v[48:49], v[64:65], 2, v[66:67]
	global_load_dword v48, v[48:49], off
	s_waitcnt vmcnt(0)
	v_mul_f32_e32 v48, s30, v48
	s_branch .LBB95_102
.LBB95_101:
	v_mov_b32_e32 v48, 0
.LBB95_102:
	v_add_f32_e32 v46, v46, v47
	v_add_f32_e32 v48, v46, v48
	v_lshl_add_u64 v[46:47], v[64:65], 2, v[52:53]
	global_store_dword v[46:47], v48, off
	s_or_b64 exec, exec, s[26:27]
	s_and_b64 s[34:35], s[8:9], s[18:19]
	s_and_saveexec_b64 s[26:27], s[34:35]
	s_cbranch_execz .LBB95_87
.LBB95_103:
	s_and_b64 vcc, exec, s[0:1]
	s_cbranch_vccnz .LBB95_105
; %bb.104:
	v_lshl_add_u64 v[46:47], v[62:63], 2, v[66:67]
	global_load_dword v46, v[46:47], off
	s_waitcnt vmcnt(0)
	v_mul_f32_e32 v46, s30, v46
	s_branch .LBB95_106
.LBB95_105:
	v_mov_b32_e32 v46, 0
.LBB95_106:
	v_add_f32_e32 v44, v44, v45
	v_add_f32_e32 v46, v44, v46
	v_lshl_add_u64 v[44:45], v[62:63], 2, v[52:53]
	global_store_dword v[44:45], v46, off
	s_or_b64 exec, exec, s[26:27]
	s_and_b64 s[34:35], s[10:11], s[18:19]
	s_and_saveexec_b64 s[26:27], s[34:35]
	s_cbranch_execz .LBB95_88
.LBB95_107:
	s_and_b64 vcc, exec, s[0:1]
	s_cbranch_vccnz .LBB95_109
; %bb.108:
	v_lshl_add_u64 v[44:45], v[60:61], 2, v[66:67]
	global_load_dword v44, v[44:45], off
	s_waitcnt vmcnt(0)
	v_mul_f32_e32 v44, s30, v44
	s_branch .LBB95_110
.LBB95_109:
	v_mov_b32_e32 v44, 0
.LBB95_110:
	v_add_f32_e32 v42, v42, v43
	v_add_f32_e32 v44, v42, v44
	v_lshl_add_u64 v[42:43], v[60:61], 2, v[52:53]
	global_store_dword v[42:43], v44, off
	s_or_b64 exec, exec, s[26:27]
	s_and_b64 s[34:35], s[12:13], s[18:19]
	s_and_saveexec_b64 s[26:27], s[34:35]
	s_cbranch_execz .LBB95_89
.LBB95_111:
	s_and_b64 vcc, exec, s[0:1]
	s_cbranch_vccnz .LBB95_113
; %bb.112:
	v_lshl_add_u64 v[42:43], v[58:59], 2, v[66:67]
	global_load_dword v42, v[42:43], off
	s_waitcnt vmcnt(0)
	v_mul_f32_e32 v42, s30, v42
	s_branch .LBB95_114
.LBB95_113:
	v_mov_b32_e32 v42, 0
.LBB95_114:
	v_add_f32_e32 v40, v40, v41
	v_add_f32_e32 v42, v40, v42
	v_lshl_add_u64 v[40:41], v[58:59], 2, v[52:53]
	global_store_dword v[40:41], v42, off
	s_or_b64 exec, exec, s[26:27]
	s_and_b64 s[34:35], s[14:15], s[18:19]
	s_and_saveexec_b64 s[26:27], s[34:35]
	s_cbranch_execz .LBB95_90
.LBB95_115:
	s_and_b64 vcc, exec, s[0:1]
	s_cbranch_vccnz .LBB95_117
; %bb.116:
	v_lshl_add_u64 v[40:41], v[56:57], 2, v[66:67]
	global_load_dword v40, v[40:41], off
	s_waitcnt vmcnt(0)
	v_mul_f32_e32 v40, s30, v40
	s_branch .LBB95_118
.LBB95_117:
	v_mov_b32_e32 v40, 0
.LBB95_118:
	v_add_f32_e32 v38, v38, v39
	v_add_f32_e32 v40, v38, v40
	v_lshl_add_u64 v[38:39], v[56:57], 2, v[52:53]
	global_store_dword v[38:39], v40, off
	s_or_b64 exec, exec, s[26:27]
	s_and_b64 s[26:27], s[16:17], s[18:19]
	s_and_saveexec_b64 s[18:19], s[26:27]
	s_cbranch_execz .LBB95_123
.LBB95_119:
	s_and_b64 vcc, exec, s[0:1]
	s_cbranch_vccnz .LBB95_121
; %bb.120:
	v_lshl_add_u64 v[38:39], v[54:55], 2, v[66:67]
	global_load_dword v38, v[38:39], off
	s_waitcnt vmcnt(0)
	v_mul_f32_e32 v38, s30, v38
	s_branch .LBB95_122
.LBB95_121:
	v_mov_b32_e32 v38, 0
.LBB95_122:
	v_add_f32_e32 v36, v36, v37
	v_add_f32_e32 v38, v36, v38
	v_lshl_add_u64 v[36:37], v[54:55], 2, v[52:53]
	global_store_dword v[36:37], v38, off
.LBB95_123:
	s_or_b64 exec, exec, s[18:19]
	v_add_u32_e32 v40, 64, v72
	v_mad_i64_i32 v[36:37], s[26:27], v40, s29, 0
	v_cmp_gt_i32_e64 s[18:19], s21, v40
	v_lshl_add_u64 v[38:39], v[36:37], 2, s[24:25]
	v_mad_i64_i32 v[36:37], s[26:27], v40, s28, 0
	v_lshl_add_u64 v[36:37], v[36:37], 2, s[22:23]
	s_and_b64 s[34:35], s[2:3], s[18:19]
	s_and_saveexec_b64 s[26:27], s[34:35]
	s_cbranch_execnz .LBB95_131
; %bb.124:
	s_or_b64 exec, exec, s[26:27]
	s_and_b64 s[34:35], s[4:5], s[18:19]
	s_and_saveexec_b64 s[26:27], s[34:35]
	s_cbranch_execnz .LBB95_135
.LBB95_125:
	s_or_b64 exec, exec, s[26:27]
	s_and_b64 s[34:35], s[6:7], s[18:19]
	s_and_saveexec_b64 s[26:27], s[34:35]
	s_cbranch_execnz .LBB95_139
.LBB95_126:
	s_or_b64 exec, exec, s[26:27]
	s_and_b64 s[34:35], s[8:9], s[18:19]
	s_and_saveexec_b64 s[26:27], s[34:35]
	s_cbranch_execnz .LBB95_143
.LBB95_127:
	s_or_b64 exec, exec, s[26:27]
	s_and_b64 s[34:35], s[10:11], s[18:19]
	s_and_saveexec_b64 s[26:27], s[34:35]
	s_cbranch_execnz .LBB95_147
.LBB95_128:
	s_or_b64 exec, exec, s[26:27]
	s_and_b64 s[34:35], s[12:13], s[18:19]
	s_and_saveexec_b64 s[26:27], s[34:35]
	s_cbranch_execnz .LBB95_151
.LBB95_129:
	s_or_b64 exec, exec, s[26:27]
	s_and_b64 s[34:35], s[14:15], s[18:19]
	s_and_saveexec_b64 s[26:27], s[34:35]
	s_cbranch_execnz .LBB95_155
.LBB95_130:
	s_or_b64 exec, exec, s[26:27]
	s_and_b64 s[26:27], s[16:17], s[18:19]
	s_and_saveexec_b64 s[18:19], s[26:27]
	s_cbranch_execnz .LBB95_159
	s_branch .LBB95_163
.LBB95_131:
	s_and_b64 vcc, exec, s[0:1]
	s_cbranch_vccnz .LBB95_133
; %bb.132:
	v_lshl_add_u64 v[40:41], v[0:1], 2, v[38:39]
	global_load_dword v40, v[40:41], off
	s_waitcnt vmcnt(0)
	v_mul_f32_e32 v40, s30, v40
	s_branch .LBB95_134
.LBB95_133:
	v_mov_b32_e32 v40, 0
.LBB95_134:
	v_add_f32_e32 v34, v34, v35
	v_add_f32_e32 v40, v34, v40
	v_lshl_add_u64 v[34:35], v[0:1], 2, v[36:37]
	global_store_dword v[34:35], v40, off
	s_or_b64 exec, exec, s[26:27]
	s_and_b64 s[34:35], s[4:5], s[18:19]
	s_and_saveexec_b64 s[26:27], s[34:35]
	s_cbranch_execz .LBB95_125
.LBB95_135:
	s_and_b64 vcc, exec, s[0:1]
	s_cbranch_vccnz .LBB95_137
; %bb.136:
	v_lshl_add_u64 v[34:35], v[2:3], 2, v[38:39]
	global_load_dword v34, v[34:35], off
	s_waitcnt vmcnt(0)
	v_mul_f32_e32 v34, s30, v34
	s_branch .LBB95_138
.LBB95_137:
	v_mov_b32_e32 v34, 0
.LBB95_138:
	v_add_f32_e32 v32, v32, v33
	v_add_f32_e32 v34, v32, v34
	v_lshl_add_u64 v[32:33], v[2:3], 2, v[36:37]
	global_store_dword v[32:33], v34, off
	s_or_b64 exec, exec, s[26:27]
	s_and_b64 s[34:35], s[6:7], s[18:19]
	s_and_saveexec_b64 s[26:27], s[34:35]
	s_cbranch_execz .LBB95_126
.LBB95_139:
	s_and_b64 vcc, exec, s[0:1]
	s_cbranch_vccnz .LBB95_141
; %bb.140:
	v_lshl_add_u64 v[32:33], v[64:65], 2, v[38:39]
	global_load_dword v32, v[32:33], off
	s_waitcnt vmcnt(0)
	v_mul_f32_e32 v32, s30, v32
	s_branch .LBB95_142
.LBB95_141:
	v_mov_b32_e32 v32, 0
.LBB95_142:
	v_add_f32_e32 v30, v30, v31
	v_add_f32_e32 v32, v30, v32
	v_lshl_add_u64 v[30:31], v[64:65], 2, v[36:37]
	global_store_dword v[30:31], v32, off
	s_or_b64 exec, exec, s[26:27]
	s_and_b64 s[34:35], s[8:9], s[18:19]
	s_and_saveexec_b64 s[26:27], s[34:35]
	s_cbranch_execz .LBB95_127
.LBB95_143:
	s_and_b64 vcc, exec, s[0:1]
	s_cbranch_vccnz .LBB95_145
; %bb.144:
	v_lshl_add_u64 v[30:31], v[62:63], 2, v[38:39]
	global_load_dword v30, v[30:31], off
	s_waitcnt vmcnt(0)
	v_mul_f32_e32 v30, s30, v30
	s_branch .LBB95_146
.LBB95_145:
	v_mov_b32_e32 v30, 0
.LBB95_146:
	v_add_f32_e32 v28, v28, v29
	v_add_f32_e32 v30, v28, v30
	v_lshl_add_u64 v[28:29], v[62:63], 2, v[36:37]
	global_store_dword v[28:29], v30, off
	s_or_b64 exec, exec, s[26:27]
	s_and_b64 s[34:35], s[10:11], s[18:19]
	s_and_saveexec_b64 s[26:27], s[34:35]
	s_cbranch_execz .LBB95_128
.LBB95_147:
	s_and_b64 vcc, exec, s[0:1]
	s_cbranch_vccnz .LBB95_149
; %bb.148:
	v_lshl_add_u64 v[28:29], v[60:61], 2, v[38:39]
	global_load_dword v28, v[28:29], off
	s_waitcnt vmcnt(0)
	v_mul_f32_e32 v28, s30, v28
	s_branch .LBB95_150
.LBB95_149:
	v_mov_b32_e32 v28, 0
.LBB95_150:
	v_add_f32_e32 v26, v26, v27
	v_add_f32_e32 v28, v26, v28
	v_lshl_add_u64 v[26:27], v[60:61], 2, v[36:37]
	global_store_dword v[26:27], v28, off
	s_or_b64 exec, exec, s[26:27]
	s_and_b64 s[34:35], s[12:13], s[18:19]
	s_and_saveexec_b64 s[26:27], s[34:35]
	s_cbranch_execz .LBB95_129
.LBB95_151:
	s_and_b64 vcc, exec, s[0:1]
	s_cbranch_vccnz .LBB95_153
; %bb.152:
	v_lshl_add_u64 v[26:27], v[58:59], 2, v[38:39]
	global_load_dword v26, v[26:27], off
	s_waitcnt vmcnt(0)
	v_mul_f32_e32 v26, s30, v26
	s_branch .LBB95_154
.LBB95_153:
	v_mov_b32_e32 v26, 0
.LBB95_154:
	v_add_f32_e32 v24, v24, v25
	v_add_f32_e32 v26, v24, v26
	v_lshl_add_u64 v[24:25], v[58:59], 2, v[36:37]
	global_store_dword v[24:25], v26, off
	s_or_b64 exec, exec, s[26:27]
	s_and_b64 s[34:35], s[14:15], s[18:19]
	s_and_saveexec_b64 s[26:27], s[34:35]
	s_cbranch_execz .LBB95_130
.LBB95_155:
	s_and_b64 vcc, exec, s[0:1]
	s_cbranch_vccnz .LBB95_157
; %bb.156:
	v_lshl_add_u64 v[24:25], v[56:57], 2, v[38:39]
	global_load_dword v24, v[24:25], off
	s_waitcnt vmcnt(0)
	v_mul_f32_e32 v24, s30, v24
	s_branch .LBB95_158
.LBB95_157:
	v_mov_b32_e32 v24, 0
.LBB95_158:
	v_add_f32_e32 v22, v22, v23
	v_add_f32_e32 v24, v22, v24
	v_lshl_add_u64 v[22:23], v[56:57], 2, v[36:37]
	global_store_dword v[22:23], v24, off
	s_or_b64 exec, exec, s[26:27]
	s_and_b64 s[26:27], s[16:17], s[18:19]
	s_and_saveexec_b64 s[18:19], s[26:27]
	s_cbranch_execz .LBB95_163
.LBB95_159:
	s_and_b64 vcc, exec, s[0:1]
	s_cbranch_vccnz .LBB95_161
; %bb.160:
	v_lshl_add_u64 v[22:23], v[54:55], 2, v[38:39]
	global_load_dword v22, v[22:23], off
	s_waitcnt vmcnt(0)
	v_mul_f32_e32 v22, s30, v22
	s_branch .LBB95_162
.LBB95_161:
	v_mov_b32_e32 v22, 0
.LBB95_162:
	v_add_f32_e32 v20, v20, v21
	v_add_f32_e32 v22, v20, v22
	v_lshl_add_u64 v[20:21], v[54:55], 2, v[36:37]
	global_store_dword v[20:21], v22, off
.LBB95_163:
	s_or_b64 exec, exec, s[18:19]
	v_add_u32_e32 v24, 0x60, v72
	v_cmp_gt_i32_e64 s[18:19], s21, v24
	v_mad_i64_i32 v[20:21], s[20:21], v24, s29, 0
	v_lshl_add_u64 v[22:23], v[20:21], 2, s[24:25]
	v_mad_i64_i32 v[20:21], s[20:21], v24, s28, 0
	v_lshl_add_u64 v[20:21], v[20:21], 2, s[22:23]
	s_and_b64 s[20:21], s[2:3], s[18:19]
	s_and_saveexec_b64 s[2:3], s[20:21]
	s_cbranch_execnz .LBB95_172
; %bb.164:
	s_or_b64 exec, exec, s[2:3]
	s_and_b64 s[4:5], s[4:5], s[18:19]
	s_and_saveexec_b64 s[2:3], s[4:5]
	s_cbranch_execnz .LBB95_176
.LBB95_165:
	s_or_b64 exec, exec, s[2:3]
	s_and_b64 s[4:5], s[6:7], s[18:19]
	s_and_saveexec_b64 s[2:3], s[4:5]
	s_cbranch_execnz .LBB95_180
.LBB95_166:
	s_or_b64 exec, exec, s[2:3]
	s_and_b64 s[4:5], s[8:9], s[18:19]
	s_and_saveexec_b64 s[2:3], s[4:5]
	s_cbranch_execnz .LBB95_184
.LBB95_167:
	s_or_b64 exec, exec, s[2:3]
	s_and_b64 s[4:5], s[10:11], s[18:19]
	s_and_saveexec_b64 s[2:3], s[4:5]
	s_cbranch_execnz .LBB95_188
.LBB95_168:
	s_or_b64 exec, exec, s[2:3]
	s_and_b64 s[4:5], s[12:13], s[18:19]
	s_and_saveexec_b64 s[2:3], s[4:5]
	s_cbranch_execnz .LBB95_192
.LBB95_169:
	s_or_b64 exec, exec, s[2:3]
	s_and_b64 s[4:5], s[14:15], s[18:19]
	s_and_saveexec_b64 s[2:3], s[4:5]
	s_cbranch_execnz .LBB95_196
.LBB95_170:
	s_or_b64 exec, exec, s[2:3]
	s_and_b64 s[2:3], s[16:17], s[18:19]
	s_and_saveexec_b64 s[4:5], s[2:3]
	s_cbranch_execnz .LBB95_200
.LBB95_171:
	s_endpgm
.LBB95_172:
	s_and_b64 vcc, exec, s[0:1]
	s_cbranch_vccnz .LBB95_174
; %bb.173:
	v_lshl_add_u64 v[24:25], v[0:1], 2, v[22:23]
	global_load_dword v24, v[24:25], off
	s_waitcnt vmcnt(0)
	v_mul_f32_e32 v24, s30, v24
	s_branch .LBB95_175
.LBB95_174:
	v_mov_b32_e32 v24, 0
.LBB95_175:
	v_add_f32_e32 v18, v18, v19
	v_add_f32_e32 v18, v18, v24
	v_lshl_add_u64 v[0:1], v[0:1], 2, v[20:21]
	global_store_dword v[0:1], v18, off
	s_or_b64 exec, exec, s[2:3]
	s_and_b64 s[4:5], s[4:5], s[18:19]
	s_and_saveexec_b64 s[2:3], s[4:5]
	s_cbranch_execz .LBB95_165
.LBB95_176:
	s_and_b64 vcc, exec, s[0:1]
	s_cbranch_vccnz .LBB95_178
; %bb.177:
	v_lshl_add_u64 v[0:1], v[2:3], 2, v[22:23]
	global_load_dword v0, v[0:1], off
	s_waitcnt vmcnt(0)
	v_mul_f32_e32 v0, s30, v0
	s_branch .LBB95_179
.LBB95_178:
	v_mov_b32_e32 v0, 0
.LBB95_179:
	v_add_f32_e32 v1, v16, v17
	v_add_f32_e32 v16, v1, v0
	v_lshl_add_u64 v[0:1], v[2:3], 2, v[20:21]
	global_store_dword v[0:1], v16, off
	s_or_b64 exec, exec, s[2:3]
	s_and_b64 s[4:5], s[6:7], s[18:19]
	s_and_saveexec_b64 s[2:3], s[4:5]
	s_cbranch_execz .LBB95_166
.LBB95_180:
	s_and_b64 vcc, exec, s[0:1]
	s_cbranch_vccnz .LBB95_182
; %bb.181:
	v_lshl_add_u64 v[0:1], v[64:65], 2, v[22:23]
	global_load_dword v0, v[0:1], off
	s_waitcnt vmcnt(0)
	v_mul_f32_e32 v0, s30, v0
	s_branch .LBB95_183
.LBB95_182:
	v_mov_b32_e32 v0, 0
.LBB95_183:
	v_add_f32_e32 v1, v14, v15
	v_add_f32_e32 v2, v1, v0
	v_lshl_add_u64 v[0:1], v[64:65], 2, v[20:21]
	global_store_dword v[0:1], v2, off
	s_or_b64 exec, exec, s[2:3]
	s_and_b64 s[4:5], s[8:9], s[18:19]
	s_and_saveexec_b64 s[2:3], s[4:5]
	s_cbranch_execz .LBB95_167
.LBB95_184:
	s_and_b64 vcc, exec, s[0:1]
	s_cbranch_vccnz .LBB95_186
; %bb.185:
	v_lshl_add_u64 v[0:1], v[62:63], 2, v[22:23]
	global_load_dword v0, v[0:1], off
	s_waitcnt vmcnt(0)
	v_mul_f32_e32 v0, s30, v0
	s_branch .LBB95_187
.LBB95_186:
	v_mov_b32_e32 v0, 0
.LBB95_187:
	v_add_f32_e32 v1, v12, v13
	v_add_f32_e32 v2, v1, v0
	v_lshl_add_u64 v[0:1], v[62:63], 2, v[20:21]
	global_store_dword v[0:1], v2, off
	s_or_b64 exec, exec, s[2:3]
	s_and_b64 s[4:5], s[10:11], s[18:19]
	s_and_saveexec_b64 s[2:3], s[4:5]
	s_cbranch_execz .LBB95_168
.LBB95_188:
	s_and_b64 vcc, exec, s[0:1]
	s_cbranch_vccnz .LBB95_190
; %bb.189:
	v_lshl_add_u64 v[0:1], v[60:61], 2, v[22:23]
	global_load_dword v0, v[0:1], off
	s_waitcnt vmcnt(0)
	v_mul_f32_e32 v0, s30, v0
	s_branch .LBB95_191
.LBB95_190:
	v_mov_b32_e32 v0, 0
.LBB95_191:
	v_add_f32_e32 v1, v10, v11
	v_add_f32_e32 v2, v1, v0
	v_lshl_add_u64 v[0:1], v[60:61], 2, v[20:21]
	global_store_dword v[0:1], v2, off
	s_or_b64 exec, exec, s[2:3]
	s_and_b64 s[4:5], s[12:13], s[18:19]
	s_and_saveexec_b64 s[2:3], s[4:5]
	s_cbranch_execz .LBB95_169
.LBB95_192:
	s_and_b64 vcc, exec, s[0:1]
	s_cbranch_vccnz .LBB95_194
; %bb.193:
	v_lshl_add_u64 v[0:1], v[58:59], 2, v[22:23]
	global_load_dword v0, v[0:1], off
	s_waitcnt vmcnt(0)
	v_mul_f32_e32 v0, s30, v0
	s_branch .LBB95_195
.LBB95_194:
	v_mov_b32_e32 v0, 0
.LBB95_195:
	v_add_f32_e32 v1, v8, v9
	v_add_f32_e32 v2, v1, v0
	v_lshl_add_u64 v[0:1], v[58:59], 2, v[20:21]
	global_store_dword v[0:1], v2, off
	s_or_b64 exec, exec, s[2:3]
	s_and_b64 s[4:5], s[14:15], s[18:19]
	s_and_saveexec_b64 s[2:3], s[4:5]
	s_cbranch_execz .LBB95_170
.LBB95_196:
	s_and_b64 vcc, exec, s[0:1]
	s_cbranch_vccnz .LBB95_198
; %bb.197:
	v_lshl_add_u64 v[0:1], v[56:57], 2, v[22:23]
	global_load_dword v0, v[0:1], off
	s_waitcnt vmcnt(0)
	v_mul_f32_e32 v0, s30, v0
	s_branch .LBB95_199
.LBB95_198:
	v_mov_b32_e32 v0, 0
.LBB95_199:
	v_add_f32_e32 v1, v6, v7
	v_add_f32_e32 v2, v1, v0
	v_lshl_add_u64 v[0:1], v[56:57], 2, v[20:21]
	global_store_dword v[0:1], v2, off
	s_or_b64 exec, exec, s[2:3]
	s_and_b64 s[2:3], s[16:17], s[18:19]
	s_and_saveexec_b64 s[4:5], s[2:3]
	s_cbranch_execz .LBB95_171
.LBB95_200:
	s_and_b64 vcc, exec, s[0:1]
	s_cbranch_vccnz .LBB95_202
; %bb.201:
	v_lshl_add_u64 v[0:1], v[54:55], 2, v[22:23]
	global_load_dword v0, v[0:1], off
	s_waitcnt vmcnt(0)
	v_mul_f32_e32 v0, s30, v0
	s_branch .LBB95_203
.LBB95_202:
	v_mov_b32_e32 v0, 0
.LBB95_203:
	v_add_f32_e32 v1, v4, v5
	v_add_f32_e32 v2, v1, v0
	v_lshl_add_u64 v[0:1], v[54:55], 2, v[20:21]
	global_store_dword v[0:1], v2, off
	s_endpgm
	.section	.rodata,"a",@progbits
	.p2align	6, 0x0
	.amdhsa_kernel _ZN12_GLOBAL__N_120geam_min_plus_kernelIf15HIP_vector_typeIfLj2EES2_Li8ELi32ELi64ELi128ELi4ELi64ELi4ELi64ELi4ELc78ELc84ELb0ELb1ELb0EfKffEEviiiT16_PT17_ilS6_ilS4_S6_ilPT18_ili26rocblas_geam_ex_operation_
		.amdhsa_group_segment_fixed_size 6144
		.amdhsa_private_segment_fixed_size 0
		.amdhsa_kernarg_size 128
		.amdhsa_user_sgpr_count 2
		.amdhsa_user_sgpr_dispatch_ptr 0
		.amdhsa_user_sgpr_queue_ptr 0
		.amdhsa_user_sgpr_kernarg_segment_ptr 1
		.amdhsa_user_sgpr_dispatch_id 0
		.amdhsa_user_sgpr_kernarg_preload_length 0
		.amdhsa_user_sgpr_kernarg_preload_offset 0
		.amdhsa_user_sgpr_private_segment_size 0
		.amdhsa_uses_dynamic_stack 0
		.amdhsa_enable_private_segment 0
		.amdhsa_system_sgpr_workgroup_id_x 1
		.amdhsa_system_sgpr_workgroup_id_y 0
		.amdhsa_system_sgpr_workgroup_id_z 1
		.amdhsa_system_sgpr_workgroup_info 0
		.amdhsa_system_vgpr_workitem_id 1
		.amdhsa_next_free_vgpr 108
		.amdhsa_next_free_sgpr 40
		.amdhsa_accum_offset 108
		.amdhsa_reserve_vcc 1
		.amdhsa_float_round_mode_32 0
		.amdhsa_float_round_mode_16_64 0
		.amdhsa_float_denorm_mode_32 3
		.amdhsa_float_denorm_mode_16_64 3
		.amdhsa_dx10_clamp 1
		.amdhsa_ieee_mode 1
		.amdhsa_fp16_overflow 0
		.amdhsa_tg_split 0
		.amdhsa_exception_fp_ieee_invalid_op 0
		.amdhsa_exception_fp_denorm_src 0
		.amdhsa_exception_fp_ieee_div_zero 0
		.amdhsa_exception_fp_ieee_overflow 0
		.amdhsa_exception_fp_ieee_underflow 0
		.amdhsa_exception_fp_ieee_inexact 0
		.amdhsa_exception_int_div_zero 0
	.end_amdhsa_kernel
	.section	.text._ZN12_GLOBAL__N_120geam_min_plus_kernelIf15HIP_vector_typeIfLj2EES2_Li8ELi32ELi64ELi128ELi4ELi64ELi4ELi64ELi4ELc78ELc84ELb0ELb1ELb0EfKffEEviiiT16_PT17_ilS6_ilS4_S6_ilPT18_ili26rocblas_geam_ex_operation_,"axG",@progbits,_ZN12_GLOBAL__N_120geam_min_plus_kernelIf15HIP_vector_typeIfLj2EES2_Li8ELi32ELi64ELi128ELi4ELi64ELi4ELi64ELi4ELc78ELc84ELb0ELb1ELb0EfKffEEviiiT16_PT17_ilS6_ilS4_S6_ilPT18_ili26rocblas_geam_ex_operation_,comdat
.Lfunc_end95:
	.size	_ZN12_GLOBAL__N_120geam_min_plus_kernelIf15HIP_vector_typeIfLj2EES2_Li8ELi32ELi64ELi128ELi4ELi64ELi4ELi64ELi4ELc78ELc84ELb0ELb1ELb0EfKffEEviiiT16_PT17_ilS6_ilS4_S6_ilPT18_ili26rocblas_geam_ex_operation_, .Lfunc_end95-_ZN12_GLOBAL__N_120geam_min_plus_kernelIf15HIP_vector_typeIfLj2EES2_Li8ELi32ELi64ELi128ELi4ELi64ELi4ELi64ELi4ELc78ELc84ELb0ELb1ELb0EfKffEEviiiT16_PT17_ilS6_ilS4_S6_ilPT18_ili26rocblas_geam_ex_operation_
                                        ; -- End function
	.set _ZN12_GLOBAL__N_120geam_min_plus_kernelIf15HIP_vector_typeIfLj2EES2_Li8ELi32ELi64ELi128ELi4ELi64ELi4ELi64ELi4ELc78ELc84ELb0ELb1ELb0EfKffEEviiiT16_PT17_ilS6_ilS4_S6_ilPT18_ili26rocblas_geam_ex_operation_.num_vgpr, 108
	.set _ZN12_GLOBAL__N_120geam_min_plus_kernelIf15HIP_vector_typeIfLj2EES2_Li8ELi32ELi64ELi128ELi4ELi64ELi4ELi64ELi4ELc78ELc84ELb0ELb1ELb0EfKffEEviiiT16_PT17_ilS6_ilS4_S6_ilPT18_ili26rocblas_geam_ex_operation_.num_agpr, 0
	.set _ZN12_GLOBAL__N_120geam_min_plus_kernelIf15HIP_vector_typeIfLj2EES2_Li8ELi32ELi64ELi128ELi4ELi64ELi4ELi64ELi4ELc78ELc84ELb0ELb1ELb0EfKffEEviiiT16_PT17_ilS6_ilS4_S6_ilPT18_ili26rocblas_geam_ex_operation_.numbered_sgpr, 40
	.set _ZN12_GLOBAL__N_120geam_min_plus_kernelIf15HIP_vector_typeIfLj2EES2_Li8ELi32ELi64ELi128ELi4ELi64ELi4ELi64ELi4ELc78ELc84ELb0ELb1ELb0EfKffEEviiiT16_PT17_ilS6_ilS4_S6_ilPT18_ili26rocblas_geam_ex_operation_.num_named_barrier, 0
	.set _ZN12_GLOBAL__N_120geam_min_plus_kernelIf15HIP_vector_typeIfLj2EES2_Li8ELi32ELi64ELi128ELi4ELi64ELi4ELi64ELi4ELc78ELc84ELb0ELb1ELb0EfKffEEviiiT16_PT17_ilS6_ilS4_S6_ilPT18_ili26rocblas_geam_ex_operation_.private_seg_size, 0
	.set _ZN12_GLOBAL__N_120geam_min_plus_kernelIf15HIP_vector_typeIfLj2EES2_Li8ELi32ELi64ELi128ELi4ELi64ELi4ELi64ELi4ELc78ELc84ELb0ELb1ELb0EfKffEEviiiT16_PT17_ilS6_ilS4_S6_ilPT18_ili26rocblas_geam_ex_operation_.uses_vcc, 1
	.set _ZN12_GLOBAL__N_120geam_min_plus_kernelIf15HIP_vector_typeIfLj2EES2_Li8ELi32ELi64ELi128ELi4ELi64ELi4ELi64ELi4ELc78ELc84ELb0ELb1ELb0EfKffEEviiiT16_PT17_ilS6_ilS4_S6_ilPT18_ili26rocblas_geam_ex_operation_.uses_flat_scratch, 0
	.set _ZN12_GLOBAL__N_120geam_min_plus_kernelIf15HIP_vector_typeIfLj2EES2_Li8ELi32ELi64ELi128ELi4ELi64ELi4ELi64ELi4ELc78ELc84ELb0ELb1ELb0EfKffEEviiiT16_PT17_ilS6_ilS4_S6_ilPT18_ili26rocblas_geam_ex_operation_.has_dyn_sized_stack, 0
	.set _ZN12_GLOBAL__N_120geam_min_plus_kernelIf15HIP_vector_typeIfLj2EES2_Li8ELi32ELi64ELi128ELi4ELi64ELi4ELi64ELi4ELc78ELc84ELb0ELb1ELb0EfKffEEviiiT16_PT17_ilS6_ilS4_S6_ilPT18_ili26rocblas_geam_ex_operation_.has_recursion, 0
	.set _ZN12_GLOBAL__N_120geam_min_plus_kernelIf15HIP_vector_typeIfLj2EES2_Li8ELi32ELi64ELi128ELi4ELi64ELi4ELi64ELi4ELc78ELc84ELb0ELb1ELb0EfKffEEviiiT16_PT17_ilS6_ilS4_S6_ilPT18_ili26rocblas_geam_ex_operation_.has_indirect_call, 0
	.section	.AMDGPU.csdata,"",@progbits
; Kernel info:
; codeLenInByte = 7944
; TotalNumSgprs: 46
; NumVgprs: 108
; NumAgprs: 0
; TotalNumVgprs: 108
; ScratchSize: 0
; MemoryBound: 0
; FloatMode: 240
; IeeeMode: 1
; LDSByteSize: 6144 bytes/workgroup (compile time only)
; SGPRBlocks: 5
; VGPRBlocks: 13
; NumSGPRsForWavesPerEU: 46
; NumVGPRsForWavesPerEU: 108
; AccumOffset: 108
; Occupancy: 4
; WaveLimiterHint : 0
; COMPUTE_PGM_RSRC2:SCRATCH_EN: 0
; COMPUTE_PGM_RSRC2:USER_SGPR: 2
; COMPUTE_PGM_RSRC2:TRAP_HANDLER: 0
; COMPUTE_PGM_RSRC2:TGID_X_EN: 1
; COMPUTE_PGM_RSRC2:TGID_Y_EN: 0
; COMPUTE_PGM_RSRC2:TGID_Z_EN: 1
; COMPUTE_PGM_RSRC2:TIDIG_COMP_CNT: 1
; COMPUTE_PGM_RSRC3_GFX90A:ACCUM_OFFSET: 26
; COMPUTE_PGM_RSRC3_GFX90A:TG_SPLIT: 0
	.section	.text._ZN12_GLOBAL__N_120geam_min_plus_kernelIf15HIP_vector_typeIfLj2EES2_Li8ELi32ELi64ELi128ELi4ELi4ELi64ELi64ELi4ELc84ELc84ELb0ELb0ELb0EPKfS3_fEEviiiT16_PT17_ilS7_ilS5_S7_ilPT18_ili26rocblas_geam_ex_operation_,"axG",@progbits,_ZN12_GLOBAL__N_120geam_min_plus_kernelIf15HIP_vector_typeIfLj2EES2_Li8ELi32ELi64ELi128ELi4ELi4ELi64ELi64ELi4ELc84ELc84ELb0ELb0ELb0EPKfS3_fEEviiiT16_PT17_ilS7_ilS5_S7_ilPT18_ili26rocblas_geam_ex_operation_,comdat
	.globl	_ZN12_GLOBAL__N_120geam_min_plus_kernelIf15HIP_vector_typeIfLj2EES2_Li8ELi32ELi64ELi128ELi4ELi4ELi64ELi64ELi4ELc84ELc84ELb0ELb0ELb0EPKfS3_fEEviiiT16_PT17_ilS7_ilS5_S7_ilPT18_ili26rocblas_geam_ex_operation_ ; -- Begin function _ZN12_GLOBAL__N_120geam_min_plus_kernelIf15HIP_vector_typeIfLj2EES2_Li8ELi32ELi64ELi128ELi4ELi4ELi64ELi64ELi4ELc84ELc84ELb0ELb0ELb0EPKfS3_fEEviiiT16_PT17_ilS7_ilS5_S7_ilPT18_ili26rocblas_geam_ex_operation_
	.p2align	8
	.type	_ZN12_GLOBAL__N_120geam_min_plus_kernelIf15HIP_vector_typeIfLj2EES2_Li8ELi32ELi64ELi128ELi4ELi4ELi64ELi64ELi4ELc84ELc84ELb0ELb0ELb0EPKfS3_fEEviiiT16_PT17_ilS7_ilS5_S7_ilPT18_ili26rocblas_geam_ex_operation_,@function
_ZN12_GLOBAL__N_120geam_min_plus_kernelIf15HIP_vector_typeIfLj2EES2_Li8ELi32ELi64ELi128ELi4ELi4ELi64ELi64ELi4ELc84ELc84ELb0ELb0ELb0EPKfS3_fEEviiiT16_PT17_ilS7_ilS5_S7_ilPT18_ili26rocblas_geam_ex_operation_: ; @_ZN12_GLOBAL__N_120geam_min_plus_kernelIf15HIP_vector_typeIfLj2EES2_Li8ELi32ELi64ELi128ELi4ELi4ELi64ELi64ELi4ELc84ELc84ELb0ELb0ELb0EPKfS3_fEEviiiT16_PT17_ilS7_ilS5_S7_ilPT18_ili26rocblas_geam_ex_operation_
; %bb.0:
	s_load_dwordx4 s[4:7], s[0:1], 0x10
	s_load_dwordx4 s[8:11], s[0:1], 0x28
	;; [unrolled: 1-line block ×3, first 2 shown]
	s_mov_b32 s16, s3
	s_mov_b32 s17, 0
	s_lshl_b64 s[20:21], s[16:17], 2
	s_waitcnt lgkmcnt(0)
	s_add_u32 s4, s4, s20
	s_addc_u32 s5, s5, s21
	s_load_dword s18, s[4:5], 0x0
	s_load_dwordx2 s[24:25], s[0:1], 0x50
	s_add_u32 s14, s14, s20
	s_addc_u32 s15, s15, s21
	s_mov_b64 s[20:21], 0
	s_waitcnt lgkmcnt(0)
	v_cmp_eq_f32_e64 s[4:5], s18, 0
	s_and_b64 s[4:5], exec, s[4:5]
	v_cmp_neq_f32_e64 s[26:27], s18, 0
	s_mov_b64 s[22:23], 0
	s_mov_b64 vcc, s[4:5]
	s_cbranch_vccnz .LBB96_2
; %bb.1:
	s_mul_i32 s3, s9, s16
	s_mul_hi_u32 s9, s8, s16
	s_add_i32 s9, s9, s3
	s_mul_i32 s8, s8, s16
	s_lshl_b64 s[8:9], s[8:9], 2
	s_add_u32 s22, s6, s8
	s_addc_u32 s23, s7, s9
.LBB96_2:
	s_load_dword s17, s[14:15], 0x0
	v_cndmask_b32_e64 v1, 0, 1, s[26:27]
	v_cmp_ne_u32_e64 s[6:7], 1, v1
	s_andn2_b64 vcc, exec, s[26:27]
	s_cbranch_vccnz .LBB96_4
; %bb.3:
	s_mul_i32 s3, s13, s16
	s_mul_hi_u32 s8, s12, s16
	s_add_i32 s9, s8, s3
	s_mul_i32 s8, s12, s16
	s_lshl_b64 s[8:9], s[8:9], 2
	s_add_u32 s20, s10, s8
	s_addc_u32 s21, s11, s9
.LBB96_4:
	s_load_dwordx4 s[12:15], s[0:1], 0x60
	s_waitcnt lgkmcnt(0)
	v_cmp_eq_f32_e64 s[8:9], s17, 0
	s_and_b64 s[8:9], exec, s[8:9]
	s_mov_b64 vcc, s[8:9]
	s_cbranch_vccnz .LBB96_6
; %bb.5:
	s_mul_i32 s3, s13, s16
	s_mul_hi_u32 s10, s12, s16
	s_add_i32 s11, s10, s3
	s_mul_i32 s10, s12, s16
	s_lshl_b64 s[10:11], s[10:11], 2
	s_add_u32 s10, s24, s10
	s_addc_u32 s11, s25, s11
	s_branch .LBB96_7
.LBB96_6:
	s_mov_b64 s[10:11], 0
.LBB96_7:
	s_load_dword s3, s[0:1], 0x0
	s_load_dword s19, s[0:1], 0x20
	;; [unrolled: 1-line block ×3, first 2 shown]
	v_and_b32_e32 v78, 0x3ff, v0
	v_bfe_u32 v79, v0, 10, 10
	s_waitcnt lgkmcnt(0)
	s_add_i32 s3, s3, -1
	s_ashr_i32 s12, s3, 31
	s_lshr_b32 s12, s12, 26
	s_add_i32 s3, s3, s12
	s_ashr_i32 s3, s3, 6
	s_add_i32 s12, s3, 1
	v_cvt_f32_u32_e32 v1, s12
	v_and_b32_e32 v80, 3, v0
	s_not_b32 s3, s3
	s_ashr_i32 s25, s24, 31
	v_rcp_iflag_f32_e32 v0, v1
	v_lshl_add_u32 v1, v79, 3, v78
	v_and_b32_e32 v72, 63, v1
	v_lshrrev_b32_e32 v4, 2, v1
	v_mul_f32_e32 v0, 0x4f7ffffe, v0
	v_cvt_u32_f32_e32 v0, v0
	v_lshrrev_b32_e32 v81, 6, v1
	v_mov_b32_e32 v74, 0
	v_mov_b32_e32 v5, 0
	v_readfirstlane_b32 s13, v0
	s_mul_i32 s3, s3, s13
	s_mul_hi_u32 s3, s13, s3
	s_add_i32 s13, s13, s3
	s_mul_hi_u32 s3, s2, s13
	s_mul_i32 s13, s3, s12
	s_sub_i32 s13, s2, s13
	s_add_i32 s26, s3, 1
	s_sub_i32 s27, s13, s12
	s_cmp_ge_u32 s13, s12
	s_cselect_b32 s3, s26, s3
	s_cselect_b32 s13, s27, s13
	s_add_i32 s26, s3, 1
	s_cmp_ge_u32 s13, s12
	s_cselect_b32 s3, s26, s3
	s_mul_i32 s12, s3, s12
	s_sub_i32 s2, s2, s12
	s_lshl_b32 s13, s3, 7
	s_lshl_b32 s12, s2, 6
	v_or_b32_e32 v70, s13, v72
	s_and_b64 vcc, exec, s[6:7]
	v_add_u32_e32 v73, s12, v4
	v_lshlrev_b32_e32 v0, 2, v80
	v_ashrrev_i32_e32 v71, 31, v70
	v_mov_b32_e32 v2, 0
	v_mov_b32_e32 v3, 0
	s_cbranch_vccnz .LBB96_9
; %bb.8:
	v_mad_i64_i32 v[2:3], s[2:3], v73, s19, 0
	v_mad_i64_i32 v[6:7], s[2:3], s24, v81, 0
	v_lshl_add_u64 v[2:3], v[2:3], 2, s[22:23]
	v_mov_b32_e32 v1, 0
	v_lshl_add_u64 v[6:7], v[6:7], 2, s[20:21]
	v_lshl_add_u64 v[2:3], v[2:3], 0, v[0:1]
	;; [unrolled: 1-line block ×3, first 2 shown]
	global_load_dword v2, v[2:3], off
	s_nop 0
	global_load_dword v1, v[6:7], off
	global_load_dword v3, v[6:7], off offset:256
	s_waitcnt vmcnt(1)
	v_mul_f32_e32 v5, s18, v1
	s_waitcnt vmcnt(0)
	v_pk_mul_f32 v[2:3], s[18:19], v[2:3] op_sel_hi:[0,1]
.LBB96_9:
	s_and_b64 vcc, exec, s[6:7]
	v_add_u32_e32 v82, 4, v81
	v_mov_b32_e32 v68, 0
	v_mov_b32_e32 v69, 0
	s_cbranch_vccnz .LBB96_11
; %bb.10:
	v_mad_i64_i32 v[6:7], s[2:3], v73, s19, 0
	v_mad_i64_i32 v[8:9], s[2:3], s24, v82, 0
	v_lshl_add_u64 v[6:7], v[6:7], 2, s[22:23]
	v_mov_b32_e32 v1, 0
	v_lshl_add_u64 v[8:9], v[8:9], 2, s[20:21]
	v_lshl_add_u64 v[6:7], v[6:7], 0, v[0:1]
	;; [unrolled: 1-line block ×3, first 2 shown]
	global_load_dword v6, v[6:7], off offset:16
	s_nop 0
	global_load_dword v1, v[8:9], off
	global_load_dword v7, v[8:9], off offset:256
	s_waitcnt vmcnt(1)
	v_mul_f32_e32 v74, s18, v1
	s_waitcnt vmcnt(0)
	v_pk_mul_f32 v[68:69], s[18:19], v[6:7] op_sel_hi:[0,1]
.LBB96_11:
	v_lshl_or_b32 v75, v4, 4, v0
	v_lshlrev_b32_e32 v0, 4, v72
	v_lshl_add_u32 v83, v81, 2, v0
	v_mov_b32_e32 v0, 0x1000
	v_mov_b32_e32 v66, 0
	v_cmp_neq_f32_e64 s[2:3], s17, 0
	ds_write2st64_b32 v83, v5, v3 offset1:4
	v_lshl_add_u32 v84, v78, 4, v0
	s_mov_b32 s26, 0
	s_mov_b64 s[6:7], -1
	v_mov_b32_e32 v67, v66
	v_mov_b32_e32 v64, v66
	;; [unrolled: 1-line block ×63, first 2 shown]
	v_add_u32_e32 v85, 0x1000, v75
	v_lshlrev_b32_e32 v86, 4, v79
	ds_write_b32 v75, v2 offset:4096
	s_waitcnt lgkmcnt(0)
	s_barrier
.LBB96_12:                              ; =>This Inner Loop Header: Depth=1
	v_cndmask_b32_e64 v0, 0, 1, s[6:7]
	s_lshl_b32 s6, s26, 2
	v_cmp_ne_u32_e32 vcc, 1, v0
	v_add_u32_e32 v0, s6, v84
	ds_read2_b64 v[88:91], v0 offset1:16
	ds_read2_b64 v[92:95], v0 offset0:32 offset1:48
	ds_read2_b64 v[96:99], v0 offset0:64 offset1:80
	;; [unrolled: 1-line block ×3, first 2 shown]
	v_add_u32_e32 v0, s6, v86
	ds_read2st64_b64 v[104:107], v0 offset1:1
	ds_read2st64_b64 v[0:3], v0 offset0:2 offset1:3
	s_waitcnt lgkmcnt(5)
	v_max_f32_e32 v88, v88, v88
	v_max_f32_e32 v89, v89, v89
	;; [unrolled: 1-line block ×3, first 2 shown]
	s_waitcnt lgkmcnt(1)
	v_max_f32_e32 v87, v104, v104
	v_max_f32_e32 v104, v105, v105
	v_min_f32_e32 v76, v88, v87
	v_min_f32_e32 v77, v89, v104
	v_max_f32_e32 v91, v91, v91
	v_pk_add_f32 v[66:67], v[76:77], v[66:67]
	v_min_f32_e32 v76, v90, v87
	v_min_f32_e32 v77, v91, v104
	v_max_f32_e32 v92, v92, v92
	v_max_f32_e32 v93, v93, v93
	v_pk_add_f32 v[64:65], v[76:77], v[64:65]
	v_min_f32_e32 v76, v92, v87
	v_min_f32_e32 v77, v93, v104
	v_max_f32_e32 v94, v94, v94
	;; [unrolled: 5-line block ×6, first 2 shown]
	v_pk_add_f32 v[54:55], v[76:77], v[54:55]
	v_min_f32_e32 v76, v102, v87
	v_max_f32_e32 v87, v103, v103
	v_min_f32_e32 v77, v87, v104
	v_max_f32_e32 v103, v106, v106
	v_max_f32_e32 v104, v107, v107
	v_pk_add_f32 v[52:53], v[76:77], v[52:53]
	v_min_f32_e32 v76, v88, v103
	v_min_f32_e32 v77, v89, v104
	v_pk_add_f32 v[50:51], v[76:77], v[50:51]
	v_min_f32_e32 v76, v90, v103
	v_min_f32_e32 v77, v91, v104
	;; [unrolled: 3-line block ×8, first 2 shown]
	v_pk_add_f32 v[36:37], v[76:77], v[36:37]
	s_waitcnt lgkmcnt(0)
	v_max_f32_e32 v76, v0, v0
	v_max_f32_e32 v77, v1, v1
	v_min_f32_e32 v0, v88, v76
	v_min_f32_e32 v1, v89, v77
	v_pk_add_f32 v[34:35], v[0:1], v[34:35]
	v_min_f32_e32 v0, v90, v76
	v_min_f32_e32 v1, v91, v77
	v_pk_add_f32 v[32:33], v[0:1], v[32:33]
	;; [unrolled: 3-line block ×7, first 2 shown]
	v_min_f32_e32 v0, v102, v76
	v_min_f32_e32 v1, v87, v77
	v_max_f32_e32 v2, v2, v2
	v_max_f32_e32 v3, v3, v3
	v_pk_add_f32 v[20:21], v[0:1], v[20:21]
	v_min_f32_e32 v0, v88, v2
	v_min_f32_e32 v1, v89, v3
	v_pk_add_f32 v[18:19], v[0:1], v[18:19]
	v_min_f32_e32 v0, v90, v2
	v_min_f32_e32 v1, v91, v3
	;; [unrolled: 3-line block ×8, first 2 shown]
	v_pk_add_f32 v[4:5], v[0:1], v[4:5]
	s_mov_b64 s[6:7], 0
	s_mov_b32 s26, 2
	s_cbranch_vccz .LBB96_12
; %bb.13:
	s_load_dword s26, s[0:1], 0x8
	v_lshlrev_b32_e32 v0, 2, v81
	v_lshl_add_u32 v0, v72, 4, v0
	ds_write_b32 v75, v68 offset:5120
	ds_write2st64_b32 v0, v74, v69 offset0:8 offset1:12
	s_waitcnt lgkmcnt(0)
	s_cmp_lt_i32 s26, 9
	s_barrier
	s_cbranch_scc1 .LBB96_28
; %bb.14:
	v_or_b32_e32 v88, 0x800, v0
	v_mad_i64_i32 v[0:1], s[6:7], v73, s19, 0
	v_lshl_add_u64 v[68:69], v[0:1], 2, s[22:23]
	v_mov_b32_e32 v0, 0x1400
	v_lshl_add_u32 v89, v78, 4, v0
	v_mov_b32_e32 v0, 0x800
	v_add_u32_e32 v87, 0x1400, v75
	s_add_i32 s26, s26, -8
	v_lshl_add_u32 v90, v79, 4, v0
	v_lshl_add_u64 v[70:71], v[70:71], 2, s[20:21]
	s_mov_b32 s19, s18
	s_mov_b32 s20, 8
	;; [unrolled: 1-line block ×3, first 2 shown]
	v_mov_b32_e32 v73, 0
.LBB96_15:                              ; =>This Loop Header: Depth=1
                                        ;     Child Loop BB96_20 Depth 2
                                        ;     Child Loop BB96_26 Depth 2
	s_mov_b64 s[6:7], -1
	s_mov_b64 vcc, s[4:5]
                                        ; implicit-def: $vgpr74_vgpr75
	s_cbranch_vccz .LBB96_17
; %bb.16:                               ;   in Loop: Header=BB96_15 Depth=1
	v_mov_b32_e32 v74, v73
	s_mov_b64 s[6:7], 0
.LBB96_17:                              ;   in Loop: Header=BB96_15 Depth=1
	v_mov_b32_e32 v76, 0
	s_andn2_b64 vcc, exec, s[6:7]
	v_mov_b32_e32 v77, 0
	s_cbranch_vccnz .LBB96_19
; %bb.18:                               ;   in Loop: Header=BB96_15 Depth=1
	v_or_b32_e32 v72, s20, v80
	v_lshl_add_u64 v[0:1], v[72:73], 2, v[68:69]
	global_load_dword v0, v[0:1], off
	v_add_u32_e32 v1, s20, v81
	v_mad_u64_u32 v[2:3], s[6:7], v1, s24, 0
	v_mov_b32_e32 v72, v3
	v_mad_u64_u32 v[74:75], s[6:7], v1, s25, v[72:73]
	v_mov_b32_e32 v3, v74
	v_lshl_add_u64 v[2:3], v[2:3], 2, v[70:71]
	global_load_dword v72, v[2:3], off
	global_load_dword v1, v[2:3], off offset:256
	s_waitcnt vmcnt(1)
	v_mul_f32_e32 v74, s18, v72
	s_waitcnt vmcnt(0)
	v_pk_mul_f32 v[76:77], s[18:19], v[0:1]
.LBB96_19:                              ;   in Loop: Header=BB96_15 Depth=1
	s_mov_b32 s22, 0
	s_mov_b64 s[6:7], -1
.LBB96_20:                              ;   Parent Loop BB96_15 Depth=1
                                        ; =>  This Inner Loop Header: Depth=2
	v_cndmask_b32_e64 v0, 0, 1, s[6:7]
	s_lshl_b32 s6, s22, 2
	v_cmp_ne_u32_e32 vcc, 1, v0
	v_add_u32_e32 v0, s6, v89
	ds_read2_b64 v[92:95], v0 offset1:16
	ds_read2_b64 v[96:99], v0 offset0:32 offset1:48
	ds_read2_b64 v[100:103], v0 offset0:64 offset1:80
	;; [unrolled: 1-line block ×3, first 2 shown]
	v_add_u32_e32 v0, s6, v90
	ds_read2st64_b64 v[108:111], v0 offset1:1
	ds_read2st64_b64 v[0:3], v0 offset0:2 offset1:3
	s_waitcnt lgkmcnt(5)
	v_max_f32_e32 v75, v92, v92
	v_max_f32_e32 v94, v94, v94
	;; [unrolled: 1-line block ×3, first 2 shown]
	s_waitcnt lgkmcnt(1)
	v_max_f32_e32 v72, v108, v108
	v_max_f32_e32 v91, v109, v109
	;; [unrolled: 1-line block ×3, first 2 shown]
	v_min_f32_e32 v92, v75, v72
	v_min_f32_e32 v93, v108, v91
	v_pk_add_f32 v[66:67], v[92:93], v[66:67]
	v_min_f32_e32 v92, v94, v72
	v_min_f32_e32 v93, v95, v91
	v_max_f32_e32 v96, v96, v96
	v_max_f32_e32 v97, v97, v97
	v_pk_add_f32 v[64:65], v[92:93], v[64:65]
	v_min_f32_e32 v92, v96, v72
	v_min_f32_e32 v93, v97, v91
	v_max_f32_e32 v98, v98, v98
	v_max_f32_e32 v99, v99, v99
	;; [unrolled: 5-line block ×5, first 2 shown]
	v_pk_add_f32 v[56:57], v[92:93], v[56:57]
	v_min_f32_e32 v92, v104, v72
	v_min_f32_e32 v93, v105, v91
	v_max_f32_e32 v106, v106, v106
	v_pk_add_f32 v[54:55], v[92:93], v[54:55]
	v_min_f32_e32 v92, v106, v72
	v_max_f32_e32 v72, v107, v107
	v_min_f32_e32 v93, v72, v91
	v_max_f32_e32 v91, v110, v110
	v_max_f32_e32 v107, v111, v111
	v_pk_add_f32 v[52:53], v[92:93], v[52:53]
	v_min_f32_e32 v92, v75, v91
	v_min_f32_e32 v93, v108, v107
	v_pk_add_f32 v[50:51], v[92:93], v[50:51]
	v_min_f32_e32 v92, v94, v91
	v_min_f32_e32 v93, v95, v107
	;; [unrolled: 3-line block ×8, first 2 shown]
	v_pk_add_f32 v[36:37], v[92:93], v[36:37]
	s_waitcnt lgkmcnt(0)
	v_max_f32_e32 v91, v0, v0
	v_max_f32_e32 v92, v1, v1
	v_min_f32_e32 v0, v75, v91
	v_min_f32_e32 v1, v108, v92
	v_pk_add_f32 v[34:35], v[0:1], v[34:35]
	v_min_f32_e32 v0, v94, v91
	v_min_f32_e32 v1, v95, v92
	v_pk_add_f32 v[32:33], v[0:1], v[32:33]
	;; [unrolled: 3-line block ×7, first 2 shown]
	v_min_f32_e32 v0, v106, v91
	v_min_f32_e32 v1, v72, v92
	v_max_f32_e32 v2, v2, v2
	v_max_f32_e32 v3, v3, v3
	v_pk_add_f32 v[20:21], v[0:1], v[20:21]
	v_min_f32_e32 v0, v75, v2
	v_min_f32_e32 v1, v108, v3
	v_pk_add_f32 v[18:19], v[0:1], v[18:19]
	v_min_f32_e32 v0, v94, v2
	v_min_f32_e32 v1, v95, v3
	;; [unrolled: 3-line block ×8, first 2 shown]
	v_pk_add_f32 v[4:5], v[0:1], v[4:5]
	s_mov_b64 s[6:7], 0
	s_mov_b32 s22, 2
	s_cbranch_vccz .LBB96_20
; %bb.21:                               ;   in Loop: Header=BB96_15 Depth=1
	s_mov_b64 s[6:7], -1
	s_mov_b64 vcc, s[4:5]
	ds_write_b32 v85, v76
	ds_write2st64_b32 v83, v74, v77 offset1:4
	s_waitcnt lgkmcnt(0)
	s_barrier
                                        ; implicit-def: $vgpr74_vgpr75
	s_cbranch_vccz .LBB96_23
; %bb.22:                               ;   in Loop: Header=BB96_15 Depth=1
	v_mov_b32_e32 v74, v73
	s_mov_b64 s[6:7], 0
.LBB96_23:                              ;   in Loop: Header=BB96_15 Depth=1
	v_mov_b32_e32 v76, 0
	s_andn2_b64 vcc, exec, s[6:7]
	v_mov_b32_e32 v77, 0
	s_cbranch_vccnz .LBB96_25
; %bb.24:                               ;   in Loop: Header=BB96_15 Depth=1
	v_or_b32_e32 v72, s20, v80
	v_lshl_add_u64 v[0:1], v[72:73], 2, v[68:69]
	global_load_dword v0, v[0:1], off offset:16
	v_add_u32_e32 v1, s20, v82
	v_mad_u64_u32 v[2:3], s[6:7], v1, s24, 0
	v_mov_b32_e32 v72, v3
	v_mad_u64_u32 v[74:75], s[6:7], v1, s25, v[72:73]
	v_mov_b32_e32 v3, v74
	v_lshl_add_u64 v[2:3], v[2:3], 2, v[70:71]
	global_load_dword v72, v[2:3], off
	global_load_dword v1, v[2:3], off offset:256
	s_waitcnt vmcnt(1)
	v_mul_f32_e32 v74, s18, v72
	s_waitcnt vmcnt(0)
	v_pk_mul_f32 v[76:77], s[18:19], v[0:1]
.LBB96_25:                              ;   in Loop: Header=BB96_15 Depth=1
	s_mov_b32 s22, 0
	s_mov_b64 s[6:7], -1
.LBB96_26:                              ;   Parent Loop BB96_15 Depth=1
                                        ; =>  This Inner Loop Header: Depth=2
	v_cndmask_b32_e64 v0, 0, 1, s[6:7]
	s_lshl_b32 s6, s22, 2
	v_cmp_ne_u32_e32 vcc, 1, v0
	v_add_u32_e32 v0, s6, v84
	ds_read2_b64 v[92:95], v0 offset1:16
	ds_read2_b64 v[96:99], v0 offset0:32 offset1:48
	ds_read2_b64 v[100:103], v0 offset0:64 offset1:80
	;; [unrolled: 1-line block ×3, first 2 shown]
	v_add_u32_e32 v0, s6, v86
	ds_read2st64_b64 v[108:111], v0 offset1:1
	ds_read2st64_b64 v[0:3], v0 offset0:2 offset1:3
	s_waitcnt lgkmcnt(5)
	v_max_f32_e32 v75, v92, v92
	v_max_f32_e32 v94, v94, v94
	;; [unrolled: 1-line block ×3, first 2 shown]
	s_waitcnt lgkmcnt(1)
	v_max_f32_e32 v72, v108, v108
	v_max_f32_e32 v91, v109, v109
	;; [unrolled: 1-line block ×3, first 2 shown]
	v_min_f32_e32 v92, v75, v72
	v_min_f32_e32 v93, v108, v91
	v_pk_add_f32 v[66:67], v[92:93], v[66:67]
	v_min_f32_e32 v92, v94, v72
	v_min_f32_e32 v93, v95, v91
	v_max_f32_e32 v96, v96, v96
	v_max_f32_e32 v97, v97, v97
	v_pk_add_f32 v[64:65], v[92:93], v[64:65]
	v_min_f32_e32 v92, v96, v72
	v_min_f32_e32 v93, v97, v91
	v_max_f32_e32 v98, v98, v98
	v_max_f32_e32 v99, v99, v99
	;; [unrolled: 5-line block ×5, first 2 shown]
	v_pk_add_f32 v[56:57], v[92:93], v[56:57]
	v_min_f32_e32 v92, v104, v72
	v_min_f32_e32 v93, v105, v91
	v_max_f32_e32 v106, v106, v106
	v_pk_add_f32 v[54:55], v[92:93], v[54:55]
	v_min_f32_e32 v92, v106, v72
	v_max_f32_e32 v72, v107, v107
	v_min_f32_e32 v93, v72, v91
	v_max_f32_e32 v91, v110, v110
	v_max_f32_e32 v107, v111, v111
	v_pk_add_f32 v[52:53], v[92:93], v[52:53]
	v_min_f32_e32 v92, v75, v91
	v_min_f32_e32 v93, v108, v107
	v_pk_add_f32 v[50:51], v[92:93], v[50:51]
	v_min_f32_e32 v92, v94, v91
	v_min_f32_e32 v93, v95, v107
	;; [unrolled: 3-line block ×8, first 2 shown]
	v_pk_add_f32 v[36:37], v[92:93], v[36:37]
	s_waitcnt lgkmcnt(0)
	v_max_f32_e32 v91, v0, v0
	v_max_f32_e32 v92, v1, v1
	v_min_f32_e32 v0, v75, v91
	v_min_f32_e32 v1, v108, v92
	v_pk_add_f32 v[34:35], v[0:1], v[34:35]
	v_min_f32_e32 v0, v94, v91
	v_min_f32_e32 v1, v95, v92
	v_pk_add_f32 v[32:33], v[0:1], v[32:33]
	;; [unrolled: 3-line block ×7, first 2 shown]
	v_min_f32_e32 v0, v106, v91
	v_min_f32_e32 v1, v72, v92
	v_max_f32_e32 v2, v2, v2
	v_max_f32_e32 v3, v3, v3
	v_pk_add_f32 v[20:21], v[0:1], v[20:21]
	v_min_f32_e32 v0, v75, v2
	v_min_f32_e32 v1, v108, v3
	v_pk_add_f32 v[18:19], v[0:1], v[18:19]
	v_min_f32_e32 v0, v94, v2
	v_min_f32_e32 v1, v95, v3
	;; [unrolled: 3-line block ×8, first 2 shown]
	v_pk_add_f32 v[4:5], v[0:1], v[4:5]
	s_mov_b64 s[6:7], 0
	s_mov_b32 s22, 2
	s_cbranch_vccz .LBB96_26
; %bb.27:                               ;   in Loop: Header=BB96_15 Depth=1
	s_add_i32 s20, s20, 8
	s_add_i32 s21, s21, 8
	s_cmp_ge_i32 s21, s26
	ds_write_b32 v87, v76
	ds_write2st64_b32 v88, v74, v77 offset1:4
	s_waitcnt lgkmcnt(0)
	s_barrier
	s_cbranch_scc0 .LBB96_15
.LBB96_28:
	v_mov_b32_e32 v0, 0x1400
	v_lshl_add_u32 v68, v78, 4, v0
	v_mov_b32_e32 v0, 0x800
	v_lshl_add_u32 v69, v79, 4, v0
	s_mov_b32 s6, 0
	s_mov_b64 s[4:5], -1
.LBB96_29:                              ; =>This Inner Loop Header: Depth=1
	v_cndmask_b32_e64 v0, 0, 1, s[4:5]
	s_lshl_b32 s4, s6, 2
	v_cmp_ne_u32_e32 vcc, 1, v0
	v_add_u32_e32 v0, s4, v68
	ds_read2_b64 v[70:73], v0 offset1:16
	ds_read2_b64 v[74:77], v0 offset0:32 offset1:48
	ds_read2_b64 v[80:83], v0 offset0:64 offset1:80
	;; [unrolled: 1-line block ×3, first 2 shown]
	v_add_u32_e32 v0, s4, v69
	ds_read2st64_b64 v[88:91], v0 offset1:1
	ds_read2st64_b64 v[0:3], v0 offset0:2 offset1:3
	s_waitcnt lgkmcnt(5)
	v_max_f32_e32 v92, v70, v70
	v_max_f32_e32 v93, v71, v71
	;; [unrolled: 1-line block ×3, first 2 shown]
	s_waitcnt lgkmcnt(1)
	v_max_f32_e32 v88, v88, v88
	v_max_f32_e32 v89, v89, v89
	v_min_f32_e32 v70, v92, v88
	v_min_f32_e32 v71, v93, v89
	v_max_f32_e32 v73, v73, v73
	v_pk_add_f32 v[66:67], v[70:71], v[66:67]
	v_min_f32_e32 v70, v72, v88
	v_min_f32_e32 v71, v73, v89
	v_max_f32_e32 v74, v74, v74
	v_max_f32_e32 v75, v75, v75
	v_pk_add_f32 v[64:65], v[70:71], v[64:65]
	v_min_f32_e32 v70, v74, v88
	v_min_f32_e32 v71, v75, v89
	v_max_f32_e32 v76, v76, v76
	;; [unrolled: 5-line block ×7, first 2 shown]
	v_max_f32_e32 v89, v91, v91
	v_pk_add_f32 v[52:53], v[70:71], v[52:53]
	v_min_f32_e32 v70, v92, v88
	v_min_f32_e32 v71, v93, v89
	v_pk_add_f32 v[50:51], v[70:71], v[50:51]
	v_min_f32_e32 v70, v72, v88
	v_min_f32_e32 v71, v73, v89
	;; [unrolled: 3-line block ×8, first 2 shown]
	v_pk_add_f32 v[36:37], v[70:71], v[36:37]
	s_waitcnt lgkmcnt(0)
	v_max_f32_e32 v70, v0, v0
	v_max_f32_e32 v71, v1, v1
	v_min_f32_e32 v0, v92, v70
	v_min_f32_e32 v1, v93, v71
	v_pk_add_f32 v[34:35], v[0:1], v[34:35]
	v_min_f32_e32 v0, v72, v70
	v_min_f32_e32 v1, v73, v71
	v_pk_add_f32 v[32:33], v[0:1], v[32:33]
	;; [unrolled: 3-line block ×7, first 2 shown]
	v_min_f32_e32 v0, v86, v70
	v_min_f32_e32 v1, v87, v71
	v_max_f32_e32 v2, v2, v2
	v_max_f32_e32 v3, v3, v3
	v_pk_add_f32 v[20:21], v[0:1], v[20:21]
	v_min_f32_e32 v0, v92, v2
	v_min_f32_e32 v1, v93, v3
	v_pk_add_f32 v[18:19], v[0:1], v[18:19]
	v_min_f32_e32 v0, v72, v2
	v_min_f32_e32 v1, v73, v3
	;; [unrolled: 3-line block ×8, first 2 shown]
	v_pk_add_f32 v[4:5], v[0:1], v[4:5]
	s_mov_b64 s[4:5], 0
	s_mov_b32 s6, 2
	s_cbranch_vccz .LBB96_29
; %bb.30:
	s_load_dword s6, s[0:1], 0x58
	v_add_u32_e32 v72, s13, v79
	v_add_u32_e32 v0, s12, v78
	v_ashrrev_i32_e32 v1, 31, v0
	v_mov_b32_e32 v73, 0
	s_waitcnt lgkmcnt(0)
	v_mad_i64_i32 v[2:3], s[4:5], v72, s6, 0
	v_lshl_add_u64 v[68:69], v[2:3], 2, s[10:11]
	v_cndmask_b32_e64 v2, 0, 1, s[2:3]
	v_cmp_ne_u32_e64 s[4:5], 1, v2
	s_andn2_b64 vcc, exec, s[2:3]
	v_mov_b32_e32 v74, 0
	s_cbranch_vccnz .LBB96_32
; %bb.31:
	v_lshl_add_u64 v[2:3], v[0:1], 2, v[68:69]
	global_load_dword v2, v[2:3], off
	s_waitcnt vmcnt(0)
	v_mul_f32_e32 v74, s17, v2
.LBB96_32:
	s_load_dwordx2 s[12:13], s[0:1], 0x78
	s_load_dword s2, s[0:1], 0x70
	v_add_u32_e32 v2, 8, v0
	v_add_f32_e32 v66, v66, v67
	v_ashrrev_i32_e32 v3, 31, v2
	s_waitcnt lgkmcnt(0)
	s_mul_i32 s1, s13, s16
	s_mul_hi_u32 s3, s12, s16
	s_mul_i32 s0, s12, s16
	s_add_i32 s1, s3, s1
	s_lshl_b64 s[0:1], s[0:1], 2
	s_add_u32 s0, s14, s0
	s_addc_u32 s1, s15, s1
	v_mad_i64_i32 v[70:71], s[12:13], v72, s2, 0
	v_lshl_add_u64 v[70:71], v[70:71], 2, s[0:1]
	v_add_f32_e32 v74, v66, v74
	v_lshl_add_u64 v[66:67], v[0:1], 2, v[70:71]
	s_and_b64 vcc, exec, s[4:5]
	global_store_dword v[66:67], v74, off
	s_cbranch_vccnz .LBB96_34
; %bb.33:
	v_lshl_add_u64 v[66:67], v[2:3], 2, v[68:69]
	global_load_dword v66, v[66:67], off
	s_waitcnt vmcnt(0)
	v_mul_f32_e32 v73, s17, v66
.LBB96_34:
	v_add_f32_e32 v66, v64, v65
	v_add_u32_e32 v64, 16, v0
	v_add_f32_e32 v73, v66, v73
	v_lshl_add_u64 v[66:67], v[2:3], 2, v[70:71]
	v_ashrrev_i32_e32 v65, 31, v64
	global_store_dword v[66:67], v73, off
	v_mov_b32_e32 v66, 0
	s_and_b64 vcc, exec, s[4:5]
	v_mov_b32_e32 v67, 0
	s_cbranch_vccnz .LBB96_36
; %bb.35:
	v_lshl_add_u64 v[74:75], v[64:65], 2, v[68:69]
	global_load_dword v67, v[74:75], off
	s_waitcnt vmcnt(0)
	v_mul_f32_e32 v67, s17, v67
.LBB96_36:
	v_add_f32_e32 v73, v62, v63
	v_add_u32_e32 v62, 24, v0
	v_ashrrev_i32_e32 v63, 31, v62
	v_add_f32_e32 v67, v73, v67
	v_lshl_add_u64 v[74:75], v[64:65], 2, v[70:71]
	s_and_b64 vcc, exec, s[4:5]
	global_store_dword v[74:75], v67, off
	s_cbranch_vccnz .LBB96_38
; %bb.37:
	v_lshl_add_u64 v[66:67], v[62:63], 2, v[68:69]
	global_load_dword v66, v[66:67], off
	s_waitcnt vmcnt(0)
	v_mul_f32_e32 v66, s17, v66
.LBB96_38:
	v_add_f32_e32 v67, v60, v61
	v_add_u32_e32 v60, 32, v0
	v_add_f32_e32 v73, v67, v66
	v_lshl_add_u64 v[66:67], v[62:63], 2, v[70:71]
	v_ashrrev_i32_e32 v61, 31, v60
	global_store_dword v[66:67], v73, off
	v_mov_b32_e32 v66, 0
	s_and_b64 vcc, exec, s[4:5]
	v_mov_b32_e32 v67, 0
	s_cbranch_vccnz .LBB96_40
; %bb.39:
	v_lshl_add_u64 v[74:75], v[60:61], 2, v[68:69]
	global_load_dword v67, v[74:75], off
	s_waitcnt vmcnt(0)
	v_mul_f32_e32 v67, s17, v67
.LBB96_40:
	v_add_f32_e32 v73, v58, v59
	v_add_u32_e32 v58, 40, v0
	v_ashrrev_i32_e32 v59, 31, v58
	;; [unrolled: 30-line block ×3, first 2 shown]
	v_add_f32_e32 v67, v73, v67
	v_lshl_add_u64 v[74:75], v[56:57], 2, v[70:71]
	s_and_b64 vcc, exec, s[4:5]
	global_store_dword v[74:75], v67, off
	s_cbranch_vccnz .LBB96_46
; %bb.45:
	v_lshl_add_u64 v[66:67], v[54:55], 2, v[68:69]
	global_load_dword v66, v[66:67], off
	s_waitcnt vmcnt(0)
	v_mul_f32_e32 v66, s17, v66
.LBB96_46:
	v_add_f32_e32 v52, v52, v53
	v_add_f32_e32 v66, v52, v66
	v_lshl_add_u64 v[52:53], v[54:55], 2, v[70:71]
	global_store_dword v[52:53], v66, off
	v_add_u32_e32 v66, 32, v72
	v_mad_i64_i32 v[52:53], s[12:13], v66, s6, 0
	v_lshl_add_u64 v[52:53], v[52:53], 2, s[10:11]
	v_mov_b32_e32 v68, 0
	s_and_b64 vcc, exec, s[4:5]
	v_mov_b32_e32 v69, 0
	s_cbranch_vccnz .LBB96_48
; %bb.47:
	v_lshl_add_u64 v[70:71], v[0:1], 2, v[52:53]
	global_load_dword v67, v[70:71], off
	s_waitcnt vmcnt(0)
	v_mul_f32_e32 v69, s17, v67
.LBB96_48:
	v_mad_i64_i32 v[66:67], s[12:13], v66, s2, 0
	v_lshl_add_u64 v[66:67], v[66:67], 2, s[0:1]
	v_add_f32_e32 v50, v50, v51
	v_add_f32_e32 v69, v50, v69
	v_lshl_add_u64 v[50:51], v[0:1], 2, v[66:67]
	s_and_b64 vcc, exec, s[4:5]
	global_store_dword v[50:51], v69, off
	s_cbranch_vccnz .LBB96_50
; %bb.49:
	v_lshl_add_u64 v[50:51], v[2:3], 2, v[52:53]
	global_load_dword v50, v[50:51], off
	s_waitcnt vmcnt(0)
	v_mul_f32_e32 v68, s17, v50
.LBB96_50:
	v_add_f32_e32 v48, v48, v49
	v_add_f32_e32 v50, v48, v68
	v_lshl_add_u64 v[48:49], v[2:3], 2, v[66:67]
	global_store_dword v[48:49], v50, off
	v_mov_b32_e32 v48, 0
	s_and_b64 vcc, exec, s[4:5]
	v_mov_b32_e32 v49, 0
	s_cbranch_vccnz .LBB96_52
; %bb.51:
	v_lshl_add_u64 v[50:51], v[64:65], 2, v[52:53]
	global_load_dword v49, v[50:51], off
	s_waitcnt vmcnt(0)
	v_mul_f32_e32 v49, s17, v49
.LBB96_52:
	v_add_f32_e32 v46, v46, v47
	v_add_f32_e32 v49, v46, v49
	v_lshl_add_u64 v[46:47], v[64:65], 2, v[66:67]
	s_and_b64 vcc, exec, s[4:5]
	global_store_dword v[46:47], v49, off
	s_cbranch_vccnz .LBB96_54
; %bb.53:
	v_lshl_add_u64 v[46:47], v[62:63], 2, v[52:53]
	global_load_dword v46, v[46:47], off
	s_waitcnt vmcnt(0)
	v_mul_f32_e32 v48, s17, v46
.LBB96_54:
	v_add_f32_e32 v44, v44, v45
	v_add_f32_e32 v46, v44, v48
	v_lshl_add_u64 v[44:45], v[62:63], 2, v[66:67]
	global_store_dword v[44:45], v46, off
	v_mov_b32_e32 v44, 0
	s_and_b64 vcc, exec, s[4:5]
	v_mov_b32_e32 v45, 0
	s_cbranch_vccnz .LBB96_56
; %bb.55:
	v_lshl_add_u64 v[46:47], v[60:61], 2, v[52:53]
	global_load_dword v45, v[46:47], off
	s_waitcnt vmcnt(0)
	v_mul_f32_e32 v45, s17, v45
.LBB96_56:
	;; [unrolled: 26-line block ×3, first 2 shown]
	v_add_f32_e32 v38, v38, v39
	v_add_f32_e32 v41, v38, v41
	v_lshl_add_u64 v[38:39], v[56:57], 2, v[66:67]
	s_and_b64 vcc, exec, s[4:5]
	global_store_dword v[38:39], v41, off
	s_cbranch_vccnz .LBB96_62
; %bb.61:
	v_lshl_add_u64 v[38:39], v[54:55], 2, v[52:53]
	global_load_dword v38, v[38:39], off
	s_waitcnt vmcnt(0)
	v_mul_f32_e32 v40, s17, v38
.LBB96_62:
	v_add_f32_e32 v36, v36, v37
	v_add_f32_e32 v38, v36, v40
	v_lshl_add_u64 v[36:37], v[54:55], 2, v[66:67]
	global_store_dword v[36:37], v38, off
	v_add_u32_e32 v38, 64, v72
	v_mad_i64_i32 v[36:37], s[12:13], v38, s6, 0
	v_lshl_add_u64 v[36:37], v[36:37], 2, s[10:11]
	v_mov_b32_e32 v40, 0
	s_and_b64 vcc, exec, s[4:5]
	v_mov_b32_e32 v41, 0
	s_cbranch_vccnz .LBB96_64
; %bb.63:
	v_lshl_add_u64 v[42:43], v[0:1], 2, v[36:37]
	global_load_dword v39, v[42:43], off
	s_waitcnt vmcnt(0)
	v_mul_f32_e32 v41, s17, v39
.LBB96_64:
	v_mad_i64_i32 v[38:39], s[12:13], v38, s2, 0
	v_lshl_add_u64 v[38:39], v[38:39], 2, s[0:1]
	v_add_f32_e32 v34, v34, v35
	v_add_f32_e32 v41, v34, v41
	v_lshl_add_u64 v[34:35], v[0:1], 2, v[38:39]
	s_and_b64 vcc, exec, s[4:5]
	global_store_dword v[34:35], v41, off
	s_cbranch_vccnz .LBB96_66
; %bb.65:
	v_lshl_add_u64 v[34:35], v[2:3], 2, v[36:37]
	global_load_dword v34, v[34:35], off
	s_waitcnt vmcnt(0)
	v_mul_f32_e32 v40, s17, v34
.LBB96_66:
	v_add_f32_e32 v32, v32, v33
	v_add_f32_e32 v34, v32, v40
	v_lshl_add_u64 v[32:33], v[2:3], 2, v[38:39]
	global_store_dword v[32:33], v34, off
	v_mov_b32_e32 v32, 0
	s_and_b64 vcc, exec, s[4:5]
	v_mov_b32_e32 v33, 0
	s_cbranch_vccnz .LBB96_68
; %bb.67:
	v_lshl_add_u64 v[34:35], v[64:65], 2, v[36:37]
	global_load_dword v33, v[34:35], off
	s_waitcnt vmcnt(0)
	v_mul_f32_e32 v33, s17, v33
.LBB96_68:
	v_add_f32_e32 v30, v30, v31
	v_add_f32_e32 v33, v30, v33
	v_lshl_add_u64 v[30:31], v[64:65], 2, v[38:39]
	s_and_b64 vcc, exec, s[4:5]
	global_store_dword v[30:31], v33, off
	s_cbranch_vccnz .LBB96_70
; %bb.69:
	v_lshl_add_u64 v[30:31], v[62:63], 2, v[36:37]
	global_load_dword v30, v[30:31], off
	s_waitcnt vmcnt(0)
	v_mul_f32_e32 v32, s17, v30
.LBB96_70:
	v_add_f32_e32 v28, v28, v29
	v_add_f32_e32 v30, v28, v32
	v_lshl_add_u64 v[28:29], v[62:63], 2, v[38:39]
	global_store_dword v[28:29], v30, off
	v_mov_b32_e32 v28, 0
	s_and_b64 vcc, exec, s[4:5]
	v_mov_b32_e32 v29, 0
	s_cbranch_vccnz .LBB96_72
; %bb.71:
	v_lshl_add_u64 v[30:31], v[60:61], 2, v[36:37]
	global_load_dword v29, v[30:31], off
	s_waitcnt vmcnt(0)
	v_mul_f32_e32 v29, s17, v29
.LBB96_72:
	;; [unrolled: 26-line block ×3, first 2 shown]
	v_add_f32_e32 v22, v22, v23
	v_add_f32_e32 v25, v22, v25
	v_lshl_add_u64 v[22:23], v[56:57], 2, v[38:39]
	s_and_b64 vcc, exec, s[4:5]
	global_store_dword v[22:23], v25, off
	s_cbranch_vccnz .LBB96_78
; %bb.77:
	v_lshl_add_u64 v[22:23], v[54:55], 2, v[36:37]
	global_load_dword v22, v[22:23], off
	s_waitcnt vmcnt(0)
	v_mul_f32_e32 v24, s17, v22
.LBB96_78:
	v_add_f32_e32 v20, v20, v21
	v_add_f32_e32 v22, v20, v24
	v_lshl_add_u64 v[20:21], v[54:55], 2, v[38:39]
	global_store_dword v[20:21], v22, off
	v_add_u32_e32 v22, 0x60, v72
	v_mad_i64_i32 v[20:21], s[6:7], v22, s6, 0
	v_lshl_add_u64 v[20:21], v[20:21], 2, s[10:11]
	v_mov_b32_e32 v24, 0
	s_and_b64 vcc, exec, s[4:5]
	v_mov_b32_e32 v25, 0
	s_cbranch_vccnz .LBB96_80
; %bb.79:
	v_lshl_add_u64 v[26:27], v[0:1], 2, v[20:21]
	global_load_dword v23, v[26:27], off
	s_waitcnt vmcnt(0)
	v_mul_f32_e32 v25, s17, v23
.LBB96_80:
	v_mad_i64_i32 v[22:23], s[2:3], v22, s2, 0
	v_lshl_add_u64 v[22:23], v[22:23], 2, s[0:1]
	v_add_f32_e32 v18, v18, v19
	v_add_f32_e32 v18, v18, v25
	v_lshl_add_u64 v[0:1], v[0:1], 2, v[22:23]
	s_and_b64 vcc, exec, s[4:5]
	global_store_dword v[0:1], v18, off
	s_cbranch_vccnz .LBB96_82
; %bb.81:
	v_lshl_add_u64 v[0:1], v[2:3], 2, v[20:21]
	global_load_dword v0, v[0:1], off
	s_waitcnt vmcnt(0)
	v_mul_f32_e32 v24, s17, v0
.LBB96_82:
	v_add_f32_e32 v0, v16, v17
	v_add_f32_e32 v16, v0, v24
	v_lshl_add_u64 v[0:1], v[2:3], 2, v[22:23]
	global_store_dword v[0:1], v16, off
	v_mov_b32_e32 v0, 0
	s_and_b64 vcc, exec, s[4:5]
	v_mov_b32_e32 v1, 0
	s_cbranch_vccnz .LBB96_84
; %bb.83:
	v_lshl_add_u64 v[2:3], v[64:65], 2, v[20:21]
	global_load_dword v1, v[2:3], off
	s_waitcnt vmcnt(0)
	v_mul_f32_e32 v1, s17, v1
.LBB96_84:
	v_add_f32_e32 v2, v14, v15
	v_add_f32_e32 v1, v2, v1
	v_lshl_add_u64 v[2:3], v[64:65], 2, v[22:23]
	s_and_b64 vcc, exec, s[4:5]
	global_store_dword v[2:3], v1, off
	s_cbranch_vccnz .LBB96_86
; %bb.85:
	v_lshl_add_u64 v[0:1], v[62:63], 2, v[20:21]
	global_load_dword v0, v[0:1], off
	s_waitcnt vmcnt(0)
	v_mul_f32_e32 v0, s17, v0
.LBB96_86:
	v_add_f32_e32 v1, v12, v13
	v_add_f32_e32 v2, v1, v0
	v_lshl_add_u64 v[0:1], v[62:63], 2, v[22:23]
	global_store_dword v[0:1], v2, off
	v_mov_b32_e32 v0, 0
	s_and_b64 vcc, exec, s[4:5]
	v_mov_b32_e32 v1, 0
	s_cbranch_vccnz .LBB96_88
; %bb.87:
	v_lshl_add_u64 v[2:3], v[60:61], 2, v[20:21]
	global_load_dword v1, v[2:3], off
	s_waitcnt vmcnt(0)
	v_mul_f32_e32 v1, s17, v1
.LBB96_88:
	v_add_f32_e32 v2, v10, v11
	v_add_f32_e32 v1, v2, v1
	v_lshl_add_u64 v[2:3], v[60:61], 2, v[22:23]
	s_and_b64 vcc, exec, s[4:5]
	global_store_dword v[2:3], v1, off
	s_cbranch_vccnz .LBB96_90
; %bb.89:
	v_lshl_add_u64 v[0:1], v[58:59], 2, v[20:21]
	global_load_dword v0, v[0:1], off
	s_waitcnt vmcnt(0)
	v_mul_f32_e32 v0, s17, v0
.LBB96_90:
	v_add_f32_e32 v1, v8, v9
	v_add_f32_e32 v2, v1, v0
	v_lshl_add_u64 v[0:1], v[58:59], 2, v[22:23]
	global_store_dword v[0:1], v2, off
	v_add_f32_e32 v0, v6, v7
	s_mov_b64 s[0:1], -1
	s_mov_b64 vcc, s[8:9]
	s_cbranch_vccz .LBB96_92
; %bb.91:
	v_add_f32_e32 v1, 0, v0
	v_lshl_add_u64 v[2:3], v[56:57], 2, v[22:23]
	global_store_dword v[2:3], v1, off
	s_mov_b64 s[0:1], 0
.LBB96_92:
	s_andn2_b64 vcc, exec, s[0:1]
	v_mov_b32_e32 v1, 0
	s_cbranch_vccnz .LBB96_94
; %bb.93:
	v_lshlrev_b64 v[2:3], 2, v[56:57]
	v_lshl_add_u64 v[6:7], v[20:21], 0, v[2:3]
	global_load_dword v1, v[6:7], off
	v_lshl_add_u64 v[2:3], v[22:23], 0, v[2:3]
	s_waitcnt vmcnt(0)
	v_fmac_f32_e32 v0, s17, v1
	global_store_dword v[2:3], v0, off
	v_lshl_add_u64 v[0:1], v[54:55], 2, v[20:21]
	global_load_dword v0, v[0:1], off
	s_waitcnt vmcnt(0)
	v_mul_f32_e32 v1, s17, v0
.LBB96_94:
	v_add_f32_e32 v0, v4, v5
	v_add_f32_e32 v2, v0, v1
	v_lshl_add_u64 v[0:1], v[54:55], 2, v[22:23]
	global_store_dword v[0:1], v2, off
	s_endpgm
	.section	.rodata,"a",@progbits
	.p2align	6, 0x0
	.amdhsa_kernel _ZN12_GLOBAL__N_120geam_min_plus_kernelIf15HIP_vector_typeIfLj2EES2_Li8ELi32ELi64ELi128ELi4ELi4ELi64ELi64ELi4ELc84ELc84ELb0ELb0ELb0EPKfS3_fEEviiiT16_PT17_ilS7_ilS5_S7_ilPT18_ili26rocblas_geam_ex_operation_
		.amdhsa_group_segment_fixed_size 6144
		.amdhsa_private_segment_fixed_size 0
		.amdhsa_kernarg_size 136
		.amdhsa_user_sgpr_count 2
		.amdhsa_user_sgpr_dispatch_ptr 0
		.amdhsa_user_sgpr_queue_ptr 0
		.amdhsa_user_sgpr_kernarg_segment_ptr 1
		.amdhsa_user_sgpr_dispatch_id 0
		.amdhsa_user_sgpr_kernarg_preload_length 0
		.amdhsa_user_sgpr_kernarg_preload_offset 0
		.amdhsa_user_sgpr_private_segment_size 0
		.amdhsa_uses_dynamic_stack 0
		.amdhsa_enable_private_segment 0
		.amdhsa_system_sgpr_workgroup_id_x 1
		.amdhsa_system_sgpr_workgroup_id_y 0
		.amdhsa_system_sgpr_workgroup_id_z 1
		.amdhsa_system_sgpr_workgroup_info 0
		.amdhsa_system_vgpr_workitem_id 1
		.amdhsa_next_free_vgpr 112
		.amdhsa_next_free_sgpr 28
		.amdhsa_accum_offset 112
		.amdhsa_reserve_vcc 1
		.amdhsa_float_round_mode_32 0
		.amdhsa_float_round_mode_16_64 0
		.amdhsa_float_denorm_mode_32 3
		.amdhsa_float_denorm_mode_16_64 3
		.amdhsa_dx10_clamp 1
		.amdhsa_ieee_mode 1
		.amdhsa_fp16_overflow 0
		.amdhsa_tg_split 0
		.amdhsa_exception_fp_ieee_invalid_op 0
		.amdhsa_exception_fp_denorm_src 0
		.amdhsa_exception_fp_ieee_div_zero 0
		.amdhsa_exception_fp_ieee_overflow 0
		.amdhsa_exception_fp_ieee_underflow 0
		.amdhsa_exception_fp_ieee_inexact 0
		.amdhsa_exception_int_div_zero 0
	.end_amdhsa_kernel
	.section	.text._ZN12_GLOBAL__N_120geam_min_plus_kernelIf15HIP_vector_typeIfLj2EES2_Li8ELi32ELi64ELi128ELi4ELi4ELi64ELi64ELi4ELc84ELc84ELb0ELb0ELb0EPKfS3_fEEviiiT16_PT17_ilS7_ilS5_S7_ilPT18_ili26rocblas_geam_ex_operation_,"axG",@progbits,_ZN12_GLOBAL__N_120geam_min_plus_kernelIf15HIP_vector_typeIfLj2EES2_Li8ELi32ELi64ELi128ELi4ELi4ELi64ELi64ELi4ELc84ELc84ELb0ELb0ELb0EPKfS3_fEEviiiT16_PT17_ilS7_ilS5_S7_ilPT18_ili26rocblas_geam_ex_operation_,comdat
.Lfunc_end96:
	.size	_ZN12_GLOBAL__N_120geam_min_plus_kernelIf15HIP_vector_typeIfLj2EES2_Li8ELi32ELi64ELi128ELi4ELi4ELi64ELi64ELi4ELc84ELc84ELb0ELb0ELb0EPKfS3_fEEviiiT16_PT17_ilS7_ilS5_S7_ilPT18_ili26rocblas_geam_ex_operation_, .Lfunc_end96-_ZN12_GLOBAL__N_120geam_min_plus_kernelIf15HIP_vector_typeIfLj2EES2_Li8ELi32ELi64ELi128ELi4ELi4ELi64ELi64ELi4ELc84ELc84ELb0ELb0ELb0EPKfS3_fEEviiiT16_PT17_ilS7_ilS5_S7_ilPT18_ili26rocblas_geam_ex_operation_
                                        ; -- End function
	.set _ZN12_GLOBAL__N_120geam_min_plus_kernelIf15HIP_vector_typeIfLj2EES2_Li8ELi32ELi64ELi128ELi4ELi4ELi64ELi64ELi4ELc84ELc84ELb0ELb0ELb0EPKfS3_fEEviiiT16_PT17_ilS7_ilS5_S7_ilPT18_ili26rocblas_geam_ex_operation_.num_vgpr, 112
	.set _ZN12_GLOBAL__N_120geam_min_plus_kernelIf15HIP_vector_typeIfLj2EES2_Li8ELi32ELi64ELi128ELi4ELi4ELi64ELi64ELi4ELc84ELc84ELb0ELb0ELb0EPKfS3_fEEviiiT16_PT17_ilS7_ilS5_S7_ilPT18_ili26rocblas_geam_ex_operation_.num_agpr, 0
	.set _ZN12_GLOBAL__N_120geam_min_plus_kernelIf15HIP_vector_typeIfLj2EES2_Li8ELi32ELi64ELi128ELi4ELi4ELi64ELi64ELi4ELc84ELc84ELb0ELb0ELb0EPKfS3_fEEviiiT16_PT17_ilS7_ilS5_S7_ilPT18_ili26rocblas_geam_ex_operation_.numbered_sgpr, 28
	.set _ZN12_GLOBAL__N_120geam_min_plus_kernelIf15HIP_vector_typeIfLj2EES2_Li8ELi32ELi64ELi128ELi4ELi4ELi64ELi64ELi4ELc84ELc84ELb0ELb0ELb0EPKfS3_fEEviiiT16_PT17_ilS7_ilS5_S7_ilPT18_ili26rocblas_geam_ex_operation_.num_named_barrier, 0
	.set _ZN12_GLOBAL__N_120geam_min_plus_kernelIf15HIP_vector_typeIfLj2EES2_Li8ELi32ELi64ELi128ELi4ELi4ELi64ELi64ELi4ELc84ELc84ELb0ELb0ELb0EPKfS3_fEEviiiT16_PT17_ilS7_ilS5_S7_ilPT18_ili26rocblas_geam_ex_operation_.private_seg_size, 0
	.set _ZN12_GLOBAL__N_120geam_min_plus_kernelIf15HIP_vector_typeIfLj2EES2_Li8ELi32ELi64ELi128ELi4ELi4ELi64ELi64ELi4ELc84ELc84ELb0ELb0ELb0EPKfS3_fEEviiiT16_PT17_ilS7_ilS5_S7_ilPT18_ili26rocblas_geam_ex_operation_.uses_vcc, 1
	.set _ZN12_GLOBAL__N_120geam_min_plus_kernelIf15HIP_vector_typeIfLj2EES2_Li8ELi32ELi64ELi128ELi4ELi4ELi64ELi64ELi4ELc84ELc84ELb0ELb0ELb0EPKfS3_fEEviiiT16_PT17_ilS7_ilS5_S7_ilPT18_ili26rocblas_geam_ex_operation_.uses_flat_scratch, 0
	.set _ZN12_GLOBAL__N_120geam_min_plus_kernelIf15HIP_vector_typeIfLj2EES2_Li8ELi32ELi64ELi128ELi4ELi4ELi64ELi64ELi4ELc84ELc84ELb0ELb0ELb0EPKfS3_fEEviiiT16_PT17_ilS7_ilS5_S7_ilPT18_ili26rocblas_geam_ex_operation_.has_dyn_sized_stack, 0
	.set _ZN12_GLOBAL__N_120geam_min_plus_kernelIf15HIP_vector_typeIfLj2EES2_Li8ELi32ELi64ELi128ELi4ELi4ELi64ELi64ELi4ELc84ELc84ELb0ELb0ELb0EPKfS3_fEEviiiT16_PT17_ilS7_ilS5_S7_ilPT18_ili26rocblas_geam_ex_operation_.has_recursion, 0
	.set _ZN12_GLOBAL__N_120geam_min_plus_kernelIf15HIP_vector_typeIfLj2EES2_Li8ELi32ELi64ELi128ELi4ELi4ELi64ELi64ELi4ELc84ELc84ELb0ELb0ELb0EPKfS3_fEEviiiT16_PT17_ilS7_ilS5_S7_ilPT18_ili26rocblas_geam_ex_operation_.has_indirect_call, 0
	.section	.AMDGPU.csdata,"",@progbits
; Kernel info:
; codeLenInByte = 6644
; TotalNumSgprs: 34
; NumVgprs: 112
; NumAgprs: 0
; TotalNumVgprs: 112
; ScratchSize: 0
; MemoryBound: 0
; FloatMode: 240
; IeeeMode: 1
; LDSByteSize: 6144 bytes/workgroup (compile time only)
; SGPRBlocks: 4
; VGPRBlocks: 13
; NumSGPRsForWavesPerEU: 34
; NumVGPRsForWavesPerEU: 112
; AccumOffset: 112
; Occupancy: 4
; WaveLimiterHint : 1
; COMPUTE_PGM_RSRC2:SCRATCH_EN: 0
; COMPUTE_PGM_RSRC2:USER_SGPR: 2
; COMPUTE_PGM_RSRC2:TRAP_HANDLER: 0
; COMPUTE_PGM_RSRC2:TGID_X_EN: 1
; COMPUTE_PGM_RSRC2:TGID_Y_EN: 0
; COMPUTE_PGM_RSRC2:TGID_Z_EN: 1
; COMPUTE_PGM_RSRC2:TIDIG_COMP_CNT: 1
; COMPUTE_PGM_RSRC3_GFX90A:ACCUM_OFFSET: 27
; COMPUTE_PGM_RSRC3_GFX90A:TG_SPLIT: 0
	.section	.text._ZN12_GLOBAL__N_120geam_min_plus_kernelIf15HIP_vector_typeIfLj2EES2_Li8ELi32ELi64ELi128ELi4ELi4ELi64ELi64ELi4ELc84ELc84ELb1ELb0ELb0EfKffEEviiiT16_PT17_ilS6_ilS4_S6_ilPT18_ili26rocblas_geam_ex_operation_,"axG",@progbits,_ZN12_GLOBAL__N_120geam_min_plus_kernelIf15HIP_vector_typeIfLj2EES2_Li8ELi32ELi64ELi128ELi4ELi4ELi64ELi64ELi4ELc84ELc84ELb1ELb0ELb0EfKffEEviiiT16_PT17_ilS6_ilS4_S6_ilPT18_ili26rocblas_geam_ex_operation_,comdat
	.globl	_ZN12_GLOBAL__N_120geam_min_plus_kernelIf15HIP_vector_typeIfLj2EES2_Li8ELi32ELi64ELi128ELi4ELi4ELi64ELi64ELi4ELc84ELc84ELb1ELb0ELb0EfKffEEviiiT16_PT17_ilS6_ilS4_S6_ilPT18_ili26rocblas_geam_ex_operation_ ; -- Begin function _ZN12_GLOBAL__N_120geam_min_plus_kernelIf15HIP_vector_typeIfLj2EES2_Li8ELi32ELi64ELi128ELi4ELi4ELi64ELi64ELi4ELc84ELc84ELb1ELb0ELb0EfKffEEviiiT16_PT17_ilS6_ilS4_S6_ilPT18_ili26rocblas_geam_ex_operation_
	.p2align	8
	.type	_ZN12_GLOBAL__N_120geam_min_plus_kernelIf15HIP_vector_typeIfLj2EES2_Li8ELi32ELi64ELi128ELi4ELi4ELi64ELi64ELi4ELc84ELc84ELb1ELb0ELb0EfKffEEviiiT16_PT17_ilS6_ilS4_S6_ilPT18_ili26rocblas_geam_ex_operation_,@function
_ZN12_GLOBAL__N_120geam_min_plus_kernelIf15HIP_vector_typeIfLj2EES2_Li8ELi32ELi64ELi128ELi4ELi4ELi64ELi64ELi4ELc84ELc84ELb1ELb0ELb0EfKffEEviiiT16_PT17_ilS6_ilS4_S6_ilPT18_ili26rocblas_geam_ex_operation_: ; @_ZN12_GLOBAL__N_120geam_min_plus_kernelIf15HIP_vector_typeIfLj2EES2_Li8ELi32ELi64ELi128ELi4ELi4ELi64ELi64ELi4ELc84ELc84ELb1ELb0ELb0EfKffEEviiiT16_PT17_ilS6_ilS4_S6_ilPT18_ili26rocblas_geam_ex_operation_
; %bb.0:
	s_load_dwordx2 s[14:15], s[0:1], 0x8
	s_load_dwordx4 s[4:7], s[0:1], 0x20
	s_waitcnt lgkmcnt(0)
	v_cmp_eq_f32_e64 s[8:9], s15, 0
	s_and_b64 vcc, exec, s[8:9]
	s_cbranch_vccnz .LBB97_83
; %bb.1:
	s_load_dwordx2 s[10:11], s[0:1], 0x10
	s_mul_i32 s5, s5, s3
	s_mul_hi_u32 s12, s4, s3
	s_add_i32 s5, s12, s5
	s_mul_i32 s4, s4, s3
	s_lshl_b64 s[4:5], s[4:5], 2
	s_waitcnt lgkmcnt(0)
	s_add_u32 s16, s10, s4
	s_addc_u32 s17, s11, s5
	s_andn2_b64 vcc, exec, s[8:9]
	s_mov_b64 s[4:5], -1
	s_cbranch_vccnz .LBB97_3
.LBB97_2:
	s_mov_b64 s[4:5], 0
.LBB97_3:
	s_mov_b64 s[12:13], 0
	s_andn2_b64 vcc, exec, s[4:5]
	s_mov_b64 s[4:5], 0
	s_cbranch_vccnz .LBB97_5
; %bb.4:
	s_load_dwordx2 s[4:5], s[0:1], 0x38
	s_waitcnt lgkmcnt(0)
	s_mul_i32 s5, s5, s3
	s_mul_hi_u32 s8, s4, s3
	s_add_i32 s5, s8, s5
	s_mul_i32 s4, s4, s3
	s_lshl_b64 s[4:5], s[4:5], 2
	s_add_u32 s4, s6, s4
	s_addc_u32 s5, s7, s5
.LBB97_5:
	s_load_dword s15, s[0:1], 0x40
	s_load_dwordx4 s[8:11], s[0:1], 0x58
	s_mov_b32 s21, 0
	s_waitcnt lgkmcnt(0)
	v_cmp_eq_f32_e64 s[6:7], s15, 0
	s_and_b64 s[6:7], exec, s[6:7]
	s_mov_b64 vcc, s[6:7]
	s_cbranch_vccnz .LBB97_7
; %bb.6:
	s_load_dwordx2 s[12:13], s[0:1], 0x48
	s_mul_i32 s9, s9, s3
	s_mul_hi_u32 s18, s8, s3
	s_add_i32 s9, s18, s9
	s_mul_i32 s8, s8, s3
	s_lshl_b64 s[8:9], s[8:9], 2
	s_waitcnt lgkmcnt(0)
	s_add_u32 s12, s12, s8
	s_addc_u32 s13, s13, s9
.LBB97_7:
	s_load_dword s8, s[0:1], 0x0
	s_load_dword s9, s[0:1], 0x18
	;; [unrolled: 1-line block ×3, first 2 shown]
	v_and_b32_e32 v76, 0x3ff, v0
	v_bfe_u32 v77, v0, 10, 10
	s_waitcnt lgkmcnt(0)
	s_add_i32 s8, s8, -1
	s_ashr_i32 s18, s8, 31
	s_lshr_b32 s18, s18, 26
	s_add_i32 s8, s8, s18
	s_ashr_i32 s8, s8, 6
	s_add_i32 s18, s8, 1
	v_cvt_f32_u32_e32 v1, s18
	v_and_b32_e32 v78, 3, v0
	s_not_b32 s8, s8
	s_ashr_i32 s20, s19, 31
	v_rcp_iflag_f32_e32 v0, v1
	v_lshl_add_u32 v1, v77, 3, v76
	v_lshrrev_b32_e32 v6, 2, v1
	v_and_b32_e32 v72, 63, v1
	v_mul_f32_e32 v0, 0x4f7ffffe, v0
	v_cvt_u32_f32_e32 v0, v0
	v_lshrrev_b32_e32 v79, 6, v1
	v_add_u32_e32 v80, 4, v79
	v_lshlrev_b32_e32 v62, 2, v78
	v_readfirstlane_b32 s22, v0
	s_mul_i32 s8, s8, s22
	s_mul_hi_u32 s8, s22, s8
	s_add_i32 s22, s22, s8
	s_mul_hi_u32 s8, s2, s22
	s_mul_i32 s22, s8, s18
	s_sub_i32 s22, s2, s22
	s_add_i32 s23, s8, 1
	s_sub_i32 s24, s22, s18
	s_cmp_ge_u32 s22, s18
	s_cselect_b32 s8, s23, s8
	s_cselect_b32 s22, s24, s22
	s_add_i32 s23, s8, 1
	s_cmp_ge_u32 s22, s18
	s_cselect_b32 s8, s23, s8
	s_mul_i32 s18, s8, s18
	s_sub_i32 s2, s2, s18
	s_lshl_b32 s2, s2, 6
	s_lshl_b32 s18, s8, 7
	v_add_u32_e32 v0, s2, v6
	v_mad_i64_i32 v[0:1], s[8:9], v0, s9, 0
	v_or_b32_e32 v70, s18, v72
	v_lshl_add_u64 v[68:69], v[0:1], 2, s[16:17]
	v_mad_i64_i32 v[0:1], s[8:9], s19, v79, 0
	v_ashrrev_i32_e32 v71, 31, v70
	v_lshl_add_u64 v[0:1], v[0:1], 2, s[4:5]
	v_lshlrev_b64 v[2:3], 2, v[70:71]
	v_mad_i64_i32 v[4:5], s[8:9], s19, v80, 0
	v_lshl_add_u64 v[0:1], v[0:1], 0, v[2:3]
	v_mov_b32_e32 v63, 0
	v_lshl_add_u64 v[4:5], v[4:5], 2, s[4:5]
	global_load_dword v7, v[0:1], off
	global_load_dword v8, v[0:1], off offset:256
	v_lshl_add_u64 v[0:1], v[68:69], 0, v[62:63]
	v_lshl_add_u64 v[2:3], v[4:5], 0, v[2:3]
	global_load_dword v9, v[0:1], off
	global_load_dword v73, v[2:3], off
	global_load_dword v74, v[2:3], off offset:256
	global_load_dword v75, v[0:1], off offset:16
	v_mov_b32_e32 v0, 0x1000
	v_lshl_add_u32 v81, v76, 4, v0
	v_lshlrev_b32_e32 v0, 4, v72
	v_lshl_or_b32 v85, v6, 4, v62
	v_lshl_add_u32 v82, v79, 2, v0
	v_cmp_neq_f32_e64 s[8:9], s15, 0
	s_mov_b64 s[16:17], -1
	v_mov_b32_e32 v66, v63
	v_mov_b32_e32 v67, v63
	;; [unrolled: 1-line block ×55, first 2 shown]
	s_waitcnt vmcnt(4)
	ds_write2st64_b32 v82, v7, v8 offset1:4
	s_waitcnt vmcnt(3)
	ds_write_b32 v85, v9 offset:4096
	v_mov_b32_e32 v10, v63
	v_mov_b32_e32 v11, v63
	;; [unrolled: 1-line block ×8, first 2 shown]
	v_add_u32_e32 v83, 0x1000, v85
	v_lshlrev_b32_e32 v84, 4, v77
	s_waitcnt lgkmcnt(0)
	s_barrier
.LBB97_8:                               ; =>This Inner Loop Header: Depth=1
	v_cndmask_b32_e64 v0, 0, 1, s[16:17]
	s_lshl_b32 s16, s21, 2
	v_cmp_ne_u32_e32 vcc, 1, v0
	v_add_u32_e32 v0, s16, v81
	ds_read2_b64 v[86:89], v0 offset1:16
	ds_read2_b64 v[90:93], v0 offset0:32 offset1:48
	ds_read2_b64 v[94:97], v0 offset0:64 offset1:80
	;; [unrolled: 1-line block ×3, first 2 shown]
	v_add_u32_e32 v0, s16, v84
	ds_read2st64_b64 v[102:105], v0 offset1:1
	ds_read2st64_b64 v[0:3], v0 offset0:2 offset1:3
	s_waitcnt lgkmcnt(5)
	v_max_f32_e32 v106, v86, v86
	v_max_f32_e32 v107, v87, v87
	;; [unrolled: 1-line block ×3, first 2 shown]
	s_waitcnt lgkmcnt(1)
	v_max_f32_e32 v102, v102, v102
	v_max_f32_e32 v103, v103, v103
	v_min_f32_e32 v86, v106, v102
	v_min_f32_e32 v87, v107, v103
	v_max_f32_e32 v89, v89, v89
	v_pk_add_f32 v[62:63], v[86:87], v[62:63]
	v_min_f32_e32 v86, v88, v102
	v_min_f32_e32 v87, v89, v103
	v_max_f32_e32 v90, v90, v90
	v_max_f32_e32 v91, v91, v91
	v_pk_add_f32 v[66:67], v[86:87], v[66:67]
	v_min_f32_e32 v86, v90, v102
	v_min_f32_e32 v87, v91, v103
	v_max_f32_e32 v92, v92, v92
	;; [unrolled: 5-line block ×7, first 2 shown]
	v_max_f32_e32 v103, v105, v105
	v_pk_add_f32 v[52:53], v[86:87], v[52:53]
	v_min_f32_e32 v86, v106, v102
	v_min_f32_e32 v87, v107, v103
	v_pk_add_f32 v[50:51], v[86:87], v[50:51]
	v_min_f32_e32 v86, v88, v102
	v_min_f32_e32 v87, v89, v103
	;; [unrolled: 3-line block ×8, first 2 shown]
	v_pk_add_f32 v[36:37], v[86:87], v[36:37]
	s_waitcnt lgkmcnt(0)
	v_max_f32_e32 v86, v0, v0
	v_max_f32_e32 v87, v1, v1
	v_min_f32_e32 v0, v106, v86
	v_min_f32_e32 v1, v107, v87
	v_pk_add_f32 v[34:35], v[0:1], v[34:35]
	v_min_f32_e32 v0, v88, v86
	v_min_f32_e32 v1, v89, v87
	v_pk_add_f32 v[32:33], v[0:1], v[32:33]
	;; [unrolled: 3-line block ×7, first 2 shown]
	v_min_f32_e32 v0, v100, v86
	v_min_f32_e32 v1, v101, v87
	v_max_f32_e32 v2, v2, v2
	v_max_f32_e32 v3, v3, v3
	v_pk_add_f32 v[20:21], v[0:1], v[20:21]
	v_min_f32_e32 v0, v106, v2
	v_min_f32_e32 v1, v107, v3
	v_pk_add_f32 v[18:19], v[0:1], v[18:19]
	v_min_f32_e32 v0, v88, v2
	v_min_f32_e32 v1, v89, v3
	;; [unrolled: 3-line block ×8, first 2 shown]
	v_pk_add_f32 v[4:5], v[0:1], v[4:5]
	s_mov_b64 s[16:17], 0
	s_mov_b32 s21, 2
	s_cbranch_vccz .LBB97_8
; %bb.9:
	v_lshlrev_b32_e32 v0, 2, v79
	v_lshl_add_u32 v0, v72, 4, v0
	s_cmp_lt_i32 s14, 9
	s_waitcnt vmcnt(0)
	ds_write_b32 v85, v75 offset:5120
	ds_write2st64_b32 v0, v73, v74 offset0:8 offset1:12
	s_waitcnt lgkmcnt(0)
	s_barrier
	s_cbranch_scc1 .LBB97_16
; %bb.10:
	v_or_b32_e32 v86, 0x800, v0
	v_mov_b32_e32 v0, 0x1400
	v_lshl_add_u32 v87, v76, 4, v0
	v_mov_b32_e32 v0, 0x800
	v_add_u32_e32 v85, 0x1400, v85
	s_add_i32 s14, s14, -8
	v_lshl_add_u32 v88, v77, 4, v0
	v_lshl_add_u64 v[70:71], v[70:71], 2, s[4:5]
	s_mov_b32 s16, 8
	s_mov_b32 s17, 0
	v_mov_b32_e32 v73, 0
.LBB97_11:                              ; =>This Loop Header: Depth=1
                                        ;     Child Loop BB97_12 Depth 2
                                        ;     Child Loop BB97_14 Depth 2
	v_add_u32_e32 v3, s16, v79
	v_mad_u64_u32 v[0:1], s[4:5], v3, s19, 0
	v_mov_b32_e32 v2, v1
	v_mad_u64_u32 v[2:3], s[4:5], v3, s20, v[2:3]
	v_or_b32_e32 v72, s16, v78
	v_mov_b32_e32 v1, v2
	v_lshl_add_u64 v[74:75], v[72:73], 2, v[68:69]
	v_lshl_add_u64 v[0:1], v[0:1], 2, v[70:71]
	global_load_dword v72, v[74:75], off
	global_load_dword v89, v[0:1], off
	global_load_dword v90, v[0:1], off offset:256
	s_mov_b64 s[4:5], -1
	s_mov_b32 s21, 0
.LBB97_12:                              ;   Parent Loop BB97_11 Depth=1
                                        ; =>  This Inner Loop Header: Depth=2
	v_cndmask_b32_e64 v0, 0, 1, s[4:5]
	s_lshl_b32 s4, s21, 2
	v_cmp_ne_u32_e32 vcc, 1, v0
	v_add_u32_e32 v0, s4, v87
	ds_read2_b64 v[92:95], v0 offset1:16
	ds_read2_b64 v[96:99], v0 offset0:32 offset1:48
	ds_read2_b64 v[100:103], v0 offset0:64 offset1:80
	;; [unrolled: 1-line block ×3, first 2 shown]
	v_add_u32_e32 v0, s4, v88
	ds_read2st64_b64 v[108:111], v0 offset1:1
	ds_read2st64_b64 v[0:3], v0 offset0:2 offset1:3
	s_waitcnt lgkmcnt(5)
	v_max_f32_e32 v112, v93, v93
	v_max_f32_e32 v94, v94, v94
	;; [unrolled: 1-line block ×3, first 2 shown]
	s_waitcnt lgkmcnt(1)
	v_max_f32_e32 v91, v108, v108
	v_max_f32_e32 v108, v92, v92
	;; [unrolled: 1-line block ×3, first 2 shown]
	v_min_f32_e32 v92, v108, v91
	v_min_f32_e32 v93, v112, v109
	v_pk_add_f32 v[62:63], v[92:93], v[62:63]
	v_min_f32_e32 v92, v94, v91
	v_min_f32_e32 v93, v95, v109
	v_max_f32_e32 v96, v96, v96
	v_max_f32_e32 v97, v97, v97
	v_pk_add_f32 v[66:67], v[92:93], v[66:67]
	v_min_f32_e32 v92, v96, v91
	v_min_f32_e32 v93, v97, v109
	v_max_f32_e32 v98, v98, v98
	v_max_f32_e32 v99, v99, v99
	;; [unrolled: 5-line block ×5, first 2 shown]
	v_pk_add_f32 v[56:57], v[92:93], v[56:57]
	v_min_f32_e32 v92, v104, v91
	v_min_f32_e32 v93, v105, v109
	v_max_f32_e32 v106, v106, v106
	v_pk_add_f32 v[54:55], v[92:93], v[54:55]
	v_min_f32_e32 v92, v106, v91
	v_max_f32_e32 v91, v107, v107
	v_min_f32_e32 v93, v91, v109
	v_max_f32_e32 v107, v110, v110
	v_max_f32_e32 v109, v111, v111
	v_pk_add_f32 v[52:53], v[92:93], v[52:53]
	v_min_f32_e32 v92, v108, v107
	v_min_f32_e32 v93, v112, v109
	v_pk_add_f32 v[50:51], v[92:93], v[50:51]
	v_min_f32_e32 v92, v94, v107
	v_min_f32_e32 v93, v95, v109
	;; [unrolled: 3-line block ×8, first 2 shown]
	v_pk_add_f32 v[36:37], v[92:93], v[36:37]
	s_waitcnt lgkmcnt(0)
	v_max_f32_e32 v92, v0, v0
	v_max_f32_e32 v93, v1, v1
	v_min_f32_e32 v0, v108, v92
	v_min_f32_e32 v1, v112, v93
	v_pk_add_f32 v[34:35], v[0:1], v[34:35]
	v_min_f32_e32 v0, v94, v92
	v_min_f32_e32 v1, v95, v93
	v_pk_add_f32 v[32:33], v[0:1], v[32:33]
	;; [unrolled: 3-line block ×7, first 2 shown]
	v_min_f32_e32 v0, v106, v92
	v_min_f32_e32 v1, v91, v93
	v_max_f32_e32 v2, v2, v2
	v_max_f32_e32 v3, v3, v3
	v_pk_add_f32 v[20:21], v[0:1], v[20:21]
	v_min_f32_e32 v0, v108, v2
	v_min_f32_e32 v1, v112, v3
	v_pk_add_f32 v[18:19], v[0:1], v[18:19]
	v_min_f32_e32 v0, v94, v2
	v_min_f32_e32 v1, v95, v3
	;; [unrolled: 3-line block ×8, first 2 shown]
	v_pk_add_f32 v[4:5], v[0:1], v[4:5]
	s_mov_b64 s[4:5], 0
	s_mov_b32 s21, 2
	s_cbranch_vccz .LBB97_12
; %bb.13:                               ;   in Loop: Header=BB97_11 Depth=1
	v_add_u32_e32 v3, s16, v80
	v_mad_u64_u32 v[0:1], s[4:5], v3, s19, 0
	v_mov_b32_e32 v2, v1
	v_mad_u64_u32 v[2:3], s[4:5], v3, s20, v[2:3]
	v_mov_b32_e32 v1, v2
	v_lshl_add_u64 v[0:1], v[0:1], 2, v[70:71]
	s_waitcnt vmcnt(2)
	ds_write_b32 v83, v72
	s_waitcnt vmcnt(0)
	ds_write2st64_b32 v82, v89, v90 offset1:4
	s_waitcnt lgkmcnt(0)
	s_barrier
	global_load_dword v72, v[74:75], off offset:16
	s_nop 0
	global_load_dword v74, v[0:1], off
	global_load_dword v75, v[0:1], off offset:256
	s_mov_b32 s21, 0
	s_mov_b64 s[4:5], -1
.LBB97_14:                              ;   Parent Loop BB97_11 Depth=1
                                        ; =>  This Inner Loop Header: Depth=2
	v_cndmask_b32_e64 v0, 0, 1, s[4:5]
	s_lshl_b32 s4, s21, 2
	v_cmp_ne_u32_e32 vcc, 1, v0
	v_add_u32_e32 v0, s4, v81
	ds_read2_b64 v[90:93], v0 offset1:16
	ds_read2_b64 v[94:97], v0 offset0:32 offset1:48
	ds_read2_b64 v[98:101], v0 offset0:64 offset1:80
	;; [unrolled: 1-line block ×3, first 2 shown]
	v_add_u32_e32 v0, s4, v84
	ds_read2st64_b64 v[106:109], v0 offset1:1
	ds_read2st64_b64 v[0:3], v0 offset0:2 offset1:3
	s_waitcnt lgkmcnt(5)
	v_max_f32_e32 v110, v91, v91
	v_max_f32_e32 v92, v92, v92
	;; [unrolled: 1-line block ×3, first 2 shown]
	s_waitcnt lgkmcnt(1)
	v_max_f32_e32 v89, v106, v106
	v_max_f32_e32 v106, v90, v90
	;; [unrolled: 1-line block ×3, first 2 shown]
	v_min_f32_e32 v90, v106, v89
	v_min_f32_e32 v91, v110, v107
	v_pk_add_f32 v[62:63], v[90:91], v[62:63]
	v_min_f32_e32 v90, v92, v89
	v_min_f32_e32 v91, v93, v107
	v_max_f32_e32 v94, v94, v94
	v_max_f32_e32 v95, v95, v95
	v_pk_add_f32 v[66:67], v[90:91], v[66:67]
	v_min_f32_e32 v90, v94, v89
	v_min_f32_e32 v91, v95, v107
	v_max_f32_e32 v96, v96, v96
	v_max_f32_e32 v97, v97, v97
	;; [unrolled: 5-line block ×5, first 2 shown]
	v_pk_add_f32 v[56:57], v[90:91], v[56:57]
	v_min_f32_e32 v90, v102, v89
	v_min_f32_e32 v91, v103, v107
	v_max_f32_e32 v104, v104, v104
	v_pk_add_f32 v[54:55], v[90:91], v[54:55]
	v_min_f32_e32 v90, v104, v89
	v_max_f32_e32 v89, v105, v105
	v_min_f32_e32 v91, v89, v107
	v_max_f32_e32 v105, v108, v108
	v_max_f32_e32 v107, v109, v109
	v_pk_add_f32 v[52:53], v[90:91], v[52:53]
	v_min_f32_e32 v90, v106, v105
	v_min_f32_e32 v91, v110, v107
	v_pk_add_f32 v[50:51], v[90:91], v[50:51]
	v_min_f32_e32 v90, v92, v105
	v_min_f32_e32 v91, v93, v107
	;; [unrolled: 3-line block ×8, first 2 shown]
	v_pk_add_f32 v[36:37], v[90:91], v[36:37]
	s_waitcnt lgkmcnt(0)
	v_max_f32_e32 v90, v0, v0
	v_max_f32_e32 v91, v1, v1
	v_min_f32_e32 v0, v106, v90
	v_min_f32_e32 v1, v110, v91
	v_pk_add_f32 v[34:35], v[0:1], v[34:35]
	v_min_f32_e32 v0, v92, v90
	v_min_f32_e32 v1, v93, v91
	v_pk_add_f32 v[32:33], v[0:1], v[32:33]
	;; [unrolled: 3-line block ×7, first 2 shown]
	v_min_f32_e32 v0, v104, v90
	v_min_f32_e32 v1, v89, v91
	v_max_f32_e32 v2, v2, v2
	v_max_f32_e32 v3, v3, v3
	v_pk_add_f32 v[20:21], v[0:1], v[20:21]
	v_min_f32_e32 v0, v106, v2
	v_min_f32_e32 v1, v110, v3
	v_pk_add_f32 v[18:19], v[0:1], v[18:19]
	v_min_f32_e32 v0, v92, v2
	v_min_f32_e32 v1, v93, v3
	;; [unrolled: 3-line block ×8, first 2 shown]
	v_pk_add_f32 v[4:5], v[0:1], v[4:5]
	s_mov_b64 s[4:5], 0
	s_mov_b32 s21, 2
	s_cbranch_vccz .LBB97_14
; %bb.15:                               ;   in Loop: Header=BB97_11 Depth=1
	s_add_i32 s16, s16, 8
	s_add_i32 s17, s17, 8
	s_cmp_ge_i32 s17, s14
	s_waitcnt vmcnt(2)
	ds_write_b32 v85, v72
	s_waitcnt vmcnt(0)
	ds_write2st64_b32 v86, v74, v75 offset1:4
	s_waitcnt lgkmcnt(0)
	s_barrier
	s_cbranch_scc0 .LBB97_11
.LBB97_16:
	v_mov_b32_e32 v0, 0x1400
	v_lshl_add_u32 v68, v76, 4, v0
	v_mov_b32_e32 v0, 0x800
	v_lshl_add_u32 v69, v77, 4, v0
	s_mov_b32 s14, 0
	s_mov_b64 s[4:5], -1
.LBB97_17:                              ; =>This Inner Loop Header: Depth=1
	v_cndmask_b32_e64 v0, 0, 1, s[4:5]
	s_lshl_b32 s4, s14, 2
	v_cmp_ne_u32_e32 vcc, 1, v0
	v_add_u32_e32 v0, s4, v68
	ds_read2_b64 v[70:73], v0 offset1:16
	ds_read2_b64 v[78:81], v0 offset0:32 offset1:48
	ds_read2_b64 v[82:85], v0 offset0:64 offset1:80
	ds_read2_b64 v[86:89], v0 offset0:96 offset1:112
	v_add_u32_e32 v0, s4, v69
	ds_read2st64_b64 v[90:93], v0 offset1:1
	ds_read2st64_b64 v[0:3], v0 offset0:2 offset1:3
	s_waitcnt lgkmcnt(5)
	v_max_f32_e32 v75, v70, v70
	v_max_f32_e32 v72, v72, v72
	;; [unrolled: 1-line block ×3, first 2 shown]
	s_waitcnt lgkmcnt(1)
	v_max_f32_e32 v74, v90, v90
	v_max_f32_e32 v90, v91, v91
	v_max_f32_e32 v91, v71, v71
	v_min_f32_e32 v70, v75, v74
	v_min_f32_e32 v71, v91, v90
	v_pk_add_f32 v[62:63], v[70:71], v[62:63]
	v_min_f32_e32 v70, v72, v74
	v_min_f32_e32 v71, v73, v90
	v_max_f32_e32 v78, v78, v78
	v_max_f32_e32 v79, v79, v79
	v_pk_add_f32 v[66:67], v[70:71], v[66:67]
	v_min_f32_e32 v70, v78, v74
	v_min_f32_e32 v71, v79, v90
	v_max_f32_e32 v80, v80, v80
	v_max_f32_e32 v81, v81, v81
	;; [unrolled: 5-line block ×5, first 2 shown]
	v_pk_add_f32 v[56:57], v[70:71], v[56:57]
	v_min_f32_e32 v70, v86, v74
	v_min_f32_e32 v71, v87, v90
	v_max_f32_e32 v88, v88, v88
	v_pk_add_f32 v[54:55], v[70:71], v[54:55]
	v_min_f32_e32 v70, v88, v74
	v_max_f32_e32 v74, v89, v89
	v_min_f32_e32 v71, v74, v90
	v_max_f32_e32 v89, v92, v92
	v_max_f32_e32 v90, v93, v93
	v_pk_add_f32 v[52:53], v[70:71], v[52:53]
	v_min_f32_e32 v70, v75, v89
	v_min_f32_e32 v71, v91, v90
	v_pk_add_f32 v[50:51], v[70:71], v[50:51]
	v_min_f32_e32 v70, v72, v89
	v_min_f32_e32 v71, v73, v90
	;; [unrolled: 3-line block ×8, first 2 shown]
	v_pk_add_f32 v[36:37], v[70:71], v[36:37]
	s_waitcnt lgkmcnt(0)
	v_max_f32_e32 v70, v0, v0
	v_max_f32_e32 v71, v1, v1
	v_min_f32_e32 v0, v75, v70
	v_min_f32_e32 v1, v91, v71
	v_pk_add_f32 v[34:35], v[0:1], v[34:35]
	v_min_f32_e32 v0, v72, v70
	v_min_f32_e32 v1, v73, v71
	v_pk_add_f32 v[32:33], v[0:1], v[32:33]
	;; [unrolled: 3-line block ×7, first 2 shown]
	v_min_f32_e32 v0, v88, v70
	v_min_f32_e32 v1, v74, v71
	v_max_f32_e32 v2, v2, v2
	v_max_f32_e32 v3, v3, v3
	v_pk_add_f32 v[20:21], v[0:1], v[20:21]
	v_min_f32_e32 v0, v75, v2
	v_min_f32_e32 v1, v91, v3
	v_pk_add_f32 v[18:19], v[0:1], v[18:19]
	v_min_f32_e32 v0, v72, v2
	v_min_f32_e32 v1, v73, v3
	;; [unrolled: 3-line block ×8, first 2 shown]
	v_pk_add_f32 v[4:5], v[0:1], v[4:5]
	s_mov_b64 s[4:5], 0
	s_mov_b32 s14, 2
	s_cbranch_vccz .LBB97_17
; %bb.18:
	s_load_dword s14, s[0:1], 0x50
	v_add_u32_e32 v72, s18, v77
	v_add_u32_e32 v0, s2, v76
	v_ashrrev_i32_e32 v1, 31, v0
	v_mov_b32_e32 v73, 0
	s_waitcnt lgkmcnt(0)
	v_mad_i64_i32 v[2:3], s[4:5], v72, s14, 0
	v_lshl_add_u64 v[68:69], v[2:3], 2, s[12:13]
	v_cndmask_b32_e64 v2, 0, 1, s[8:9]
	v_cmp_ne_u32_e64 s[4:5], 1, v2
	s_andn2_b64 vcc, exec, s[8:9]
	v_mov_b32_e32 v74, 0
	s_cbranch_vccnz .LBB97_20
; %bb.19:
	v_lshl_add_u64 v[2:3], v[0:1], 2, v[68:69]
	global_load_dword v2, v[2:3], off
	s_waitcnt vmcnt(0)
	v_mul_f32_e32 v74, s15, v2
.LBB97_20:
	s_load_dwordx2 s[8:9], s[0:1], 0x70
	s_load_dword s2, s[0:1], 0x68
	v_add_u32_e32 v2, 8, v0
	v_add_f32_e32 v62, v62, v63
	v_ashrrev_i32_e32 v3, 31, v2
	s_waitcnt lgkmcnt(0)
	s_mul_i32 s1, s9, s3
	s_mul_hi_u32 s9, s8, s3
	s_mul_i32 s0, s8, s3
	s_add_i32 s1, s9, s1
	s_lshl_b64 s[0:1], s[0:1], 2
	s_add_u32 s0, s10, s0
	s_addc_u32 s1, s11, s1
	v_mad_i64_i32 v[70:71], s[8:9], v72, s2, 0
	v_lshl_add_u64 v[70:71], v[70:71], 2, s[0:1]
	v_add_f32_e32 v74, v62, v74
	v_lshl_add_u64 v[62:63], v[0:1], 2, v[70:71]
	s_and_b64 vcc, exec, s[4:5]
	global_store_dword v[62:63], v74, off
	s_cbranch_vccnz .LBB97_22
; %bb.21:
	v_lshl_add_u64 v[62:63], v[2:3], 2, v[68:69]
	global_load_dword v62, v[62:63], off
	s_waitcnt vmcnt(0)
	v_mul_f32_e32 v73, s15, v62
.LBB97_22:
	v_add_f32_e32 v66, v66, v67
	v_add_u32_e32 v62, 16, v0
	v_add_f32_e32 v73, v66, v73
	v_lshl_add_u64 v[66:67], v[2:3], 2, v[70:71]
	v_ashrrev_i32_e32 v63, 31, v62
	global_store_dword v[66:67], v73, off
	v_mov_b32_e32 v66, 0
	s_and_b64 vcc, exec, s[4:5]
	v_mov_b32_e32 v67, 0
	s_cbranch_vccnz .LBB97_24
; %bb.23:
	v_lshl_add_u64 v[74:75], v[62:63], 2, v[68:69]
	global_load_dword v67, v[74:75], off
	s_waitcnt vmcnt(0)
	v_mul_f32_e32 v67, s15, v67
.LBB97_24:
	v_add_f32_e32 v73, v64, v65
	v_add_u32_e32 v64, 24, v0
	v_ashrrev_i32_e32 v65, 31, v64
	v_add_f32_e32 v67, v73, v67
	v_lshl_add_u64 v[74:75], v[62:63], 2, v[70:71]
	s_and_b64 vcc, exec, s[4:5]
	global_store_dword v[74:75], v67, off
	s_cbranch_vccnz .LBB97_26
; %bb.25:
	v_lshl_add_u64 v[66:67], v[64:65], 2, v[68:69]
	global_load_dword v66, v[66:67], off
	s_waitcnt vmcnt(0)
	v_mul_f32_e32 v66, s15, v66
.LBB97_26:
	v_add_f32_e32 v67, v60, v61
	v_add_u32_e32 v60, 32, v0
	v_add_f32_e32 v73, v67, v66
	v_lshl_add_u64 v[66:67], v[64:65], 2, v[70:71]
	v_ashrrev_i32_e32 v61, 31, v60
	global_store_dword v[66:67], v73, off
	v_mov_b32_e32 v66, 0
	s_and_b64 vcc, exec, s[4:5]
	v_mov_b32_e32 v67, 0
	s_cbranch_vccnz .LBB97_28
; %bb.27:
	v_lshl_add_u64 v[74:75], v[60:61], 2, v[68:69]
	global_load_dword v67, v[74:75], off
	s_waitcnt vmcnt(0)
	v_mul_f32_e32 v67, s15, v67
.LBB97_28:
	v_add_f32_e32 v73, v58, v59
	v_add_u32_e32 v58, 40, v0
	v_ashrrev_i32_e32 v59, 31, v58
	;; [unrolled: 30-line block ×3, first 2 shown]
	v_add_f32_e32 v67, v73, v67
	v_lshl_add_u64 v[74:75], v[56:57], 2, v[70:71]
	s_and_b64 vcc, exec, s[4:5]
	global_store_dword v[74:75], v67, off
	s_cbranch_vccnz .LBB97_34
; %bb.33:
	v_lshl_add_u64 v[66:67], v[54:55], 2, v[68:69]
	global_load_dword v66, v[66:67], off
	s_waitcnt vmcnt(0)
	v_mul_f32_e32 v66, s15, v66
.LBB97_34:
	v_add_f32_e32 v52, v52, v53
	v_add_f32_e32 v66, v52, v66
	v_lshl_add_u64 v[52:53], v[54:55], 2, v[70:71]
	global_store_dword v[52:53], v66, off
	v_add_u32_e32 v66, 32, v72
	v_mad_i64_i32 v[52:53], s[8:9], v66, s14, 0
	v_lshl_add_u64 v[52:53], v[52:53], 2, s[12:13]
	v_mov_b32_e32 v68, 0
	s_and_b64 vcc, exec, s[4:5]
	v_mov_b32_e32 v69, 0
	s_cbranch_vccnz .LBB97_36
; %bb.35:
	v_lshl_add_u64 v[70:71], v[0:1], 2, v[52:53]
	global_load_dword v67, v[70:71], off
	s_waitcnt vmcnt(0)
	v_mul_f32_e32 v69, s15, v67
.LBB97_36:
	v_mad_i64_i32 v[66:67], s[8:9], v66, s2, 0
	v_lshl_add_u64 v[66:67], v[66:67], 2, s[0:1]
	v_add_f32_e32 v50, v50, v51
	v_add_f32_e32 v69, v50, v69
	v_lshl_add_u64 v[50:51], v[0:1], 2, v[66:67]
	s_and_b64 vcc, exec, s[4:5]
	global_store_dword v[50:51], v69, off
	s_cbranch_vccnz .LBB97_38
; %bb.37:
	v_lshl_add_u64 v[50:51], v[2:3], 2, v[52:53]
	global_load_dword v50, v[50:51], off
	s_waitcnt vmcnt(0)
	v_mul_f32_e32 v68, s15, v50
.LBB97_38:
	v_add_f32_e32 v48, v48, v49
	v_add_f32_e32 v50, v48, v68
	v_lshl_add_u64 v[48:49], v[2:3], 2, v[66:67]
	global_store_dword v[48:49], v50, off
	v_mov_b32_e32 v48, 0
	s_and_b64 vcc, exec, s[4:5]
	v_mov_b32_e32 v49, 0
	s_cbranch_vccnz .LBB97_40
; %bb.39:
	v_lshl_add_u64 v[50:51], v[62:63], 2, v[52:53]
	global_load_dword v49, v[50:51], off
	s_waitcnt vmcnt(0)
	v_mul_f32_e32 v49, s15, v49
.LBB97_40:
	v_add_f32_e32 v46, v46, v47
	v_add_f32_e32 v49, v46, v49
	v_lshl_add_u64 v[46:47], v[62:63], 2, v[66:67]
	s_and_b64 vcc, exec, s[4:5]
	global_store_dword v[46:47], v49, off
	s_cbranch_vccnz .LBB97_42
; %bb.41:
	v_lshl_add_u64 v[46:47], v[64:65], 2, v[52:53]
	global_load_dword v46, v[46:47], off
	s_waitcnt vmcnt(0)
	v_mul_f32_e32 v48, s15, v46
.LBB97_42:
	v_add_f32_e32 v44, v44, v45
	v_add_f32_e32 v46, v44, v48
	v_lshl_add_u64 v[44:45], v[64:65], 2, v[66:67]
	global_store_dword v[44:45], v46, off
	v_mov_b32_e32 v44, 0
	s_and_b64 vcc, exec, s[4:5]
	v_mov_b32_e32 v45, 0
	s_cbranch_vccnz .LBB97_44
; %bb.43:
	v_lshl_add_u64 v[46:47], v[60:61], 2, v[52:53]
	global_load_dword v45, v[46:47], off
	s_waitcnt vmcnt(0)
	v_mul_f32_e32 v45, s15, v45
.LBB97_44:
	;; [unrolled: 26-line block ×3, first 2 shown]
	v_add_f32_e32 v38, v38, v39
	v_add_f32_e32 v41, v38, v41
	v_lshl_add_u64 v[38:39], v[56:57], 2, v[66:67]
	s_and_b64 vcc, exec, s[4:5]
	global_store_dword v[38:39], v41, off
	s_cbranch_vccnz .LBB97_50
; %bb.49:
	v_lshl_add_u64 v[38:39], v[54:55], 2, v[52:53]
	global_load_dword v38, v[38:39], off
	s_waitcnt vmcnt(0)
	v_mul_f32_e32 v40, s15, v38
.LBB97_50:
	v_add_f32_e32 v36, v36, v37
	v_add_f32_e32 v38, v36, v40
	v_lshl_add_u64 v[36:37], v[54:55], 2, v[66:67]
	global_store_dword v[36:37], v38, off
	v_add_u32_e32 v38, 64, v72
	v_mad_i64_i32 v[36:37], s[8:9], v38, s14, 0
	v_lshl_add_u64 v[36:37], v[36:37], 2, s[12:13]
	v_mov_b32_e32 v40, 0
	s_and_b64 vcc, exec, s[4:5]
	v_mov_b32_e32 v41, 0
	s_cbranch_vccnz .LBB97_52
; %bb.51:
	v_lshl_add_u64 v[42:43], v[0:1], 2, v[36:37]
	global_load_dword v39, v[42:43], off
	s_waitcnt vmcnt(0)
	v_mul_f32_e32 v41, s15, v39
.LBB97_52:
	v_mad_i64_i32 v[38:39], s[8:9], v38, s2, 0
	v_lshl_add_u64 v[38:39], v[38:39], 2, s[0:1]
	v_add_f32_e32 v34, v34, v35
	v_add_f32_e32 v41, v34, v41
	v_lshl_add_u64 v[34:35], v[0:1], 2, v[38:39]
	s_and_b64 vcc, exec, s[4:5]
	global_store_dword v[34:35], v41, off
	s_cbranch_vccnz .LBB97_54
; %bb.53:
	v_lshl_add_u64 v[34:35], v[2:3], 2, v[36:37]
	global_load_dword v34, v[34:35], off
	s_waitcnt vmcnt(0)
	v_mul_f32_e32 v40, s15, v34
.LBB97_54:
	v_add_f32_e32 v32, v32, v33
	v_add_f32_e32 v34, v32, v40
	v_lshl_add_u64 v[32:33], v[2:3], 2, v[38:39]
	global_store_dword v[32:33], v34, off
	v_mov_b32_e32 v32, 0
	s_and_b64 vcc, exec, s[4:5]
	v_mov_b32_e32 v33, 0
	s_cbranch_vccnz .LBB97_56
; %bb.55:
	v_lshl_add_u64 v[34:35], v[62:63], 2, v[36:37]
	global_load_dword v33, v[34:35], off
	s_waitcnt vmcnt(0)
	v_mul_f32_e32 v33, s15, v33
.LBB97_56:
	v_add_f32_e32 v30, v30, v31
	v_add_f32_e32 v33, v30, v33
	v_lshl_add_u64 v[30:31], v[62:63], 2, v[38:39]
	s_and_b64 vcc, exec, s[4:5]
	global_store_dword v[30:31], v33, off
	s_cbranch_vccnz .LBB97_58
; %bb.57:
	v_lshl_add_u64 v[30:31], v[64:65], 2, v[36:37]
	global_load_dword v30, v[30:31], off
	s_waitcnt vmcnt(0)
	v_mul_f32_e32 v32, s15, v30
.LBB97_58:
	v_add_f32_e32 v28, v28, v29
	v_add_f32_e32 v30, v28, v32
	v_lshl_add_u64 v[28:29], v[64:65], 2, v[38:39]
	global_store_dword v[28:29], v30, off
	v_mov_b32_e32 v28, 0
	s_and_b64 vcc, exec, s[4:5]
	v_mov_b32_e32 v29, 0
	s_cbranch_vccnz .LBB97_60
; %bb.59:
	v_lshl_add_u64 v[30:31], v[60:61], 2, v[36:37]
	global_load_dword v29, v[30:31], off
	s_waitcnt vmcnt(0)
	v_mul_f32_e32 v29, s15, v29
.LBB97_60:
	;; [unrolled: 26-line block ×3, first 2 shown]
	v_add_f32_e32 v22, v22, v23
	v_add_f32_e32 v25, v22, v25
	v_lshl_add_u64 v[22:23], v[56:57], 2, v[38:39]
	s_and_b64 vcc, exec, s[4:5]
	global_store_dword v[22:23], v25, off
	s_cbranch_vccnz .LBB97_66
; %bb.65:
	v_lshl_add_u64 v[22:23], v[54:55], 2, v[36:37]
	global_load_dword v22, v[22:23], off
	s_waitcnt vmcnt(0)
	v_mul_f32_e32 v24, s15, v22
.LBB97_66:
	v_add_f32_e32 v20, v20, v21
	v_add_f32_e32 v22, v20, v24
	v_lshl_add_u64 v[20:21], v[54:55], 2, v[38:39]
	global_store_dword v[20:21], v22, off
	v_add_u32_e32 v22, 0x60, v72
	v_mad_i64_i32 v[20:21], s[8:9], v22, s14, 0
	v_lshl_add_u64 v[20:21], v[20:21], 2, s[12:13]
	v_mov_b32_e32 v24, 0
	s_and_b64 vcc, exec, s[4:5]
	v_mov_b32_e32 v25, 0
	s_cbranch_vccnz .LBB97_68
; %bb.67:
	v_lshl_add_u64 v[26:27], v[0:1], 2, v[20:21]
	global_load_dword v23, v[26:27], off
	s_waitcnt vmcnt(0)
	v_mul_f32_e32 v25, s15, v23
.LBB97_68:
	v_mad_i64_i32 v[22:23], s[2:3], v22, s2, 0
	v_lshl_add_u64 v[22:23], v[22:23], 2, s[0:1]
	v_add_f32_e32 v18, v18, v19
	v_add_f32_e32 v18, v18, v25
	v_lshl_add_u64 v[0:1], v[0:1], 2, v[22:23]
	s_and_b64 vcc, exec, s[4:5]
	global_store_dword v[0:1], v18, off
	s_cbranch_vccnz .LBB97_70
; %bb.69:
	v_lshl_add_u64 v[0:1], v[2:3], 2, v[20:21]
	global_load_dword v0, v[0:1], off
	s_waitcnt vmcnt(0)
	v_mul_f32_e32 v24, s15, v0
.LBB97_70:
	v_add_f32_e32 v0, v16, v17
	v_add_f32_e32 v16, v0, v24
	v_lshl_add_u64 v[0:1], v[2:3], 2, v[22:23]
	global_store_dword v[0:1], v16, off
	v_mov_b32_e32 v0, 0
	s_and_b64 vcc, exec, s[4:5]
	v_mov_b32_e32 v1, 0
	s_cbranch_vccnz .LBB97_72
; %bb.71:
	v_lshl_add_u64 v[2:3], v[62:63], 2, v[20:21]
	global_load_dword v1, v[2:3], off
	s_waitcnt vmcnt(0)
	v_mul_f32_e32 v1, s15, v1
.LBB97_72:
	v_add_f32_e32 v2, v14, v15
	v_add_f32_e32 v1, v2, v1
	v_lshl_add_u64 v[2:3], v[62:63], 2, v[22:23]
	s_and_b64 vcc, exec, s[4:5]
	global_store_dword v[2:3], v1, off
	s_cbranch_vccnz .LBB97_74
; %bb.73:
	v_lshl_add_u64 v[0:1], v[64:65], 2, v[20:21]
	global_load_dword v0, v[0:1], off
	s_waitcnt vmcnt(0)
	v_mul_f32_e32 v0, s15, v0
.LBB97_74:
	v_add_f32_e32 v1, v12, v13
	v_add_f32_e32 v2, v1, v0
	v_lshl_add_u64 v[0:1], v[64:65], 2, v[22:23]
	global_store_dword v[0:1], v2, off
	v_mov_b32_e32 v0, 0
	s_and_b64 vcc, exec, s[4:5]
	v_mov_b32_e32 v1, 0
	s_cbranch_vccnz .LBB97_76
; %bb.75:
	v_lshl_add_u64 v[2:3], v[60:61], 2, v[20:21]
	global_load_dword v1, v[2:3], off
	s_waitcnt vmcnt(0)
	v_mul_f32_e32 v1, s15, v1
.LBB97_76:
	v_add_f32_e32 v2, v10, v11
	v_add_f32_e32 v1, v2, v1
	v_lshl_add_u64 v[2:3], v[60:61], 2, v[22:23]
	s_and_b64 vcc, exec, s[4:5]
	global_store_dword v[2:3], v1, off
	s_cbranch_vccnz .LBB97_78
; %bb.77:
	v_lshl_add_u64 v[0:1], v[58:59], 2, v[20:21]
	global_load_dword v0, v[0:1], off
	s_waitcnt vmcnt(0)
	v_mul_f32_e32 v0, s15, v0
.LBB97_78:
	v_add_f32_e32 v1, v8, v9
	v_add_f32_e32 v2, v1, v0
	v_lshl_add_u64 v[0:1], v[58:59], 2, v[22:23]
	global_store_dword v[0:1], v2, off
	v_add_f32_e32 v0, v6, v7
	s_mov_b64 s[0:1], -1
	s_mov_b64 vcc, s[6:7]
	s_cbranch_vccz .LBB97_80
; %bb.79:
	v_add_f32_e32 v1, 0, v0
	v_lshl_add_u64 v[2:3], v[56:57], 2, v[22:23]
	global_store_dword v[2:3], v1, off
	s_mov_b64 s[0:1], 0
.LBB97_80:
	s_andn2_b64 vcc, exec, s[0:1]
	v_mov_b32_e32 v1, 0
	s_cbranch_vccnz .LBB97_82
; %bb.81:
	v_lshlrev_b64 v[2:3], 2, v[56:57]
	v_lshl_add_u64 v[6:7], v[20:21], 0, v[2:3]
	global_load_dword v1, v[6:7], off
	v_lshl_add_u64 v[2:3], v[22:23], 0, v[2:3]
	s_waitcnt vmcnt(0)
	v_fmac_f32_e32 v0, s15, v1
	global_store_dword v[2:3], v0, off
	v_lshl_add_u64 v[0:1], v[54:55], 2, v[20:21]
	global_load_dword v0, v[0:1], off
	s_waitcnt vmcnt(0)
	v_mul_f32_e32 v1, s15, v0
.LBB97_82:
	v_add_f32_e32 v0, v4, v5
	v_add_f32_e32 v2, v0, v1
	v_lshl_add_u64 v[0:1], v[54:55], 2, v[22:23]
	global_store_dword v[0:1], v2, off
	s_endpgm
.LBB97_83:
	s_mov_b64 s[16:17], 0
	s_andn2_b64 vcc, exec, s[8:9]
	s_mov_b64 s[4:5], -1
	s_cbranch_vccz .LBB97_2
	s_branch .LBB97_3
	.section	.rodata,"a",@progbits
	.p2align	6, 0x0
	.amdhsa_kernel _ZN12_GLOBAL__N_120geam_min_plus_kernelIf15HIP_vector_typeIfLj2EES2_Li8ELi32ELi64ELi128ELi4ELi4ELi64ELi64ELi4ELc84ELc84ELb1ELb0ELb0EfKffEEviiiT16_PT17_ilS6_ilS4_S6_ilPT18_ili26rocblas_geam_ex_operation_
		.amdhsa_group_segment_fixed_size 6144
		.amdhsa_private_segment_fixed_size 0
		.amdhsa_kernarg_size 128
		.amdhsa_user_sgpr_count 2
		.amdhsa_user_sgpr_dispatch_ptr 0
		.amdhsa_user_sgpr_queue_ptr 0
		.amdhsa_user_sgpr_kernarg_segment_ptr 1
		.amdhsa_user_sgpr_dispatch_id 0
		.amdhsa_user_sgpr_kernarg_preload_length 0
		.amdhsa_user_sgpr_kernarg_preload_offset 0
		.amdhsa_user_sgpr_private_segment_size 0
		.amdhsa_uses_dynamic_stack 0
		.amdhsa_enable_private_segment 0
		.amdhsa_system_sgpr_workgroup_id_x 1
		.amdhsa_system_sgpr_workgroup_id_y 0
		.amdhsa_system_sgpr_workgroup_id_z 1
		.amdhsa_system_sgpr_workgroup_info 0
		.amdhsa_system_vgpr_workitem_id 1
		.amdhsa_next_free_vgpr 113
		.amdhsa_next_free_sgpr 25
		.amdhsa_accum_offset 116
		.amdhsa_reserve_vcc 1
		.amdhsa_float_round_mode_32 0
		.amdhsa_float_round_mode_16_64 0
		.amdhsa_float_denorm_mode_32 3
		.amdhsa_float_denorm_mode_16_64 3
		.amdhsa_dx10_clamp 1
		.amdhsa_ieee_mode 1
		.amdhsa_fp16_overflow 0
		.amdhsa_tg_split 0
		.amdhsa_exception_fp_ieee_invalid_op 0
		.amdhsa_exception_fp_denorm_src 0
		.amdhsa_exception_fp_ieee_div_zero 0
		.amdhsa_exception_fp_ieee_overflow 0
		.amdhsa_exception_fp_ieee_underflow 0
		.amdhsa_exception_fp_ieee_inexact 0
		.amdhsa_exception_int_div_zero 0
	.end_amdhsa_kernel
	.section	.text._ZN12_GLOBAL__N_120geam_min_plus_kernelIf15HIP_vector_typeIfLj2EES2_Li8ELi32ELi64ELi128ELi4ELi4ELi64ELi64ELi4ELc84ELc84ELb1ELb0ELb0EfKffEEviiiT16_PT17_ilS6_ilS4_S6_ilPT18_ili26rocblas_geam_ex_operation_,"axG",@progbits,_ZN12_GLOBAL__N_120geam_min_plus_kernelIf15HIP_vector_typeIfLj2EES2_Li8ELi32ELi64ELi128ELi4ELi4ELi64ELi64ELi4ELc84ELc84ELb1ELb0ELb0EfKffEEviiiT16_PT17_ilS6_ilS4_S6_ilPT18_ili26rocblas_geam_ex_operation_,comdat
.Lfunc_end97:
	.size	_ZN12_GLOBAL__N_120geam_min_plus_kernelIf15HIP_vector_typeIfLj2EES2_Li8ELi32ELi64ELi128ELi4ELi4ELi64ELi64ELi4ELc84ELc84ELb1ELb0ELb0EfKffEEviiiT16_PT17_ilS6_ilS4_S6_ilPT18_ili26rocblas_geam_ex_operation_, .Lfunc_end97-_ZN12_GLOBAL__N_120geam_min_plus_kernelIf15HIP_vector_typeIfLj2EES2_Li8ELi32ELi64ELi128ELi4ELi4ELi64ELi64ELi4ELc84ELc84ELb1ELb0ELb0EfKffEEviiiT16_PT17_ilS6_ilS4_S6_ilPT18_ili26rocblas_geam_ex_operation_
                                        ; -- End function
	.set _ZN12_GLOBAL__N_120geam_min_plus_kernelIf15HIP_vector_typeIfLj2EES2_Li8ELi32ELi64ELi128ELi4ELi4ELi64ELi64ELi4ELc84ELc84ELb1ELb0ELb0EfKffEEviiiT16_PT17_ilS6_ilS4_S6_ilPT18_ili26rocblas_geam_ex_operation_.num_vgpr, 113
	.set _ZN12_GLOBAL__N_120geam_min_plus_kernelIf15HIP_vector_typeIfLj2EES2_Li8ELi32ELi64ELi128ELi4ELi4ELi64ELi64ELi4ELc84ELc84ELb1ELb0ELb0EfKffEEviiiT16_PT17_ilS6_ilS4_S6_ilPT18_ili26rocblas_geam_ex_operation_.num_agpr, 0
	.set _ZN12_GLOBAL__N_120geam_min_plus_kernelIf15HIP_vector_typeIfLj2EES2_Li8ELi32ELi64ELi128ELi4ELi4ELi64ELi64ELi4ELc84ELc84ELb1ELb0ELb0EfKffEEviiiT16_PT17_ilS6_ilS4_S6_ilPT18_ili26rocblas_geam_ex_operation_.numbered_sgpr, 25
	.set _ZN12_GLOBAL__N_120geam_min_plus_kernelIf15HIP_vector_typeIfLj2EES2_Li8ELi32ELi64ELi128ELi4ELi4ELi64ELi64ELi4ELc84ELc84ELb1ELb0ELb0EfKffEEviiiT16_PT17_ilS6_ilS4_S6_ilPT18_ili26rocblas_geam_ex_operation_.num_named_barrier, 0
	.set _ZN12_GLOBAL__N_120geam_min_plus_kernelIf15HIP_vector_typeIfLj2EES2_Li8ELi32ELi64ELi128ELi4ELi4ELi64ELi64ELi4ELc84ELc84ELb1ELb0ELb0EfKffEEviiiT16_PT17_ilS6_ilS4_S6_ilPT18_ili26rocblas_geam_ex_operation_.private_seg_size, 0
	.set _ZN12_GLOBAL__N_120geam_min_plus_kernelIf15HIP_vector_typeIfLj2EES2_Li8ELi32ELi64ELi128ELi4ELi4ELi64ELi64ELi4ELc84ELc84ELb1ELb0ELb0EfKffEEviiiT16_PT17_ilS6_ilS4_S6_ilPT18_ili26rocblas_geam_ex_operation_.uses_vcc, 1
	.set _ZN12_GLOBAL__N_120geam_min_plus_kernelIf15HIP_vector_typeIfLj2EES2_Li8ELi32ELi64ELi128ELi4ELi4ELi64ELi64ELi4ELc84ELc84ELb1ELb0ELb0EfKffEEviiiT16_PT17_ilS6_ilS4_S6_ilPT18_ili26rocblas_geam_ex_operation_.uses_flat_scratch, 0
	.set _ZN12_GLOBAL__N_120geam_min_plus_kernelIf15HIP_vector_typeIfLj2EES2_Li8ELi32ELi64ELi128ELi4ELi4ELi64ELi64ELi4ELc84ELc84ELb1ELb0ELb0EfKffEEviiiT16_PT17_ilS6_ilS4_S6_ilPT18_ili26rocblas_geam_ex_operation_.has_dyn_sized_stack, 0
	.set _ZN12_GLOBAL__N_120geam_min_plus_kernelIf15HIP_vector_typeIfLj2EES2_Li8ELi32ELi64ELi128ELi4ELi4ELi64ELi64ELi4ELc84ELc84ELb1ELb0ELb0EfKffEEviiiT16_PT17_ilS6_ilS4_S6_ilPT18_ili26rocblas_geam_ex_operation_.has_recursion, 0
	.set _ZN12_GLOBAL__N_120geam_min_plus_kernelIf15HIP_vector_typeIfLj2EES2_Li8ELi32ELi64ELi128ELi4ELi4ELi64ELi64ELi4ELc84ELc84ELb1ELb0ELb0EfKffEEviiiT16_PT17_ilS6_ilS4_S6_ilPT18_ili26rocblas_geam_ex_operation_.has_indirect_call, 0
	.section	.AMDGPU.csdata,"",@progbits
; Kernel info:
; codeLenInByte = 6392
; TotalNumSgprs: 31
; NumVgprs: 113
; NumAgprs: 0
; TotalNumVgprs: 113
; ScratchSize: 0
; MemoryBound: 0
; FloatMode: 240
; IeeeMode: 1
; LDSByteSize: 6144 bytes/workgroup (compile time only)
; SGPRBlocks: 3
; VGPRBlocks: 14
; NumSGPRsForWavesPerEU: 31
; NumVGPRsForWavesPerEU: 113
; AccumOffset: 116
; Occupancy: 4
; WaveLimiterHint : 1
; COMPUTE_PGM_RSRC2:SCRATCH_EN: 0
; COMPUTE_PGM_RSRC2:USER_SGPR: 2
; COMPUTE_PGM_RSRC2:TRAP_HANDLER: 0
; COMPUTE_PGM_RSRC2:TGID_X_EN: 1
; COMPUTE_PGM_RSRC2:TGID_Y_EN: 0
; COMPUTE_PGM_RSRC2:TGID_Z_EN: 1
; COMPUTE_PGM_RSRC2:TIDIG_COMP_CNT: 1
; COMPUTE_PGM_RSRC3_GFX90A:ACCUM_OFFSET: 28
; COMPUTE_PGM_RSRC3_GFX90A:TG_SPLIT: 0
	.section	.text._ZN12_GLOBAL__N_120geam_min_plus_kernelIf15HIP_vector_typeIfLj2EES2_Li8ELi32ELi64ELi128ELi4ELi4ELi64ELi64ELi4ELc84ELc84ELb0ELb0ELb0EfKffEEviiiT16_PT17_ilS6_ilS4_S6_ilPT18_ili26rocblas_geam_ex_operation_,"axG",@progbits,_ZN12_GLOBAL__N_120geam_min_plus_kernelIf15HIP_vector_typeIfLj2EES2_Li8ELi32ELi64ELi128ELi4ELi4ELi64ELi64ELi4ELc84ELc84ELb0ELb0ELb0EfKffEEviiiT16_PT17_ilS6_ilS4_S6_ilPT18_ili26rocblas_geam_ex_operation_,comdat
	.globl	_ZN12_GLOBAL__N_120geam_min_plus_kernelIf15HIP_vector_typeIfLj2EES2_Li8ELi32ELi64ELi128ELi4ELi4ELi64ELi64ELi4ELc84ELc84ELb0ELb0ELb0EfKffEEviiiT16_PT17_ilS6_ilS4_S6_ilPT18_ili26rocblas_geam_ex_operation_ ; -- Begin function _ZN12_GLOBAL__N_120geam_min_plus_kernelIf15HIP_vector_typeIfLj2EES2_Li8ELi32ELi64ELi128ELi4ELi4ELi64ELi64ELi4ELc84ELc84ELb0ELb0ELb0EfKffEEviiiT16_PT17_ilS6_ilS4_S6_ilPT18_ili26rocblas_geam_ex_operation_
	.p2align	8
	.type	_ZN12_GLOBAL__N_120geam_min_plus_kernelIf15HIP_vector_typeIfLj2EES2_Li8ELi32ELi64ELi128ELi4ELi4ELi64ELi64ELi4ELc84ELc84ELb0ELb0ELb0EfKffEEviiiT16_PT17_ilS6_ilS4_S6_ilPT18_ili26rocblas_geam_ex_operation_,@function
_ZN12_GLOBAL__N_120geam_min_plus_kernelIf15HIP_vector_typeIfLj2EES2_Li8ELi32ELi64ELi128ELi4ELi4ELi64ELi64ELi4ELc84ELc84ELb0ELb0ELb0EfKffEEviiiT16_PT17_ilS6_ilS4_S6_ilPT18_ili26rocblas_geam_ex_operation_: ; @_ZN12_GLOBAL__N_120geam_min_plus_kernelIf15HIP_vector_typeIfLj2EES2_Li8ELi32ELi64ELi128ELi4ELi4ELi64ELi64ELi4ELc84ELc84ELb0ELb0ELb0EfKffEEviiiT16_PT17_ilS6_ilS4_S6_ilPT18_ili26rocblas_geam_ex_operation_
; %bb.0:
	s_load_dwordx2 s[18:19], s[0:1], 0x8
	s_load_dwordx4 s[8:11], s[0:1], 0x20
	s_waitcnt lgkmcnt(0)
	v_cmp_eq_f32_e64 s[6:7], s19, 0
	s_and_b64 s[4:5], exec, s[6:7]
	s_mov_b64 vcc, s[4:5]
	s_cbranch_vccnz .LBB98_95
; %bb.1:
	s_load_dwordx2 s[12:13], s[0:1], 0x10
	s_mul_i32 s9, s9, s3
	s_mul_hi_u32 s14, s8, s3
	s_add_i32 s9, s14, s9
	s_mul_i32 s8, s8, s3
	s_lshl_b64 s[8:9], s[8:9], 2
	s_waitcnt lgkmcnt(0)
	s_add_u32 s20, s12, s8
	s_addc_u32 s21, s13, s9
	s_andn2_b64 vcc, exec, s[6:7]
	s_mov_b64 s[6:7], -1
	s_cbranch_vccnz .LBB98_3
.LBB98_2:
	s_mov_b64 s[6:7], 0
.LBB98_3:
	s_mov_b64 s[16:17], 0
	s_andn2_b64 vcc, exec, s[6:7]
	s_mov_b64 s[22:23], 0
	s_cbranch_vccnz .LBB98_5
; %bb.4:
	s_load_dwordx2 s[6:7], s[0:1], 0x38
	s_waitcnt lgkmcnt(0)
	s_mul_i32 s7, s7, s3
	s_mul_hi_u32 s8, s6, s3
	s_add_i32 s7, s8, s7
	s_mul_i32 s6, s6, s3
	s_lshl_b64 s[6:7], s[6:7], 2
	s_add_u32 s22, s10, s6
	s_addc_u32 s23, s11, s7
.LBB98_5:
	s_load_dword s24, s[0:1], 0x40
	s_load_dwordx4 s[12:15], s[0:1], 0x58
	v_cmp_neq_f32_e64 s[10:11], s19, 0
	s_waitcnt lgkmcnt(0)
	v_cmp_eq_f32_e64 s[6:7], s24, 0
	s_and_b64 s[8:9], exec, s[6:7]
	s_mov_b64 vcc, s[8:9]
	s_cbranch_vccnz .LBB98_7
; %bb.6:
	s_load_dwordx2 s[6:7], s[0:1], 0x48
	s_mul_i32 s13, s13, s3
	s_mul_hi_u32 s16, s12, s3
	s_add_i32 s13, s16, s13
	s_mul_i32 s12, s12, s3
	s_lshl_b64 s[12:13], s[12:13], 2
	s_waitcnt lgkmcnt(0)
	s_add_u32 s16, s6, s12
	s_addc_u32 s17, s7, s13
.LBB98_7:
	s_load_dword s6, s[0:1], 0x0
	s_load_dword s27, s[0:1], 0x18
	s_load_dword s13, s[0:1], 0x30
	v_and_b32_e32 v78, 0x3ff, v0
	v_bfe_u32 v79, v0, 10, 10
	s_waitcnt lgkmcnt(0)
	s_add_i32 s6, s6, -1
	s_ashr_i32 s7, s6, 31
	s_lshr_b32 s7, s7, 26
	s_add_i32 s6, s6, s7
	s_ashr_i32 s6, s6, 6
	s_add_i32 s7, s6, 1
	v_cvt_f32_u32_e32 v1, s7
	v_and_b32_e32 v80, 3, v0
	s_not_b32 s6, s6
	s_ashr_i32 s25, s13, 31
	v_rcp_iflag_f32_e32 v0, v1
	v_lshl_add_u32 v1, v79, 3, v78
	v_and_b32_e32 v72, 63, v1
	v_lshrrev_b32_e32 v4, 2, v1
	v_mul_f32_e32 v0, 0x4f7ffffe, v0
	v_cvt_u32_f32_e32 v0, v0
	v_lshrrev_b32_e32 v81, 6, v1
	v_mov_b32_e32 v74, 0
	v_mov_b32_e32 v5, 0
	v_readfirstlane_b32 s12, v0
	s_mul_i32 s6, s6, s12
	s_mul_hi_u32 s6, s12, s6
	s_add_i32 s12, s12, s6
	s_mul_hi_u32 s6, s2, s12
	s_mul_i32 s12, s6, s7
	s_sub_i32 s12, s2, s12
	s_add_i32 s26, s6, 1
	s_sub_i32 s28, s12, s7
	s_cmp_ge_u32 s12, s7
	s_cselect_b32 s6, s26, s6
	s_cselect_b32 s12, s28, s12
	s_add_i32 s26, s6, 1
	s_cmp_ge_u32 s12, s7
	s_cselect_b32 s6, s26, s6
	s_mul_i32 s7, s6, s7
	s_sub_i32 s2, s2, s7
	s_lshl_b32 s12, s6, 7
	s_lshl_b32 s2, s2, 6
	v_cndmask_b32_e64 v0, 0, 1, s[10:11]
	v_or_b32_e32 v70, s12, v72
	v_cmp_ne_u32_e64 s[6:7], 1, v0
	s_andn2_b64 vcc, exec, s[10:11]
	v_add_u32_e32 v73, s2, v4
	v_lshlrev_b32_e32 v0, 2, v80
	v_ashrrev_i32_e32 v71, 31, v70
	v_mov_b32_e32 v2, 0
	v_mov_b32_e32 v3, 0
	s_cbranch_vccnz .LBB98_9
; %bb.8:
	v_mad_i64_i32 v[2:3], s[10:11], v73, s27, 0
	v_mad_i64_i32 v[6:7], s[10:11], s13, v81, 0
	v_lshl_add_u64 v[2:3], v[2:3], 2, s[20:21]
	v_mov_b32_e32 v1, 0
	v_lshl_add_u64 v[6:7], v[6:7], 2, s[22:23]
	v_lshl_add_u64 v[2:3], v[2:3], 0, v[0:1]
	;; [unrolled: 1-line block ×3, first 2 shown]
	global_load_dword v2, v[2:3], off
	s_nop 0
	global_load_dword v1, v[6:7], off
	global_load_dword v3, v[6:7], off offset:256
	s_mov_b32 s10, s19
	s_waitcnt vmcnt(1)
	v_mul_f32_e32 v5, s19, v1
	s_waitcnt vmcnt(0)
	v_pk_mul_f32 v[2:3], s[10:11], v[2:3] op_sel_hi:[0,1]
.LBB98_9:
	s_and_b64 vcc, exec, s[6:7]
	v_add_u32_e32 v82, 4, v81
	v_mov_b32_e32 v68, 0
	v_mov_b32_e32 v69, 0
	s_cbranch_vccnz .LBB98_11
; %bb.10:
	v_mad_i64_i32 v[6:7], s[6:7], v73, s27, 0
	v_mad_i64_i32 v[8:9], s[6:7], s13, v82, 0
	v_lshl_add_u64 v[6:7], v[6:7], 2, s[20:21]
	v_mov_b32_e32 v1, 0
	v_lshl_add_u64 v[8:9], v[8:9], 2, s[22:23]
	v_lshl_add_u64 v[6:7], v[6:7], 0, v[0:1]
	;; [unrolled: 1-line block ×3, first 2 shown]
	global_load_dword v6, v[6:7], off offset:16
	s_nop 0
	global_load_dword v1, v[8:9], off
	global_load_dword v7, v[8:9], off offset:256
	s_mov_b32 s6, s19
	s_waitcnt vmcnt(1)
	v_mul_f32_e32 v74, s19, v1
	s_waitcnt vmcnt(0)
	v_pk_mul_f32 v[68:69], s[6:7], v[6:7] op_sel_hi:[0,1]
.LBB98_11:
	v_lshl_or_b32 v75, v4, 4, v0
	v_lshlrev_b32_e32 v0, 4, v72
	v_lshl_add_u32 v83, v81, 2, v0
	v_mov_b32_e32 v0, 0x1000
	v_mov_b32_e32 v66, 0
	v_cmp_neq_f32_e64 s[6:7], s24, 0
	ds_write2st64_b32 v83, v5, v3 offset1:4
	v_lshl_add_u32 v84, v78, 4, v0
	s_mov_b32 s26, 0
	s_mov_b64 s[10:11], -1
	v_mov_b32_e32 v67, v66
	v_mov_b32_e32 v64, v66
	;; [unrolled: 1-line block ×63, first 2 shown]
	v_add_u32_e32 v85, 0x1000, v75
	v_lshlrev_b32_e32 v86, 4, v79
	ds_write_b32 v75, v2 offset:4096
	s_waitcnt lgkmcnt(0)
	s_barrier
.LBB98_12:                              ; =>This Inner Loop Header: Depth=1
	v_cndmask_b32_e64 v0, 0, 1, s[10:11]
	s_lshl_b32 s10, s26, 2
	v_cmp_ne_u32_e32 vcc, 1, v0
	v_add_u32_e32 v0, s10, v84
	ds_read2_b64 v[88:91], v0 offset1:16
	ds_read2_b64 v[92:95], v0 offset0:32 offset1:48
	ds_read2_b64 v[96:99], v0 offset0:64 offset1:80
	;; [unrolled: 1-line block ×3, first 2 shown]
	v_add_u32_e32 v0, s10, v86
	ds_read2st64_b64 v[104:107], v0 offset1:1
	ds_read2st64_b64 v[0:3], v0 offset0:2 offset1:3
	s_waitcnt lgkmcnt(5)
	v_max_f32_e32 v88, v88, v88
	v_max_f32_e32 v89, v89, v89
	;; [unrolled: 1-line block ×3, first 2 shown]
	s_waitcnt lgkmcnt(1)
	v_max_f32_e32 v87, v104, v104
	v_max_f32_e32 v104, v105, v105
	v_min_f32_e32 v76, v88, v87
	v_min_f32_e32 v77, v89, v104
	v_max_f32_e32 v91, v91, v91
	v_pk_add_f32 v[66:67], v[76:77], v[66:67]
	v_min_f32_e32 v76, v90, v87
	v_min_f32_e32 v77, v91, v104
	v_max_f32_e32 v92, v92, v92
	v_max_f32_e32 v93, v93, v93
	v_pk_add_f32 v[64:65], v[76:77], v[64:65]
	v_min_f32_e32 v76, v92, v87
	v_min_f32_e32 v77, v93, v104
	v_max_f32_e32 v94, v94, v94
	;; [unrolled: 5-line block ×6, first 2 shown]
	v_pk_add_f32 v[54:55], v[76:77], v[54:55]
	v_min_f32_e32 v76, v102, v87
	v_max_f32_e32 v87, v103, v103
	v_min_f32_e32 v77, v87, v104
	v_max_f32_e32 v103, v106, v106
	v_max_f32_e32 v104, v107, v107
	v_pk_add_f32 v[52:53], v[76:77], v[52:53]
	v_min_f32_e32 v76, v88, v103
	v_min_f32_e32 v77, v89, v104
	v_pk_add_f32 v[50:51], v[76:77], v[50:51]
	v_min_f32_e32 v76, v90, v103
	v_min_f32_e32 v77, v91, v104
	;; [unrolled: 3-line block ×8, first 2 shown]
	v_pk_add_f32 v[36:37], v[76:77], v[36:37]
	s_waitcnt lgkmcnt(0)
	v_max_f32_e32 v76, v0, v0
	v_max_f32_e32 v77, v1, v1
	v_min_f32_e32 v0, v88, v76
	v_min_f32_e32 v1, v89, v77
	v_pk_add_f32 v[34:35], v[0:1], v[34:35]
	v_min_f32_e32 v0, v90, v76
	v_min_f32_e32 v1, v91, v77
	v_pk_add_f32 v[32:33], v[0:1], v[32:33]
	v_min_f32_e32 v0, v92, v76
	v_min_f32_e32 v1, v93, v77
	v_pk_add_f32 v[30:31], v[0:1], v[30:31]
	v_min_f32_e32 v0, v94, v76
	v_min_f32_e32 v1, v95, v77
	v_pk_add_f32 v[28:29], v[0:1], v[28:29]
	v_min_f32_e32 v0, v96, v76
	v_min_f32_e32 v1, v97, v77
	v_pk_add_f32 v[26:27], v[0:1], v[26:27]
	v_min_f32_e32 v0, v98, v76
	v_min_f32_e32 v1, v99, v77
	v_pk_add_f32 v[24:25], v[0:1], v[24:25]
	v_min_f32_e32 v0, v100, v76
	v_min_f32_e32 v1, v101, v77
	v_pk_add_f32 v[22:23], v[0:1], v[22:23]
	v_min_f32_e32 v0, v102, v76
	v_min_f32_e32 v1, v87, v77
	v_max_f32_e32 v2, v2, v2
	v_max_f32_e32 v3, v3, v3
	v_pk_add_f32 v[20:21], v[0:1], v[20:21]
	v_min_f32_e32 v0, v88, v2
	v_min_f32_e32 v1, v89, v3
	v_pk_add_f32 v[18:19], v[0:1], v[18:19]
	v_min_f32_e32 v0, v90, v2
	v_min_f32_e32 v1, v91, v3
	;; [unrolled: 3-line block ×8, first 2 shown]
	v_pk_add_f32 v[4:5], v[0:1], v[4:5]
	s_mov_b64 s[10:11], 0
	s_mov_b32 s26, 2
	s_cbranch_vccz .LBB98_12
; %bb.13:
	v_lshlrev_b32_e32 v0, 2, v81
	v_lshl_add_u32 v0, v72, 4, v0
	s_cmp_lt_i32 s18, 9
	ds_write_b32 v75, v68 offset:5120
	ds_write2st64_b32 v0, v74, v69 offset0:8 offset1:12
	s_waitcnt lgkmcnt(0)
	s_barrier
	s_cbranch_scc1 .LBB98_28
; %bb.14:
	v_or_b32_e32 v88, 0x800, v0
	v_mad_i64_i32 v[0:1], s[10:11], v73, s27, 0
	v_lshl_add_u64 v[68:69], v[0:1], 2, s[20:21]
	v_mov_b32_e32 v0, 0x1400
	v_lshl_add_u32 v89, v78, 4, v0
	v_mov_b32_e32 v0, 0x800
	v_add_u32_e32 v87, 0x1400, v75
	s_add_i32 s26, s18, -8
	v_lshl_add_u32 v90, v79, 4, v0
	v_lshl_add_u64 v[70:71], v[70:71], 2, s[22:23]
	s_mov_b32 s18, s19
	s_mov_b32 s20, 8
	;; [unrolled: 1-line block ×3, first 2 shown]
	v_mov_b32_e32 v73, 0
.LBB98_15:                              ; =>This Loop Header: Depth=1
                                        ;     Child Loop BB98_20 Depth 2
                                        ;     Child Loop BB98_26 Depth 2
	s_mov_b64 s[10:11], -1
	s_mov_b64 vcc, s[4:5]
                                        ; implicit-def: $vgpr74_vgpr75
	s_cbranch_vccz .LBB98_17
; %bb.16:                               ;   in Loop: Header=BB98_15 Depth=1
	v_mov_b32_e32 v74, v73
	s_mov_b64 s[10:11], 0
.LBB98_17:                              ;   in Loop: Header=BB98_15 Depth=1
	v_mov_b32_e32 v76, 0
	s_andn2_b64 vcc, exec, s[10:11]
	v_mov_b32_e32 v77, 0
	s_cbranch_vccnz .LBB98_19
; %bb.18:                               ;   in Loop: Header=BB98_15 Depth=1
	v_or_b32_e32 v72, s20, v80
	v_lshl_add_u64 v[0:1], v[72:73], 2, v[68:69]
	global_load_dword v0, v[0:1], off
	v_add_u32_e32 v1, s20, v81
	v_mad_u64_u32 v[2:3], s[10:11], v1, s13, 0
	v_mov_b32_e32 v72, v3
	v_mad_u64_u32 v[74:75], s[10:11], v1, s25, v[72:73]
	v_mov_b32_e32 v3, v74
	v_lshl_add_u64 v[2:3], v[2:3], 2, v[70:71]
	global_load_dword v72, v[2:3], off
	global_load_dword v1, v[2:3], off offset:256
	s_waitcnt vmcnt(1)
	v_mul_f32_e32 v74, s19, v72
	s_waitcnt vmcnt(0)
	v_pk_mul_f32 v[76:77], s[18:19], v[0:1]
.LBB98_19:                              ;   in Loop: Header=BB98_15 Depth=1
	s_mov_b32 s22, 0
	s_mov_b64 s[10:11], -1
.LBB98_20:                              ;   Parent Loop BB98_15 Depth=1
                                        ; =>  This Inner Loop Header: Depth=2
	v_cndmask_b32_e64 v0, 0, 1, s[10:11]
	s_lshl_b32 s10, s22, 2
	v_cmp_ne_u32_e32 vcc, 1, v0
	v_add_u32_e32 v0, s10, v89
	ds_read2_b64 v[92:95], v0 offset1:16
	ds_read2_b64 v[96:99], v0 offset0:32 offset1:48
	ds_read2_b64 v[100:103], v0 offset0:64 offset1:80
	;; [unrolled: 1-line block ×3, first 2 shown]
	v_add_u32_e32 v0, s10, v90
	ds_read2st64_b64 v[108:111], v0 offset1:1
	ds_read2st64_b64 v[0:3], v0 offset0:2 offset1:3
	s_waitcnt lgkmcnt(5)
	v_max_f32_e32 v75, v92, v92
	v_max_f32_e32 v94, v94, v94
	;; [unrolled: 1-line block ×3, first 2 shown]
	s_waitcnt lgkmcnt(1)
	v_max_f32_e32 v72, v108, v108
	v_max_f32_e32 v91, v109, v109
	;; [unrolled: 1-line block ×3, first 2 shown]
	v_min_f32_e32 v92, v75, v72
	v_min_f32_e32 v93, v108, v91
	v_pk_add_f32 v[66:67], v[92:93], v[66:67]
	v_min_f32_e32 v92, v94, v72
	v_min_f32_e32 v93, v95, v91
	v_max_f32_e32 v96, v96, v96
	v_max_f32_e32 v97, v97, v97
	v_pk_add_f32 v[64:65], v[92:93], v[64:65]
	v_min_f32_e32 v92, v96, v72
	v_min_f32_e32 v93, v97, v91
	v_max_f32_e32 v98, v98, v98
	v_max_f32_e32 v99, v99, v99
	v_pk_add_f32 v[62:63], v[92:93], v[62:63]
	v_min_f32_e32 v92, v98, v72
	v_min_f32_e32 v93, v99, v91
	v_max_f32_e32 v100, v100, v100
	v_max_f32_e32 v101, v101, v101
	v_pk_add_f32 v[60:61], v[92:93], v[60:61]
	v_min_f32_e32 v92, v100, v72
	v_min_f32_e32 v93, v101, v91
	v_max_f32_e32 v102, v102, v102
	v_max_f32_e32 v103, v103, v103
	v_pk_add_f32 v[58:59], v[92:93], v[58:59]
	v_min_f32_e32 v92, v102, v72
	v_min_f32_e32 v93, v103, v91
	v_max_f32_e32 v104, v104, v104
	v_max_f32_e32 v105, v105, v105
	v_pk_add_f32 v[56:57], v[92:93], v[56:57]
	v_min_f32_e32 v92, v104, v72
	v_min_f32_e32 v93, v105, v91
	v_max_f32_e32 v106, v106, v106
	v_pk_add_f32 v[54:55], v[92:93], v[54:55]
	v_min_f32_e32 v92, v106, v72
	v_max_f32_e32 v72, v107, v107
	v_min_f32_e32 v93, v72, v91
	v_max_f32_e32 v91, v110, v110
	v_max_f32_e32 v107, v111, v111
	v_pk_add_f32 v[52:53], v[92:93], v[52:53]
	v_min_f32_e32 v92, v75, v91
	v_min_f32_e32 v93, v108, v107
	v_pk_add_f32 v[50:51], v[92:93], v[50:51]
	v_min_f32_e32 v92, v94, v91
	v_min_f32_e32 v93, v95, v107
	;; [unrolled: 3-line block ×8, first 2 shown]
	v_pk_add_f32 v[36:37], v[92:93], v[36:37]
	s_waitcnt lgkmcnt(0)
	v_max_f32_e32 v91, v0, v0
	v_max_f32_e32 v92, v1, v1
	v_min_f32_e32 v0, v75, v91
	v_min_f32_e32 v1, v108, v92
	v_pk_add_f32 v[34:35], v[0:1], v[34:35]
	v_min_f32_e32 v0, v94, v91
	v_min_f32_e32 v1, v95, v92
	v_pk_add_f32 v[32:33], v[0:1], v[32:33]
	;; [unrolled: 3-line block ×7, first 2 shown]
	v_min_f32_e32 v0, v106, v91
	v_min_f32_e32 v1, v72, v92
	v_max_f32_e32 v2, v2, v2
	v_max_f32_e32 v3, v3, v3
	v_pk_add_f32 v[20:21], v[0:1], v[20:21]
	v_min_f32_e32 v0, v75, v2
	v_min_f32_e32 v1, v108, v3
	v_pk_add_f32 v[18:19], v[0:1], v[18:19]
	v_min_f32_e32 v0, v94, v2
	v_min_f32_e32 v1, v95, v3
	;; [unrolled: 3-line block ×8, first 2 shown]
	v_pk_add_f32 v[4:5], v[0:1], v[4:5]
	s_mov_b64 s[10:11], 0
	s_mov_b32 s22, 2
	s_cbranch_vccz .LBB98_20
; %bb.21:                               ;   in Loop: Header=BB98_15 Depth=1
	s_mov_b64 s[10:11], -1
	s_mov_b64 vcc, s[4:5]
	ds_write_b32 v85, v76
	ds_write2st64_b32 v83, v74, v77 offset1:4
	s_waitcnt lgkmcnt(0)
	s_barrier
                                        ; implicit-def: $vgpr74_vgpr75
	s_cbranch_vccz .LBB98_23
; %bb.22:                               ;   in Loop: Header=BB98_15 Depth=1
	v_mov_b32_e32 v74, v73
	s_mov_b64 s[10:11], 0
.LBB98_23:                              ;   in Loop: Header=BB98_15 Depth=1
	v_mov_b32_e32 v76, 0
	s_andn2_b64 vcc, exec, s[10:11]
	v_mov_b32_e32 v77, 0
	s_cbranch_vccnz .LBB98_25
; %bb.24:                               ;   in Loop: Header=BB98_15 Depth=1
	v_or_b32_e32 v72, s20, v80
	v_lshl_add_u64 v[0:1], v[72:73], 2, v[68:69]
	global_load_dword v0, v[0:1], off offset:16
	v_add_u32_e32 v1, s20, v82
	v_mad_u64_u32 v[2:3], s[10:11], v1, s13, 0
	v_mov_b32_e32 v72, v3
	v_mad_u64_u32 v[74:75], s[10:11], v1, s25, v[72:73]
	v_mov_b32_e32 v3, v74
	v_lshl_add_u64 v[2:3], v[2:3], 2, v[70:71]
	global_load_dword v72, v[2:3], off
	global_load_dword v1, v[2:3], off offset:256
	s_waitcnt vmcnt(1)
	v_mul_f32_e32 v74, s19, v72
	s_waitcnt vmcnt(0)
	v_pk_mul_f32 v[76:77], s[18:19], v[0:1]
.LBB98_25:                              ;   in Loop: Header=BB98_15 Depth=1
	s_mov_b32 s22, 0
	s_mov_b64 s[10:11], -1
.LBB98_26:                              ;   Parent Loop BB98_15 Depth=1
                                        ; =>  This Inner Loop Header: Depth=2
	v_cndmask_b32_e64 v0, 0, 1, s[10:11]
	s_lshl_b32 s10, s22, 2
	v_cmp_ne_u32_e32 vcc, 1, v0
	v_add_u32_e32 v0, s10, v84
	ds_read2_b64 v[92:95], v0 offset1:16
	ds_read2_b64 v[96:99], v0 offset0:32 offset1:48
	ds_read2_b64 v[100:103], v0 offset0:64 offset1:80
	;; [unrolled: 1-line block ×3, first 2 shown]
	v_add_u32_e32 v0, s10, v86
	ds_read2st64_b64 v[108:111], v0 offset1:1
	ds_read2st64_b64 v[0:3], v0 offset0:2 offset1:3
	s_waitcnt lgkmcnt(5)
	v_max_f32_e32 v75, v92, v92
	v_max_f32_e32 v94, v94, v94
	v_max_f32_e32 v95, v95, v95
	s_waitcnt lgkmcnt(1)
	v_max_f32_e32 v72, v108, v108
	v_max_f32_e32 v91, v109, v109
	;; [unrolled: 1-line block ×3, first 2 shown]
	v_min_f32_e32 v92, v75, v72
	v_min_f32_e32 v93, v108, v91
	v_pk_add_f32 v[66:67], v[92:93], v[66:67]
	v_min_f32_e32 v92, v94, v72
	v_min_f32_e32 v93, v95, v91
	v_max_f32_e32 v96, v96, v96
	v_max_f32_e32 v97, v97, v97
	v_pk_add_f32 v[64:65], v[92:93], v[64:65]
	v_min_f32_e32 v92, v96, v72
	v_min_f32_e32 v93, v97, v91
	v_max_f32_e32 v98, v98, v98
	v_max_f32_e32 v99, v99, v99
	;; [unrolled: 5-line block ×5, first 2 shown]
	v_pk_add_f32 v[56:57], v[92:93], v[56:57]
	v_min_f32_e32 v92, v104, v72
	v_min_f32_e32 v93, v105, v91
	v_max_f32_e32 v106, v106, v106
	v_pk_add_f32 v[54:55], v[92:93], v[54:55]
	v_min_f32_e32 v92, v106, v72
	v_max_f32_e32 v72, v107, v107
	v_min_f32_e32 v93, v72, v91
	v_max_f32_e32 v91, v110, v110
	v_max_f32_e32 v107, v111, v111
	v_pk_add_f32 v[52:53], v[92:93], v[52:53]
	v_min_f32_e32 v92, v75, v91
	v_min_f32_e32 v93, v108, v107
	v_pk_add_f32 v[50:51], v[92:93], v[50:51]
	v_min_f32_e32 v92, v94, v91
	v_min_f32_e32 v93, v95, v107
	;; [unrolled: 3-line block ×8, first 2 shown]
	v_pk_add_f32 v[36:37], v[92:93], v[36:37]
	s_waitcnt lgkmcnt(0)
	v_max_f32_e32 v91, v0, v0
	v_max_f32_e32 v92, v1, v1
	v_min_f32_e32 v0, v75, v91
	v_min_f32_e32 v1, v108, v92
	v_pk_add_f32 v[34:35], v[0:1], v[34:35]
	v_min_f32_e32 v0, v94, v91
	v_min_f32_e32 v1, v95, v92
	v_pk_add_f32 v[32:33], v[0:1], v[32:33]
	;; [unrolled: 3-line block ×7, first 2 shown]
	v_min_f32_e32 v0, v106, v91
	v_min_f32_e32 v1, v72, v92
	v_max_f32_e32 v2, v2, v2
	v_max_f32_e32 v3, v3, v3
	v_pk_add_f32 v[20:21], v[0:1], v[20:21]
	v_min_f32_e32 v0, v75, v2
	v_min_f32_e32 v1, v108, v3
	v_pk_add_f32 v[18:19], v[0:1], v[18:19]
	v_min_f32_e32 v0, v94, v2
	v_min_f32_e32 v1, v95, v3
	;; [unrolled: 3-line block ×8, first 2 shown]
	v_pk_add_f32 v[4:5], v[0:1], v[4:5]
	s_mov_b64 s[10:11], 0
	s_mov_b32 s22, 2
	s_cbranch_vccz .LBB98_26
; %bb.27:                               ;   in Loop: Header=BB98_15 Depth=1
	s_add_i32 s20, s20, 8
	s_add_i32 s21, s21, 8
	s_cmp_ge_i32 s21, s26
	ds_write_b32 v87, v76
	ds_write2st64_b32 v88, v74, v77 offset1:4
	s_waitcnt lgkmcnt(0)
	s_barrier
	s_cbranch_scc0 .LBB98_15
.LBB98_28:
	v_mov_b32_e32 v0, 0x1400
	v_lshl_add_u32 v68, v78, 4, v0
	v_mov_b32_e32 v0, 0x800
	v_lshl_add_u32 v69, v79, 4, v0
	s_mov_b32 s10, 0
	s_mov_b64 s[4:5], -1
.LBB98_29:                              ; =>This Inner Loop Header: Depth=1
	v_cndmask_b32_e64 v0, 0, 1, s[4:5]
	s_lshl_b32 s4, s10, 2
	v_cmp_ne_u32_e32 vcc, 1, v0
	v_add_u32_e32 v0, s4, v68
	ds_read2_b64 v[70:73], v0 offset1:16
	ds_read2_b64 v[74:77], v0 offset0:32 offset1:48
	ds_read2_b64 v[80:83], v0 offset0:64 offset1:80
	;; [unrolled: 1-line block ×3, first 2 shown]
	v_add_u32_e32 v0, s4, v69
	ds_read2st64_b64 v[88:91], v0 offset1:1
	ds_read2st64_b64 v[0:3], v0 offset0:2 offset1:3
	s_waitcnt lgkmcnt(5)
	v_max_f32_e32 v92, v70, v70
	v_max_f32_e32 v93, v71, v71
	;; [unrolled: 1-line block ×3, first 2 shown]
	s_waitcnt lgkmcnt(1)
	v_max_f32_e32 v88, v88, v88
	v_max_f32_e32 v89, v89, v89
	v_min_f32_e32 v70, v92, v88
	v_min_f32_e32 v71, v93, v89
	v_max_f32_e32 v73, v73, v73
	v_pk_add_f32 v[66:67], v[70:71], v[66:67]
	v_min_f32_e32 v70, v72, v88
	v_min_f32_e32 v71, v73, v89
	v_max_f32_e32 v74, v74, v74
	v_max_f32_e32 v75, v75, v75
	v_pk_add_f32 v[64:65], v[70:71], v[64:65]
	v_min_f32_e32 v70, v74, v88
	v_min_f32_e32 v71, v75, v89
	v_max_f32_e32 v76, v76, v76
	;; [unrolled: 5-line block ×7, first 2 shown]
	v_max_f32_e32 v89, v91, v91
	v_pk_add_f32 v[52:53], v[70:71], v[52:53]
	v_min_f32_e32 v70, v92, v88
	v_min_f32_e32 v71, v93, v89
	v_pk_add_f32 v[50:51], v[70:71], v[50:51]
	v_min_f32_e32 v70, v72, v88
	v_min_f32_e32 v71, v73, v89
	;; [unrolled: 3-line block ×8, first 2 shown]
	v_pk_add_f32 v[36:37], v[70:71], v[36:37]
	s_waitcnt lgkmcnt(0)
	v_max_f32_e32 v70, v0, v0
	v_max_f32_e32 v71, v1, v1
	v_min_f32_e32 v0, v92, v70
	v_min_f32_e32 v1, v93, v71
	v_pk_add_f32 v[34:35], v[0:1], v[34:35]
	v_min_f32_e32 v0, v72, v70
	v_min_f32_e32 v1, v73, v71
	v_pk_add_f32 v[32:33], v[0:1], v[32:33]
	;; [unrolled: 3-line block ×7, first 2 shown]
	v_min_f32_e32 v0, v86, v70
	v_min_f32_e32 v1, v87, v71
	v_max_f32_e32 v2, v2, v2
	v_max_f32_e32 v3, v3, v3
	v_pk_add_f32 v[20:21], v[0:1], v[20:21]
	v_min_f32_e32 v0, v92, v2
	v_min_f32_e32 v1, v93, v3
	v_pk_add_f32 v[18:19], v[0:1], v[18:19]
	v_min_f32_e32 v0, v72, v2
	v_min_f32_e32 v1, v73, v3
	;; [unrolled: 3-line block ×8, first 2 shown]
	v_pk_add_f32 v[4:5], v[0:1], v[4:5]
	s_mov_b64 s[4:5], 0
	s_mov_b32 s10, 2
	s_cbranch_vccz .LBB98_29
; %bb.30:
	s_load_dword s10, s[0:1], 0x50
	v_add_u32_e32 v72, s12, v79
	v_add_u32_e32 v0, s2, v78
	v_ashrrev_i32_e32 v1, 31, v0
	v_mov_b32_e32 v73, 0
	s_waitcnt lgkmcnt(0)
	v_mad_i64_i32 v[2:3], s[4:5], v72, s10, 0
	v_lshl_add_u64 v[68:69], v[2:3], 2, s[16:17]
	v_cndmask_b32_e64 v2, 0, 1, s[6:7]
	v_cmp_ne_u32_e64 s[4:5], 1, v2
	s_andn2_b64 vcc, exec, s[6:7]
	v_mov_b32_e32 v74, 0
	s_cbranch_vccnz .LBB98_32
; %bb.31:
	v_lshl_add_u64 v[2:3], v[0:1], 2, v[68:69]
	global_load_dword v2, v[2:3], off
	s_waitcnt vmcnt(0)
	v_mul_f32_e32 v74, s24, v2
.LBB98_32:
	s_load_dwordx2 s[6:7], s[0:1], 0x70
	s_load_dword s2, s[0:1], 0x68
	v_add_u32_e32 v2, 8, v0
	v_add_f32_e32 v66, v66, v67
	v_ashrrev_i32_e32 v3, 31, v2
	s_waitcnt lgkmcnt(0)
	s_mul_i32 s1, s7, s3
	s_mul_hi_u32 s7, s6, s3
	s_mul_i32 s0, s6, s3
	s_add_i32 s1, s7, s1
	s_lshl_b64 s[0:1], s[0:1], 2
	s_add_u32 s0, s14, s0
	s_addc_u32 s1, s15, s1
	v_mad_i64_i32 v[70:71], s[6:7], v72, s2, 0
	v_lshl_add_u64 v[70:71], v[70:71], 2, s[0:1]
	v_add_f32_e32 v74, v66, v74
	v_lshl_add_u64 v[66:67], v[0:1], 2, v[70:71]
	s_and_b64 vcc, exec, s[4:5]
	global_store_dword v[66:67], v74, off
	s_cbranch_vccnz .LBB98_34
; %bb.33:
	v_lshl_add_u64 v[66:67], v[2:3], 2, v[68:69]
	global_load_dword v66, v[66:67], off
	s_waitcnt vmcnt(0)
	v_mul_f32_e32 v73, s24, v66
.LBB98_34:
	v_add_f32_e32 v66, v64, v65
	v_add_u32_e32 v64, 16, v0
	v_add_f32_e32 v73, v66, v73
	v_lshl_add_u64 v[66:67], v[2:3], 2, v[70:71]
	v_ashrrev_i32_e32 v65, 31, v64
	global_store_dword v[66:67], v73, off
	v_mov_b32_e32 v66, 0
	s_and_b64 vcc, exec, s[4:5]
	v_mov_b32_e32 v67, 0
	s_cbranch_vccnz .LBB98_36
; %bb.35:
	v_lshl_add_u64 v[74:75], v[64:65], 2, v[68:69]
	global_load_dword v67, v[74:75], off
	s_waitcnt vmcnt(0)
	v_mul_f32_e32 v67, s24, v67
.LBB98_36:
	v_add_f32_e32 v73, v62, v63
	v_add_u32_e32 v62, 24, v0
	v_ashrrev_i32_e32 v63, 31, v62
	v_add_f32_e32 v67, v73, v67
	v_lshl_add_u64 v[74:75], v[64:65], 2, v[70:71]
	s_and_b64 vcc, exec, s[4:5]
	global_store_dword v[74:75], v67, off
	s_cbranch_vccnz .LBB98_38
; %bb.37:
	v_lshl_add_u64 v[66:67], v[62:63], 2, v[68:69]
	global_load_dword v66, v[66:67], off
	s_waitcnt vmcnt(0)
	v_mul_f32_e32 v66, s24, v66
.LBB98_38:
	v_add_f32_e32 v67, v60, v61
	v_add_u32_e32 v60, 32, v0
	v_add_f32_e32 v73, v67, v66
	v_lshl_add_u64 v[66:67], v[62:63], 2, v[70:71]
	v_ashrrev_i32_e32 v61, 31, v60
	global_store_dword v[66:67], v73, off
	v_mov_b32_e32 v66, 0
	s_and_b64 vcc, exec, s[4:5]
	v_mov_b32_e32 v67, 0
	s_cbranch_vccnz .LBB98_40
; %bb.39:
	v_lshl_add_u64 v[74:75], v[60:61], 2, v[68:69]
	global_load_dword v67, v[74:75], off
	s_waitcnt vmcnt(0)
	v_mul_f32_e32 v67, s24, v67
.LBB98_40:
	v_add_f32_e32 v73, v58, v59
	v_add_u32_e32 v58, 40, v0
	v_ashrrev_i32_e32 v59, 31, v58
	;; [unrolled: 30-line block ×3, first 2 shown]
	v_add_f32_e32 v67, v73, v67
	v_lshl_add_u64 v[74:75], v[56:57], 2, v[70:71]
	s_and_b64 vcc, exec, s[4:5]
	global_store_dword v[74:75], v67, off
	s_cbranch_vccnz .LBB98_46
; %bb.45:
	v_lshl_add_u64 v[66:67], v[54:55], 2, v[68:69]
	global_load_dword v66, v[66:67], off
	s_waitcnt vmcnt(0)
	v_mul_f32_e32 v66, s24, v66
.LBB98_46:
	v_add_f32_e32 v52, v52, v53
	v_add_f32_e32 v66, v52, v66
	v_lshl_add_u64 v[52:53], v[54:55], 2, v[70:71]
	global_store_dword v[52:53], v66, off
	v_add_u32_e32 v66, 32, v72
	v_mad_i64_i32 v[52:53], s[6:7], v66, s10, 0
	v_lshl_add_u64 v[52:53], v[52:53], 2, s[16:17]
	v_mov_b32_e32 v68, 0
	s_and_b64 vcc, exec, s[4:5]
	v_mov_b32_e32 v69, 0
	s_cbranch_vccnz .LBB98_48
; %bb.47:
	v_lshl_add_u64 v[70:71], v[0:1], 2, v[52:53]
	global_load_dword v67, v[70:71], off
	s_waitcnt vmcnt(0)
	v_mul_f32_e32 v69, s24, v67
.LBB98_48:
	v_mad_i64_i32 v[66:67], s[6:7], v66, s2, 0
	v_lshl_add_u64 v[66:67], v[66:67], 2, s[0:1]
	v_add_f32_e32 v50, v50, v51
	v_add_f32_e32 v69, v50, v69
	v_lshl_add_u64 v[50:51], v[0:1], 2, v[66:67]
	s_and_b64 vcc, exec, s[4:5]
	global_store_dword v[50:51], v69, off
	s_cbranch_vccnz .LBB98_50
; %bb.49:
	v_lshl_add_u64 v[50:51], v[2:3], 2, v[52:53]
	global_load_dword v50, v[50:51], off
	s_waitcnt vmcnt(0)
	v_mul_f32_e32 v68, s24, v50
.LBB98_50:
	v_add_f32_e32 v48, v48, v49
	v_add_f32_e32 v50, v48, v68
	v_lshl_add_u64 v[48:49], v[2:3], 2, v[66:67]
	global_store_dword v[48:49], v50, off
	v_mov_b32_e32 v48, 0
	s_and_b64 vcc, exec, s[4:5]
	v_mov_b32_e32 v49, 0
	s_cbranch_vccnz .LBB98_52
; %bb.51:
	v_lshl_add_u64 v[50:51], v[64:65], 2, v[52:53]
	global_load_dword v49, v[50:51], off
	s_waitcnt vmcnt(0)
	v_mul_f32_e32 v49, s24, v49
.LBB98_52:
	v_add_f32_e32 v46, v46, v47
	v_add_f32_e32 v49, v46, v49
	v_lshl_add_u64 v[46:47], v[64:65], 2, v[66:67]
	s_and_b64 vcc, exec, s[4:5]
	global_store_dword v[46:47], v49, off
	s_cbranch_vccnz .LBB98_54
; %bb.53:
	v_lshl_add_u64 v[46:47], v[62:63], 2, v[52:53]
	global_load_dword v46, v[46:47], off
	s_waitcnt vmcnt(0)
	v_mul_f32_e32 v48, s24, v46
.LBB98_54:
	v_add_f32_e32 v44, v44, v45
	v_add_f32_e32 v46, v44, v48
	v_lshl_add_u64 v[44:45], v[62:63], 2, v[66:67]
	global_store_dword v[44:45], v46, off
	v_mov_b32_e32 v44, 0
	s_and_b64 vcc, exec, s[4:5]
	v_mov_b32_e32 v45, 0
	s_cbranch_vccnz .LBB98_56
; %bb.55:
	v_lshl_add_u64 v[46:47], v[60:61], 2, v[52:53]
	global_load_dword v45, v[46:47], off
	s_waitcnt vmcnt(0)
	v_mul_f32_e32 v45, s24, v45
.LBB98_56:
	;; [unrolled: 26-line block ×3, first 2 shown]
	v_add_f32_e32 v38, v38, v39
	v_add_f32_e32 v41, v38, v41
	v_lshl_add_u64 v[38:39], v[56:57], 2, v[66:67]
	s_and_b64 vcc, exec, s[4:5]
	global_store_dword v[38:39], v41, off
	s_cbranch_vccnz .LBB98_62
; %bb.61:
	v_lshl_add_u64 v[38:39], v[54:55], 2, v[52:53]
	global_load_dword v38, v[38:39], off
	s_waitcnt vmcnt(0)
	v_mul_f32_e32 v40, s24, v38
.LBB98_62:
	v_add_f32_e32 v36, v36, v37
	v_add_f32_e32 v38, v36, v40
	v_lshl_add_u64 v[36:37], v[54:55], 2, v[66:67]
	global_store_dword v[36:37], v38, off
	v_add_u32_e32 v38, 64, v72
	v_mad_i64_i32 v[36:37], s[6:7], v38, s10, 0
	v_lshl_add_u64 v[36:37], v[36:37], 2, s[16:17]
	v_mov_b32_e32 v40, 0
	s_and_b64 vcc, exec, s[4:5]
	v_mov_b32_e32 v41, 0
	s_cbranch_vccnz .LBB98_64
; %bb.63:
	v_lshl_add_u64 v[42:43], v[0:1], 2, v[36:37]
	global_load_dword v39, v[42:43], off
	s_waitcnt vmcnt(0)
	v_mul_f32_e32 v41, s24, v39
.LBB98_64:
	v_mad_i64_i32 v[38:39], s[6:7], v38, s2, 0
	v_lshl_add_u64 v[38:39], v[38:39], 2, s[0:1]
	v_add_f32_e32 v34, v34, v35
	v_add_f32_e32 v41, v34, v41
	v_lshl_add_u64 v[34:35], v[0:1], 2, v[38:39]
	s_and_b64 vcc, exec, s[4:5]
	global_store_dword v[34:35], v41, off
	s_cbranch_vccnz .LBB98_66
; %bb.65:
	v_lshl_add_u64 v[34:35], v[2:3], 2, v[36:37]
	global_load_dword v34, v[34:35], off
	s_waitcnt vmcnt(0)
	v_mul_f32_e32 v40, s24, v34
.LBB98_66:
	v_add_f32_e32 v32, v32, v33
	v_add_f32_e32 v34, v32, v40
	v_lshl_add_u64 v[32:33], v[2:3], 2, v[38:39]
	global_store_dword v[32:33], v34, off
	v_mov_b32_e32 v32, 0
	s_and_b64 vcc, exec, s[4:5]
	v_mov_b32_e32 v33, 0
	s_cbranch_vccnz .LBB98_68
; %bb.67:
	v_lshl_add_u64 v[34:35], v[64:65], 2, v[36:37]
	global_load_dword v33, v[34:35], off
	s_waitcnt vmcnt(0)
	v_mul_f32_e32 v33, s24, v33
.LBB98_68:
	v_add_f32_e32 v30, v30, v31
	v_add_f32_e32 v33, v30, v33
	v_lshl_add_u64 v[30:31], v[64:65], 2, v[38:39]
	s_and_b64 vcc, exec, s[4:5]
	global_store_dword v[30:31], v33, off
	s_cbranch_vccnz .LBB98_70
; %bb.69:
	v_lshl_add_u64 v[30:31], v[62:63], 2, v[36:37]
	global_load_dword v30, v[30:31], off
	s_waitcnt vmcnt(0)
	v_mul_f32_e32 v32, s24, v30
.LBB98_70:
	v_add_f32_e32 v28, v28, v29
	v_add_f32_e32 v30, v28, v32
	v_lshl_add_u64 v[28:29], v[62:63], 2, v[38:39]
	global_store_dword v[28:29], v30, off
	v_mov_b32_e32 v28, 0
	s_and_b64 vcc, exec, s[4:5]
	v_mov_b32_e32 v29, 0
	s_cbranch_vccnz .LBB98_72
; %bb.71:
	v_lshl_add_u64 v[30:31], v[60:61], 2, v[36:37]
	global_load_dword v29, v[30:31], off
	s_waitcnt vmcnt(0)
	v_mul_f32_e32 v29, s24, v29
.LBB98_72:
	;; [unrolled: 26-line block ×3, first 2 shown]
	v_add_f32_e32 v22, v22, v23
	v_add_f32_e32 v25, v22, v25
	v_lshl_add_u64 v[22:23], v[56:57], 2, v[38:39]
	s_and_b64 vcc, exec, s[4:5]
	global_store_dword v[22:23], v25, off
	s_cbranch_vccnz .LBB98_78
; %bb.77:
	v_lshl_add_u64 v[22:23], v[54:55], 2, v[36:37]
	global_load_dword v22, v[22:23], off
	s_waitcnt vmcnt(0)
	v_mul_f32_e32 v24, s24, v22
.LBB98_78:
	v_add_f32_e32 v20, v20, v21
	v_add_f32_e32 v22, v20, v24
	v_lshl_add_u64 v[20:21], v[54:55], 2, v[38:39]
	global_store_dword v[20:21], v22, off
	v_add_u32_e32 v22, 0x60, v72
	v_mad_i64_i32 v[20:21], s[6:7], v22, s10, 0
	v_lshl_add_u64 v[20:21], v[20:21], 2, s[16:17]
	v_mov_b32_e32 v24, 0
	s_and_b64 vcc, exec, s[4:5]
	v_mov_b32_e32 v25, 0
	s_cbranch_vccnz .LBB98_80
; %bb.79:
	v_lshl_add_u64 v[26:27], v[0:1], 2, v[20:21]
	global_load_dword v23, v[26:27], off
	s_waitcnt vmcnt(0)
	v_mul_f32_e32 v25, s24, v23
.LBB98_80:
	v_mad_i64_i32 v[22:23], s[2:3], v22, s2, 0
	v_lshl_add_u64 v[22:23], v[22:23], 2, s[0:1]
	v_add_f32_e32 v18, v18, v19
	v_add_f32_e32 v18, v18, v25
	v_lshl_add_u64 v[0:1], v[0:1], 2, v[22:23]
	s_and_b64 vcc, exec, s[4:5]
	global_store_dword v[0:1], v18, off
	s_cbranch_vccnz .LBB98_82
; %bb.81:
	v_lshl_add_u64 v[0:1], v[2:3], 2, v[20:21]
	global_load_dword v0, v[0:1], off
	s_waitcnt vmcnt(0)
	v_mul_f32_e32 v24, s24, v0
.LBB98_82:
	v_add_f32_e32 v0, v16, v17
	v_add_f32_e32 v16, v0, v24
	v_lshl_add_u64 v[0:1], v[2:3], 2, v[22:23]
	global_store_dword v[0:1], v16, off
	v_mov_b32_e32 v0, 0
	s_and_b64 vcc, exec, s[4:5]
	v_mov_b32_e32 v1, 0
	s_cbranch_vccnz .LBB98_84
; %bb.83:
	v_lshl_add_u64 v[2:3], v[64:65], 2, v[20:21]
	global_load_dword v1, v[2:3], off
	s_waitcnt vmcnt(0)
	v_mul_f32_e32 v1, s24, v1
.LBB98_84:
	v_add_f32_e32 v2, v14, v15
	v_add_f32_e32 v1, v2, v1
	v_lshl_add_u64 v[2:3], v[64:65], 2, v[22:23]
	s_and_b64 vcc, exec, s[4:5]
	global_store_dword v[2:3], v1, off
	s_cbranch_vccnz .LBB98_86
; %bb.85:
	v_lshl_add_u64 v[0:1], v[62:63], 2, v[20:21]
	global_load_dword v0, v[0:1], off
	s_waitcnt vmcnt(0)
	v_mul_f32_e32 v0, s24, v0
.LBB98_86:
	v_add_f32_e32 v1, v12, v13
	v_add_f32_e32 v2, v1, v0
	v_lshl_add_u64 v[0:1], v[62:63], 2, v[22:23]
	global_store_dword v[0:1], v2, off
	v_mov_b32_e32 v0, 0
	s_and_b64 vcc, exec, s[4:5]
	v_mov_b32_e32 v1, 0
	s_cbranch_vccnz .LBB98_88
; %bb.87:
	v_lshl_add_u64 v[2:3], v[60:61], 2, v[20:21]
	global_load_dword v1, v[2:3], off
	s_waitcnt vmcnt(0)
	v_mul_f32_e32 v1, s24, v1
.LBB98_88:
	v_add_f32_e32 v2, v10, v11
	v_add_f32_e32 v1, v2, v1
	v_lshl_add_u64 v[2:3], v[60:61], 2, v[22:23]
	s_and_b64 vcc, exec, s[4:5]
	global_store_dword v[2:3], v1, off
	s_cbranch_vccnz .LBB98_90
; %bb.89:
	v_lshl_add_u64 v[0:1], v[58:59], 2, v[20:21]
	global_load_dword v0, v[0:1], off
	s_waitcnt vmcnt(0)
	v_mul_f32_e32 v0, s24, v0
.LBB98_90:
	v_add_f32_e32 v1, v8, v9
	v_add_f32_e32 v2, v1, v0
	v_lshl_add_u64 v[0:1], v[58:59], 2, v[22:23]
	global_store_dword v[0:1], v2, off
	v_add_f32_e32 v0, v6, v7
	s_mov_b64 s[0:1], -1
	s_mov_b64 vcc, s[8:9]
	s_cbranch_vccz .LBB98_92
; %bb.91:
	v_add_f32_e32 v1, 0, v0
	v_lshl_add_u64 v[2:3], v[56:57], 2, v[22:23]
	global_store_dword v[2:3], v1, off
	s_mov_b64 s[0:1], 0
.LBB98_92:
	s_andn2_b64 vcc, exec, s[0:1]
	v_mov_b32_e32 v1, 0
	s_cbranch_vccnz .LBB98_94
; %bb.93:
	v_lshlrev_b64 v[2:3], 2, v[56:57]
	v_lshl_add_u64 v[6:7], v[20:21], 0, v[2:3]
	global_load_dword v1, v[6:7], off
	v_lshl_add_u64 v[2:3], v[22:23], 0, v[2:3]
	s_waitcnt vmcnt(0)
	v_fmac_f32_e32 v0, s24, v1
	global_store_dword v[2:3], v0, off
	v_lshl_add_u64 v[0:1], v[54:55], 2, v[20:21]
	global_load_dword v0, v[0:1], off
	s_waitcnt vmcnt(0)
	v_mul_f32_e32 v1, s24, v0
.LBB98_94:
	v_add_f32_e32 v0, v4, v5
	v_add_f32_e32 v2, v0, v1
	v_lshl_add_u64 v[0:1], v[54:55], 2, v[22:23]
	global_store_dword v[0:1], v2, off
	s_endpgm
.LBB98_95:
	s_mov_b64 s[20:21], 0
	s_andn2_b64 vcc, exec, s[6:7]
	s_mov_b64 s[6:7], -1
	s_cbranch_vccz .LBB98_2
	s_branch .LBB98_3
	.section	.rodata,"a",@progbits
	.p2align	6, 0x0
	.amdhsa_kernel _ZN12_GLOBAL__N_120geam_min_plus_kernelIf15HIP_vector_typeIfLj2EES2_Li8ELi32ELi64ELi128ELi4ELi4ELi64ELi64ELi4ELc84ELc84ELb0ELb0ELb0EfKffEEviiiT16_PT17_ilS6_ilS4_S6_ilPT18_ili26rocblas_geam_ex_operation_
		.amdhsa_group_segment_fixed_size 6144
		.amdhsa_private_segment_fixed_size 0
		.amdhsa_kernarg_size 128
		.amdhsa_user_sgpr_count 2
		.amdhsa_user_sgpr_dispatch_ptr 0
		.amdhsa_user_sgpr_queue_ptr 0
		.amdhsa_user_sgpr_kernarg_segment_ptr 1
		.amdhsa_user_sgpr_dispatch_id 0
		.amdhsa_user_sgpr_kernarg_preload_length 0
		.amdhsa_user_sgpr_kernarg_preload_offset 0
		.amdhsa_user_sgpr_private_segment_size 0
		.amdhsa_uses_dynamic_stack 0
		.amdhsa_enable_private_segment 0
		.amdhsa_system_sgpr_workgroup_id_x 1
		.amdhsa_system_sgpr_workgroup_id_y 0
		.amdhsa_system_sgpr_workgroup_id_z 1
		.amdhsa_system_sgpr_workgroup_info 0
		.amdhsa_system_vgpr_workitem_id 1
		.amdhsa_next_free_vgpr 112
		.amdhsa_next_free_sgpr 29
		.amdhsa_accum_offset 112
		.amdhsa_reserve_vcc 1
		.amdhsa_float_round_mode_32 0
		.amdhsa_float_round_mode_16_64 0
		.amdhsa_float_denorm_mode_32 3
		.amdhsa_float_denorm_mode_16_64 3
		.amdhsa_dx10_clamp 1
		.amdhsa_ieee_mode 1
		.amdhsa_fp16_overflow 0
		.amdhsa_tg_split 0
		.amdhsa_exception_fp_ieee_invalid_op 0
		.amdhsa_exception_fp_denorm_src 0
		.amdhsa_exception_fp_ieee_div_zero 0
		.amdhsa_exception_fp_ieee_overflow 0
		.amdhsa_exception_fp_ieee_underflow 0
		.amdhsa_exception_fp_ieee_inexact 0
		.amdhsa_exception_int_div_zero 0
	.end_amdhsa_kernel
	.section	.text._ZN12_GLOBAL__N_120geam_min_plus_kernelIf15HIP_vector_typeIfLj2EES2_Li8ELi32ELi64ELi128ELi4ELi4ELi64ELi64ELi4ELc84ELc84ELb0ELb0ELb0EfKffEEviiiT16_PT17_ilS6_ilS4_S6_ilPT18_ili26rocblas_geam_ex_operation_,"axG",@progbits,_ZN12_GLOBAL__N_120geam_min_plus_kernelIf15HIP_vector_typeIfLj2EES2_Li8ELi32ELi64ELi128ELi4ELi4ELi64ELi64ELi4ELc84ELc84ELb0ELb0ELb0EfKffEEviiiT16_PT17_ilS6_ilS4_S6_ilPT18_ili26rocblas_geam_ex_operation_,comdat
.Lfunc_end98:
	.size	_ZN12_GLOBAL__N_120geam_min_plus_kernelIf15HIP_vector_typeIfLj2EES2_Li8ELi32ELi64ELi128ELi4ELi4ELi64ELi64ELi4ELc84ELc84ELb0ELb0ELb0EfKffEEviiiT16_PT17_ilS6_ilS4_S6_ilPT18_ili26rocblas_geam_ex_operation_, .Lfunc_end98-_ZN12_GLOBAL__N_120geam_min_plus_kernelIf15HIP_vector_typeIfLj2EES2_Li8ELi32ELi64ELi128ELi4ELi4ELi64ELi64ELi4ELc84ELc84ELb0ELb0ELb0EfKffEEviiiT16_PT17_ilS6_ilS4_S6_ilPT18_ili26rocblas_geam_ex_operation_
                                        ; -- End function
	.set _ZN12_GLOBAL__N_120geam_min_plus_kernelIf15HIP_vector_typeIfLj2EES2_Li8ELi32ELi64ELi128ELi4ELi4ELi64ELi64ELi4ELc84ELc84ELb0ELb0ELb0EfKffEEviiiT16_PT17_ilS6_ilS4_S6_ilPT18_ili26rocblas_geam_ex_operation_.num_vgpr, 112
	.set _ZN12_GLOBAL__N_120geam_min_plus_kernelIf15HIP_vector_typeIfLj2EES2_Li8ELi32ELi64ELi128ELi4ELi4ELi64ELi64ELi4ELc84ELc84ELb0ELb0ELb0EfKffEEviiiT16_PT17_ilS6_ilS4_S6_ilPT18_ili26rocblas_geam_ex_operation_.num_agpr, 0
	.set _ZN12_GLOBAL__N_120geam_min_plus_kernelIf15HIP_vector_typeIfLj2EES2_Li8ELi32ELi64ELi128ELi4ELi4ELi64ELi64ELi4ELc84ELc84ELb0ELb0ELb0EfKffEEviiiT16_PT17_ilS6_ilS4_S6_ilPT18_ili26rocblas_geam_ex_operation_.numbered_sgpr, 29
	.set _ZN12_GLOBAL__N_120geam_min_plus_kernelIf15HIP_vector_typeIfLj2EES2_Li8ELi32ELi64ELi128ELi4ELi4ELi64ELi64ELi4ELc84ELc84ELb0ELb0ELb0EfKffEEviiiT16_PT17_ilS6_ilS4_S6_ilPT18_ili26rocblas_geam_ex_operation_.num_named_barrier, 0
	.set _ZN12_GLOBAL__N_120geam_min_plus_kernelIf15HIP_vector_typeIfLj2EES2_Li8ELi32ELi64ELi128ELi4ELi4ELi64ELi64ELi4ELc84ELc84ELb0ELb0ELb0EfKffEEviiiT16_PT17_ilS6_ilS4_S6_ilPT18_ili26rocblas_geam_ex_operation_.private_seg_size, 0
	.set _ZN12_GLOBAL__N_120geam_min_plus_kernelIf15HIP_vector_typeIfLj2EES2_Li8ELi32ELi64ELi128ELi4ELi4ELi64ELi64ELi4ELc84ELc84ELb0ELb0ELb0EfKffEEviiiT16_PT17_ilS6_ilS4_S6_ilPT18_ili26rocblas_geam_ex_operation_.uses_vcc, 1
	.set _ZN12_GLOBAL__N_120geam_min_plus_kernelIf15HIP_vector_typeIfLj2EES2_Li8ELi32ELi64ELi128ELi4ELi4ELi64ELi64ELi4ELc84ELc84ELb0ELb0ELb0EfKffEEviiiT16_PT17_ilS6_ilS4_S6_ilPT18_ili26rocblas_geam_ex_operation_.uses_flat_scratch, 0
	.set _ZN12_GLOBAL__N_120geam_min_plus_kernelIf15HIP_vector_typeIfLj2EES2_Li8ELi32ELi64ELi128ELi4ELi4ELi64ELi64ELi4ELc84ELc84ELb0ELb0ELb0EfKffEEviiiT16_PT17_ilS6_ilS4_S6_ilPT18_ili26rocblas_geam_ex_operation_.has_dyn_sized_stack, 0
	.set _ZN12_GLOBAL__N_120geam_min_plus_kernelIf15HIP_vector_typeIfLj2EES2_Li8ELi32ELi64ELi128ELi4ELi4ELi64ELi64ELi4ELc84ELc84ELb0ELb0ELb0EfKffEEviiiT16_PT17_ilS6_ilS4_S6_ilPT18_ili26rocblas_geam_ex_operation_.has_recursion, 0
	.set _ZN12_GLOBAL__N_120geam_min_plus_kernelIf15HIP_vector_typeIfLj2EES2_Li8ELi32ELi64ELi128ELi4ELi4ELi64ELi64ELi4ELc84ELc84ELb0ELb0ELb0EfKffEEviiiT16_PT17_ilS6_ilS4_S6_ilPT18_ili26rocblas_geam_ex_operation_.has_indirect_call, 0
	.section	.AMDGPU.csdata,"",@progbits
; Kernel info:
; codeLenInByte = 6652
; TotalNumSgprs: 35
; NumVgprs: 112
; NumAgprs: 0
; TotalNumVgprs: 112
; ScratchSize: 0
; MemoryBound: 0
; FloatMode: 240
; IeeeMode: 1
; LDSByteSize: 6144 bytes/workgroup (compile time only)
; SGPRBlocks: 4
; VGPRBlocks: 13
; NumSGPRsForWavesPerEU: 35
; NumVGPRsForWavesPerEU: 112
; AccumOffset: 112
; Occupancy: 4
; WaveLimiterHint : 1
; COMPUTE_PGM_RSRC2:SCRATCH_EN: 0
; COMPUTE_PGM_RSRC2:USER_SGPR: 2
; COMPUTE_PGM_RSRC2:TRAP_HANDLER: 0
; COMPUTE_PGM_RSRC2:TGID_X_EN: 1
; COMPUTE_PGM_RSRC2:TGID_Y_EN: 0
; COMPUTE_PGM_RSRC2:TGID_Z_EN: 1
; COMPUTE_PGM_RSRC2:TIDIG_COMP_CNT: 1
; COMPUTE_PGM_RSRC3_GFX90A:ACCUM_OFFSET: 27
; COMPUTE_PGM_RSRC3_GFX90A:TG_SPLIT: 0
	.section	.text._ZN12_GLOBAL__N_120geam_min_plus_kernelIf15HIP_vector_typeIfLj2EES2_Li8ELi32ELi64ELi128ELi4ELi4ELi64ELi64ELi4ELc84ELc84ELb0ELb1ELb0EPKfS3_fEEviiiT16_PT17_ilS7_ilS5_S7_ilPT18_ili26rocblas_geam_ex_operation_,"axG",@progbits,_ZN12_GLOBAL__N_120geam_min_plus_kernelIf15HIP_vector_typeIfLj2EES2_Li8ELi32ELi64ELi128ELi4ELi4ELi64ELi64ELi4ELc84ELc84ELb0ELb1ELb0EPKfS3_fEEviiiT16_PT17_ilS7_ilS5_S7_ilPT18_ili26rocblas_geam_ex_operation_,comdat
	.globl	_ZN12_GLOBAL__N_120geam_min_plus_kernelIf15HIP_vector_typeIfLj2EES2_Li8ELi32ELi64ELi128ELi4ELi4ELi64ELi64ELi4ELc84ELc84ELb0ELb1ELb0EPKfS3_fEEviiiT16_PT17_ilS7_ilS5_S7_ilPT18_ili26rocblas_geam_ex_operation_ ; -- Begin function _ZN12_GLOBAL__N_120geam_min_plus_kernelIf15HIP_vector_typeIfLj2EES2_Li8ELi32ELi64ELi128ELi4ELi4ELi64ELi64ELi4ELc84ELc84ELb0ELb1ELb0EPKfS3_fEEviiiT16_PT17_ilS7_ilS5_S7_ilPT18_ili26rocblas_geam_ex_operation_
	.p2align	8
	.type	_ZN12_GLOBAL__N_120geam_min_plus_kernelIf15HIP_vector_typeIfLj2EES2_Li8ELi32ELi64ELi128ELi4ELi4ELi64ELi64ELi4ELc84ELc84ELb0ELb1ELb0EPKfS3_fEEviiiT16_PT17_ilS7_ilS5_S7_ilPT18_ili26rocblas_geam_ex_operation_,@function
_ZN12_GLOBAL__N_120geam_min_plus_kernelIf15HIP_vector_typeIfLj2EES2_Li8ELi32ELi64ELi128ELi4ELi4ELi64ELi64ELi4ELc84ELc84ELb0ELb1ELb0EPKfS3_fEEviiiT16_PT17_ilS7_ilS5_S7_ilPT18_ili26rocblas_geam_ex_operation_: ; @_ZN12_GLOBAL__N_120geam_min_plus_kernelIf15HIP_vector_typeIfLj2EES2_Li8ELi32ELi64ELi128ELi4ELi4ELi64ELi64ELi4ELc84ELc84ELb0ELb1ELb0EPKfS3_fEEviiiT16_PT17_ilS7_ilS5_S7_ilPT18_ili26rocblas_geam_ex_operation_
; %bb.0:
	s_load_dwordx4 s[12:15], s[0:1], 0x10
	s_load_dwordx4 s[4:7], s[0:1], 0x28
	;; [unrolled: 1-line block ×3, first 2 shown]
	s_mov_b32 s16, s3
	s_mov_b32 s17, 0
	s_lshl_b64 s[18:19], s[16:17], 2
	s_waitcnt lgkmcnt(0)
	s_add_u32 s12, s12, s18
	s_addc_u32 s13, s13, s19
	s_load_dword s33, s[12:13], 0x0
	s_load_dwordx2 s[20:21], s[0:1], 0x50
	s_add_u32 s10, s10, s18
	s_addc_u32 s11, s11, s19
	s_mov_b64 s[26:27], 0
	s_waitcnt lgkmcnt(0)
	v_cmp_eq_f32_e64 s[12:13], s33, 0
	v_cmp_neq_f32_e64 s[18:19], s33, 0
	s_and_b64 vcc, exec, s[12:13]
	s_mov_b64 s[28:29], 0
	s_cbranch_vccnz .LBB99_2
; %bb.1:
	s_mul_i32 s3, s5, s16
	s_mul_hi_u32 s5, s4, s16
	s_add_i32 s5, s5, s3
	s_mul_i32 s4, s4, s16
	s_lshl_b64 s[4:5], s[4:5], 2
	s_add_u32 s28, s14, s4
	s_addc_u32 s29, s15, s5
.LBB99_2:
	s_load_dword s30, s[10:11], 0x0
	s_andn2_b64 vcc, exec, s[18:19]
	s_cbranch_vccnz .LBB99_4
; %bb.3:
	s_mul_i32 s3, s9, s16
	s_mul_hi_u32 s4, s8, s16
	s_add_i32 s5, s4, s3
	s_mul_i32 s4, s8, s16
	s_lshl_b64 s[4:5], s[4:5], 2
	s_add_u32 s26, s6, s4
	s_addc_u32 s27, s7, s5
.LBB99_4:
	s_load_dwordx4 s[8:11], s[0:1], 0x60
	s_waitcnt lgkmcnt(0)
	v_cmp_eq_f32_e64 s[4:5], s30, 0
	v_cmp_neq_f32_e64 s[12:13], s30, 0
	s_and_b64 vcc, exec, s[4:5]
	s_cbranch_vccnz .LBB99_6
; %bb.5:
	s_mul_i32 s3, s9, s16
	s_mul_hi_u32 s4, s8, s16
	s_add_i32 s5, s4, s3
	s_mul_i32 s4, s8, s16
	s_lshl_b64 s[4:5], s[4:5], 2
	s_add_u32 s24, s20, s4
	s_addc_u32 s25, s21, s5
	s_branch .LBB99_7
.LBB99_6:
	s_mov_b64 s[24:25], 0
.LBB99_7:
	s_load_dwordx4 s[20:23], s[0:1], 0x0
	s_load_dword s36, s[0:1], 0x20
	v_and_b32_e32 v74, 0x3ff, v0
	v_bfe_u32 v75, v0, 10, 10
	v_lshl_add_u32 v2, v75, 3, v74
	s_waitcnt lgkmcnt(0)
	s_add_i32 s3, s20, -1
	s_ashr_i32 s4, s3, 31
	s_lshr_b32 s4, s4, 26
	s_add_i32 s3, s3, s4
	s_ashr_i32 s3, s3, 6
	s_add_i32 s4, s3, 1
	v_cvt_f32_u32_e32 v1, s4
	s_not_b32 s3, s3
	v_lshrrev_b32_e32 v5, 2, v2
	v_and_b32_e32 v76, 3, v0
	v_rcp_iflag_f32_e32 v1, v1
	v_cmp_gt_i32_e32 vcc, s22, v76
	v_mov_b32_e32 v4, 0
	v_lshlrev_b32_e32 v0, 2, v76
	v_mul_f32_e32 v1, 0x4f7ffffe, v1
	v_cvt_u32_f32_e32 v1, v1
	v_mov_b32_e32 v6, 0
	v_readfirstlane_b32 s5, v1
	s_mul_i32 s3, s3, s5
	s_mul_hi_u32 s3, s5, s3
	s_add_i32 s5, s5, s3
	s_mul_hi_u32 s3, s2, s5
	s_mul_i32 s5, s3, s4
	s_sub_i32 s5, s2, s5
	s_add_i32 s6, s3, 1
	s_sub_i32 s7, s5, s4
	s_cmp_ge_u32 s5, s4
	s_cselect_b32 s3, s6, s3
	s_cselect_b32 s5, s7, s5
	s_add_i32 s6, s3, 1
	s_cmp_ge_u32 s5, s4
	s_cselect_b32 s6, s6, s3
	s_mul_i32 s3, s6, s4
	s_sub_i32 s2, s2, s3
	s_lshl_b32 s17, s2, 6
	v_add_u32_e32 v70, s17, v5
	v_cmp_gt_i32_e64 s[2:3], s20, v70
	s_and_b64 s[4:5], vcc, s[2:3]
	s_and_b64 s[8:9], s[18:19], s[4:5]
	s_and_saveexec_b64 s[4:5], s[8:9]
	s_cbranch_execz .LBB99_9
; %bb.8:
	v_mad_i64_i32 v[6:7], s[8:9], v70, s36, 0
	v_lshl_add_u64 v[6:7], v[6:7], 2, s[28:29]
	v_mov_b32_e32 v1, 0
	v_lshl_add_u64 v[6:7], v[6:7], 0, v[0:1]
	global_load_dword v1, v[6:7], off
	s_waitcnt vmcnt(0)
	v_mul_f32_e32 v6, s33, v1
.LBB99_9:
	s_or_b64 exec, exec, s[4:5]
	s_load_dword s23, s[0:1], 0x38
	v_lshrrev_b32_e32 v77, 6, v2
	s_add_i32 s34, s22, -1
	v_and_b32_e32 v7, 63, v2
	s_lshl_b32 s31, s6, 7
	v_min_i32_e32 v1, s34, v77
	v_or_b32_e32 v68, s31, v7
	s_waitcnt lgkmcnt(0)
	v_mad_i64_i32 v[2:3], s[4:5], s23, v1, 0
	v_cmp_le_i32_e32 vcc, s22, v77
	v_cmp_le_i32_e64 s[4:5], s21, v68
	s_or_b64 s[6:7], s[4:5], vcc
	s_xor_b64 s[8:9], s[18:19], -1
	v_lshl_add_u64 v[2:3], v[2:3], 2, s[26:27]
	s_nor_b64 s[14:15], s[6:7], s[8:9]
	v_ashrrev_i32_e32 v69, 31, v68
	s_and_saveexec_b64 s[6:7], s[14:15]
	s_cbranch_execz .LBB99_11
; %bb.10:
	v_lshl_add_u64 v[8:9], v[68:69], 2, v[2:3]
	global_load_dword v1, v[8:9], off
	s_waitcnt vmcnt(0)
	v_mul_f32_e32 v4, s33, v1
.LBB99_11:
	s_or_b64 exec, exec, s[6:7]
	v_or_b32_e32 v1, 64, v68
	v_cmp_le_i32_e64 s[6:7], s21, v1
	s_or_b64 s[14:15], s[6:7], vcc
	s_nor_b64 s[38:39], s[14:15], s[8:9]
	v_mov_b32_e32 v71, 0
	v_mov_b32_e32 v8, 0
	s_and_saveexec_b64 s[14:15], s[38:39]
	s_cbranch_execz .LBB99_13
; %bb.12:
	v_lshl_add_u64 v[2:3], v[68:69], 2, v[2:3]
	global_load_dword v1, v[2:3], off offset:256
	s_waitcnt vmcnt(0)
	v_mul_f32_e32 v8, s33, v1
.LBB99_13:
	s_or_b64 exec, exec, s[14:15]
	v_or_b32_e32 v1, 4, v76
	v_cmp_gt_i32_e32 vcc, s22, v1
	s_and_b64 s[14:15], vcc, s[2:3]
	s_and_b64 s[38:39], s[18:19], s[14:15]
	s_and_saveexec_b64 s[14:15], s[38:39]
	s_cbranch_execz .LBB99_15
; %bb.14:
	v_mad_i64_i32 v[2:3], s[38:39], v70, s36, 0
	v_lshl_add_u64 v[2:3], v[2:3], 2, s[28:29]
	v_mov_b32_e32 v1, 0
	v_lshl_add_u64 v[2:3], v[2:3], 0, v[0:1]
	global_load_dword v1, v[2:3], off offset:16
	s_waitcnt vmcnt(0)
	v_mul_f32_e32 v71, s33, v1
.LBB99_15:
	s_or_b64 exec, exec, s[14:15]
	v_add_u32_e32 v1, 4, v77
	v_cmp_le_i32_e32 vcc, s22, v1
	v_min_i32_e32 v1, s34, v1
	v_mad_i64_i32 v[2:3], s[14:15], s23, v1, 0
	s_or_b64 s[14:15], s[4:5], vcc
	v_lshl_add_u64 v[2:3], v[2:3], 2, s[26:27]
	s_nor_b64 s[38:39], s[14:15], s[8:9]
	v_mov_b32_e32 v72, 0
	v_mov_b32_e32 v73, 0
	s_and_saveexec_b64 s[14:15], s[38:39]
	s_cbranch_execz .LBB99_17
; %bb.16:
	v_lshl_add_u64 v[10:11], v[68:69], 2, v[2:3]
	global_load_dword v1, v[10:11], off
	s_waitcnt vmcnt(0)
	v_mul_f32_e32 v73, s33, v1
.LBB99_17:
	s_or_b64 exec, exec, s[14:15]
	s_or_b64 s[14:15], s[6:7], vcc
	s_nor_b64 s[38:39], s[14:15], s[8:9]
	s_and_saveexec_b64 s[14:15], s[38:39]
	s_cbranch_execz .LBB99_19
; %bb.18:
	v_lshl_add_u64 v[2:3], v[68:69], 2, v[2:3]
	global_load_dword v1, v[2:3], off offset:256
	s_waitcnt vmcnt(0)
	v_mul_f32_e32 v72, s33, v1
.LBB99_19:
	s_or_b64 exec, exec, s[14:15]
	v_lshl_or_b32 v82, v5, 4, v0
	v_lshlrev_b32_e32 v0, 4, v7
	v_lshl_add_u32 v78, v77, 2, v0
	v_mov_b32_e32 v0, 0x1000
	v_mov_b32_e32 v66, 0
	ds_write_b32 v82, v6 offset:4096
	ds_write2st64_b32 v78, v4, v8 offset1:4
	v_lshl_add_u32 v79, v74, 4, v0
	s_mov_b32 s35, 0
	s_mov_b64 s[14:15], -1
	v_mov_b32_e32 v67, v66
	v_mov_b32_e32 v64, v66
	;; [unrolled: 1-line block ×63, first 2 shown]
	v_add_u32_e32 v80, 0x1000, v82
	v_lshlrev_b32_e32 v81, 4, v75
	s_waitcnt lgkmcnt(0)
	s_barrier
.LBB99_20:                              ; =>This Inner Loop Header: Depth=1
	v_cndmask_b32_e64 v0, 0, 1, s[14:15]
	s_lshl_b32 s14, s35, 2
	v_cmp_ne_u32_e32 vcc, 1, v0
	v_add_u32_e32 v0, s14, v79
	ds_read2_b64 v[84:87], v0 offset1:16
	ds_read2_b64 v[88:91], v0 offset0:32 offset1:48
	ds_read2_b64 v[92:95], v0 offset0:64 offset1:80
	;; [unrolled: 1-line block ×3, first 2 shown]
	v_add_u32_e32 v0, s14, v81
	ds_read2st64_b64 v[100:103], v0 offset1:1
	ds_read2st64_b64 v[0:3], v0 offset0:2 offset1:3
	s_waitcnt lgkmcnt(5)
	v_max_f32_e32 v104, v85, v85
	v_max_f32_e32 v86, v86, v86
	;; [unrolled: 1-line block ×3, first 2 shown]
	s_waitcnt lgkmcnt(1)
	v_max_f32_e32 v83, v100, v100
	v_max_f32_e32 v100, v84, v84
	;; [unrolled: 1-line block ×3, first 2 shown]
	v_min_f32_e32 v84, v100, v83
	v_min_f32_e32 v85, v104, v101
	v_pk_add_f32 v[66:67], v[66:67], v[84:85]
	v_min_f32_e32 v84, v86, v83
	v_min_f32_e32 v85, v87, v101
	v_max_f32_e32 v88, v88, v88
	v_max_f32_e32 v89, v89, v89
	v_pk_add_f32 v[64:65], v[64:65], v[84:85]
	v_min_f32_e32 v84, v88, v83
	v_min_f32_e32 v85, v89, v101
	v_max_f32_e32 v90, v90, v90
	v_max_f32_e32 v91, v91, v91
	;; [unrolled: 5-line block ×5, first 2 shown]
	v_pk_add_f32 v[56:57], v[56:57], v[84:85]
	v_min_f32_e32 v84, v96, v83
	v_min_f32_e32 v85, v97, v101
	v_max_f32_e32 v98, v98, v98
	v_pk_add_f32 v[54:55], v[54:55], v[84:85]
	v_min_f32_e32 v84, v98, v83
	v_max_f32_e32 v83, v99, v99
	v_min_f32_e32 v85, v83, v101
	v_max_f32_e32 v99, v102, v102
	v_max_f32_e32 v101, v103, v103
	v_pk_add_f32 v[52:53], v[52:53], v[84:85]
	v_min_f32_e32 v84, v100, v99
	v_min_f32_e32 v85, v104, v101
	v_pk_add_f32 v[50:51], v[50:51], v[84:85]
	v_min_f32_e32 v84, v86, v99
	v_min_f32_e32 v85, v87, v101
	;; [unrolled: 3-line block ×8, first 2 shown]
	v_pk_add_f32 v[36:37], v[36:37], v[84:85]
	s_waitcnt lgkmcnt(0)
	v_max_f32_e32 v84, v0, v0
	v_max_f32_e32 v85, v1, v1
	v_min_f32_e32 v0, v100, v84
	v_min_f32_e32 v1, v104, v85
	v_pk_add_f32 v[34:35], v[34:35], v[0:1]
	v_min_f32_e32 v0, v86, v84
	v_min_f32_e32 v1, v87, v85
	v_pk_add_f32 v[32:33], v[32:33], v[0:1]
	;; [unrolled: 3-line block ×7, first 2 shown]
	v_min_f32_e32 v0, v98, v84
	v_min_f32_e32 v1, v83, v85
	v_max_f32_e32 v2, v2, v2
	v_max_f32_e32 v3, v3, v3
	v_pk_add_f32 v[20:21], v[20:21], v[0:1]
	v_min_f32_e32 v0, v100, v2
	v_min_f32_e32 v1, v104, v3
	v_pk_add_f32 v[18:19], v[18:19], v[0:1]
	v_min_f32_e32 v0, v86, v2
	v_min_f32_e32 v1, v87, v3
	v_pk_add_f32 v[16:17], v[16:17], v[0:1]
	v_min_f32_e32 v0, v88, v2
	v_min_f32_e32 v1, v89, v3
	v_pk_add_f32 v[14:15], v[14:15], v[0:1]
	v_min_f32_e32 v0, v90, v2
	v_min_f32_e32 v1, v91, v3
	v_pk_add_f32 v[12:13], v[12:13], v[0:1]
	v_min_f32_e32 v0, v92, v2
	v_min_f32_e32 v1, v93, v3
	v_pk_add_f32 v[10:11], v[10:11], v[0:1]
	v_min_f32_e32 v0, v94, v2
	v_min_f32_e32 v1, v95, v3
	v_pk_add_f32 v[8:9], v[8:9], v[0:1]
	v_min_f32_e32 v0, v96, v2
	v_min_f32_e32 v1, v97, v3
	v_pk_add_f32 v[6:7], v[6:7], v[0:1]
	v_min_f32_e32 v0, v98, v2
	v_min_f32_e32 v1, v83, v3
	v_pk_add_f32 v[4:5], v[4:5], v[0:1]
	s_mov_b64 s[14:15], 0
	s_mov_b32 s35, 2
	s_cbranch_vccz .LBB99_20
; %bb.21:
	s_cmp_lt_i32 s22, 9
	ds_write_b32 v82, v71 offset:5120
	ds_write2st64_b32 v78, v73, v72 offset0:8 offset1:12
	s_waitcnt lgkmcnt(0)
	s_barrier
	s_cbranch_scc1 .LBB99_40
; %bb.22:
	v_mad_i64_i32 v[0:1], s[14:15], v70, s36, 0
	v_lshl_add_u64 v[70:71], v[0:1], 2, s[28:29]
	v_mov_b32_e32 v0, 0x1400
	v_lshl_add_u32 v84, v74, 4, v0
	v_mov_b32_e32 v0, 0x800
	v_add_u32_e32 v82, 0x1400, v82
	v_add_u32_e32 v83, 0x800, v78
	s_add_i32 s35, s22, -8
	v_lshl_add_u32 v85, v75, 4, v0
	s_mov_b32 s28, 8
	s_mov_b32 s29, 0
	v_mov_b32_e32 v73, 0
.LBB99_23:                              ; =>This Loop Header: Depth=1
                                        ;     Child Loop BB99_30 Depth 2
                                        ;     Child Loop BB99_38 Depth 2
	v_or_b32_e32 v72, s28, v76
	v_cmp_gt_i32_e32 vcc, s22, v72
	s_and_b64 s[14:15], vcc, s[2:3]
	s_and_b64 s[36:37], s[18:19], s[14:15]
	v_mov_b32_e32 v86, 0
	s_and_saveexec_b64 s[14:15], s[36:37]
	s_cbranch_execz .LBB99_25
; %bb.24:                               ;   in Loop: Header=BB99_23 Depth=1
	v_lshl_add_u64 v[0:1], v[72:73], 2, v[70:71]
	global_load_dword v0, v[0:1], off
	s_waitcnt vmcnt(0)
	v_mul_f32_e32 v86, s33, v0
.LBB99_25:                              ;   in Loop: Header=BB99_23 Depth=1
	s_or_b64 exec, exec, s[14:15]
	v_add_u32_e32 v0, s28, v77
	v_cmp_le_i32_e32 vcc, s22, v0
	v_min_i32_e32 v0, s34, v0
	v_mad_i64_i32 v[0:1], s[14:15], v0, s23, 0
	v_lshl_add_u64 v[0:1], v[0:1], 2, s[26:27]
	s_or_b64 s[14:15], s[4:5], vcc
	s_nor_b64 s[36:37], s[14:15], s[8:9]
	v_mov_b32_e32 v87, 0
	v_lshl_add_u64 v[0:1], v[68:69], 2, v[0:1]
	v_mov_b32_e32 v88, 0
	s_and_saveexec_b64 s[14:15], s[36:37]
	s_cbranch_execz .LBB99_27
; %bb.26:                               ;   in Loop: Header=BB99_23 Depth=1
	global_load_dword v2, v[0:1], off
	s_waitcnt vmcnt(0)
	v_mul_f32_e32 v88, s33, v2
.LBB99_27:                              ;   in Loop: Header=BB99_23 Depth=1
	s_or_b64 exec, exec, s[14:15]
	s_or_b64 s[14:15], s[6:7], vcc
	s_nor_b64 s[36:37], s[14:15], s[8:9]
	s_and_saveexec_b64 s[14:15], s[36:37]
	s_cbranch_execz .LBB99_29
; %bb.28:                               ;   in Loop: Header=BB99_23 Depth=1
	global_load_dword v0, v[0:1], off offset:256
	s_waitcnt vmcnt(0)
	v_mul_f32_e32 v87, s33, v0
.LBB99_29:                              ;   in Loop: Header=BB99_23 Depth=1
	s_or_b64 exec, exec, s[14:15]
	s_mov_b32 s36, 0
	s_mov_b64 s[14:15], -1
.LBB99_30:                              ;   Parent Loop BB99_23 Depth=1
                                        ; =>  This Inner Loop Header: Depth=2
	v_cndmask_b32_e64 v0, 0, 1, s[14:15]
	s_lshl_b32 s14, s36, 2
	v_cmp_ne_u32_e32 vcc, 1, v0
	v_add_u32_e32 v0, s14, v84
	ds_read2_b64 v[90:93], v0 offset1:16
	ds_read2_b64 v[94:97], v0 offset0:32 offset1:48
	ds_read2_b64 v[98:101], v0 offset0:64 offset1:80
	ds_read2_b64 v[102:105], v0 offset0:96 offset1:112
	v_add_u32_e32 v0, s14, v85
	ds_read2st64_b64 v[106:109], v0 offset1:1
	ds_read2st64_b64 v[0:3], v0 offset0:2 offset1:3
	s_waitcnt lgkmcnt(5)
	v_max_f32_e32 v110, v91, v91
	v_max_f32_e32 v92, v92, v92
	;; [unrolled: 1-line block ×3, first 2 shown]
	s_waitcnt lgkmcnt(1)
	v_max_f32_e32 v89, v106, v106
	v_max_f32_e32 v106, v90, v90
	;; [unrolled: 1-line block ×3, first 2 shown]
	v_min_f32_e32 v90, v106, v89
	v_min_f32_e32 v91, v110, v107
	v_pk_add_f32 v[66:67], v[66:67], v[90:91]
	v_min_f32_e32 v90, v92, v89
	v_min_f32_e32 v91, v93, v107
	v_max_f32_e32 v94, v94, v94
	v_max_f32_e32 v95, v95, v95
	v_pk_add_f32 v[64:65], v[64:65], v[90:91]
	v_min_f32_e32 v90, v94, v89
	v_min_f32_e32 v91, v95, v107
	v_max_f32_e32 v96, v96, v96
	v_max_f32_e32 v97, v97, v97
	;; [unrolled: 5-line block ×5, first 2 shown]
	v_pk_add_f32 v[56:57], v[56:57], v[90:91]
	v_min_f32_e32 v90, v102, v89
	v_min_f32_e32 v91, v103, v107
	v_max_f32_e32 v104, v104, v104
	v_pk_add_f32 v[54:55], v[54:55], v[90:91]
	v_min_f32_e32 v90, v104, v89
	v_max_f32_e32 v89, v105, v105
	v_min_f32_e32 v91, v89, v107
	v_max_f32_e32 v105, v108, v108
	v_max_f32_e32 v107, v109, v109
	v_pk_add_f32 v[52:53], v[52:53], v[90:91]
	v_min_f32_e32 v90, v106, v105
	v_min_f32_e32 v91, v110, v107
	v_pk_add_f32 v[50:51], v[50:51], v[90:91]
	v_min_f32_e32 v90, v92, v105
	v_min_f32_e32 v91, v93, v107
	;; [unrolled: 3-line block ×8, first 2 shown]
	v_pk_add_f32 v[36:37], v[36:37], v[90:91]
	s_waitcnt lgkmcnt(0)
	v_max_f32_e32 v90, v0, v0
	v_max_f32_e32 v91, v1, v1
	v_min_f32_e32 v0, v106, v90
	v_min_f32_e32 v1, v110, v91
	v_pk_add_f32 v[34:35], v[34:35], v[0:1]
	v_min_f32_e32 v0, v92, v90
	v_min_f32_e32 v1, v93, v91
	v_pk_add_f32 v[32:33], v[32:33], v[0:1]
	;; [unrolled: 3-line block ×7, first 2 shown]
	v_min_f32_e32 v0, v104, v90
	v_min_f32_e32 v1, v89, v91
	v_max_f32_e32 v2, v2, v2
	v_max_f32_e32 v3, v3, v3
	v_pk_add_f32 v[20:21], v[20:21], v[0:1]
	v_min_f32_e32 v0, v106, v2
	v_min_f32_e32 v1, v110, v3
	v_pk_add_f32 v[18:19], v[18:19], v[0:1]
	v_min_f32_e32 v0, v92, v2
	v_min_f32_e32 v1, v93, v3
	;; [unrolled: 3-line block ×8, first 2 shown]
	v_pk_add_f32 v[4:5], v[4:5], v[0:1]
	s_mov_b64 s[14:15], 0
	s_mov_b32 s36, 2
	s_cbranch_vccz .LBB99_30
; %bb.31:                               ;   in Loop: Header=BB99_23 Depth=1
	v_or_b32_e32 v0, 4, v72
	v_cmp_gt_i32_e32 vcc, s22, v0
	s_and_b64 s[14:15], vcc, s[2:3]
	ds_write_b32 v80, v86
	ds_write2st64_b32 v78, v88, v87 offset1:4
	s_and_b64 s[36:37], s[18:19], s[14:15]
	v_mov_b32_e32 v86, 0
	v_mov_b32_e32 v87, 0
	s_waitcnt lgkmcnt(0)
	s_barrier
	s_and_saveexec_b64 s[14:15], s[36:37]
	s_cbranch_execz .LBB99_33
; %bb.32:                               ;   in Loop: Header=BB99_23 Depth=1
	v_lshl_add_u64 v[0:1], v[72:73], 2, v[70:71]
	global_load_dword v0, v[0:1], off offset:16
	s_waitcnt vmcnt(0)
	v_mul_f32_e32 v87, s33, v0
.LBB99_33:                              ;   in Loop: Header=BB99_23 Depth=1
	s_or_b64 exec, exec, s[14:15]
	v_add3_u32 v0, v77, s28, 4
	v_cmp_le_i32_e32 vcc, s22, v0
	v_min_i32_e32 v0, s34, v0
	v_mad_i64_i32 v[0:1], s[14:15], v0, s23, 0
	v_lshl_add_u64 v[0:1], v[0:1], 2, s[26:27]
	s_or_b64 s[14:15], s[4:5], vcc
	s_nor_b64 s[36:37], s[14:15], s[8:9]
	v_lshl_add_u64 v[0:1], v[68:69], 2, v[0:1]
	s_and_saveexec_b64 s[14:15], s[36:37]
	s_cbranch_execz .LBB99_35
; %bb.34:                               ;   in Loop: Header=BB99_23 Depth=1
	global_load_dword v2, v[0:1], off
	s_waitcnt vmcnt(0)
	v_mul_f32_e32 v86, s33, v2
.LBB99_35:                              ;   in Loop: Header=BB99_23 Depth=1
	s_or_b64 exec, exec, s[14:15]
	s_or_b64 s[14:15], s[6:7], vcc
	s_nor_b64 s[36:37], s[14:15], s[8:9]
	v_mov_b32_e32 v72, 0
	s_and_saveexec_b64 s[14:15], s[36:37]
	s_cbranch_execz .LBB99_37
; %bb.36:                               ;   in Loop: Header=BB99_23 Depth=1
	global_load_dword v0, v[0:1], off offset:256
	s_waitcnt vmcnt(0)
	v_mul_f32_e32 v72, s33, v0
.LBB99_37:                              ;   in Loop: Header=BB99_23 Depth=1
	s_or_b64 exec, exec, s[14:15]
	s_mov_b32 s36, 0
	s_mov_b64 s[14:15], -1
.LBB99_38:                              ;   Parent Loop BB99_23 Depth=1
                                        ; =>  This Inner Loop Header: Depth=2
	v_cndmask_b32_e64 v0, 0, 1, s[14:15]
	s_lshl_b32 s14, s36, 2
	v_cmp_ne_u32_e32 vcc, 1, v0
	v_add_u32_e32 v0, s14, v79
	ds_read2_b64 v[88:91], v0 offset1:16
	ds_read2_b64 v[92:95], v0 offset0:32 offset1:48
	ds_read2_b64 v[96:99], v0 offset0:64 offset1:80
	;; [unrolled: 1-line block ×3, first 2 shown]
	v_add_u32_e32 v0, s14, v81
	ds_read2st64_b64 v[104:107], v0 offset1:1
	ds_read2st64_b64 v[0:3], v0 offset0:2 offset1:3
	s_waitcnt lgkmcnt(5)
	v_max_f32_e32 v108, v88, v88
	v_max_f32_e32 v109, v89, v89
	;; [unrolled: 1-line block ×3, first 2 shown]
	s_waitcnt lgkmcnt(1)
	v_max_f32_e32 v104, v104, v104
	v_max_f32_e32 v105, v105, v105
	v_min_f32_e32 v88, v108, v104
	v_min_f32_e32 v89, v109, v105
	v_max_f32_e32 v91, v91, v91
	v_pk_add_f32 v[66:67], v[66:67], v[88:89]
	v_min_f32_e32 v88, v90, v104
	v_min_f32_e32 v89, v91, v105
	v_max_f32_e32 v92, v92, v92
	v_max_f32_e32 v93, v93, v93
	v_pk_add_f32 v[64:65], v[64:65], v[88:89]
	v_min_f32_e32 v88, v92, v104
	v_min_f32_e32 v89, v93, v105
	v_max_f32_e32 v94, v94, v94
	;; [unrolled: 5-line block ×7, first 2 shown]
	v_max_f32_e32 v105, v107, v107
	v_pk_add_f32 v[52:53], v[52:53], v[88:89]
	v_min_f32_e32 v88, v108, v104
	v_min_f32_e32 v89, v109, v105
	v_pk_add_f32 v[50:51], v[50:51], v[88:89]
	v_min_f32_e32 v88, v90, v104
	v_min_f32_e32 v89, v91, v105
	;; [unrolled: 3-line block ×8, first 2 shown]
	v_pk_add_f32 v[36:37], v[36:37], v[88:89]
	s_waitcnt lgkmcnt(0)
	v_max_f32_e32 v88, v0, v0
	v_max_f32_e32 v89, v1, v1
	v_min_f32_e32 v0, v108, v88
	v_min_f32_e32 v1, v109, v89
	v_pk_add_f32 v[34:35], v[34:35], v[0:1]
	v_min_f32_e32 v0, v90, v88
	v_min_f32_e32 v1, v91, v89
	v_pk_add_f32 v[32:33], v[32:33], v[0:1]
	;; [unrolled: 3-line block ×7, first 2 shown]
	v_min_f32_e32 v0, v102, v88
	v_min_f32_e32 v1, v103, v89
	v_max_f32_e32 v2, v2, v2
	v_max_f32_e32 v3, v3, v3
	v_pk_add_f32 v[20:21], v[20:21], v[0:1]
	v_min_f32_e32 v0, v108, v2
	v_min_f32_e32 v1, v109, v3
	v_pk_add_f32 v[18:19], v[18:19], v[0:1]
	v_min_f32_e32 v0, v90, v2
	v_min_f32_e32 v1, v91, v3
	;; [unrolled: 3-line block ×8, first 2 shown]
	v_pk_add_f32 v[4:5], v[4:5], v[0:1]
	s_mov_b64 s[14:15], 0
	s_mov_b32 s36, 2
	s_cbranch_vccz .LBB99_38
; %bb.39:                               ;   in Loop: Header=BB99_23 Depth=1
	s_add_i32 s28, s28, 8
	s_add_i32 s29, s29, 8
	s_cmp_ge_i32 s29, s35
	ds_write_b32 v82, v87
	ds_write2st64_b32 v83, v86, v72 offset1:4
	s_waitcnt lgkmcnt(0)
	s_barrier
	s_cbranch_scc0 .LBB99_23
.LBB99_40:
	v_mov_b32_e32 v0, 0x1400
	v_lshl_add_u32 v68, v74, 4, v0
	v_mov_b32_e32 v0, 0x800
	v_lshl_add_u32 v69, v75, 4, v0
	s_mov_b32 s4, 0
	s_mov_b64 s[2:3], -1
.LBB99_41:                              ; =>This Inner Loop Header: Depth=1
	v_cndmask_b32_e64 v0, 0, 1, s[2:3]
	s_lshl_b32 s2, s4, 2
	v_cmp_ne_u32_e32 vcc, 1, v0
	v_add_u32_e32 v0, s2, v68
	ds_read2_b64 v[70:73], v0 offset1:16
	ds_read2_b64 v[76:79], v0 offset0:32 offset1:48
	ds_read2_b64 v[80:83], v0 offset0:64 offset1:80
	;; [unrolled: 1-line block ×3, first 2 shown]
	v_add_u32_e32 v0, s2, v69
	ds_read2st64_b64 v[88:91], v0 offset1:1
	ds_read2st64_b64 v[0:3], v0 offset0:2 offset1:3
	s_waitcnt lgkmcnt(5)
	v_max_f32_e32 v92, v70, v70
	v_max_f32_e32 v93, v71, v71
	;; [unrolled: 1-line block ×3, first 2 shown]
	s_waitcnt lgkmcnt(1)
	v_max_f32_e32 v88, v88, v88
	v_max_f32_e32 v89, v89, v89
	v_min_f32_e32 v70, v92, v88
	v_min_f32_e32 v71, v93, v89
	v_max_f32_e32 v73, v73, v73
	v_pk_add_f32 v[66:67], v[66:67], v[70:71]
	v_min_f32_e32 v70, v72, v88
	v_min_f32_e32 v71, v73, v89
	v_max_f32_e32 v76, v76, v76
	v_max_f32_e32 v77, v77, v77
	v_pk_add_f32 v[64:65], v[64:65], v[70:71]
	v_min_f32_e32 v70, v76, v88
	v_min_f32_e32 v71, v77, v89
	v_max_f32_e32 v78, v78, v78
	;; [unrolled: 5-line block ×7, first 2 shown]
	v_max_f32_e32 v89, v91, v91
	v_pk_add_f32 v[52:53], v[52:53], v[70:71]
	v_min_f32_e32 v70, v92, v88
	v_min_f32_e32 v71, v93, v89
	v_pk_add_f32 v[50:51], v[50:51], v[70:71]
	v_min_f32_e32 v70, v72, v88
	v_min_f32_e32 v71, v73, v89
	;; [unrolled: 3-line block ×8, first 2 shown]
	v_pk_add_f32 v[36:37], v[36:37], v[70:71]
	s_waitcnt lgkmcnt(0)
	v_max_f32_e32 v70, v0, v0
	v_max_f32_e32 v71, v1, v1
	v_min_f32_e32 v0, v92, v70
	v_min_f32_e32 v1, v93, v71
	v_pk_add_f32 v[34:35], v[34:35], v[0:1]
	v_min_f32_e32 v0, v72, v70
	v_min_f32_e32 v1, v73, v71
	v_pk_add_f32 v[32:33], v[32:33], v[0:1]
	;; [unrolled: 3-line block ×7, first 2 shown]
	v_min_f32_e32 v0, v86, v70
	v_min_f32_e32 v1, v87, v71
	v_max_f32_e32 v2, v2, v2
	v_max_f32_e32 v3, v3, v3
	v_pk_add_f32 v[20:21], v[20:21], v[0:1]
	v_min_f32_e32 v0, v92, v2
	v_min_f32_e32 v1, v93, v3
	v_pk_add_f32 v[18:19], v[18:19], v[0:1]
	v_min_f32_e32 v0, v72, v2
	v_min_f32_e32 v1, v73, v3
	;; [unrolled: 3-line block ×8, first 2 shown]
	v_pk_add_f32 v[4:5], v[4:5], v[0:1]
	s_mov_b64 s[2:3], 0
	s_mov_b32 s4, 2
	s_cbranch_vccz .LBB99_41
; %bb.42:
	s_load_dwordx2 s[2:3], s[0:1], 0x78
	s_load_dword s29, s[0:1], 0x58
	s_load_dword s28, s[0:1], 0x70
	v_add_u32_e32 v72, s31, v75
	v_add_u32_e32 v0, s17, v74
	s_waitcnt lgkmcnt(0)
	s_mul_i32 s1, s3, s16
	s_mul_hi_u32 s3, s2, s16
	s_mul_i32 s0, s2, s16
	s_add_i32 s1, s3, s1
	s_lshl_b64 s[0:1], s[0:1], 2
	s_add_u32 s22, s10, s0
	s_addc_u32 s23, s11, s1
	v_mad_i64_i32 v[2:3], s[0:1], v72, s29, 0
	v_lshl_add_u64 v[70:71], v[2:3], 2, s[24:25]
	v_mad_i64_i32 v[2:3], s[0:1], v72, s28, 0
	v_cmp_gt_i32_e64 s[18:19], s21, v72
	v_lshl_add_u64 v[68:69], v[2:3], 2, s[22:23]
	v_cmp_gt_i32_e64 s[2:3], s20, v0
	v_cndmask_b32_e64 v2, 0, 1, s[12:13]
	s_and_b64 s[6:7], s[2:3], s[18:19]
	v_ashrrev_i32_e32 v1, 31, v0
	v_cmp_ne_u32_e64 s[0:1], 1, v2
	s_and_saveexec_b64 s[4:5], s[6:7]
	s_cbranch_execz .LBB99_47
; %bb.43:
	s_and_b64 vcc, exec, s[0:1]
	s_cbranch_vccnz .LBB99_45
; %bb.44:
	v_lshl_add_u64 v[2:3], v[0:1], 2, v[70:71]
	global_load_dword v2, v[2:3], off
	s_waitcnt vmcnt(0)
	v_mul_f32_e32 v2, s30, v2
	s_branch .LBB99_46
.LBB99_45:
	v_mov_b32_e32 v2, 0
.LBB99_46:
	v_add_f32_e32 v3, v66, v67
	v_add_f32_e32 v66, v3, v2
	v_lshl_add_u64 v[2:3], v[0:1], 2, v[68:69]
	global_store_dword v[2:3], v66, off
.LBB99_47:
	s_or_b64 exec, exec, s[4:5]
	v_add_u32_e32 v2, 8, v0
	v_cmp_gt_i32_e64 s[4:5], s20, v2
	s_and_b64 s[8:9], s[4:5], s[18:19]
	v_ashrrev_i32_e32 v3, 31, v2
	s_and_saveexec_b64 s[6:7], s[8:9]
	s_cbranch_execz .LBB99_52
; %bb.48:
	s_and_b64 vcc, exec, s[0:1]
	s_cbranch_vccnz .LBB99_50
; %bb.49:
	v_lshl_add_u64 v[66:67], v[2:3], 2, v[70:71]
	global_load_dword v66, v[66:67], off
	s_waitcnt vmcnt(0)
	v_mul_f32_e32 v66, s30, v66
	s_branch .LBB99_51
.LBB99_50:
	v_mov_b32_e32 v66, 0
.LBB99_51:
	v_add_f32_e32 v64, v64, v65
	v_add_f32_e32 v66, v64, v66
	v_lshl_add_u64 v[64:65], v[2:3], 2, v[68:69]
	global_store_dword v[64:65], v66, off
.LBB99_52:
	s_or_b64 exec, exec, s[6:7]
	v_add_u32_e32 v64, 16, v0
	v_cmp_gt_i32_e64 s[6:7], s20, v64
	s_and_b64 s[10:11], s[6:7], s[18:19]
	v_ashrrev_i32_e32 v65, 31, v64
	;; [unrolled: 24-line block ×7, first 2 shown]
	s_and_saveexec_b64 s[18:19], s[26:27]
	s_cbranch_execz .LBB99_82
; %bb.78:
	s_and_b64 vcc, exec, s[0:1]
	s_cbranch_vccnz .LBB99_80
; %bb.79:
	v_lshl_add_u64 v[66:67], v[54:55], 2, v[70:71]
	global_load_dword v66, v[66:67], off
	s_waitcnt vmcnt(0)
	v_mul_f32_e32 v66, s30, v66
	s_branch .LBB99_81
.LBB99_80:
	v_mov_b32_e32 v66, 0
.LBB99_81:
	v_add_f32_e32 v52, v52, v53
	v_add_f32_e32 v66, v52, v66
	v_lshl_add_u64 v[52:53], v[54:55], 2, v[68:69]
	global_store_dword v[52:53], v66, off
.LBB99_82:
	s_or_b64 exec, exec, s[18:19]
	v_add_u32_e32 v68, 32, v72
	v_mad_i64_i32 v[52:53], s[26:27], v68, s29, 0
	v_cmp_gt_i32_e64 s[18:19], s21, v68
	v_lshl_add_u64 v[66:67], v[52:53], 2, s[24:25]
	v_mad_i64_i32 v[52:53], s[26:27], v68, s28, 0
	v_lshl_add_u64 v[52:53], v[52:53], 2, s[22:23]
	s_and_b64 s[34:35], s[2:3], s[18:19]
	s_and_saveexec_b64 s[26:27], s[34:35]
	s_cbranch_execnz .LBB99_90
; %bb.83:
	s_or_b64 exec, exec, s[26:27]
	s_and_b64 s[34:35], s[4:5], s[18:19]
	s_and_saveexec_b64 s[26:27], s[34:35]
	s_cbranch_execnz .LBB99_94
.LBB99_84:
	s_or_b64 exec, exec, s[26:27]
	s_and_b64 s[34:35], s[6:7], s[18:19]
	s_and_saveexec_b64 s[26:27], s[34:35]
	s_cbranch_execnz .LBB99_98
.LBB99_85:
	s_or_b64 exec, exec, s[26:27]
	s_and_b64 s[34:35], s[8:9], s[18:19]
	s_and_saveexec_b64 s[26:27], s[34:35]
	s_cbranch_execnz .LBB99_102
.LBB99_86:
	s_or_b64 exec, exec, s[26:27]
	s_and_b64 s[34:35], s[10:11], s[18:19]
	s_and_saveexec_b64 s[26:27], s[34:35]
	s_cbranch_execnz .LBB99_106
.LBB99_87:
	s_or_b64 exec, exec, s[26:27]
	s_and_b64 s[34:35], s[12:13], s[18:19]
	s_and_saveexec_b64 s[26:27], s[34:35]
	s_cbranch_execnz .LBB99_110
.LBB99_88:
	s_or_b64 exec, exec, s[26:27]
	s_and_b64 s[34:35], s[14:15], s[18:19]
	s_and_saveexec_b64 s[26:27], s[34:35]
	s_cbranch_execnz .LBB99_114
.LBB99_89:
	s_or_b64 exec, exec, s[26:27]
	s_and_b64 s[26:27], s[16:17], s[18:19]
	s_and_saveexec_b64 s[18:19], s[26:27]
	s_cbranch_execnz .LBB99_118
	s_branch .LBB99_122
.LBB99_90:
	s_and_b64 vcc, exec, s[0:1]
	s_cbranch_vccnz .LBB99_92
; %bb.91:
	v_lshl_add_u64 v[68:69], v[0:1], 2, v[66:67]
	global_load_dword v68, v[68:69], off
	s_waitcnt vmcnt(0)
	v_mul_f32_e32 v68, s30, v68
	s_branch .LBB99_93
.LBB99_92:
	v_mov_b32_e32 v68, 0
.LBB99_93:
	v_add_f32_e32 v50, v50, v51
	v_add_f32_e32 v68, v50, v68
	v_lshl_add_u64 v[50:51], v[0:1], 2, v[52:53]
	global_store_dword v[50:51], v68, off
	s_or_b64 exec, exec, s[26:27]
	s_and_b64 s[34:35], s[4:5], s[18:19]
	s_and_saveexec_b64 s[26:27], s[34:35]
	s_cbranch_execz .LBB99_84
.LBB99_94:
	s_and_b64 vcc, exec, s[0:1]
	s_cbranch_vccnz .LBB99_96
; %bb.95:
	v_lshl_add_u64 v[50:51], v[2:3], 2, v[66:67]
	global_load_dword v50, v[50:51], off
	s_waitcnt vmcnt(0)
	v_mul_f32_e32 v50, s30, v50
	s_branch .LBB99_97
.LBB99_96:
	v_mov_b32_e32 v50, 0
.LBB99_97:
	v_add_f32_e32 v48, v48, v49
	v_add_f32_e32 v50, v48, v50
	v_lshl_add_u64 v[48:49], v[2:3], 2, v[52:53]
	global_store_dword v[48:49], v50, off
	s_or_b64 exec, exec, s[26:27]
	s_and_b64 s[34:35], s[6:7], s[18:19]
	s_and_saveexec_b64 s[26:27], s[34:35]
	s_cbranch_execz .LBB99_85
.LBB99_98:
	s_and_b64 vcc, exec, s[0:1]
	s_cbranch_vccnz .LBB99_100
; %bb.99:
	v_lshl_add_u64 v[48:49], v[64:65], 2, v[66:67]
	global_load_dword v48, v[48:49], off
	s_waitcnt vmcnt(0)
	v_mul_f32_e32 v48, s30, v48
	s_branch .LBB99_101
.LBB99_100:
	v_mov_b32_e32 v48, 0
.LBB99_101:
	v_add_f32_e32 v46, v46, v47
	v_add_f32_e32 v48, v46, v48
	v_lshl_add_u64 v[46:47], v[64:65], 2, v[52:53]
	global_store_dword v[46:47], v48, off
	s_or_b64 exec, exec, s[26:27]
	s_and_b64 s[34:35], s[8:9], s[18:19]
	s_and_saveexec_b64 s[26:27], s[34:35]
	s_cbranch_execz .LBB99_86
.LBB99_102:
	s_and_b64 vcc, exec, s[0:1]
	s_cbranch_vccnz .LBB99_104
; %bb.103:
	v_lshl_add_u64 v[46:47], v[62:63], 2, v[66:67]
	global_load_dword v46, v[46:47], off
	s_waitcnt vmcnt(0)
	v_mul_f32_e32 v46, s30, v46
	s_branch .LBB99_105
.LBB99_104:
	v_mov_b32_e32 v46, 0
.LBB99_105:
	v_add_f32_e32 v44, v44, v45
	v_add_f32_e32 v46, v44, v46
	v_lshl_add_u64 v[44:45], v[62:63], 2, v[52:53]
	global_store_dword v[44:45], v46, off
	s_or_b64 exec, exec, s[26:27]
	s_and_b64 s[34:35], s[10:11], s[18:19]
	s_and_saveexec_b64 s[26:27], s[34:35]
	s_cbranch_execz .LBB99_87
.LBB99_106:
	s_and_b64 vcc, exec, s[0:1]
	s_cbranch_vccnz .LBB99_108
; %bb.107:
	v_lshl_add_u64 v[44:45], v[60:61], 2, v[66:67]
	global_load_dword v44, v[44:45], off
	s_waitcnt vmcnt(0)
	v_mul_f32_e32 v44, s30, v44
	s_branch .LBB99_109
.LBB99_108:
	v_mov_b32_e32 v44, 0
.LBB99_109:
	v_add_f32_e32 v42, v42, v43
	v_add_f32_e32 v44, v42, v44
	v_lshl_add_u64 v[42:43], v[60:61], 2, v[52:53]
	global_store_dword v[42:43], v44, off
	s_or_b64 exec, exec, s[26:27]
	s_and_b64 s[34:35], s[12:13], s[18:19]
	s_and_saveexec_b64 s[26:27], s[34:35]
	s_cbranch_execz .LBB99_88
.LBB99_110:
	s_and_b64 vcc, exec, s[0:1]
	s_cbranch_vccnz .LBB99_112
; %bb.111:
	v_lshl_add_u64 v[42:43], v[58:59], 2, v[66:67]
	global_load_dword v42, v[42:43], off
	s_waitcnt vmcnt(0)
	v_mul_f32_e32 v42, s30, v42
	s_branch .LBB99_113
.LBB99_112:
	v_mov_b32_e32 v42, 0
.LBB99_113:
	v_add_f32_e32 v40, v40, v41
	v_add_f32_e32 v42, v40, v42
	v_lshl_add_u64 v[40:41], v[58:59], 2, v[52:53]
	global_store_dword v[40:41], v42, off
	s_or_b64 exec, exec, s[26:27]
	s_and_b64 s[34:35], s[14:15], s[18:19]
	s_and_saveexec_b64 s[26:27], s[34:35]
	s_cbranch_execz .LBB99_89
.LBB99_114:
	s_and_b64 vcc, exec, s[0:1]
	s_cbranch_vccnz .LBB99_116
; %bb.115:
	v_lshl_add_u64 v[40:41], v[56:57], 2, v[66:67]
	global_load_dword v40, v[40:41], off
	s_waitcnt vmcnt(0)
	v_mul_f32_e32 v40, s30, v40
	s_branch .LBB99_117
.LBB99_116:
	v_mov_b32_e32 v40, 0
.LBB99_117:
	v_add_f32_e32 v38, v38, v39
	v_add_f32_e32 v40, v38, v40
	v_lshl_add_u64 v[38:39], v[56:57], 2, v[52:53]
	global_store_dword v[38:39], v40, off
	s_or_b64 exec, exec, s[26:27]
	s_and_b64 s[26:27], s[16:17], s[18:19]
	s_and_saveexec_b64 s[18:19], s[26:27]
	s_cbranch_execz .LBB99_122
.LBB99_118:
	s_and_b64 vcc, exec, s[0:1]
	s_cbranch_vccnz .LBB99_120
; %bb.119:
	v_lshl_add_u64 v[38:39], v[54:55], 2, v[66:67]
	global_load_dword v38, v[38:39], off
	s_waitcnt vmcnt(0)
	v_mul_f32_e32 v38, s30, v38
	s_branch .LBB99_121
.LBB99_120:
	v_mov_b32_e32 v38, 0
.LBB99_121:
	v_add_f32_e32 v36, v36, v37
	v_add_f32_e32 v38, v36, v38
	v_lshl_add_u64 v[36:37], v[54:55], 2, v[52:53]
	global_store_dword v[36:37], v38, off
.LBB99_122:
	s_or_b64 exec, exec, s[18:19]
	v_add_u32_e32 v40, 64, v72
	v_mad_i64_i32 v[36:37], s[26:27], v40, s29, 0
	v_cmp_gt_i32_e64 s[18:19], s21, v40
	v_lshl_add_u64 v[38:39], v[36:37], 2, s[24:25]
	v_mad_i64_i32 v[36:37], s[26:27], v40, s28, 0
	v_lshl_add_u64 v[36:37], v[36:37], 2, s[22:23]
	s_and_b64 s[34:35], s[2:3], s[18:19]
	s_and_saveexec_b64 s[26:27], s[34:35]
	s_cbranch_execnz .LBB99_130
; %bb.123:
	s_or_b64 exec, exec, s[26:27]
	s_and_b64 s[34:35], s[4:5], s[18:19]
	s_and_saveexec_b64 s[26:27], s[34:35]
	s_cbranch_execnz .LBB99_134
.LBB99_124:
	s_or_b64 exec, exec, s[26:27]
	s_and_b64 s[34:35], s[6:7], s[18:19]
	s_and_saveexec_b64 s[26:27], s[34:35]
	s_cbranch_execnz .LBB99_138
.LBB99_125:
	s_or_b64 exec, exec, s[26:27]
	s_and_b64 s[34:35], s[8:9], s[18:19]
	s_and_saveexec_b64 s[26:27], s[34:35]
	s_cbranch_execnz .LBB99_142
.LBB99_126:
	s_or_b64 exec, exec, s[26:27]
	s_and_b64 s[34:35], s[10:11], s[18:19]
	s_and_saveexec_b64 s[26:27], s[34:35]
	s_cbranch_execnz .LBB99_146
.LBB99_127:
	s_or_b64 exec, exec, s[26:27]
	s_and_b64 s[34:35], s[12:13], s[18:19]
	s_and_saveexec_b64 s[26:27], s[34:35]
	s_cbranch_execnz .LBB99_150
.LBB99_128:
	s_or_b64 exec, exec, s[26:27]
	s_and_b64 s[34:35], s[14:15], s[18:19]
	s_and_saveexec_b64 s[26:27], s[34:35]
	s_cbranch_execnz .LBB99_154
.LBB99_129:
	s_or_b64 exec, exec, s[26:27]
	s_and_b64 s[26:27], s[16:17], s[18:19]
	s_and_saveexec_b64 s[18:19], s[26:27]
	s_cbranch_execnz .LBB99_158
	s_branch .LBB99_162
.LBB99_130:
	s_and_b64 vcc, exec, s[0:1]
	s_cbranch_vccnz .LBB99_132
; %bb.131:
	v_lshl_add_u64 v[40:41], v[0:1], 2, v[38:39]
	global_load_dword v40, v[40:41], off
	s_waitcnt vmcnt(0)
	v_mul_f32_e32 v40, s30, v40
	s_branch .LBB99_133
.LBB99_132:
	v_mov_b32_e32 v40, 0
.LBB99_133:
	v_add_f32_e32 v34, v34, v35
	v_add_f32_e32 v40, v34, v40
	v_lshl_add_u64 v[34:35], v[0:1], 2, v[36:37]
	global_store_dword v[34:35], v40, off
	s_or_b64 exec, exec, s[26:27]
	s_and_b64 s[34:35], s[4:5], s[18:19]
	s_and_saveexec_b64 s[26:27], s[34:35]
	s_cbranch_execz .LBB99_124
.LBB99_134:
	s_and_b64 vcc, exec, s[0:1]
	s_cbranch_vccnz .LBB99_136
; %bb.135:
	v_lshl_add_u64 v[34:35], v[2:3], 2, v[38:39]
	global_load_dword v34, v[34:35], off
	s_waitcnt vmcnt(0)
	v_mul_f32_e32 v34, s30, v34
	s_branch .LBB99_137
.LBB99_136:
	v_mov_b32_e32 v34, 0
.LBB99_137:
	v_add_f32_e32 v32, v32, v33
	v_add_f32_e32 v34, v32, v34
	v_lshl_add_u64 v[32:33], v[2:3], 2, v[36:37]
	global_store_dword v[32:33], v34, off
	s_or_b64 exec, exec, s[26:27]
	s_and_b64 s[34:35], s[6:7], s[18:19]
	s_and_saveexec_b64 s[26:27], s[34:35]
	s_cbranch_execz .LBB99_125
.LBB99_138:
	s_and_b64 vcc, exec, s[0:1]
	s_cbranch_vccnz .LBB99_140
; %bb.139:
	v_lshl_add_u64 v[32:33], v[64:65], 2, v[38:39]
	global_load_dword v32, v[32:33], off
	s_waitcnt vmcnt(0)
	v_mul_f32_e32 v32, s30, v32
	s_branch .LBB99_141
.LBB99_140:
	v_mov_b32_e32 v32, 0
.LBB99_141:
	v_add_f32_e32 v30, v30, v31
	v_add_f32_e32 v32, v30, v32
	v_lshl_add_u64 v[30:31], v[64:65], 2, v[36:37]
	global_store_dword v[30:31], v32, off
	s_or_b64 exec, exec, s[26:27]
	s_and_b64 s[34:35], s[8:9], s[18:19]
	s_and_saveexec_b64 s[26:27], s[34:35]
	s_cbranch_execz .LBB99_126
.LBB99_142:
	s_and_b64 vcc, exec, s[0:1]
	s_cbranch_vccnz .LBB99_144
; %bb.143:
	v_lshl_add_u64 v[30:31], v[62:63], 2, v[38:39]
	global_load_dword v30, v[30:31], off
	s_waitcnt vmcnt(0)
	v_mul_f32_e32 v30, s30, v30
	s_branch .LBB99_145
.LBB99_144:
	v_mov_b32_e32 v30, 0
.LBB99_145:
	v_add_f32_e32 v28, v28, v29
	v_add_f32_e32 v30, v28, v30
	v_lshl_add_u64 v[28:29], v[62:63], 2, v[36:37]
	global_store_dword v[28:29], v30, off
	s_or_b64 exec, exec, s[26:27]
	s_and_b64 s[34:35], s[10:11], s[18:19]
	s_and_saveexec_b64 s[26:27], s[34:35]
	s_cbranch_execz .LBB99_127
.LBB99_146:
	s_and_b64 vcc, exec, s[0:1]
	s_cbranch_vccnz .LBB99_148
; %bb.147:
	v_lshl_add_u64 v[28:29], v[60:61], 2, v[38:39]
	global_load_dword v28, v[28:29], off
	s_waitcnt vmcnt(0)
	v_mul_f32_e32 v28, s30, v28
	s_branch .LBB99_149
.LBB99_148:
	v_mov_b32_e32 v28, 0
.LBB99_149:
	v_add_f32_e32 v26, v26, v27
	v_add_f32_e32 v28, v26, v28
	v_lshl_add_u64 v[26:27], v[60:61], 2, v[36:37]
	global_store_dword v[26:27], v28, off
	s_or_b64 exec, exec, s[26:27]
	s_and_b64 s[34:35], s[12:13], s[18:19]
	s_and_saveexec_b64 s[26:27], s[34:35]
	s_cbranch_execz .LBB99_128
.LBB99_150:
	s_and_b64 vcc, exec, s[0:1]
	s_cbranch_vccnz .LBB99_152
; %bb.151:
	v_lshl_add_u64 v[26:27], v[58:59], 2, v[38:39]
	global_load_dword v26, v[26:27], off
	s_waitcnt vmcnt(0)
	v_mul_f32_e32 v26, s30, v26
	s_branch .LBB99_153
.LBB99_152:
	v_mov_b32_e32 v26, 0
.LBB99_153:
	v_add_f32_e32 v24, v24, v25
	v_add_f32_e32 v26, v24, v26
	v_lshl_add_u64 v[24:25], v[58:59], 2, v[36:37]
	global_store_dword v[24:25], v26, off
	s_or_b64 exec, exec, s[26:27]
	s_and_b64 s[34:35], s[14:15], s[18:19]
	s_and_saveexec_b64 s[26:27], s[34:35]
	s_cbranch_execz .LBB99_129
.LBB99_154:
	s_and_b64 vcc, exec, s[0:1]
	s_cbranch_vccnz .LBB99_156
; %bb.155:
	v_lshl_add_u64 v[24:25], v[56:57], 2, v[38:39]
	global_load_dword v24, v[24:25], off
	s_waitcnt vmcnt(0)
	v_mul_f32_e32 v24, s30, v24
	s_branch .LBB99_157
.LBB99_156:
	v_mov_b32_e32 v24, 0
.LBB99_157:
	v_add_f32_e32 v22, v22, v23
	v_add_f32_e32 v24, v22, v24
	v_lshl_add_u64 v[22:23], v[56:57], 2, v[36:37]
	global_store_dword v[22:23], v24, off
	s_or_b64 exec, exec, s[26:27]
	s_and_b64 s[26:27], s[16:17], s[18:19]
	s_and_saveexec_b64 s[18:19], s[26:27]
	s_cbranch_execz .LBB99_162
.LBB99_158:
	s_and_b64 vcc, exec, s[0:1]
	s_cbranch_vccnz .LBB99_160
; %bb.159:
	v_lshl_add_u64 v[22:23], v[54:55], 2, v[38:39]
	global_load_dword v22, v[22:23], off
	s_waitcnt vmcnt(0)
	v_mul_f32_e32 v22, s30, v22
	s_branch .LBB99_161
.LBB99_160:
	v_mov_b32_e32 v22, 0
.LBB99_161:
	v_add_f32_e32 v20, v20, v21
	v_add_f32_e32 v22, v20, v22
	v_lshl_add_u64 v[20:21], v[54:55], 2, v[36:37]
	global_store_dword v[20:21], v22, off
.LBB99_162:
	s_or_b64 exec, exec, s[18:19]
	v_add_u32_e32 v24, 0x60, v72
	v_cmp_gt_i32_e64 s[18:19], s21, v24
	v_mad_i64_i32 v[20:21], s[20:21], v24, s29, 0
	v_lshl_add_u64 v[22:23], v[20:21], 2, s[24:25]
	v_mad_i64_i32 v[20:21], s[20:21], v24, s28, 0
	v_lshl_add_u64 v[20:21], v[20:21], 2, s[22:23]
	s_and_b64 s[20:21], s[2:3], s[18:19]
	s_and_saveexec_b64 s[2:3], s[20:21]
	s_cbranch_execnz .LBB99_171
; %bb.163:
	s_or_b64 exec, exec, s[2:3]
	s_and_b64 s[4:5], s[4:5], s[18:19]
	s_and_saveexec_b64 s[2:3], s[4:5]
	s_cbranch_execnz .LBB99_175
.LBB99_164:
	s_or_b64 exec, exec, s[2:3]
	s_and_b64 s[4:5], s[6:7], s[18:19]
	s_and_saveexec_b64 s[2:3], s[4:5]
	s_cbranch_execnz .LBB99_179
.LBB99_165:
	s_or_b64 exec, exec, s[2:3]
	s_and_b64 s[4:5], s[8:9], s[18:19]
	s_and_saveexec_b64 s[2:3], s[4:5]
	s_cbranch_execnz .LBB99_183
.LBB99_166:
	s_or_b64 exec, exec, s[2:3]
	s_and_b64 s[4:5], s[10:11], s[18:19]
	s_and_saveexec_b64 s[2:3], s[4:5]
	s_cbranch_execnz .LBB99_187
.LBB99_167:
	s_or_b64 exec, exec, s[2:3]
	s_and_b64 s[4:5], s[12:13], s[18:19]
	s_and_saveexec_b64 s[2:3], s[4:5]
	s_cbranch_execnz .LBB99_191
.LBB99_168:
	s_or_b64 exec, exec, s[2:3]
	s_and_b64 s[4:5], s[14:15], s[18:19]
	s_and_saveexec_b64 s[2:3], s[4:5]
	s_cbranch_execnz .LBB99_195
.LBB99_169:
	s_or_b64 exec, exec, s[2:3]
	s_and_b64 s[2:3], s[16:17], s[18:19]
	s_and_saveexec_b64 s[4:5], s[2:3]
	s_cbranch_execnz .LBB99_199
.LBB99_170:
	s_endpgm
.LBB99_171:
	s_and_b64 vcc, exec, s[0:1]
	s_cbranch_vccnz .LBB99_173
; %bb.172:
	v_lshl_add_u64 v[24:25], v[0:1], 2, v[22:23]
	global_load_dword v24, v[24:25], off
	s_waitcnt vmcnt(0)
	v_mul_f32_e32 v24, s30, v24
	s_branch .LBB99_174
.LBB99_173:
	v_mov_b32_e32 v24, 0
.LBB99_174:
	v_add_f32_e32 v18, v18, v19
	v_add_f32_e32 v18, v18, v24
	v_lshl_add_u64 v[0:1], v[0:1], 2, v[20:21]
	global_store_dword v[0:1], v18, off
	s_or_b64 exec, exec, s[2:3]
	s_and_b64 s[4:5], s[4:5], s[18:19]
	s_and_saveexec_b64 s[2:3], s[4:5]
	s_cbranch_execz .LBB99_164
.LBB99_175:
	s_and_b64 vcc, exec, s[0:1]
	s_cbranch_vccnz .LBB99_177
; %bb.176:
	v_lshl_add_u64 v[0:1], v[2:3], 2, v[22:23]
	global_load_dword v0, v[0:1], off
	s_waitcnt vmcnt(0)
	v_mul_f32_e32 v0, s30, v0
	s_branch .LBB99_178
.LBB99_177:
	v_mov_b32_e32 v0, 0
.LBB99_178:
	v_add_f32_e32 v1, v16, v17
	v_add_f32_e32 v16, v1, v0
	v_lshl_add_u64 v[0:1], v[2:3], 2, v[20:21]
	global_store_dword v[0:1], v16, off
	s_or_b64 exec, exec, s[2:3]
	s_and_b64 s[4:5], s[6:7], s[18:19]
	s_and_saveexec_b64 s[2:3], s[4:5]
	s_cbranch_execz .LBB99_165
.LBB99_179:
	s_and_b64 vcc, exec, s[0:1]
	s_cbranch_vccnz .LBB99_181
; %bb.180:
	v_lshl_add_u64 v[0:1], v[64:65], 2, v[22:23]
	global_load_dword v0, v[0:1], off
	s_waitcnt vmcnt(0)
	v_mul_f32_e32 v0, s30, v0
	s_branch .LBB99_182
.LBB99_181:
	v_mov_b32_e32 v0, 0
.LBB99_182:
	v_add_f32_e32 v1, v14, v15
	v_add_f32_e32 v2, v1, v0
	v_lshl_add_u64 v[0:1], v[64:65], 2, v[20:21]
	global_store_dword v[0:1], v2, off
	s_or_b64 exec, exec, s[2:3]
	s_and_b64 s[4:5], s[8:9], s[18:19]
	s_and_saveexec_b64 s[2:3], s[4:5]
	s_cbranch_execz .LBB99_166
.LBB99_183:
	s_and_b64 vcc, exec, s[0:1]
	s_cbranch_vccnz .LBB99_185
; %bb.184:
	v_lshl_add_u64 v[0:1], v[62:63], 2, v[22:23]
	global_load_dword v0, v[0:1], off
	s_waitcnt vmcnt(0)
	v_mul_f32_e32 v0, s30, v0
	s_branch .LBB99_186
.LBB99_185:
	v_mov_b32_e32 v0, 0
.LBB99_186:
	v_add_f32_e32 v1, v12, v13
	v_add_f32_e32 v2, v1, v0
	v_lshl_add_u64 v[0:1], v[62:63], 2, v[20:21]
	global_store_dword v[0:1], v2, off
	s_or_b64 exec, exec, s[2:3]
	s_and_b64 s[4:5], s[10:11], s[18:19]
	s_and_saveexec_b64 s[2:3], s[4:5]
	s_cbranch_execz .LBB99_167
.LBB99_187:
	s_and_b64 vcc, exec, s[0:1]
	s_cbranch_vccnz .LBB99_189
; %bb.188:
	v_lshl_add_u64 v[0:1], v[60:61], 2, v[22:23]
	global_load_dword v0, v[0:1], off
	s_waitcnt vmcnt(0)
	v_mul_f32_e32 v0, s30, v0
	s_branch .LBB99_190
.LBB99_189:
	v_mov_b32_e32 v0, 0
.LBB99_190:
	v_add_f32_e32 v1, v10, v11
	v_add_f32_e32 v2, v1, v0
	v_lshl_add_u64 v[0:1], v[60:61], 2, v[20:21]
	global_store_dword v[0:1], v2, off
	s_or_b64 exec, exec, s[2:3]
	s_and_b64 s[4:5], s[12:13], s[18:19]
	s_and_saveexec_b64 s[2:3], s[4:5]
	s_cbranch_execz .LBB99_168
.LBB99_191:
	s_and_b64 vcc, exec, s[0:1]
	s_cbranch_vccnz .LBB99_193
; %bb.192:
	v_lshl_add_u64 v[0:1], v[58:59], 2, v[22:23]
	global_load_dword v0, v[0:1], off
	s_waitcnt vmcnt(0)
	v_mul_f32_e32 v0, s30, v0
	s_branch .LBB99_194
.LBB99_193:
	v_mov_b32_e32 v0, 0
.LBB99_194:
	v_add_f32_e32 v1, v8, v9
	v_add_f32_e32 v2, v1, v0
	v_lshl_add_u64 v[0:1], v[58:59], 2, v[20:21]
	global_store_dword v[0:1], v2, off
	s_or_b64 exec, exec, s[2:3]
	s_and_b64 s[4:5], s[14:15], s[18:19]
	s_and_saveexec_b64 s[2:3], s[4:5]
	s_cbranch_execz .LBB99_169
.LBB99_195:
	s_and_b64 vcc, exec, s[0:1]
	s_cbranch_vccnz .LBB99_197
; %bb.196:
	v_lshl_add_u64 v[0:1], v[56:57], 2, v[22:23]
	global_load_dword v0, v[0:1], off
	s_waitcnt vmcnt(0)
	v_mul_f32_e32 v0, s30, v0
	s_branch .LBB99_198
.LBB99_197:
	v_mov_b32_e32 v0, 0
.LBB99_198:
	v_add_f32_e32 v1, v6, v7
	v_add_f32_e32 v2, v1, v0
	v_lshl_add_u64 v[0:1], v[56:57], 2, v[20:21]
	global_store_dword v[0:1], v2, off
	s_or_b64 exec, exec, s[2:3]
	s_and_b64 s[2:3], s[16:17], s[18:19]
	s_and_saveexec_b64 s[4:5], s[2:3]
	s_cbranch_execz .LBB99_170
.LBB99_199:
	s_and_b64 vcc, exec, s[0:1]
	s_cbranch_vccnz .LBB99_201
; %bb.200:
	v_lshl_add_u64 v[0:1], v[54:55], 2, v[22:23]
	global_load_dword v0, v[0:1], off
	s_waitcnt vmcnt(0)
	v_mul_f32_e32 v0, s30, v0
	s_branch .LBB99_202
.LBB99_201:
	v_mov_b32_e32 v0, 0
.LBB99_202:
	v_add_f32_e32 v1, v4, v5
	v_add_f32_e32 v2, v1, v0
	v_lshl_add_u64 v[0:1], v[54:55], 2, v[20:21]
	global_store_dword v[0:1], v2, off
	s_endpgm
	.section	.rodata,"a",@progbits
	.p2align	6, 0x0
	.amdhsa_kernel _ZN12_GLOBAL__N_120geam_min_plus_kernelIf15HIP_vector_typeIfLj2EES2_Li8ELi32ELi64ELi128ELi4ELi4ELi64ELi64ELi4ELc84ELc84ELb0ELb1ELb0EPKfS3_fEEviiiT16_PT17_ilS7_ilS5_S7_ilPT18_ili26rocblas_geam_ex_operation_
		.amdhsa_group_segment_fixed_size 6144
		.amdhsa_private_segment_fixed_size 0
		.amdhsa_kernarg_size 136
		.amdhsa_user_sgpr_count 2
		.amdhsa_user_sgpr_dispatch_ptr 0
		.amdhsa_user_sgpr_queue_ptr 0
		.amdhsa_user_sgpr_kernarg_segment_ptr 1
		.amdhsa_user_sgpr_dispatch_id 0
		.amdhsa_user_sgpr_kernarg_preload_length 0
		.amdhsa_user_sgpr_kernarg_preload_offset 0
		.amdhsa_user_sgpr_private_segment_size 0
		.amdhsa_uses_dynamic_stack 0
		.amdhsa_enable_private_segment 0
		.amdhsa_system_sgpr_workgroup_id_x 1
		.amdhsa_system_sgpr_workgroup_id_y 0
		.amdhsa_system_sgpr_workgroup_id_z 1
		.amdhsa_system_sgpr_workgroup_info 0
		.amdhsa_system_vgpr_workitem_id 1
		.amdhsa_next_free_vgpr 111
		.amdhsa_next_free_sgpr 40
		.amdhsa_accum_offset 112
		.amdhsa_reserve_vcc 1
		.amdhsa_float_round_mode_32 0
		.amdhsa_float_round_mode_16_64 0
		.amdhsa_float_denorm_mode_32 3
		.amdhsa_float_denorm_mode_16_64 3
		.amdhsa_dx10_clamp 1
		.amdhsa_ieee_mode 1
		.amdhsa_fp16_overflow 0
		.amdhsa_tg_split 0
		.amdhsa_exception_fp_ieee_invalid_op 0
		.amdhsa_exception_fp_denorm_src 0
		.amdhsa_exception_fp_ieee_div_zero 0
		.amdhsa_exception_fp_ieee_overflow 0
		.amdhsa_exception_fp_ieee_underflow 0
		.amdhsa_exception_fp_ieee_inexact 0
		.amdhsa_exception_int_div_zero 0
	.end_amdhsa_kernel
	.section	.text._ZN12_GLOBAL__N_120geam_min_plus_kernelIf15HIP_vector_typeIfLj2EES2_Li8ELi32ELi64ELi128ELi4ELi4ELi64ELi64ELi4ELc84ELc84ELb0ELb1ELb0EPKfS3_fEEviiiT16_PT17_ilS7_ilS5_S7_ilPT18_ili26rocblas_geam_ex_operation_,"axG",@progbits,_ZN12_GLOBAL__N_120geam_min_plus_kernelIf15HIP_vector_typeIfLj2EES2_Li8ELi32ELi64ELi128ELi4ELi4ELi64ELi64ELi4ELc84ELc84ELb0ELb1ELb0EPKfS3_fEEviiiT16_PT17_ilS7_ilS5_S7_ilPT18_ili26rocblas_geam_ex_operation_,comdat
.Lfunc_end99:
	.size	_ZN12_GLOBAL__N_120geam_min_plus_kernelIf15HIP_vector_typeIfLj2EES2_Li8ELi32ELi64ELi128ELi4ELi4ELi64ELi64ELi4ELc84ELc84ELb0ELb1ELb0EPKfS3_fEEviiiT16_PT17_ilS7_ilS5_S7_ilPT18_ili26rocblas_geam_ex_operation_, .Lfunc_end99-_ZN12_GLOBAL__N_120geam_min_plus_kernelIf15HIP_vector_typeIfLj2EES2_Li8ELi32ELi64ELi128ELi4ELi4ELi64ELi64ELi4ELc84ELc84ELb0ELb1ELb0EPKfS3_fEEviiiT16_PT17_ilS7_ilS5_S7_ilPT18_ili26rocblas_geam_ex_operation_
                                        ; -- End function
	.set _ZN12_GLOBAL__N_120geam_min_plus_kernelIf15HIP_vector_typeIfLj2EES2_Li8ELi32ELi64ELi128ELi4ELi4ELi64ELi64ELi4ELc84ELc84ELb0ELb1ELb0EPKfS3_fEEviiiT16_PT17_ilS7_ilS5_S7_ilPT18_ili26rocblas_geam_ex_operation_.num_vgpr, 111
	.set _ZN12_GLOBAL__N_120geam_min_plus_kernelIf15HIP_vector_typeIfLj2EES2_Li8ELi32ELi64ELi128ELi4ELi4ELi64ELi64ELi4ELc84ELc84ELb0ELb1ELb0EPKfS3_fEEviiiT16_PT17_ilS7_ilS5_S7_ilPT18_ili26rocblas_geam_ex_operation_.num_agpr, 0
	.set _ZN12_GLOBAL__N_120geam_min_plus_kernelIf15HIP_vector_typeIfLj2EES2_Li8ELi32ELi64ELi128ELi4ELi4ELi64ELi64ELi4ELc84ELc84ELb0ELb1ELb0EPKfS3_fEEviiiT16_PT17_ilS7_ilS5_S7_ilPT18_ili26rocblas_geam_ex_operation_.numbered_sgpr, 40
	.set _ZN12_GLOBAL__N_120geam_min_plus_kernelIf15HIP_vector_typeIfLj2EES2_Li8ELi32ELi64ELi128ELi4ELi4ELi64ELi64ELi4ELc84ELc84ELb0ELb1ELb0EPKfS3_fEEviiiT16_PT17_ilS7_ilS5_S7_ilPT18_ili26rocblas_geam_ex_operation_.num_named_barrier, 0
	.set _ZN12_GLOBAL__N_120geam_min_plus_kernelIf15HIP_vector_typeIfLj2EES2_Li8ELi32ELi64ELi128ELi4ELi4ELi64ELi64ELi4ELc84ELc84ELb0ELb1ELb0EPKfS3_fEEviiiT16_PT17_ilS7_ilS5_S7_ilPT18_ili26rocblas_geam_ex_operation_.private_seg_size, 0
	.set _ZN12_GLOBAL__N_120geam_min_plus_kernelIf15HIP_vector_typeIfLj2EES2_Li8ELi32ELi64ELi128ELi4ELi4ELi64ELi64ELi4ELc84ELc84ELb0ELb1ELb0EPKfS3_fEEviiiT16_PT17_ilS7_ilS5_S7_ilPT18_ili26rocblas_geam_ex_operation_.uses_vcc, 1
	.set _ZN12_GLOBAL__N_120geam_min_plus_kernelIf15HIP_vector_typeIfLj2EES2_Li8ELi32ELi64ELi128ELi4ELi4ELi64ELi64ELi4ELc84ELc84ELb0ELb1ELb0EPKfS3_fEEviiiT16_PT17_ilS7_ilS5_S7_ilPT18_ili26rocblas_geam_ex_operation_.uses_flat_scratch, 0
	.set _ZN12_GLOBAL__N_120geam_min_plus_kernelIf15HIP_vector_typeIfLj2EES2_Li8ELi32ELi64ELi128ELi4ELi4ELi64ELi64ELi4ELc84ELc84ELb0ELb1ELb0EPKfS3_fEEviiiT16_PT17_ilS7_ilS5_S7_ilPT18_ili26rocblas_geam_ex_operation_.has_dyn_sized_stack, 0
	.set _ZN12_GLOBAL__N_120geam_min_plus_kernelIf15HIP_vector_typeIfLj2EES2_Li8ELi32ELi64ELi128ELi4ELi4ELi64ELi64ELi4ELc84ELc84ELb0ELb1ELb0EPKfS3_fEEviiiT16_PT17_ilS7_ilS5_S7_ilPT18_ili26rocblas_geam_ex_operation_.has_recursion, 0
	.set _ZN12_GLOBAL__N_120geam_min_plus_kernelIf15HIP_vector_typeIfLj2EES2_Li8ELi32ELi64ELi128ELi4ELi4ELi64ELi64ELi4ELc84ELc84ELb0ELb1ELb0EPKfS3_fEEviiiT16_PT17_ilS7_ilS5_S7_ilPT18_ili26rocblas_geam_ex_operation_.has_indirect_call, 0
	.section	.AMDGPU.csdata,"",@progbits
; Kernel info:
; codeLenInByte = 7912
; TotalNumSgprs: 46
; NumVgprs: 111
; NumAgprs: 0
; TotalNumVgprs: 111
; ScratchSize: 0
; MemoryBound: 0
; FloatMode: 240
; IeeeMode: 1
; LDSByteSize: 6144 bytes/workgroup (compile time only)
; SGPRBlocks: 5
; VGPRBlocks: 13
; NumSGPRsForWavesPerEU: 46
; NumVGPRsForWavesPerEU: 111
; AccumOffset: 112
; Occupancy: 4
; WaveLimiterHint : 0
; COMPUTE_PGM_RSRC2:SCRATCH_EN: 0
; COMPUTE_PGM_RSRC2:USER_SGPR: 2
; COMPUTE_PGM_RSRC2:TRAP_HANDLER: 0
; COMPUTE_PGM_RSRC2:TGID_X_EN: 1
; COMPUTE_PGM_RSRC2:TGID_Y_EN: 0
; COMPUTE_PGM_RSRC2:TGID_Z_EN: 1
; COMPUTE_PGM_RSRC2:TIDIG_COMP_CNT: 1
; COMPUTE_PGM_RSRC3_GFX90A:ACCUM_OFFSET: 27
; COMPUTE_PGM_RSRC3_GFX90A:TG_SPLIT: 0
	.section	.text._ZN12_GLOBAL__N_120geam_min_plus_kernelIf15HIP_vector_typeIfLj2EES2_Li8ELi32ELi64ELi128ELi4ELi4ELi64ELi64ELi4ELc84ELc84ELb1ELb1ELb0EfKffEEviiiT16_PT17_ilS6_ilS4_S6_ilPT18_ili26rocblas_geam_ex_operation_,"axG",@progbits,_ZN12_GLOBAL__N_120geam_min_plus_kernelIf15HIP_vector_typeIfLj2EES2_Li8ELi32ELi64ELi128ELi4ELi4ELi64ELi64ELi4ELc84ELc84ELb1ELb1ELb0EfKffEEviiiT16_PT17_ilS6_ilS4_S6_ilPT18_ili26rocblas_geam_ex_operation_,comdat
	.globl	_ZN12_GLOBAL__N_120geam_min_plus_kernelIf15HIP_vector_typeIfLj2EES2_Li8ELi32ELi64ELi128ELi4ELi4ELi64ELi64ELi4ELc84ELc84ELb1ELb1ELb0EfKffEEviiiT16_PT17_ilS6_ilS4_S6_ilPT18_ili26rocblas_geam_ex_operation_ ; -- Begin function _ZN12_GLOBAL__N_120geam_min_plus_kernelIf15HIP_vector_typeIfLj2EES2_Li8ELi32ELi64ELi128ELi4ELi4ELi64ELi64ELi4ELc84ELc84ELb1ELb1ELb0EfKffEEviiiT16_PT17_ilS6_ilS4_S6_ilPT18_ili26rocblas_geam_ex_operation_
	.p2align	8
	.type	_ZN12_GLOBAL__N_120geam_min_plus_kernelIf15HIP_vector_typeIfLj2EES2_Li8ELi32ELi64ELi128ELi4ELi4ELi64ELi64ELi4ELc84ELc84ELb1ELb1ELb0EfKffEEviiiT16_PT17_ilS6_ilS4_S6_ilPT18_ili26rocblas_geam_ex_operation_,@function
_ZN12_GLOBAL__N_120geam_min_plus_kernelIf15HIP_vector_typeIfLj2EES2_Li8ELi32ELi64ELi128ELi4ELi4ELi64ELi64ELi4ELc84ELc84ELb1ELb1ELb0EfKffEEviiiT16_PT17_ilS6_ilS4_S6_ilPT18_ili26rocblas_geam_ex_operation_: ; @_ZN12_GLOBAL__N_120geam_min_plus_kernelIf15HIP_vector_typeIfLj2EES2_Li8ELi32ELi64ELi128ELi4ELi4ELi64ELi64ELi4ELc84ELc84ELb1ELb1ELb0EfKffEEviiiT16_PT17_ilS6_ilS4_S6_ilPT18_ili26rocblas_geam_ex_operation_
; %bb.0:
	s_load_dwordx4 s[20:23], s[0:1], 0x0
	s_load_dwordx4 s[4:7], s[0:1], 0x20
	s_waitcnt lgkmcnt(0)
	v_cmp_eq_f32_e64 s[8:9], s23, 0
	s_and_b64 vcc, exec, s[8:9]
	s_cbranch_vccnz .LBB100_45
; %bb.1:
	s_load_dwordx2 s[10:11], s[0:1], 0x10
	s_mul_i32 s5, s5, s3
	s_mul_hi_u32 s12, s4, s3
	s_add_i32 s5, s12, s5
	s_mul_i32 s4, s4, s3
	s_lshl_b64 s[4:5], s[4:5], 2
	s_waitcnt lgkmcnt(0)
	s_add_u32 s18, s10, s4
	s_addc_u32 s19, s11, s5
	s_andn2_b64 vcc, exec, s[8:9]
	s_mov_b64 s[4:5], -1
	s_cbranch_vccnz .LBB100_3
.LBB100_2:
	s_mov_b64 s[4:5], 0
.LBB100_3:
	s_mov_b64 s[24:25], 0
	s_andn2_b64 vcc, exec, s[4:5]
	s_mov_b64 s[14:15], 0
	s_cbranch_vccnz .LBB100_5
; %bb.4:
	s_load_dwordx2 s[4:5], s[0:1], 0x38
	s_waitcnt lgkmcnt(0)
	s_mul_i32 s5, s5, s3
	s_mul_hi_u32 s8, s4, s3
	s_add_i32 s5, s8, s5
	s_mul_i32 s4, s4, s3
	s_lshl_b64 s[4:5], s[4:5], 2
	s_add_u32 s14, s6, s4
	s_addc_u32 s15, s7, s5
.LBB100_5:
	s_load_dword s28, s[0:1], 0x40
	s_load_dwordx4 s[8:11], s[0:1], 0x58
	s_waitcnt lgkmcnt(0)
	v_cmp_eq_f32_e64 s[4:5], s28, 0
	v_cmp_neq_f32_e64 s[12:13], s28, 0
	s_and_b64 vcc, exec, s[4:5]
	s_cbranch_vccnz .LBB100_7
; %bb.6:
	s_load_dwordx2 s[4:5], s[0:1], 0x48
	s_mul_i32 s6, s9, s3
	s_mul_hi_u32 s7, s8, s3
	s_add_i32 s7, s7, s6
	s_mul_i32 s6, s8, s3
	s_lshl_b64 s[6:7], s[6:7], 2
	s_waitcnt lgkmcnt(0)
	s_add_u32 s24, s4, s6
	s_addc_u32 s25, s5, s7
.LBB100_7:
	s_add_i32 s4, s20, -1
	s_ashr_i32 s5, s4, 31
	s_lshr_b32 s5, s5, 26
	s_add_i32 s4, s4, s5
	s_ashr_i32 s4, s4, 6
	s_add_i32 s5, s4, 1
	v_cvt_f32_u32_e32 v1, s5
	v_and_b32_e32 v74, 0x3ff, v0
	v_bfe_u32 v75, v0, 10, 10
	v_and_b32_e32 v76, 3, v0
	v_rcp_iflag_f32_e32 v1, v1
	s_not_b32 s4, s4
	s_load_dword s30, s[0:1], 0x18
	v_lshl_add_u32 v2, v75, 3, v74
	v_mul_f32_e32 v0, 0x4f7ffffe, v1
	v_cvt_u32_f32_e32 v0, v0
	v_lshrrev_b32_e32 v4, 2, v2
	v_mov_b32_e32 v5, 0
	v_mov_b32_e32 v8, 0
	v_readfirstlane_b32 s6, v0
	s_mul_i32 s4, s4, s6
	s_mul_hi_u32 s4, s6, s4
	s_add_i32 s6, s6, s4
	s_mul_hi_u32 s4, s2, s6
	s_mul_i32 s6, s4, s5
	s_sub_i32 s6, s2, s6
	s_add_i32 s7, s4, 1
	s_sub_i32 s8, s6, s5
	s_cmp_ge_u32 s6, s5
	s_cselect_b32 s4, s7, s4
	s_cselect_b32 s6, s8, s6
	s_add_i32 s7, s4, 1
	s_cmp_ge_u32 s6, s5
	s_cselect_b32 s8, s7, s4
	s_mul_i32 s4, s8, s5
	s_sub_i32 s2, s2, s4
	s_lshl_b32 s2, s2, 6
	v_add_u32_e32 v70, s2, v4
	v_cmp_gt_i32_e64 s[4:5], s22, v76
	v_cmp_gt_i32_e64 s[6:7], s20, v70
	v_cmp_le_i32_e32 vcc, s20, v70
	s_and_b64 s[6:7], s[4:5], s[6:7]
	v_lshlrev_b32_e32 v0, 2, v76
	s_and_saveexec_b64 s[4:5], s[6:7]
	s_cbranch_execz .LBB100_9
; %bb.8:
	s_waitcnt lgkmcnt(0)
	v_mad_i64_i32 v[6:7], s[6:7], v70, s30, 0
	v_lshl_add_u64 v[6:7], v[6:7], 2, s[18:19]
	v_mov_b32_e32 v1, 0
	v_lshl_add_u64 v[6:7], v[6:7], 0, v[0:1]
	global_load_dword v8, v[6:7], off
.LBB100_9:
	s_or_b64 exec, exec, s[4:5]
	s_load_dword s23, s[0:1], 0x30
	v_and_b32_e32 v6, 63, v2
	s_lshl_b32 s26, s8, 7
	v_lshrrev_b32_e32 v77, 6, v2
	v_or_b32_e32 v68, s26, v6
	v_cmp_le_i32_e64 s[6:7], s22, v77
	s_waitcnt lgkmcnt(0)
	v_mad_i64_i32 v[2:3], s[4:5], s23, v77, 0
	v_cmp_le_i32_e64 s[8:9], s21, v68
	s_ashr_i32 s27, s23, 31
	v_lshl_add_u64 v[2:3], v[2:3], 2, s[14:15]
	s_nor_b64 s[16:17], s[8:9], s[6:7]
	v_ashrrev_i32_e32 v69, 31, v68
	s_and_saveexec_b64 s[4:5], s[16:17]
	s_cbranch_execz .LBB100_11
; %bb.10:
	v_lshl_add_u64 v[10:11], v[68:69], 2, v[2:3]
	global_load_dword v5, v[10:11], off
.LBB100_11:
	s_or_b64 exec, exec, s[4:5]
	v_or_b32_e32 v1, 64, v68
	v_cmp_le_i32_e64 s[4:5], s21, v1
	s_nor_b64 s[16:17], s[4:5], s[6:7]
	v_mov_b32_e32 v82, 0
	v_mov_b32_e32 v7, 0
	s_and_saveexec_b64 s[6:7], s[16:17]
	s_cbranch_execz .LBB100_13
; %bb.12:
	v_lshl_add_u64 v[2:3], v[68:69], 2, v[2:3]
	global_load_dword v7, v[2:3], off offset:256
.LBB100_13:
	s_or_b64 exec, exec, s[6:7]
	v_or_b32_e32 v1, 4, v76
	v_cmp_gt_i32_e64 s[6:7], s22, v1
	s_xor_b64 s[16:17], vcc, -1
	s_and_b64 s[34:35], s[6:7], s[16:17]
	s_and_saveexec_b64 s[6:7], s[34:35]
	s_cbranch_execz .LBB100_15
; %bb.14:
	v_mad_i64_i32 v[2:3], s[34:35], v70, s30, 0
	v_lshl_add_u64 v[2:3], v[2:3], 2, s[18:19]
	v_mov_b32_e32 v1, 0
	v_lshl_add_u64 v[2:3], v[2:3], 0, v[0:1]
	global_load_dword v82, v[2:3], off offset:16
.LBB100_15:
	s_or_b64 exec, exec, s[6:7]
	v_add_u32_e32 v1, 4, v77
	v_mad_u64_u32 v[2:3], s[6:7], s23, v1, 0
	v_mov_b32_e32 v10, v3
	v_mad_u64_u32 v[10:11], s[6:7], s27, v1, v[10:11]
	v_cmp_le_i32_e32 vcc, s22, v1
	v_mov_b32_e32 v3, v10
	v_lshl_add_u64 v[2:3], v[2:3], 2, s[14:15]
	s_nor_b64 s[34:35], s[8:9], vcc
	v_mov_b32_e32 v71, 0
	v_mov_b32_e32 v72, 0
	s_and_saveexec_b64 s[6:7], s[34:35]
	s_cbranch_execz .LBB100_17
; %bb.16:
	v_lshl_add_u64 v[10:11], v[68:69], 2, v[2:3]
	global_load_dword v72, v[10:11], off
.LBB100_17:
	s_or_b64 exec, exec, s[6:7]
	s_nor_b64 s[34:35], s[4:5], vcc
	s_and_saveexec_b64 s[6:7], s[34:35]
	s_cbranch_execz .LBB100_19
; %bb.18:
	v_lshl_add_u64 v[2:3], v[68:69], 2, v[2:3]
	global_load_dword v71, v[2:3], off offset:256
.LBB100_19:
	s_or_b64 exec, exec, s[6:7]
	v_lshl_or_b32 v73, v4, 4, v0
	v_lshlrev_b32_e32 v0, 4, v6
	v_lshl_add_u32 v78, v77, 2, v0
	v_mov_b32_e32 v0, 0x1000
	v_mov_b32_e32 v66, 0
	s_waitcnt vmcnt(0)
	ds_write_b32 v73, v8 offset:4096
	ds_write2st64_b32 v78, v5, v7 offset1:4
	v_lshl_add_u32 v79, v74, 4, v0
	s_mov_b32 s29, 0
	s_mov_b64 s[6:7], -1
	v_mov_b32_e32 v67, v66
	v_mov_b32_e32 v64, v66
	;; [unrolled: 1-line block ×63, first 2 shown]
	v_add_u32_e32 v80, 0x1000, v73
	v_lshlrev_b32_e32 v81, 4, v75
	s_waitcnt lgkmcnt(0)
	s_barrier
.LBB100_20:                             ; =>This Inner Loop Header: Depth=1
	v_cndmask_b32_e64 v0, 0, 1, s[6:7]
	s_lshl_b32 s6, s29, 2
	v_cmp_ne_u32_e32 vcc, 1, v0
	v_add_u32_e32 v0, s6, v79
	ds_read2_b64 v[84:87], v0 offset1:16
	ds_read2_b64 v[88:91], v0 offset0:32 offset1:48
	ds_read2_b64 v[92:95], v0 offset0:64 offset1:80
	;; [unrolled: 1-line block ×3, first 2 shown]
	v_add_u32_e32 v0, s6, v81
	ds_read2st64_b64 v[100:103], v0 offset1:1
	ds_read2st64_b64 v[0:3], v0 offset0:2 offset1:3
	s_waitcnt lgkmcnt(5)
	v_max_f32_e32 v104, v85, v85
	v_max_f32_e32 v86, v86, v86
	;; [unrolled: 1-line block ×3, first 2 shown]
	s_waitcnt lgkmcnt(1)
	v_max_f32_e32 v83, v100, v100
	v_max_f32_e32 v100, v84, v84
	;; [unrolled: 1-line block ×3, first 2 shown]
	v_min_f32_e32 v84, v100, v83
	v_min_f32_e32 v85, v104, v101
	v_pk_add_f32 v[66:67], v[66:67], v[84:85]
	v_min_f32_e32 v84, v86, v83
	v_min_f32_e32 v85, v87, v101
	v_max_f32_e32 v88, v88, v88
	v_max_f32_e32 v89, v89, v89
	v_pk_add_f32 v[64:65], v[64:65], v[84:85]
	v_min_f32_e32 v84, v88, v83
	v_min_f32_e32 v85, v89, v101
	v_max_f32_e32 v90, v90, v90
	v_max_f32_e32 v91, v91, v91
	;; [unrolled: 5-line block ×5, first 2 shown]
	v_pk_add_f32 v[56:57], v[56:57], v[84:85]
	v_min_f32_e32 v84, v96, v83
	v_min_f32_e32 v85, v97, v101
	v_max_f32_e32 v98, v98, v98
	v_pk_add_f32 v[54:55], v[54:55], v[84:85]
	v_min_f32_e32 v84, v98, v83
	v_max_f32_e32 v83, v99, v99
	v_min_f32_e32 v85, v83, v101
	v_max_f32_e32 v99, v102, v102
	v_max_f32_e32 v101, v103, v103
	v_pk_add_f32 v[52:53], v[52:53], v[84:85]
	v_min_f32_e32 v84, v100, v99
	v_min_f32_e32 v85, v104, v101
	v_pk_add_f32 v[50:51], v[50:51], v[84:85]
	v_min_f32_e32 v84, v86, v99
	v_min_f32_e32 v85, v87, v101
	v_pk_add_f32 v[48:49], v[48:49], v[84:85]
	v_min_f32_e32 v84, v88, v99
	v_min_f32_e32 v85, v89, v101
	v_pk_add_f32 v[46:47], v[46:47], v[84:85]
	v_min_f32_e32 v84, v90, v99
	v_min_f32_e32 v85, v91, v101
	v_pk_add_f32 v[44:45], v[44:45], v[84:85]
	v_min_f32_e32 v84, v92, v99
	v_min_f32_e32 v85, v93, v101
	v_pk_add_f32 v[42:43], v[42:43], v[84:85]
	v_min_f32_e32 v84, v94, v99
	v_min_f32_e32 v85, v95, v101
	v_pk_add_f32 v[40:41], v[40:41], v[84:85]
	v_min_f32_e32 v84, v96, v99
	v_min_f32_e32 v85, v97, v101
	v_pk_add_f32 v[38:39], v[38:39], v[84:85]
	v_min_f32_e32 v84, v98, v99
	v_min_f32_e32 v85, v83, v101
	v_pk_add_f32 v[36:37], v[36:37], v[84:85]
	s_waitcnt lgkmcnt(0)
	v_max_f32_e32 v84, v0, v0
	v_max_f32_e32 v85, v1, v1
	v_min_f32_e32 v0, v100, v84
	v_min_f32_e32 v1, v104, v85
	v_pk_add_f32 v[34:35], v[34:35], v[0:1]
	v_min_f32_e32 v0, v86, v84
	v_min_f32_e32 v1, v87, v85
	v_pk_add_f32 v[32:33], v[32:33], v[0:1]
	;; [unrolled: 3-line block ×7, first 2 shown]
	v_min_f32_e32 v0, v98, v84
	v_min_f32_e32 v1, v83, v85
	v_max_f32_e32 v2, v2, v2
	v_max_f32_e32 v3, v3, v3
	v_pk_add_f32 v[20:21], v[20:21], v[0:1]
	v_min_f32_e32 v0, v100, v2
	v_min_f32_e32 v1, v104, v3
	v_pk_add_f32 v[18:19], v[18:19], v[0:1]
	v_min_f32_e32 v0, v86, v2
	v_min_f32_e32 v1, v87, v3
	;; [unrolled: 3-line block ×8, first 2 shown]
	v_pk_add_f32 v[4:5], v[4:5], v[0:1]
	s_mov_b64 s[6:7], 0
	s_mov_b32 s29, 2
	s_cbranch_vccz .LBB100_20
; %bb.21:
	s_cmp_lt_i32 s22, 9
	ds_write_b32 v73, v82 offset:5120
	ds_write2st64_b32 v78, v72, v71 offset0:8 offset1:12
	s_waitcnt lgkmcnt(0)
	s_barrier
	s_cbranch_scc1 .LBB100_40
; %bb.22:
	v_mad_i64_i32 v[0:1], s[6:7], v70, s30, 0
	v_lshl_add_u64 v[70:71], v[0:1], 2, s[18:19]
	v_mov_b32_e32 v0, 0x1400
	v_lshl_add_u32 v84, v74, 4, v0
	v_mov_b32_e32 v0, 0x800
	v_add_u32_e32 v82, 0x1400, v73
	v_add_u32_e32 v83, 0x800, v78
	s_add_i32 s29, s22, -8
	v_lshl_add_u32 v85, v75, 4, v0
	s_mov_b32 s18, 8
	s_mov_b32 s19, 0
	v_mov_b32_e32 v73, 0
.LBB100_23:                             ; =>This Loop Header: Depth=1
                                        ;     Child Loop BB100_30 Depth 2
                                        ;     Child Loop BB100_38 Depth 2
	v_or_b32_e32 v72, s18, v76
	v_cmp_gt_i32_e32 vcc, s22, v72
	s_and_b64 s[30:31], vcc, s[16:17]
	v_mov_b32_e32 v88, 0
	s_and_saveexec_b64 s[6:7], s[30:31]
	s_cbranch_execz .LBB100_25
; %bb.24:                               ;   in Loop: Header=BB100_23 Depth=1
	v_lshl_add_u64 v[0:1], v[72:73], 2, v[70:71]
	global_load_dword v88, v[0:1], off
.LBB100_25:                             ;   in Loop: Header=BB100_23 Depth=1
	s_or_b64 exec, exec, s[6:7]
	v_add_u32_e32 v3, s18, v77
	v_mad_u64_u32 v[0:1], s[6:7], v3, s23, 0
	v_mov_b32_e32 v2, v1
	v_cmp_le_i32_e32 vcc, s22, v3
	v_mad_u64_u32 v[2:3], s[6:7], v3, s27, v[2:3]
	v_mov_b32_e32 v1, v2
	v_lshl_add_u64 v[0:1], v[0:1], 2, s[14:15]
	s_nor_b64 s[30:31], s[8:9], vcc
	v_mov_b32_e32 v86, 0
	v_lshl_add_u64 v[0:1], v[68:69], 2, v[0:1]
	v_mov_b32_e32 v87, 0
	s_and_saveexec_b64 s[6:7], s[30:31]
	s_cbranch_execz .LBB100_27
; %bb.26:                               ;   in Loop: Header=BB100_23 Depth=1
	global_load_dword v87, v[0:1], off
.LBB100_27:                             ;   in Loop: Header=BB100_23 Depth=1
	s_or_b64 exec, exec, s[6:7]
	s_nor_b64 s[30:31], s[4:5], vcc
	s_and_saveexec_b64 s[6:7], s[30:31]
	s_cbranch_execz .LBB100_29
; %bb.28:                               ;   in Loop: Header=BB100_23 Depth=1
	global_load_dword v86, v[0:1], off offset:256
.LBB100_29:                             ;   in Loop: Header=BB100_23 Depth=1
	s_or_b64 exec, exec, s[6:7]
	s_mov_b32 s30, 0
	s_mov_b64 s[6:7], -1
.LBB100_30:                             ;   Parent Loop BB100_23 Depth=1
                                        ; =>  This Inner Loop Header: Depth=2
	v_cndmask_b32_e64 v0, 0, 1, s[6:7]
	s_lshl_b32 s6, s30, 2
	v_cmp_ne_u32_e32 vcc, 1, v0
	v_add_u32_e32 v0, s6, v84
	ds_read2_b64 v[90:93], v0 offset1:16
	ds_read2_b64 v[94:97], v0 offset0:32 offset1:48
	ds_read2_b64 v[98:101], v0 offset0:64 offset1:80
	;; [unrolled: 1-line block ×3, first 2 shown]
	v_add_u32_e32 v0, s6, v85
	ds_read2st64_b64 v[106:109], v0 offset1:1
	ds_read2st64_b64 v[0:3], v0 offset0:2 offset1:3
	s_waitcnt lgkmcnt(5)
	v_max_f32_e32 v110, v91, v91
	v_max_f32_e32 v92, v92, v92
	;; [unrolled: 1-line block ×3, first 2 shown]
	s_waitcnt lgkmcnt(1)
	v_max_f32_e32 v89, v106, v106
	v_max_f32_e32 v106, v90, v90
	;; [unrolled: 1-line block ×3, first 2 shown]
	v_min_f32_e32 v90, v106, v89
	v_min_f32_e32 v91, v110, v107
	v_pk_add_f32 v[66:67], v[66:67], v[90:91]
	v_min_f32_e32 v90, v92, v89
	v_min_f32_e32 v91, v93, v107
	v_max_f32_e32 v94, v94, v94
	v_max_f32_e32 v95, v95, v95
	v_pk_add_f32 v[64:65], v[64:65], v[90:91]
	v_min_f32_e32 v90, v94, v89
	v_min_f32_e32 v91, v95, v107
	v_max_f32_e32 v96, v96, v96
	v_max_f32_e32 v97, v97, v97
	;; [unrolled: 5-line block ×5, first 2 shown]
	v_pk_add_f32 v[56:57], v[56:57], v[90:91]
	v_min_f32_e32 v90, v102, v89
	v_min_f32_e32 v91, v103, v107
	v_max_f32_e32 v104, v104, v104
	v_pk_add_f32 v[54:55], v[54:55], v[90:91]
	v_min_f32_e32 v90, v104, v89
	v_max_f32_e32 v89, v105, v105
	v_min_f32_e32 v91, v89, v107
	v_max_f32_e32 v105, v108, v108
	v_max_f32_e32 v107, v109, v109
	v_pk_add_f32 v[52:53], v[52:53], v[90:91]
	v_min_f32_e32 v90, v106, v105
	v_min_f32_e32 v91, v110, v107
	v_pk_add_f32 v[50:51], v[50:51], v[90:91]
	v_min_f32_e32 v90, v92, v105
	v_min_f32_e32 v91, v93, v107
	;; [unrolled: 3-line block ×8, first 2 shown]
	v_pk_add_f32 v[36:37], v[36:37], v[90:91]
	s_waitcnt lgkmcnt(0)
	v_max_f32_e32 v90, v0, v0
	v_max_f32_e32 v91, v1, v1
	v_min_f32_e32 v0, v106, v90
	v_min_f32_e32 v1, v110, v91
	v_pk_add_f32 v[34:35], v[34:35], v[0:1]
	v_min_f32_e32 v0, v92, v90
	v_min_f32_e32 v1, v93, v91
	v_pk_add_f32 v[32:33], v[32:33], v[0:1]
	;; [unrolled: 3-line block ×7, first 2 shown]
	v_min_f32_e32 v0, v104, v90
	v_min_f32_e32 v1, v89, v91
	v_max_f32_e32 v2, v2, v2
	v_max_f32_e32 v3, v3, v3
	v_pk_add_f32 v[20:21], v[20:21], v[0:1]
	v_min_f32_e32 v0, v106, v2
	v_min_f32_e32 v1, v110, v3
	v_pk_add_f32 v[18:19], v[18:19], v[0:1]
	v_min_f32_e32 v0, v92, v2
	v_min_f32_e32 v1, v93, v3
	;; [unrolled: 3-line block ×8, first 2 shown]
	v_pk_add_f32 v[4:5], v[4:5], v[0:1]
	s_mov_b64 s[6:7], 0
	s_mov_b32 s30, 2
	s_cbranch_vccz .LBB100_30
; %bb.31:                               ;   in Loop: Header=BB100_23 Depth=1
	v_or_b32_e32 v0, 4, v72
	v_cmp_gt_i32_e32 vcc, s22, v0
	s_waitcnt vmcnt(0)
	ds_write_b32 v80, v88
	ds_write2st64_b32 v78, v87, v86 offset1:4
	s_and_b64 s[30:31], vcc, s[16:17]
	v_mov_b32_e32 v86, 0
	v_mov_b32_e32 v87, 0
	s_waitcnt lgkmcnt(0)
	s_barrier
	s_and_saveexec_b64 s[6:7], s[30:31]
	s_cbranch_execz .LBB100_33
; %bb.32:                               ;   in Loop: Header=BB100_23 Depth=1
	v_lshl_add_u64 v[0:1], v[72:73], 2, v[70:71]
	global_load_dword v87, v[0:1], off offset:16
.LBB100_33:                             ;   in Loop: Header=BB100_23 Depth=1
	s_or_b64 exec, exec, s[6:7]
	v_add3_u32 v3, v77, s18, 4
	v_mad_u64_u32 v[0:1], s[6:7], v3, s23, 0
	v_mov_b32_e32 v2, v1
	v_cmp_le_i32_e32 vcc, s22, v3
	v_mad_u64_u32 v[2:3], s[6:7], v3, s27, v[2:3]
	v_mov_b32_e32 v1, v2
	v_lshl_add_u64 v[0:1], v[0:1], 2, s[14:15]
	s_nor_b64 s[30:31], s[8:9], vcc
	v_lshl_add_u64 v[0:1], v[68:69], 2, v[0:1]
	s_and_saveexec_b64 s[6:7], s[30:31]
	s_cbranch_execz .LBB100_35
; %bb.34:                               ;   in Loop: Header=BB100_23 Depth=1
	global_load_dword v86, v[0:1], off
.LBB100_35:                             ;   in Loop: Header=BB100_23 Depth=1
	s_or_b64 exec, exec, s[6:7]
	s_nor_b64 s[30:31], s[4:5], vcc
	v_mov_b32_e32 v72, 0
	s_and_saveexec_b64 s[6:7], s[30:31]
	s_cbranch_execz .LBB100_37
; %bb.36:                               ;   in Loop: Header=BB100_23 Depth=1
	global_load_dword v72, v[0:1], off offset:256
.LBB100_37:                             ;   in Loop: Header=BB100_23 Depth=1
	s_or_b64 exec, exec, s[6:7]
	s_mov_b32 s30, 0
	s_mov_b64 s[6:7], -1
.LBB100_38:                             ;   Parent Loop BB100_23 Depth=1
                                        ; =>  This Inner Loop Header: Depth=2
	v_cndmask_b32_e64 v0, 0, 1, s[6:7]
	s_lshl_b32 s6, s30, 2
	v_cmp_ne_u32_e32 vcc, 1, v0
	v_add_u32_e32 v0, s6, v79
	ds_read2_b64 v[88:91], v0 offset1:16
	ds_read2_b64 v[92:95], v0 offset0:32 offset1:48
	ds_read2_b64 v[96:99], v0 offset0:64 offset1:80
	;; [unrolled: 1-line block ×3, first 2 shown]
	v_add_u32_e32 v0, s6, v81
	ds_read2st64_b64 v[104:107], v0 offset1:1
	ds_read2st64_b64 v[0:3], v0 offset0:2 offset1:3
	s_waitcnt lgkmcnt(5)
	v_max_f32_e32 v108, v88, v88
	v_max_f32_e32 v109, v89, v89
	;; [unrolled: 1-line block ×3, first 2 shown]
	s_waitcnt lgkmcnt(1)
	v_max_f32_e32 v104, v104, v104
	v_max_f32_e32 v105, v105, v105
	v_min_f32_e32 v88, v108, v104
	v_min_f32_e32 v89, v109, v105
	v_max_f32_e32 v91, v91, v91
	v_pk_add_f32 v[66:67], v[66:67], v[88:89]
	v_min_f32_e32 v88, v90, v104
	v_min_f32_e32 v89, v91, v105
	v_max_f32_e32 v92, v92, v92
	v_max_f32_e32 v93, v93, v93
	v_pk_add_f32 v[64:65], v[64:65], v[88:89]
	v_min_f32_e32 v88, v92, v104
	v_min_f32_e32 v89, v93, v105
	v_max_f32_e32 v94, v94, v94
	;; [unrolled: 5-line block ×7, first 2 shown]
	v_max_f32_e32 v105, v107, v107
	v_pk_add_f32 v[52:53], v[52:53], v[88:89]
	v_min_f32_e32 v88, v108, v104
	v_min_f32_e32 v89, v109, v105
	v_pk_add_f32 v[50:51], v[50:51], v[88:89]
	v_min_f32_e32 v88, v90, v104
	v_min_f32_e32 v89, v91, v105
	;; [unrolled: 3-line block ×8, first 2 shown]
	v_pk_add_f32 v[36:37], v[36:37], v[88:89]
	s_waitcnt lgkmcnt(0)
	v_max_f32_e32 v88, v0, v0
	v_max_f32_e32 v89, v1, v1
	v_min_f32_e32 v0, v108, v88
	v_min_f32_e32 v1, v109, v89
	v_pk_add_f32 v[34:35], v[34:35], v[0:1]
	v_min_f32_e32 v0, v90, v88
	v_min_f32_e32 v1, v91, v89
	v_pk_add_f32 v[32:33], v[32:33], v[0:1]
	;; [unrolled: 3-line block ×7, first 2 shown]
	v_min_f32_e32 v0, v102, v88
	v_min_f32_e32 v1, v103, v89
	v_max_f32_e32 v2, v2, v2
	v_max_f32_e32 v3, v3, v3
	v_pk_add_f32 v[20:21], v[20:21], v[0:1]
	v_min_f32_e32 v0, v108, v2
	v_min_f32_e32 v1, v109, v3
	v_pk_add_f32 v[18:19], v[18:19], v[0:1]
	v_min_f32_e32 v0, v90, v2
	v_min_f32_e32 v1, v91, v3
	;; [unrolled: 3-line block ×8, first 2 shown]
	v_pk_add_f32 v[4:5], v[4:5], v[0:1]
	s_mov_b64 s[6:7], 0
	s_mov_b32 s30, 2
	s_cbranch_vccz .LBB100_38
; %bb.39:                               ;   in Loop: Header=BB100_23 Depth=1
	s_add_i32 s18, s18, 8
	s_add_i32 s19, s19, 8
	s_cmp_ge_i32 s19, s29
	s_waitcnt vmcnt(0)
	ds_write_b32 v82, v87
	ds_write2st64_b32 v83, v86, v72 offset1:4
	s_waitcnt lgkmcnt(0)
	s_barrier
	s_cbranch_scc0 .LBB100_23
.LBB100_40:
	v_mov_b32_e32 v0, 0x1400
	v_lshl_add_u32 v68, v74, 4, v0
	v_mov_b32_e32 v0, 0x800
	v_lshl_add_u32 v69, v75, 4, v0
	s_mov_b32 s6, 0
	s_mov_b64 s[4:5], -1
.LBB100_41:                             ; =>This Inner Loop Header: Depth=1
	v_cndmask_b32_e64 v0, 0, 1, s[4:5]
	s_lshl_b32 s4, s6, 2
	v_cmp_ne_u32_e32 vcc, 1, v0
	v_add_u32_e32 v0, s4, v68
	ds_read2_b64 v[70:73], v0 offset1:16
	ds_read2_b64 v[76:79], v0 offset0:32 offset1:48
	ds_read2_b64 v[80:83], v0 offset0:64 offset1:80
	;; [unrolled: 1-line block ×3, first 2 shown]
	v_add_u32_e32 v0, s4, v69
	ds_read2st64_b64 v[88:91], v0 offset1:1
	ds_read2st64_b64 v[0:3], v0 offset0:2 offset1:3
	s_waitcnt lgkmcnt(5)
	v_max_f32_e32 v92, v70, v70
	v_max_f32_e32 v93, v71, v71
	;; [unrolled: 1-line block ×3, first 2 shown]
	s_waitcnt lgkmcnt(1)
	v_max_f32_e32 v88, v88, v88
	v_max_f32_e32 v89, v89, v89
	v_min_f32_e32 v70, v92, v88
	v_min_f32_e32 v71, v93, v89
	v_max_f32_e32 v73, v73, v73
	v_pk_add_f32 v[66:67], v[66:67], v[70:71]
	v_min_f32_e32 v70, v72, v88
	v_min_f32_e32 v71, v73, v89
	v_max_f32_e32 v76, v76, v76
	v_max_f32_e32 v77, v77, v77
	v_pk_add_f32 v[64:65], v[64:65], v[70:71]
	v_min_f32_e32 v70, v76, v88
	v_min_f32_e32 v71, v77, v89
	v_max_f32_e32 v78, v78, v78
	;; [unrolled: 5-line block ×7, first 2 shown]
	v_max_f32_e32 v89, v91, v91
	v_pk_add_f32 v[52:53], v[52:53], v[70:71]
	v_min_f32_e32 v70, v92, v88
	v_min_f32_e32 v71, v93, v89
	v_pk_add_f32 v[50:51], v[50:51], v[70:71]
	v_min_f32_e32 v70, v72, v88
	v_min_f32_e32 v71, v73, v89
	;; [unrolled: 3-line block ×8, first 2 shown]
	v_pk_add_f32 v[36:37], v[36:37], v[70:71]
	s_waitcnt lgkmcnt(0)
	v_max_f32_e32 v70, v0, v0
	v_max_f32_e32 v71, v1, v1
	v_min_f32_e32 v0, v92, v70
	v_min_f32_e32 v1, v93, v71
	v_pk_add_f32 v[34:35], v[34:35], v[0:1]
	v_min_f32_e32 v0, v72, v70
	v_min_f32_e32 v1, v73, v71
	v_pk_add_f32 v[32:33], v[32:33], v[0:1]
	;; [unrolled: 3-line block ×7, first 2 shown]
	v_min_f32_e32 v0, v86, v70
	v_min_f32_e32 v1, v87, v71
	v_max_f32_e32 v2, v2, v2
	v_max_f32_e32 v3, v3, v3
	v_pk_add_f32 v[20:21], v[20:21], v[0:1]
	v_min_f32_e32 v0, v92, v2
	v_min_f32_e32 v1, v93, v3
	v_pk_add_f32 v[18:19], v[18:19], v[0:1]
	v_min_f32_e32 v0, v72, v2
	v_min_f32_e32 v1, v73, v3
	;; [unrolled: 3-line block ×8, first 2 shown]
	v_pk_add_f32 v[4:5], v[4:5], v[0:1]
	s_mov_b64 s[4:5], 0
	s_mov_b32 s6, 2
	s_cbranch_vccz .LBB100_41
; %bb.42:
	s_load_dwordx2 s[4:5], s[0:1], 0x70
	s_load_dword s30, s[0:1], 0x50
	s_load_dword s29, s[0:1], 0x68
	v_add_u32_e32 v72, s26, v75
	v_add_u32_e32 v0, s2, v74
	s_waitcnt lgkmcnt(0)
	s_mul_i32 s1, s5, s3
	s_mul_hi_u32 s5, s4, s3
	s_mul_i32 s0, s4, s3
	s_add_i32 s1, s5, s1
	s_lshl_b64 s[0:1], s[0:1], 2
	s_add_u32 s22, s10, s0
	s_addc_u32 s23, s11, s1
	v_mad_i64_i32 v[2:3], s[0:1], v72, s30, 0
	v_lshl_add_u64 v[70:71], v[2:3], 2, s[24:25]
	v_mad_i64_i32 v[2:3], s[0:1], v72, s29, 0
	v_cmp_gt_i32_e64 s[18:19], s21, v72
	v_lshl_add_u64 v[68:69], v[2:3], 2, s[22:23]
	v_cmp_gt_i32_e64 s[2:3], s20, v0
	v_cndmask_b32_e64 v2, 0, 1, s[12:13]
	s_and_b64 s[6:7], s[2:3], s[18:19]
	v_ashrrev_i32_e32 v1, 31, v0
	v_cmp_ne_u32_e64 s[0:1], 1, v2
	s_and_saveexec_b64 s[4:5], s[6:7]
	s_cbranch_execz .LBB100_48
; %bb.43:
	s_and_b64 vcc, exec, s[0:1]
	s_cbranch_vccnz .LBB100_46
; %bb.44:
	v_lshl_add_u64 v[2:3], v[0:1], 2, v[70:71]
	global_load_dword v2, v[2:3], off
	s_waitcnt vmcnt(0)
	v_mul_f32_e32 v2, s28, v2
	s_branch .LBB100_47
.LBB100_45:
	s_mov_b64 s[18:19], 0
	s_andn2_b64 vcc, exec, s[8:9]
	s_mov_b64 s[4:5], -1
	s_cbranch_vccz .LBB100_2
	s_branch .LBB100_3
.LBB100_46:
	v_mov_b32_e32 v2, 0
.LBB100_47:
	v_add_f32_e32 v3, v66, v67
	v_add_f32_e32 v66, v3, v2
	v_lshl_add_u64 v[2:3], v[0:1], 2, v[68:69]
	global_store_dword v[2:3], v66, off
.LBB100_48:
	s_or_b64 exec, exec, s[4:5]
	v_add_u32_e32 v2, 8, v0
	v_cmp_gt_i32_e64 s[4:5], s20, v2
	s_and_b64 s[8:9], s[4:5], s[18:19]
	v_ashrrev_i32_e32 v3, 31, v2
	s_and_saveexec_b64 s[6:7], s[8:9]
	s_cbranch_execz .LBB100_53
; %bb.49:
	s_and_b64 vcc, exec, s[0:1]
	s_cbranch_vccnz .LBB100_51
; %bb.50:
	v_lshl_add_u64 v[66:67], v[2:3], 2, v[70:71]
	global_load_dword v66, v[66:67], off
	s_waitcnt vmcnt(0)
	v_mul_f32_e32 v66, s28, v66
	s_branch .LBB100_52
.LBB100_51:
	v_mov_b32_e32 v66, 0
.LBB100_52:
	v_add_f32_e32 v64, v64, v65
	v_add_f32_e32 v66, v64, v66
	v_lshl_add_u64 v[64:65], v[2:3], 2, v[68:69]
	global_store_dword v[64:65], v66, off
.LBB100_53:
	s_or_b64 exec, exec, s[6:7]
	v_add_u32_e32 v64, 16, v0
	v_cmp_gt_i32_e64 s[6:7], s20, v64
	s_and_b64 s[10:11], s[6:7], s[18:19]
	v_ashrrev_i32_e32 v65, 31, v64
	s_and_saveexec_b64 s[8:9], s[10:11]
	s_cbranch_execz .LBB100_58
; %bb.54:
	s_and_b64 vcc, exec, s[0:1]
	s_cbranch_vccnz .LBB100_56
; %bb.55:
	v_lshl_add_u64 v[66:67], v[64:65], 2, v[70:71]
	global_load_dword v66, v[66:67], off
	s_waitcnt vmcnt(0)
	v_mul_f32_e32 v66, s28, v66
	s_branch .LBB100_57
.LBB100_56:
	v_mov_b32_e32 v66, 0
.LBB100_57:
	v_add_f32_e32 v62, v62, v63
	v_add_f32_e32 v66, v62, v66
	v_lshl_add_u64 v[62:63], v[64:65], 2, v[68:69]
	global_store_dword v[62:63], v66, off
.LBB100_58:
	;; [unrolled: 24-line block ×7, first 2 shown]
	s_or_b64 exec, exec, s[18:19]
	v_add_u32_e32 v68, 32, v72
	v_mad_i64_i32 v[52:53], s[26:27], v68, s30, 0
	v_cmp_gt_i32_e64 s[18:19], s21, v68
	v_lshl_add_u64 v[66:67], v[52:53], 2, s[24:25]
	v_mad_i64_i32 v[52:53], s[26:27], v68, s29, 0
	v_lshl_add_u64 v[52:53], v[52:53], 2, s[22:23]
	s_and_b64 s[34:35], s[2:3], s[18:19]
	s_and_saveexec_b64 s[26:27], s[34:35]
	s_cbranch_execnz .LBB100_91
; %bb.84:
	s_or_b64 exec, exec, s[26:27]
	s_and_b64 s[34:35], s[4:5], s[18:19]
	s_and_saveexec_b64 s[26:27], s[34:35]
	s_cbranch_execnz .LBB100_95
.LBB100_85:
	s_or_b64 exec, exec, s[26:27]
	s_and_b64 s[34:35], s[6:7], s[18:19]
	s_and_saveexec_b64 s[26:27], s[34:35]
	s_cbranch_execnz .LBB100_99
.LBB100_86:
	s_or_b64 exec, exec, s[26:27]
	s_and_b64 s[34:35], s[8:9], s[18:19]
	s_and_saveexec_b64 s[26:27], s[34:35]
	s_cbranch_execnz .LBB100_103
.LBB100_87:
	s_or_b64 exec, exec, s[26:27]
	s_and_b64 s[34:35], s[10:11], s[18:19]
	s_and_saveexec_b64 s[26:27], s[34:35]
	s_cbranch_execnz .LBB100_107
.LBB100_88:
	s_or_b64 exec, exec, s[26:27]
	s_and_b64 s[34:35], s[12:13], s[18:19]
	s_and_saveexec_b64 s[26:27], s[34:35]
	s_cbranch_execnz .LBB100_111
.LBB100_89:
	s_or_b64 exec, exec, s[26:27]
	s_and_b64 s[34:35], s[14:15], s[18:19]
	s_and_saveexec_b64 s[26:27], s[34:35]
	s_cbranch_execnz .LBB100_115
.LBB100_90:
	s_or_b64 exec, exec, s[26:27]
	s_and_b64 s[26:27], s[16:17], s[18:19]
	s_and_saveexec_b64 s[18:19], s[26:27]
	s_cbranch_execnz .LBB100_119
	s_branch .LBB100_123
.LBB100_91:
	s_and_b64 vcc, exec, s[0:1]
	s_cbranch_vccnz .LBB100_93
; %bb.92:
	v_lshl_add_u64 v[68:69], v[0:1], 2, v[66:67]
	global_load_dword v68, v[68:69], off
	s_waitcnt vmcnt(0)
	v_mul_f32_e32 v68, s28, v68
	s_branch .LBB100_94
.LBB100_93:
	v_mov_b32_e32 v68, 0
.LBB100_94:
	v_add_f32_e32 v50, v50, v51
	v_add_f32_e32 v68, v50, v68
	v_lshl_add_u64 v[50:51], v[0:1], 2, v[52:53]
	global_store_dword v[50:51], v68, off
	s_or_b64 exec, exec, s[26:27]
	s_and_b64 s[34:35], s[4:5], s[18:19]
	s_and_saveexec_b64 s[26:27], s[34:35]
	s_cbranch_execz .LBB100_85
.LBB100_95:
	s_and_b64 vcc, exec, s[0:1]
	s_cbranch_vccnz .LBB100_97
; %bb.96:
	v_lshl_add_u64 v[50:51], v[2:3], 2, v[66:67]
	global_load_dword v50, v[50:51], off
	s_waitcnt vmcnt(0)
	v_mul_f32_e32 v50, s28, v50
	s_branch .LBB100_98
.LBB100_97:
	v_mov_b32_e32 v50, 0
.LBB100_98:
	v_add_f32_e32 v48, v48, v49
	v_add_f32_e32 v50, v48, v50
	v_lshl_add_u64 v[48:49], v[2:3], 2, v[52:53]
	global_store_dword v[48:49], v50, off
	s_or_b64 exec, exec, s[26:27]
	s_and_b64 s[34:35], s[6:7], s[18:19]
	s_and_saveexec_b64 s[26:27], s[34:35]
	s_cbranch_execz .LBB100_86
.LBB100_99:
	s_and_b64 vcc, exec, s[0:1]
	s_cbranch_vccnz .LBB100_101
; %bb.100:
	v_lshl_add_u64 v[48:49], v[64:65], 2, v[66:67]
	global_load_dword v48, v[48:49], off
	s_waitcnt vmcnt(0)
	v_mul_f32_e32 v48, s28, v48
	s_branch .LBB100_102
.LBB100_101:
	v_mov_b32_e32 v48, 0
.LBB100_102:
	v_add_f32_e32 v46, v46, v47
	v_add_f32_e32 v48, v46, v48
	v_lshl_add_u64 v[46:47], v[64:65], 2, v[52:53]
	global_store_dword v[46:47], v48, off
	s_or_b64 exec, exec, s[26:27]
	s_and_b64 s[34:35], s[8:9], s[18:19]
	s_and_saveexec_b64 s[26:27], s[34:35]
	s_cbranch_execz .LBB100_87
.LBB100_103:
	s_and_b64 vcc, exec, s[0:1]
	s_cbranch_vccnz .LBB100_105
; %bb.104:
	v_lshl_add_u64 v[46:47], v[62:63], 2, v[66:67]
	global_load_dword v46, v[46:47], off
	s_waitcnt vmcnt(0)
	v_mul_f32_e32 v46, s28, v46
	s_branch .LBB100_106
.LBB100_105:
	v_mov_b32_e32 v46, 0
.LBB100_106:
	v_add_f32_e32 v44, v44, v45
	v_add_f32_e32 v46, v44, v46
	v_lshl_add_u64 v[44:45], v[62:63], 2, v[52:53]
	global_store_dword v[44:45], v46, off
	s_or_b64 exec, exec, s[26:27]
	s_and_b64 s[34:35], s[10:11], s[18:19]
	s_and_saveexec_b64 s[26:27], s[34:35]
	s_cbranch_execz .LBB100_88
.LBB100_107:
	s_and_b64 vcc, exec, s[0:1]
	s_cbranch_vccnz .LBB100_109
; %bb.108:
	v_lshl_add_u64 v[44:45], v[60:61], 2, v[66:67]
	global_load_dword v44, v[44:45], off
	s_waitcnt vmcnt(0)
	v_mul_f32_e32 v44, s28, v44
	s_branch .LBB100_110
.LBB100_109:
	v_mov_b32_e32 v44, 0
.LBB100_110:
	v_add_f32_e32 v42, v42, v43
	v_add_f32_e32 v44, v42, v44
	v_lshl_add_u64 v[42:43], v[60:61], 2, v[52:53]
	global_store_dword v[42:43], v44, off
	s_or_b64 exec, exec, s[26:27]
	s_and_b64 s[34:35], s[12:13], s[18:19]
	s_and_saveexec_b64 s[26:27], s[34:35]
	s_cbranch_execz .LBB100_89
.LBB100_111:
	s_and_b64 vcc, exec, s[0:1]
	s_cbranch_vccnz .LBB100_113
; %bb.112:
	v_lshl_add_u64 v[42:43], v[58:59], 2, v[66:67]
	global_load_dword v42, v[42:43], off
	s_waitcnt vmcnt(0)
	v_mul_f32_e32 v42, s28, v42
	s_branch .LBB100_114
.LBB100_113:
	v_mov_b32_e32 v42, 0
.LBB100_114:
	v_add_f32_e32 v40, v40, v41
	v_add_f32_e32 v42, v40, v42
	v_lshl_add_u64 v[40:41], v[58:59], 2, v[52:53]
	global_store_dword v[40:41], v42, off
	s_or_b64 exec, exec, s[26:27]
	s_and_b64 s[34:35], s[14:15], s[18:19]
	s_and_saveexec_b64 s[26:27], s[34:35]
	s_cbranch_execz .LBB100_90
.LBB100_115:
	s_and_b64 vcc, exec, s[0:1]
	s_cbranch_vccnz .LBB100_117
; %bb.116:
	v_lshl_add_u64 v[40:41], v[56:57], 2, v[66:67]
	global_load_dword v40, v[40:41], off
	s_waitcnt vmcnt(0)
	v_mul_f32_e32 v40, s28, v40
	s_branch .LBB100_118
.LBB100_117:
	v_mov_b32_e32 v40, 0
.LBB100_118:
	v_add_f32_e32 v38, v38, v39
	v_add_f32_e32 v40, v38, v40
	v_lshl_add_u64 v[38:39], v[56:57], 2, v[52:53]
	global_store_dword v[38:39], v40, off
	s_or_b64 exec, exec, s[26:27]
	s_and_b64 s[26:27], s[16:17], s[18:19]
	s_and_saveexec_b64 s[18:19], s[26:27]
	s_cbranch_execz .LBB100_123
.LBB100_119:
	s_and_b64 vcc, exec, s[0:1]
	s_cbranch_vccnz .LBB100_121
; %bb.120:
	v_lshl_add_u64 v[38:39], v[54:55], 2, v[66:67]
	global_load_dword v38, v[38:39], off
	s_waitcnt vmcnt(0)
	v_mul_f32_e32 v38, s28, v38
	s_branch .LBB100_122
.LBB100_121:
	v_mov_b32_e32 v38, 0
.LBB100_122:
	v_add_f32_e32 v36, v36, v37
	v_add_f32_e32 v38, v36, v38
	v_lshl_add_u64 v[36:37], v[54:55], 2, v[52:53]
	global_store_dword v[36:37], v38, off
.LBB100_123:
	s_or_b64 exec, exec, s[18:19]
	v_add_u32_e32 v40, 64, v72
	v_mad_i64_i32 v[36:37], s[26:27], v40, s30, 0
	v_cmp_gt_i32_e64 s[18:19], s21, v40
	v_lshl_add_u64 v[38:39], v[36:37], 2, s[24:25]
	v_mad_i64_i32 v[36:37], s[26:27], v40, s29, 0
	v_lshl_add_u64 v[36:37], v[36:37], 2, s[22:23]
	s_and_b64 s[34:35], s[2:3], s[18:19]
	s_and_saveexec_b64 s[26:27], s[34:35]
	s_cbranch_execnz .LBB100_131
; %bb.124:
	s_or_b64 exec, exec, s[26:27]
	s_and_b64 s[34:35], s[4:5], s[18:19]
	s_and_saveexec_b64 s[26:27], s[34:35]
	s_cbranch_execnz .LBB100_135
.LBB100_125:
	s_or_b64 exec, exec, s[26:27]
	s_and_b64 s[34:35], s[6:7], s[18:19]
	s_and_saveexec_b64 s[26:27], s[34:35]
	s_cbranch_execnz .LBB100_139
.LBB100_126:
	s_or_b64 exec, exec, s[26:27]
	s_and_b64 s[34:35], s[8:9], s[18:19]
	s_and_saveexec_b64 s[26:27], s[34:35]
	s_cbranch_execnz .LBB100_143
.LBB100_127:
	s_or_b64 exec, exec, s[26:27]
	s_and_b64 s[34:35], s[10:11], s[18:19]
	s_and_saveexec_b64 s[26:27], s[34:35]
	s_cbranch_execnz .LBB100_147
.LBB100_128:
	s_or_b64 exec, exec, s[26:27]
	s_and_b64 s[34:35], s[12:13], s[18:19]
	s_and_saveexec_b64 s[26:27], s[34:35]
	s_cbranch_execnz .LBB100_151
.LBB100_129:
	s_or_b64 exec, exec, s[26:27]
	s_and_b64 s[34:35], s[14:15], s[18:19]
	s_and_saveexec_b64 s[26:27], s[34:35]
	s_cbranch_execnz .LBB100_155
.LBB100_130:
	s_or_b64 exec, exec, s[26:27]
	s_and_b64 s[26:27], s[16:17], s[18:19]
	s_and_saveexec_b64 s[18:19], s[26:27]
	s_cbranch_execnz .LBB100_159
	s_branch .LBB100_163
.LBB100_131:
	s_and_b64 vcc, exec, s[0:1]
	s_cbranch_vccnz .LBB100_133
; %bb.132:
	v_lshl_add_u64 v[40:41], v[0:1], 2, v[38:39]
	global_load_dword v40, v[40:41], off
	s_waitcnt vmcnt(0)
	v_mul_f32_e32 v40, s28, v40
	s_branch .LBB100_134
.LBB100_133:
	v_mov_b32_e32 v40, 0
.LBB100_134:
	v_add_f32_e32 v34, v34, v35
	v_add_f32_e32 v40, v34, v40
	v_lshl_add_u64 v[34:35], v[0:1], 2, v[36:37]
	global_store_dword v[34:35], v40, off
	s_or_b64 exec, exec, s[26:27]
	s_and_b64 s[34:35], s[4:5], s[18:19]
	s_and_saveexec_b64 s[26:27], s[34:35]
	s_cbranch_execz .LBB100_125
.LBB100_135:
	s_and_b64 vcc, exec, s[0:1]
	s_cbranch_vccnz .LBB100_137
; %bb.136:
	v_lshl_add_u64 v[34:35], v[2:3], 2, v[38:39]
	global_load_dword v34, v[34:35], off
	s_waitcnt vmcnt(0)
	v_mul_f32_e32 v34, s28, v34
	s_branch .LBB100_138
.LBB100_137:
	v_mov_b32_e32 v34, 0
.LBB100_138:
	v_add_f32_e32 v32, v32, v33
	v_add_f32_e32 v34, v32, v34
	v_lshl_add_u64 v[32:33], v[2:3], 2, v[36:37]
	global_store_dword v[32:33], v34, off
	s_or_b64 exec, exec, s[26:27]
	s_and_b64 s[34:35], s[6:7], s[18:19]
	s_and_saveexec_b64 s[26:27], s[34:35]
	s_cbranch_execz .LBB100_126
.LBB100_139:
	s_and_b64 vcc, exec, s[0:1]
	s_cbranch_vccnz .LBB100_141
; %bb.140:
	v_lshl_add_u64 v[32:33], v[64:65], 2, v[38:39]
	global_load_dword v32, v[32:33], off
	s_waitcnt vmcnt(0)
	v_mul_f32_e32 v32, s28, v32
	s_branch .LBB100_142
.LBB100_141:
	v_mov_b32_e32 v32, 0
.LBB100_142:
	v_add_f32_e32 v30, v30, v31
	v_add_f32_e32 v32, v30, v32
	v_lshl_add_u64 v[30:31], v[64:65], 2, v[36:37]
	global_store_dword v[30:31], v32, off
	s_or_b64 exec, exec, s[26:27]
	s_and_b64 s[34:35], s[8:9], s[18:19]
	s_and_saveexec_b64 s[26:27], s[34:35]
	s_cbranch_execz .LBB100_127
.LBB100_143:
	s_and_b64 vcc, exec, s[0:1]
	s_cbranch_vccnz .LBB100_145
; %bb.144:
	v_lshl_add_u64 v[30:31], v[62:63], 2, v[38:39]
	global_load_dword v30, v[30:31], off
	s_waitcnt vmcnt(0)
	v_mul_f32_e32 v30, s28, v30
	s_branch .LBB100_146
.LBB100_145:
	v_mov_b32_e32 v30, 0
.LBB100_146:
	v_add_f32_e32 v28, v28, v29
	v_add_f32_e32 v30, v28, v30
	v_lshl_add_u64 v[28:29], v[62:63], 2, v[36:37]
	global_store_dword v[28:29], v30, off
	s_or_b64 exec, exec, s[26:27]
	s_and_b64 s[34:35], s[10:11], s[18:19]
	s_and_saveexec_b64 s[26:27], s[34:35]
	s_cbranch_execz .LBB100_128
.LBB100_147:
	s_and_b64 vcc, exec, s[0:1]
	s_cbranch_vccnz .LBB100_149
; %bb.148:
	v_lshl_add_u64 v[28:29], v[60:61], 2, v[38:39]
	global_load_dword v28, v[28:29], off
	s_waitcnt vmcnt(0)
	v_mul_f32_e32 v28, s28, v28
	s_branch .LBB100_150
.LBB100_149:
	v_mov_b32_e32 v28, 0
.LBB100_150:
	v_add_f32_e32 v26, v26, v27
	v_add_f32_e32 v28, v26, v28
	v_lshl_add_u64 v[26:27], v[60:61], 2, v[36:37]
	global_store_dword v[26:27], v28, off
	s_or_b64 exec, exec, s[26:27]
	s_and_b64 s[34:35], s[12:13], s[18:19]
	s_and_saveexec_b64 s[26:27], s[34:35]
	s_cbranch_execz .LBB100_129
.LBB100_151:
	s_and_b64 vcc, exec, s[0:1]
	s_cbranch_vccnz .LBB100_153
; %bb.152:
	v_lshl_add_u64 v[26:27], v[58:59], 2, v[38:39]
	global_load_dword v26, v[26:27], off
	s_waitcnt vmcnt(0)
	v_mul_f32_e32 v26, s28, v26
	s_branch .LBB100_154
.LBB100_153:
	v_mov_b32_e32 v26, 0
.LBB100_154:
	v_add_f32_e32 v24, v24, v25
	v_add_f32_e32 v26, v24, v26
	v_lshl_add_u64 v[24:25], v[58:59], 2, v[36:37]
	global_store_dword v[24:25], v26, off
	s_or_b64 exec, exec, s[26:27]
	s_and_b64 s[34:35], s[14:15], s[18:19]
	s_and_saveexec_b64 s[26:27], s[34:35]
	s_cbranch_execz .LBB100_130
.LBB100_155:
	s_and_b64 vcc, exec, s[0:1]
	s_cbranch_vccnz .LBB100_157
; %bb.156:
	v_lshl_add_u64 v[24:25], v[56:57], 2, v[38:39]
	global_load_dword v24, v[24:25], off
	s_waitcnt vmcnt(0)
	v_mul_f32_e32 v24, s28, v24
	s_branch .LBB100_158
.LBB100_157:
	v_mov_b32_e32 v24, 0
.LBB100_158:
	v_add_f32_e32 v22, v22, v23
	v_add_f32_e32 v24, v22, v24
	v_lshl_add_u64 v[22:23], v[56:57], 2, v[36:37]
	global_store_dword v[22:23], v24, off
	s_or_b64 exec, exec, s[26:27]
	s_and_b64 s[26:27], s[16:17], s[18:19]
	s_and_saveexec_b64 s[18:19], s[26:27]
	s_cbranch_execz .LBB100_163
.LBB100_159:
	s_and_b64 vcc, exec, s[0:1]
	s_cbranch_vccnz .LBB100_161
; %bb.160:
	v_lshl_add_u64 v[22:23], v[54:55], 2, v[38:39]
	global_load_dword v22, v[22:23], off
	s_waitcnt vmcnt(0)
	v_mul_f32_e32 v22, s28, v22
	s_branch .LBB100_162
.LBB100_161:
	v_mov_b32_e32 v22, 0
.LBB100_162:
	v_add_f32_e32 v20, v20, v21
	v_add_f32_e32 v22, v20, v22
	v_lshl_add_u64 v[20:21], v[54:55], 2, v[36:37]
	global_store_dword v[20:21], v22, off
.LBB100_163:
	s_or_b64 exec, exec, s[18:19]
	v_add_u32_e32 v24, 0x60, v72
	v_cmp_gt_i32_e64 s[18:19], s21, v24
	v_mad_i64_i32 v[20:21], s[20:21], v24, s30, 0
	v_lshl_add_u64 v[22:23], v[20:21], 2, s[24:25]
	v_mad_i64_i32 v[20:21], s[20:21], v24, s29, 0
	v_lshl_add_u64 v[20:21], v[20:21], 2, s[22:23]
	s_and_b64 s[20:21], s[2:3], s[18:19]
	s_and_saveexec_b64 s[2:3], s[20:21]
	s_cbranch_execnz .LBB100_172
; %bb.164:
	s_or_b64 exec, exec, s[2:3]
	s_and_b64 s[4:5], s[4:5], s[18:19]
	s_and_saveexec_b64 s[2:3], s[4:5]
	s_cbranch_execnz .LBB100_176
.LBB100_165:
	s_or_b64 exec, exec, s[2:3]
	s_and_b64 s[4:5], s[6:7], s[18:19]
	s_and_saveexec_b64 s[2:3], s[4:5]
	s_cbranch_execnz .LBB100_180
.LBB100_166:
	s_or_b64 exec, exec, s[2:3]
	s_and_b64 s[4:5], s[8:9], s[18:19]
	s_and_saveexec_b64 s[2:3], s[4:5]
	s_cbranch_execnz .LBB100_184
.LBB100_167:
	s_or_b64 exec, exec, s[2:3]
	s_and_b64 s[4:5], s[10:11], s[18:19]
	s_and_saveexec_b64 s[2:3], s[4:5]
	s_cbranch_execnz .LBB100_188
.LBB100_168:
	s_or_b64 exec, exec, s[2:3]
	s_and_b64 s[4:5], s[12:13], s[18:19]
	s_and_saveexec_b64 s[2:3], s[4:5]
	s_cbranch_execnz .LBB100_192
.LBB100_169:
	s_or_b64 exec, exec, s[2:3]
	s_and_b64 s[4:5], s[14:15], s[18:19]
	s_and_saveexec_b64 s[2:3], s[4:5]
	s_cbranch_execnz .LBB100_196
.LBB100_170:
	s_or_b64 exec, exec, s[2:3]
	s_and_b64 s[2:3], s[16:17], s[18:19]
	s_and_saveexec_b64 s[4:5], s[2:3]
	s_cbranch_execnz .LBB100_200
.LBB100_171:
	s_endpgm
.LBB100_172:
	s_and_b64 vcc, exec, s[0:1]
	s_cbranch_vccnz .LBB100_174
; %bb.173:
	v_lshl_add_u64 v[24:25], v[0:1], 2, v[22:23]
	global_load_dword v24, v[24:25], off
	s_waitcnt vmcnt(0)
	v_mul_f32_e32 v24, s28, v24
	s_branch .LBB100_175
.LBB100_174:
	v_mov_b32_e32 v24, 0
.LBB100_175:
	v_add_f32_e32 v18, v18, v19
	v_add_f32_e32 v18, v18, v24
	v_lshl_add_u64 v[0:1], v[0:1], 2, v[20:21]
	global_store_dword v[0:1], v18, off
	s_or_b64 exec, exec, s[2:3]
	s_and_b64 s[4:5], s[4:5], s[18:19]
	s_and_saveexec_b64 s[2:3], s[4:5]
	s_cbranch_execz .LBB100_165
.LBB100_176:
	s_and_b64 vcc, exec, s[0:1]
	s_cbranch_vccnz .LBB100_178
; %bb.177:
	v_lshl_add_u64 v[0:1], v[2:3], 2, v[22:23]
	global_load_dword v0, v[0:1], off
	s_waitcnt vmcnt(0)
	v_mul_f32_e32 v0, s28, v0
	s_branch .LBB100_179
.LBB100_178:
	v_mov_b32_e32 v0, 0
.LBB100_179:
	v_add_f32_e32 v1, v16, v17
	v_add_f32_e32 v16, v1, v0
	v_lshl_add_u64 v[0:1], v[2:3], 2, v[20:21]
	global_store_dword v[0:1], v16, off
	s_or_b64 exec, exec, s[2:3]
	s_and_b64 s[4:5], s[6:7], s[18:19]
	s_and_saveexec_b64 s[2:3], s[4:5]
	s_cbranch_execz .LBB100_166
.LBB100_180:
	s_and_b64 vcc, exec, s[0:1]
	s_cbranch_vccnz .LBB100_182
; %bb.181:
	v_lshl_add_u64 v[0:1], v[64:65], 2, v[22:23]
	global_load_dword v0, v[0:1], off
	s_waitcnt vmcnt(0)
	v_mul_f32_e32 v0, s28, v0
	s_branch .LBB100_183
.LBB100_182:
	v_mov_b32_e32 v0, 0
.LBB100_183:
	v_add_f32_e32 v1, v14, v15
	v_add_f32_e32 v2, v1, v0
	v_lshl_add_u64 v[0:1], v[64:65], 2, v[20:21]
	global_store_dword v[0:1], v2, off
	s_or_b64 exec, exec, s[2:3]
	s_and_b64 s[4:5], s[8:9], s[18:19]
	s_and_saveexec_b64 s[2:3], s[4:5]
	s_cbranch_execz .LBB100_167
.LBB100_184:
	s_and_b64 vcc, exec, s[0:1]
	s_cbranch_vccnz .LBB100_186
; %bb.185:
	v_lshl_add_u64 v[0:1], v[62:63], 2, v[22:23]
	global_load_dword v0, v[0:1], off
	s_waitcnt vmcnt(0)
	v_mul_f32_e32 v0, s28, v0
	s_branch .LBB100_187
.LBB100_186:
	v_mov_b32_e32 v0, 0
.LBB100_187:
	v_add_f32_e32 v1, v12, v13
	v_add_f32_e32 v2, v1, v0
	v_lshl_add_u64 v[0:1], v[62:63], 2, v[20:21]
	global_store_dword v[0:1], v2, off
	s_or_b64 exec, exec, s[2:3]
	s_and_b64 s[4:5], s[10:11], s[18:19]
	s_and_saveexec_b64 s[2:3], s[4:5]
	s_cbranch_execz .LBB100_168
.LBB100_188:
	s_and_b64 vcc, exec, s[0:1]
	s_cbranch_vccnz .LBB100_190
; %bb.189:
	v_lshl_add_u64 v[0:1], v[60:61], 2, v[22:23]
	global_load_dword v0, v[0:1], off
	s_waitcnt vmcnt(0)
	v_mul_f32_e32 v0, s28, v0
	s_branch .LBB100_191
.LBB100_190:
	v_mov_b32_e32 v0, 0
.LBB100_191:
	v_add_f32_e32 v1, v10, v11
	v_add_f32_e32 v2, v1, v0
	v_lshl_add_u64 v[0:1], v[60:61], 2, v[20:21]
	global_store_dword v[0:1], v2, off
	s_or_b64 exec, exec, s[2:3]
	s_and_b64 s[4:5], s[12:13], s[18:19]
	s_and_saveexec_b64 s[2:3], s[4:5]
	s_cbranch_execz .LBB100_169
.LBB100_192:
	s_and_b64 vcc, exec, s[0:1]
	s_cbranch_vccnz .LBB100_194
; %bb.193:
	v_lshl_add_u64 v[0:1], v[58:59], 2, v[22:23]
	global_load_dword v0, v[0:1], off
	s_waitcnt vmcnt(0)
	v_mul_f32_e32 v0, s28, v0
	s_branch .LBB100_195
.LBB100_194:
	v_mov_b32_e32 v0, 0
.LBB100_195:
	v_add_f32_e32 v1, v8, v9
	v_add_f32_e32 v2, v1, v0
	v_lshl_add_u64 v[0:1], v[58:59], 2, v[20:21]
	global_store_dword v[0:1], v2, off
	s_or_b64 exec, exec, s[2:3]
	s_and_b64 s[4:5], s[14:15], s[18:19]
	s_and_saveexec_b64 s[2:3], s[4:5]
	s_cbranch_execz .LBB100_170
.LBB100_196:
	s_and_b64 vcc, exec, s[0:1]
	s_cbranch_vccnz .LBB100_198
; %bb.197:
	v_lshl_add_u64 v[0:1], v[56:57], 2, v[22:23]
	global_load_dword v0, v[0:1], off
	s_waitcnt vmcnt(0)
	v_mul_f32_e32 v0, s28, v0
	s_branch .LBB100_199
.LBB100_198:
	v_mov_b32_e32 v0, 0
.LBB100_199:
	v_add_f32_e32 v1, v6, v7
	v_add_f32_e32 v2, v1, v0
	v_lshl_add_u64 v[0:1], v[56:57], 2, v[20:21]
	global_store_dword v[0:1], v2, off
	s_or_b64 exec, exec, s[2:3]
	s_and_b64 s[2:3], s[16:17], s[18:19]
	s_and_saveexec_b64 s[4:5], s[2:3]
	s_cbranch_execz .LBB100_171
.LBB100_200:
	s_and_b64 vcc, exec, s[0:1]
	s_cbranch_vccnz .LBB100_202
; %bb.201:
	v_lshl_add_u64 v[0:1], v[54:55], 2, v[22:23]
	global_load_dword v0, v[0:1], off
	s_waitcnt vmcnt(0)
	v_mul_f32_e32 v0, s28, v0
	s_branch .LBB100_203
.LBB100_202:
	v_mov_b32_e32 v0, 0
.LBB100_203:
	v_add_f32_e32 v1, v4, v5
	v_add_f32_e32 v2, v1, v0
	v_lshl_add_u64 v[0:1], v[54:55], 2, v[20:21]
	global_store_dword v[0:1], v2, off
	s_endpgm
	.section	.rodata,"a",@progbits
	.p2align	6, 0x0
	.amdhsa_kernel _ZN12_GLOBAL__N_120geam_min_plus_kernelIf15HIP_vector_typeIfLj2EES2_Li8ELi32ELi64ELi128ELi4ELi4ELi64ELi64ELi4ELc84ELc84ELb1ELb1ELb0EfKffEEviiiT16_PT17_ilS6_ilS4_S6_ilPT18_ili26rocblas_geam_ex_operation_
		.amdhsa_group_segment_fixed_size 6144
		.amdhsa_private_segment_fixed_size 0
		.amdhsa_kernarg_size 128
		.amdhsa_user_sgpr_count 2
		.amdhsa_user_sgpr_dispatch_ptr 0
		.amdhsa_user_sgpr_queue_ptr 0
		.amdhsa_user_sgpr_kernarg_segment_ptr 1
		.amdhsa_user_sgpr_dispatch_id 0
		.amdhsa_user_sgpr_kernarg_preload_length 0
		.amdhsa_user_sgpr_kernarg_preload_offset 0
		.amdhsa_user_sgpr_private_segment_size 0
		.amdhsa_uses_dynamic_stack 0
		.amdhsa_enable_private_segment 0
		.amdhsa_system_sgpr_workgroup_id_x 1
		.amdhsa_system_sgpr_workgroup_id_y 0
		.amdhsa_system_sgpr_workgroup_id_z 1
		.amdhsa_system_sgpr_workgroup_info 0
		.amdhsa_system_vgpr_workitem_id 1
		.amdhsa_next_free_vgpr 111
		.amdhsa_next_free_sgpr 36
		.amdhsa_accum_offset 112
		.amdhsa_reserve_vcc 1
		.amdhsa_float_round_mode_32 0
		.amdhsa_float_round_mode_16_64 0
		.amdhsa_float_denorm_mode_32 3
		.amdhsa_float_denorm_mode_16_64 3
		.amdhsa_dx10_clamp 1
		.amdhsa_ieee_mode 1
		.amdhsa_fp16_overflow 0
		.amdhsa_tg_split 0
		.amdhsa_exception_fp_ieee_invalid_op 0
		.amdhsa_exception_fp_denorm_src 0
		.amdhsa_exception_fp_ieee_div_zero 0
		.amdhsa_exception_fp_ieee_overflow 0
		.amdhsa_exception_fp_ieee_underflow 0
		.amdhsa_exception_fp_ieee_inexact 0
		.amdhsa_exception_int_div_zero 0
	.end_amdhsa_kernel
	.section	.text._ZN12_GLOBAL__N_120geam_min_plus_kernelIf15HIP_vector_typeIfLj2EES2_Li8ELi32ELi64ELi128ELi4ELi4ELi64ELi64ELi4ELc84ELc84ELb1ELb1ELb0EfKffEEviiiT16_PT17_ilS6_ilS4_S6_ilPT18_ili26rocblas_geam_ex_operation_,"axG",@progbits,_ZN12_GLOBAL__N_120geam_min_plus_kernelIf15HIP_vector_typeIfLj2EES2_Li8ELi32ELi64ELi128ELi4ELi4ELi64ELi64ELi4ELc84ELc84ELb1ELb1ELb0EfKffEEviiiT16_PT17_ilS6_ilS4_S6_ilPT18_ili26rocblas_geam_ex_operation_,comdat
.Lfunc_end100:
	.size	_ZN12_GLOBAL__N_120geam_min_plus_kernelIf15HIP_vector_typeIfLj2EES2_Li8ELi32ELi64ELi128ELi4ELi4ELi64ELi64ELi4ELc84ELc84ELb1ELb1ELb0EfKffEEviiiT16_PT17_ilS6_ilS4_S6_ilPT18_ili26rocblas_geam_ex_operation_, .Lfunc_end100-_ZN12_GLOBAL__N_120geam_min_plus_kernelIf15HIP_vector_typeIfLj2EES2_Li8ELi32ELi64ELi128ELi4ELi4ELi64ELi64ELi4ELc84ELc84ELb1ELb1ELb0EfKffEEviiiT16_PT17_ilS6_ilS4_S6_ilPT18_ili26rocblas_geam_ex_operation_
                                        ; -- End function
	.set _ZN12_GLOBAL__N_120geam_min_plus_kernelIf15HIP_vector_typeIfLj2EES2_Li8ELi32ELi64ELi128ELi4ELi4ELi64ELi64ELi4ELc84ELc84ELb1ELb1ELb0EfKffEEviiiT16_PT17_ilS6_ilS4_S6_ilPT18_ili26rocblas_geam_ex_operation_.num_vgpr, 111
	.set _ZN12_GLOBAL__N_120geam_min_plus_kernelIf15HIP_vector_typeIfLj2EES2_Li8ELi32ELi64ELi128ELi4ELi4ELi64ELi64ELi4ELc84ELc84ELb1ELb1ELb0EfKffEEviiiT16_PT17_ilS6_ilS4_S6_ilPT18_ili26rocblas_geam_ex_operation_.num_agpr, 0
	.set _ZN12_GLOBAL__N_120geam_min_plus_kernelIf15HIP_vector_typeIfLj2EES2_Li8ELi32ELi64ELi128ELi4ELi4ELi64ELi64ELi4ELc84ELc84ELb1ELb1ELb0EfKffEEviiiT16_PT17_ilS6_ilS4_S6_ilPT18_ili26rocblas_geam_ex_operation_.numbered_sgpr, 36
	.set _ZN12_GLOBAL__N_120geam_min_plus_kernelIf15HIP_vector_typeIfLj2EES2_Li8ELi32ELi64ELi128ELi4ELi4ELi64ELi64ELi4ELc84ELc84ELb1ELb1ELb0EfKffEEviiiT16_PT17_ilS6_ilS4_S6_ilPT18_ili26rocblas_geam_ex_operation_.num_named_barrier, 0
	.set _ZN12_GLOBAL__N_120geam_min_plus_kernelIf15HIP_vector_typeIfLj2EES2_Li8ELi32ELi64ELi128ELi4ELi4ELi64ELi64ELi4ELc84ELc84ELb1ELb1ELb0EfKffEEviiiT16_PT17_ilS6_ilS4_S6_ilPT18_ili26rocblas_geam_ex_operation_.private_seg_size, 0
	.set _ZN12_GLOBAL__N_120geam_min_plus_kernelIf15HIP_vector_typeIfLj2EES2_Li8ELi32ELi64ELi128ELi4ELi4ELi64ELi64ELi4ELc84ELc84ELb1ELb1ELb0EfKffEEviiiT16_PT17_ilS6_ilS4_S6_ilPT18_ili26rocblas_geam_ex_operation_.uses_vcc, 1
	.set _ZN12_GLOBAL__N_120geam_min_plus_kernelIf15HIP_vector_typeIfLj2EES2_Li8ELi32ELi64ELi128ELi4ELi4ELi64ELi64ELi4ELc84ELc84ELb1ELb1ELb0EfKffEEviiiT16_PT17_ilS6_ilS4_S6_ilPT18_ili26rocblas_geam_ex_operation_.uses_flat_scratch, 0
	.set _ZN12_GLOBAL__N_120geam_min_plus_kernelIf15HIP_vector_typeIfLj2EES2_Li8ELi32ELi64ELi128ELi4ELi4ELi64ELi64ELi4ELc84ELc84ELb1ELb1ELb0EfKffEEviiiT16_PT17_ilS6_ilS4_S6_ilPT18_ili26rocblas_geam_ex_operation_.has_dyn_sized_stack, 0
	.set _ZN12_GLOBAL__N_120geam_min_plus_kernelIf15HIP_vector_typeIfLj2EES2_Li8ELi32ELi64ELi128ELi4ELi4ELi64ELi64ELi4ELc84ELc84ELb1ELb1ELb0EfKffEEviiiT16_PT17_ilS6_ilS4_S6_ilPT18_ili26rocblas_geam_ex_operation_.has_recursion, 0
	.set _ZN12_GLOBAL__N_120geam_min_plus_kernelIf15HIP_vector_typeIfLj2EES2_Li8ELi32ELi64ELi128ELi4ELi4ELi64ELi64ELi4ELc84ELc84ELb1ELb1ELb0EfKffEEviiiT16_PT17_ilS6_ilS4_S6_ilPT18_ili26rocblas_geam_ex_operation_.has_indirect_call, 0
	.section	.AMDGPU.csdata,"",@progbits
; Kernel info:
; codeLenInByte = 7820
; TotalNumSgprs: 42
; NumVgprs: 111
; NumAgprs: 0
; TotalNumVgprs: 111
; ScratchSize: 0
; MemoryBound: 0
; FloatMode: 240
; IeeeMode: 1
; LDSByteSize: 6144 bytes/workgroup (compile time only)
; SGPRBlocks: 5
; VGPRBlocks: 13
; NumSGPRsForWavesPerEU: 42
; NumVGPRsForWavesPerEU: 111
; AccumOffset: 112
; Occupancy: 4
; WaveLimiterHint : 0
; COMPUTE_PGM_RSRC2:SCRATCH_EN: 0
; COMPUTE_PGM_RSRC2:USER_SGPR: 2
; COMPUTE_PGM_RSRC2:TRAP_HANDLER: 0
; COMPUTE_PGM_RSRC2:TGID_X_EN: 1
; COMPUTE_PGM_RSRC2:TGID_Y_EN: 0
; COMPUTE_PGM_RSRC2:TGID_Z_EN: 1
; COMPUTE_PGM_RSRC2:TIDIG_COMP_CNT: 1
; COMPUTE_PGM_RSRC3_GFX90A:ACCUM_OFFSET: 27
; COMPUTE_PGM_RSRC3_GFX90A:TG_SPLIT: 0
	.section	.text._ZN12_GLOBAL__N_120geam_min_plus_kernelIf15HIP_vector_typeIfLj2EES2_Li8ELi32ELi64ELi128ELi4ELi4ELi64ELi64ELi4ELc84ELc84ELb0ELb1ELb0EfKffEEviiiT16_PT17_ilS6_ilS4_S6_ilPT18_ili26rocblas_geam_ex_operation_,"axG",@progbits,_ZN12_GLOBAL__N_120geam_min_plus_kernelIf15HIP_vector_typeIfLj2EES2_Li8ELi32ELi64ELi128ELi4ELi4ELi64ELi64ELi4ELc84ELc84ELb0ELb1ELb0EfKffEEviiiT16_PT17_ilS6_ilS4_S6_ilPT18_ili26rocblas_geam_ex_operation_,comdat
	.globl	_ZN12_GLOBAL__N_120geam_min_plus_kernelIf15HIP_vector_typeIfLj2EES2_Li8ELi32ELi64ELi128ELi4ELi4ELi64ELi64ELi4ELc84ELc84ELb0ELb1ELb0EfKffEEviiiT16_PT17_ilS6_ilS4_S6_ilPT18_ili26rocblas_geam_ex_operation_ ; -- Begin function _ZN12_GLOBAL__N_120geam_min_plus_kernelIf15HIP_vector_typeIfLj2EES2_Li8ELi32ELi64ELi128ELi4ELi4ELi64ELi64ELi4ELc84ELc84ELb0ELb1ELb0EfKffEEviiiT16_PT17_ilS6_ilS4_S6_ilPT18_ili26rocblas_geam_ex_operation_
	.p2align	8
	.type	_ZN12_GLOBAL__N_120geam_min_plus_kernelIf15HIP_vector_typeIfLj2EES2_Li8ELi32ELi64ELi128ELi4ELi4ELi64ELi64ELi4ELc84ELc84ELb0ELb1ELb0EfKffEEviiiT16_PT17_ilS6_ilS4_S6_ilPT18_ili26rocblas_geam_ex_operation_,@function
_ZN12_GLOBAL__N_120geam_min_plus_kernelIf15HIP_vector_typeIfLj2EES2_Li8ELi32ELi64ELi128ELi4ELi4ELi64ELi64ELi4ELc84ELc84ELb0ELb1ELb0EfKffEEviiiT16_PT17_ilS6_ilS4_S6_ilPT18_ili26rocblas_geam_ex_operation_: ; @_ZN12_GLOBAL__N_120geam_min_plus_kernelIf15HIP_vector_typeIfLj2EES2_Li8ELi32ELi64ELi128ELi4ELi4ELi64ELi64ELi4ELc84ELc84ELb0ELb1ELb0EfKffEEviiiT16_PT17_ilS6_ilS4_S6_ilPT18_ili26rocblas_geam_ex_operation_
; %bb.0:
	s_load_dwordx4 s[20:23], s[0:1], 0x0
	s_load_dwordx4 s[4:7], s[0:1], 0x20
	s_waitcnt lgkmcnt(0)
	v_cmp_eq_f32_e64 s[8:9], s23, 0
	v_cmp_neq_f32_e64 s[14:15], s23, 0
	s_and_b64 vcc, exec, s[8:9]
	s_cbranch_vccnz .LBB101_45
; %bb.1:
	s_load_dwordx2 s[10:11], s[0:1], 0x10
	s_mul_i32 s5, s5, s3
	s_mul_hi_u32 s12, s4, s3
	s_add_i32 s5, s12, s5
	s_mul_i32 s4, s4, s3
	s_lshl_b64 s[4:5], s[4:5], 2
	s_waitcnt lgkmcnt(0)
	s_add_u32 s26, s10, s4
	s_addc_u32 s27, s11, s5
	s_andn2_b64 vcc, exec, s[8:9]
	s_mov_b64 s[4:5], -1
	s_cbranch_vccnz .LBB101_3
.LBB101_2:
	s_mov_b64 s[4:5], 0
.LBB101_3:
	s_mov_b64 s[24:25], 0
	s_andn2_b64 vcc, exec, s[4:5]
	s_mov_b64 s[16:17], 0
	s_cbranch_vccnz .LBB101_5
; %bb.4:
	s_load_dwordx2 s[4:5], s[0:1], 0x38
	s_waitcnt lgkmcnt(0)
	s_mul_i32 s5, s5, s3
	s_mul_hi_u32 s8, s4, s3
	s_add_i32 s5, s8, s5
	s_mul_i32 s4, s4, s3
	s_lshl_b64 s[4:5], s[4:5], 2
	s_add_u32 s16, s6, s4
	s_addc_u32 s17, s7, s5
.LBB101_5:
	s_load_dword s30, s[0:1], 0x40
	s_load_dwordx4 s[8:11], s[0:1], 0x58
	s_waitcnt lgkmcnt(0)
	v_cmp_eq_f32_e64 s[4:5], s30, 0
	v_cmp_neq_f32_e64 s[12:13], s30, 0
	s_and_b64 vcc, exec, s[4:5]
	s_cbranch_vccnz .LBB101_7
; %bb.6:
	s_load_dwordx2 s[4:5], s[0:1], 0x48
	s_mul_i32 s6, s9, s3
	s_mul_hi_u32 s7, s8, s3
	s_add_i32 s7, s7, s6
	s_mul_i32 s6, s8, s3
	s_lshl_b64 s[6:7], s[6:7], 2
	s_waitcnt lgkmcnt(0)
	s_add_u32 s24, s4, s6
	s_addc_u32 s25, s5, s7
.LBB101_7:
	s_add_i32 s4, s20, -1
	s_ashr_i32 s5, s4, 31
	s_lshr_b32 s5, s5, 26
	s_add_i32 s4, s4, s5
	s_ashr_i32 s4, s4, 6
	s_add_i32 s5, s4, 1
	v_cvt_f32_u32_e32 v1, s5
	v_and_b32_e32 v74, 0x3ff, v0
	v_bfe_u32 v75, v0, 10, 10
	v_and_b32_e32 v76, 3, v0
	v_rcp_iflag_f32_e32 v1, v1
	s_not_b32 s4, s4
	v_lshl_add_u32 v2, v75, 3, v74
	s_load_dword s35, s[0:1], 0x18
	v_mul_f32_e32 v0, 0x4f7ffffe, v1
	v_cvt_u32_f32_e32 v0, v0
	v_lshrrev_b32_e32 v4, 2, v2
	v_cmp_gt_i32_e32 vcc, s22, v76
	v_mov_b32_e32 v5, 0
	v_readfirstlane_b32 s6, v0
	s_mul_i32 s4, s4, s6
	s_mul_hi_u32 s4, s6, s4
	s_add_i32 s6, s6, s4
	s_mul_hi_u32 s4, s2, s6
	s_mul_i32 s6, s4, s5
	s_sub_i32 s6, s2, s6
	s_add_i32 s7, s4, 1
	s_sub_i32 s8, s6, s5
	s_cmp_ge_u32 s6, s5
	s_cselect_b32 s4, s7, s4
	s_cselect_b32 s6, s8, s6
	s_add_i32 s7, s4, 1
	s_cmp_ge_u32 s6, s5
	s_cselect_b32 s6, s7, s4
	s_mul_i32 s4, s6, s5
	s_sub_i32 s2, s2, s4
	s_lshl_b32 s2, s2, 6
	v_add_u32_e32 v70, s2, v4
	v_cmp_gt_i32_e64 s[8:9], s20, v70
	s_and_b64 s[4:5], vcc, s[8:9]
	s_and_b64 s[18:19], s[14:15], s[4:5]
	v_lshlrev_b32_e32 v0, 2, v76
	v_mov_b32_e32 v6, 0
	s_and_saveexec_b64 s[4:5], s[18:19]
	s_cbranch_execz .LBB101_9
; %bb.8:
	s_waitcnt lgkmcnt(0)
	v_mad_i64_i32 v[6:7], s[18:19], v70, s35, 0
	v_lshl_add_u64 v[6:7], v[6:7], 2, s[26:27]
	v_mov_b32_e32 v1, 0
	v_lshl_add_u64 v[6:7], v[6:7], 0, v[0:1]
	global_load_dword v1, v[6:7], off
	s_waitcnt vmcnt(0)
	v_mul_f32_e32 v6, s23, v1
.LBB101_9:
	s_or_b64 exec, exec, s[4:5]
	s_load_dword s33, s[0:1], 0x30
	v_lshrrev_b32_e32 v77, 6, v2
	s_add_i32 s34, s22, -1
	v_and_b32_e32 v7, 63, v2
	s_lshl_b32 s31, s6, 7
	v_min_i32_e32 v1, s34, v77
	v_or_b32_e32 v68, s31, v7
	s_waitcnt lgkmcnt(0)
	v_mad_i64_i32 v[2:3], s[4:5], s33, v1, 0
	v_cmp_le_i32_e32 vcc, s22, v77
	v_cmp_le_i32_e64 s[4:5], s21, v68
	s_or_b64 s[6:7], s[4:5], vcc
	s_xor_b64 s[18:19], s[14:15], -1
	v_lshl_add_u64 v[2:3], v[2:3], 2, s[16:17]
	s_nor_b64 s[28:29], s[6:7], s[18:19]
	v_ashrrev_i32_e32 v69, 31, v68
	s_and_saveexec_b64 s[6:7], s[28:29]
	s_cbranch_execz .LBB101_11
; %bb.10:
	v_lshl_add_u64 v[8:9], v[68:69], 2, v[2:3]
	global_load_dword v1, v[8:9], off
	s_waitcnt vmcnt(0)
	v_mul_f32_e32 v5, s23, v1
.LBB101_11:
	s_or_b64 exec, exec, s[6:7]
	v_or_b32_e32 v1, 64, v68
	v_cmp_le_i32_e64 s[6:7], s21, v1
	s_or_b64 s[28:29], s[6:7], vcc
	s_nor_b64 s[36:37], s[28:29], s[18:19]
	v_mov_b32_e32 v71, 0
	v_mov_b32_e32 v8, 0
	s_and_saveexec_b64 s[28:29], s[36:37]
	s_cbranch_execz .LBB101_13
; %bb.12:
	v_lshl_add_u64 v[2:3], v[68:69], 2, v[2:3]
	global_load_dword v1, v[2:3], off offset:256
	s_waitcnt vmcnt(0)
	v_mul_f32_e32 v8, s23, v1
.LBB101_13:
	s_or_b64 exec, exec, s[28:29]
	v_or_b32_e32 v1, 4, v76
	v_cmp_gt_i32_e32 vcc, s22, v1
	s_and_b64 s[28:29], vcc, s[8:9]
	s_and_b64 s[36:37], s[14:15], s[28:29]
	s_and_saveexec_b64 s[28:29], s[36:37]
	s_cbranch_execz .LBB101_15
; %bb.14:
	v_mad_i64_i32 v[2:3], s[36:37], v70, s35, 0
	v_lshl_add_u64 v[2:3], v[2:3], 2, s[26:27]
	v_mov_b32_e32 v1, 0
	v_lshl_add_u64 v[2:3], v[2:3], 0, v[0:1]
	global_load_dword v1, v[2:3], off offset:16
	s_waitcnt vmcnt(0)
	v_mul_f32_e32 v71, s23, v1
.LBB101_15:
	s_or_b64 exec, exec, s[28:29]
	v_add_u32_e32 v1, 4, v77
	v_cmp_le_i32_e32 vcc, s22, v1
	v_min_i32_e32 v1, s34, v1
	v_mad_i64_i32 v[2:3], s[28:29], s33, v1, 0
	s_or_b64 s[28:29], s[4:5], vcc
	v_lshl_add_u64 v[2:3], v[2:3], 2, s[16:17]
	s_nor_b64 s[36:37], s[28:29], s[18:19]
	v_mov_b32_e32 v72, 0
	v_mov_b32_e32 v73, 0
	s_and_saveexec_b64 s[28:29], s[36:37]
	s_cbranch_execz .LBB101_17
; %bb.16:
	v_lshl_add_u64 v[10:11], v[68:69], 2, v[2:3]
	global_load_dword v1, v[10:11], off
	s_waitcnt vmcnt(0)
	v_mul_f32_e32 v73, s23, v1
.LBB101_17:
	s_or_b64 exec, exec, s[28:29]
	s_or_b64 s[28:29], s[6:7], vcc
	s_nor_b64 s[36:37], s[28:29], s[18:19]
	s_and_saveexec_b64 s[28:29], s[36:37]
	s_cbranch_execz .LBB101_19
; %bb.18:
	v_lshl_add_u64 v[2:3], v[68:69], 2, v[2:3]
	global_load_dword v1, v[2:3], off offset:256
	s_waitcnt vmcnt(0)
	v_mul_f32_e32 v72, s23, v1
.LBB101_19:
	s_or_b64 exec, exec, s[28:29]
	v_lshl_or_b32 v82, v4, 4, v0
	v_lshlrev_b32_e32 v0, 4, v7
	v_lshl_add_u32 v78, v77, 2, v0
	v_mov_b32_e32 v0, 0x1000
	v_mov_b32_e32 v66, 0
	ds_write_b32 v82, v6 offset:4096
	ds_write2st64_b32 v78, v5, v8 offset1:4
	v_lshl_add_u32 v79, v74, 4, v0
	s_mov_b32 s36, 0
	s_mov_b64 s[28:29], -1
	v_mov_b32_e32 v67, v66
	v_mov_b32_e32 v64, v66
	;; [unrolled: 1-line block ×63, first 2 shown]
	v_add_u32_e32 v80, 0x1000, v82
	v_lshlrev_b32_e32 v81, 4, v75
	s_waitcnt lgkmcnt(0)
	s_barrier
.LBB101_20:                             ; =>This Inner Loop Header: Depth=1
	v_cndmask_b32_e64 v0, 0, 1, s[28:29]
	s_lshl_b32 s28, s36, 2
	v_cmp_ne_u32_e32 vcc, 1, v0
	v_add_u32_e32 v0, s28, v79
	ds_read2_b64 v[84:87], v0 offset1:16
	ds_read2_b64 v[88:91], v0 offset0:32 offset1:48
	ds_read2_b64 v[92:95], v0 offset0:64 offset1:80
	;; [unrolled: 1-line block ×3, first 2 shown]
	v_add_u32_e32 v0, s28, v81
	ds_read2st64_b64 v[100:103], v0 offset1:1
	ds_read2st64_b64 v[0:3], v0 offset0:2 offset1:3
	s_waitcnt lgkmcnt(5)
	v_max_f32_e32 v104, v85, v85
	v_max_f32_e32 v86, v86, v86
	;; [unrolled: 1-line block ×3, first 2 shown]
	s_waitcnt lgkmcnt(1)
	v_max_f32_e32 v83, v100, v100
	v_max_f32_e32 v100, v84, v84
	;; [unrolled: 1-line block ×3, first 2 shown]
	v_min_f32_e32 v84, v100, v83
	v_min_f32_e32 v85, v104, v101
	v_pk_add_f32 v[66:67], v[66:67], v[84:85]
	v_min_f32_e32 v84, v86, v83
	v_min_f32_e32 v85, v87, v101
	v_max_f32_e32 v88, v88, v88
	v_max_f32_e32 v89, v89, v89
	v_pk_add_f32 v[64:65], v[64:65], v[84:85]
	v_min_f32_e32 v84, v88, v83
	v_min_f32_e32 v85, v89, v101
	v_max_f32_e32 v90, v90, v90
	v_max_f32_e32 v91, v91, v91
	;; [unrolled: 5-line block ×5, first 2 shown]
	v_pk_add_f32 v[56:57], v[56:57], v[84:85]
	v_min_f32_e32 v84, v96, v83
	v_min_f32_e32 v85, v97, v101
	v_max_f32_e32 v98, v98, v98
	v_pk_add_f32 v[54:55], v[54:55], v[84:85]
	v_min_f32_e32 v84, v98, v83
	v_max_f32_e32 v83, v99, v99
	v_min_f32_e32 v85, v83, v101
	v_max_f32_e32 v99, v102, v102
	v_max_f32_e32 v101, v103, v103
	v_pk_add_f32 v[52:53], v[52:53], v[84:85]
	v_min_f32_e32 v84, v100, v99
	v_min_f32_e32 v85, v104, v101
	v_pk_add_f32 v[50:51], v[50:51], v[84:85]
	v_min_f32_e32 v84, v86, v99
	v_min_f32_e32 v85, v87, v101
	;; [unrolled: 3-line block ×8, first 2 shown]
	v_pk_add_f32 v[36:37], v[36:37], v[84:85]
	s_waitcnt lgkmcnt(0)
	v_max_f32_e32 v84, v0, v0
	v_max_f32_e32 v85, v1, v1
	v_min_f32_e32 v0, v100, v84
	v_min_f32_e32 v1, v104, v85
	v_pk_add_f32 v[34:35], v[34:35], v[0:1]
	v_min_f32_e32 v0, v86, v84
	v_min_f32_e32 v1, v87, v85
	v_pk_add_f32 v[32:33], v[32:33], v[0:1]
	v_min_f32_e32 v0, v88, v84
	v_min_f32_e32 v1, v89, v85
	v_pk_add_f32 v[30:31], v[30:31], v[0:1]
	v_min_f32_e32 v0, v90, v84
	v_min_f32_e32 v1, v91, v85
	v_pk_add_f32 v[28:29], v[28:29], v[0:1]
	v_min_f32_e32 v0, v92, v84
	v_min_f32_e32 v1, v93, v85
	v_pk_add_f32 v[26:27], v[26:27], v[0:1]
	v_min_f32_e32 v0, v94, v84
	v_min_f32_e32 v1, v95, v85
	v_pk_add_f32 v[24:25], v[24:25], v[0:1]
	v_min_f32_e32 v0, v96, v84
	v_min_f32_e32 v1, v97, v85
	v_pk_add_f32 v[22:23], v[22:23], v[0:1]
	v_min_f32_e32 v0, v98, v84
	v_min_f32_e32 v1, v83, v85
	v_max_f32_e32 v2, v2, v2
	v_max_f32_e32 v3, v3, v3
	v_pk_add_f32 v[20:21], v[20:21], v[0:1]
	v_min_f32_e32 v0, v100, v2
	v_min_f32_e32 v1, v104, v3
	v_pk_add_f32 v[18:19], v[18:19], v[0:1]
	v_min_f32_e32 v0, v86, v2
	v_min_f32_e32 v1, v87, v3
	v_pk_add_f32 v[16:17], v[16:17], v[0:1]
	v_min_f32_e32 v0, v88, v2
	v_min_f32_e32 v1, v89, v3
	v_pk_add_f32 v[14:15], v[14:15], v[0:1]
	v_min_f32_e32 v0, v90, v2
	v_min_f32_e32 v1, v91, v3
	v_pk_add_f32 v[12:13], v[12:13], v[0:1]
	v_min_f32_e32 v0, v92, v2
	v_min_f32_e32 v1, v93, v3
	v_pk_add_f32 v[10:11], v[10:11], v[0:1]
	v_min_f32_e32 v0, v94, v2
	v_min_f32_e32 v1, v95, v3
	v_pk_add_f32 v[8:9], v[8:9], v[0:1]
	v_min_f32_e32 v0, v96, v2
	v_min_f32_e32 v1, v97, v3
	v_pk_add_f32 v[6:7], v[6:7], v[0:1]
	v_min_f32_e32 v0, v98, v2
	v_min_f32_e32 v1, v83, v3
	v_pk_add_f32 v[4:5], v[4:5], v[0:1]
	s_mov_b64 s[28:29], 0
	s_mov_b32 s36, 2
	s_cbranch_vccz .LBB101_20
; %bb.21:
	s_cmp_lt_i32 s22, 9
	ds_write_b32 v82, v71 offset:5120
	ds_write2st64_b32 v78, v73, v72 offset0:8 offset1:12
	s_waitcnt lgkmcnt(0)
	s_barrier
	s_cbranch_scc1 .LBB101_40
; %bb.22:
	v_mad_i64_i32 v[0:1], s[36:37], v70, s35, 0
	v_lshl_add_u64 v[70:71], v[0:1], 2, s[26:27]
	v_mov_b32_e32 v0, 0x1400
	v_lshl_add_u32 v84, v74, 4, v0
	v_mov_b32_e32 v0, 0x800
	v_add_u32_e32 v82, 0x1400, v82
	v_add_u32_e32 v83, 0x800, v78
	s_add_i32 s28, s22, -8
	v_lshl_add_u32 v85, v75, 4, v0
	s_mov_b32 s29, 8
	s_mov_b32 s35, 0
	v_mov_b32_e32 v73, 0
.LBB101_23:                             ; =>This Loop Header: Depth=1
                                        ;     Child Loop BB101_30 Depth 2
                                        ;     Child Loop BB101_38 Depth 2
	v_or_b32_e32 v72, s29, v76
	v_cmp_gt_i32_e32 vcc, s22, v72
	s_and_b64 s[26:27], vcc, s[8:9]
	s_and_b64 s[36:37], s[14:15], s[26:27]
	v_mov_b32_e32 v86, 0
	s_and_saveexec_b64 s[26:27], s[36:37]
	s_cbranch_execz .LBB101_25
; %bb.24:                               ;   in Loop: Header=BB101_23 Depth=1
	v_lshl_add_u64 v[0:1], v[72:73], 2, v[70:71]
	global_load_dword v0, v[0:1], off
	s_waitcnt vmcnt(0)
	v_mul_f32_e32 v86, s23, v0
.LBB101_25:                             ;   in Loop: Header=BB101_23 Depth=1
	s_or_b64 exec, exec, s[26:27]
	v_add_u32_e32 v0, s29, v77
	v_cmp_le_i32_e32 vcc, s22, v0
	v_min_i32_e32 v0, s34, v0
	v_mad_i64_i32 v[0:1], s[26:27], v0, s33, 0
	v_lshl_add_u64 v[0:1], v[0:1], 2, s[16:17]
	s_or_b64 s[26:27], s[4:5], vcc
	s_nor_b64 s[36:37], s[26:27], s[18:19]
	v_mov_b32_e32 v87, 0
	v_lshl_add_u64 v[0:1], v[68:69], 2, v[0:1]
	v_mov_b32_e32 v88, 0
	s_and_saveexec_b64 s[26:27], s[36:37]
	s_cbranch_execz .LBB101_27
; %bb.26:                               ;   in Loop: Header=BB101_23 Depth=1
	global_load_dword v2, v[0:1], off
	s_waitcnt vmcnt(0)
	v_mul_f32_e32 v88, s23, v2
.LBB101_27:                             ;   in Loop: Header=BB101_23 Depth=1
	s_or_b64 exec, exec, s[26:27]
	s_or_b64 s[26:27], s[6:7], vcc
	s_nor_b64 s[36:37], s[26:27], s[18:19]
	s_and_saveexec_b64 s[26:27], s[36:37]
	s_cbranch_execz .LBB101_29
; %bb.28:                               ;   in Loop: Header=BB101_23 Depth=1
	global_load_dword v0, v[0:1], off offset:256
	s_waitcnt vmcnt(0)
	v_mul_f32_e32 v87, s23, v0
.LBB101_29:                             ;   in Loop: Header=BB101_23 Depth=1
	s_or_b64 exec, exec, s[26:27]
	s_mov_b32 s36, 0
	s_mov_b64 s[26:27], -1
.LBB101_30:                             ;   Parent Loop BB101_23 Depth=1
                                        ; =>  This Inner Loop Header: Depth=2
	v_cndmask_b32_e64 v0, 0, 1, s[26:27]
	s_lshl_b32 s26, s36, 2
	v_cmp_ne_u32_e32 vcc, 1, v0
	v_add_u32_e32 v0, s26, v84
	ds_read2_b64 v[90:93], v0 offset1:16
	ds_read2_b64 v[94:97], v0 offset0:32 offset1:48
	ds_read2_b64 v[98:101], v0 offset0:64 offset1:80
	;; [unrolled: 1-line block ×3, first 2 shown]
	v_add_u32_e32 v0, s26, v85
	ds_read2st64_b64 v[106:109], v0 offset1:1
	ds_read2st64_b64 v[0:3], v0 offset0:2 offset1:3
	s_waitcnt lgkmcnt(5)
	v_max_f32_e32 v110, v91, v91
	v_max_f32_e32 v92, v92, v92
	;; [unrolled: 1-line block ×3, first 2 shown]
	s_waitcnt lgkmcnt(1)
	v_max_f32_e32 v89, v106, v106
	v_max_f32_e32 v106, v90, v90
	;; [unrolled: 1-line block ×3, first 2 shown]
	v_min_f32_e32 v90, v106, v89
	v_min_f32_e32 v91, v110, v107
	v_pk_add_f32 v[66:67], v[66:67], v[90:91]
	v_min_f32_e32 v90, v92, v89
	v_min_f32_e32 v91, v93, v107
	v_max_f32_e32 v94, v94, v94
	v_max_f32_e32 v95, v95, v95
	v_pk_add_f32 v[64:65], v[64:65], v[90:91]
	v_min_f32_e32 v90, v94, v89
	v_min_f32_e32 v91, v95, v107
	v_max_f32_e32 v96, v96, v96
	v_max_f32_e32 v97, v97, v97
	;; [unrolled: 5-line block ×5, first 2 shown]
	v_pk_add_f32 v[56:57], v[56:57], v[90:91]
	v_min_f32_e32 v90, v102, v89
	v_min_f32_e32 v91, v103, v107
	v_max_f32_e32 v104, v104, v104
	v_pk_add_f32 v[54:55], v[54:55], v[90:91]
	v_min_f32_e32 v90, v104, v89
	v_max_f32_e32 v89, v105, v105
	v_min_f32_e32 v91, v89, v107
	v_max_f32_e32 v105, v108, v108
	v_max_f32_e32 v107, v109, v109
	v_pk_add_f32 v[52:53], v[52:53], v[90:91]
	v_min_f32_e32 v90, v106, v105
	v_min_f32_e32 v91, v110, v107
	v_pk_add_f32 v[50:51], v[50:51], v[90:91]
	v_min_f32_e32 v90, v92, v105
	v_min_f32_e32 v91, v93, v107
	;; [unrolled: 3-line block ×8, first 2 shown]
	v_pk_add_f32 v[36:37], v[36:37], v[90:91]
	s_waitcnt lgkmcnt(0)
	v_max_f32_e32 v90, v0, v0
	v_max_f32_e32 v91, v1, v1
	v_min_f32_e32 v0, v106, v90
	v_min_f32_e32 v1, v110, v91
	v_pk_add_f32 v[34:35], v[34:35], v[0:1]
	v_min_f32_e32 v0, v92, v90
	v_min_f32_e32 v1, v93, v91
	v_pk_add_f32 v[32:33], v[32:33], v[0:1]
	;; [unrolled: 3-line block ×7, first 2 shown]
	v_min_f32_e32 v0, v104, v90
	v_min_f32_e32 v1, v89, v91
	v_max_f32_e32 v2, v2, v2
	v_max_f32_e32 v3, v3, v3
	v_pk_add_f32 v[20:21], v[20:21], v[0:1]
	v_min_f32_e32 v0, v106, v2
	v_min_f32_e32 v1, v110, v3
	v_pk_add_f32 v[18:19], v[18:19], v[0:1]
	v_min_f32_e32 v0, v92, v2
	v_min_f32_e32 v1, v93, v3
	;; [unrolled: 3-line block ×8, first 2 shown]
	v_pk_add_f32 v[4:5], v[4:5], v[0:1]
	s_mov_b64 s[26:27], 0
	s_mov_b32 s36, 2
	s_cbranch_vccz .LBB101_30
; %bb.31:                               ;   in Loop: Header=BB101_23 Depth=1
	v_or_b32_e32 v0, 4, v72
	v_cmp_gt_i32_e32 vcc, s22, v0
	s_and_b64 s[26:27], vcc, s[8:9]
	ds_write_b32 v80, v86
	ds_write2st64_b32 v78, v88, v87 offset1:4
	s_and_b64 s[36:37], s[14:15], s[26:27]
	v_mov_b32_e32 v86, 0
	v_mov_b32_e32 v87, 0
	s_waitcnt lgkmcnt(0)
	s_barrier
	s_and_saveexec_b64 s[26:27], s[36:37]
	s_cbranch_execz .LBB101_33
; %bb.32:                               ;   in Loop: Header=BB101_23 Depth=1
	v_lshl_add_u64 v[0:1], v[72:73], 2, v[70:71]
	global_load_dword v0, v[0:1], off offset:16
	s_waitcnt vmcnt(0)
	v_mul_f32_e32 v87, s23, v0
.LBB101_33:                             ;   in Loop: Header=BB101_23 Depth=1
	s_or_b64 exec, exec, s[26:27]
	v_add3_u32 v0, v77, s29, 4
	v_cmp_le_i32_e32 vcc, s22, v0
	v_min_i32_e32 v0, s34, v0
	v_mad_i64_i32 v[0:1], s[26:27], v0, s33, 0
	v_lshl_add_u64 v[0:1], v[0:1], 2, s[16:17]
	s_or_b64 s[26:27], s[4:5], vcc
	s_nor_b64 s[36:37], s[26:27], s[18:19]
	v_lshl_add_u64 v[0:1], v[68:69], 2, v[0:1]
	s_and_saveexec_b64 s[26:27], s[36:37]
	s_cbranch_execz .LBB101_35
; %bb.34:                               ;   in Loop: Header=BB101_23 Depth=1
	global_load_dword v2, v[0:1], off
	s_waitcnt vmcnt(0)
	v_mul_f32_e32 v86, s23, v2
.LBB101_35:                             ;   in Loop: Header=BB101_23 Depth=1
	s_or_b64 exec, exec, s[26:27]
	s_or_b64 s[26:27], s[6:7], vcc
	s_nor_b64 s[36:37], s[26:27], s[18:19]
	v_mov_b32_e32 v72, 0
	s_and_saveexec_b64 s[26:27], s[36:37]
	s_cbranch_execz .LBB101_37
; %bb.36:                               ;   in Loop: Header=BB101_23 Depth=1
	global_load_dword v0, v[0:1], off offset:256
	s_waitcnt vmcnt(0)
	v_mul_f32_e32 v72, s23, v0
.LBB101_37:                             ;   in Loop: Header=BB101_23 Depth=1
	s_or_b64 exec, exec, s[26:27]
	s_mov_b32 s36, 0
	s_mov_b64 s[26:27], -1
.LBB101_38:                             ;   Parent Loop BB101_23 Depth=1
                                        ; =>  This Inner Loop Header: Depth=2
	v_cndmask_b32_e64 v0, 0, 1, s[26:27]
	s_lshl_b32 s26, s36, 2
	v_cmp_ne_u32_e32 vcc, 1, v0
	v_add_u32_e32 v0, s26, v79
	ds_read2_b64 v[88:91], v0 offset1:16
	ds_read2_b64 v[92:95], v0 offset0:32 offset1:48
	ds_read2_b64 v[96:99], v0 offset0:64 offset1:80
	;; [unrolled: 1-line block ×3, first 2 shown]
	v_add_u32_e32 v0, s26, v81
	ds_read2st64_b64 v[104:107], v0 offset1:1
	ds_read2st64_b64 v[0:3], v0 offset0:2 offset1:3
	s_waitcnt lgkmcnt(5)
	v_max_f32_e32 v108, v88, v88
	v_max_f32_e32 v109, v89, v89
	;; [unrolled: 1-line block ×3, first 2 shown]
	s_waitcnt lgkmcnt(1)
	v_max_f32_e32 v104, v104, v104
	v_max_f32_e32 v105, v105, v105
	v_min_f32_e32 v88, v108, v104
	v_min_f32_e32 v89, v109, v105
	v_max_f32_e32 v91, v91, v91
	v_pk_add_f32 v[66:67], v[66:67], v[88:89]
	v_min_f32_e32 v88, v90, v104
	v_min_f32_e32 v89, v91, v105
	v_max_f32_e32 v92, v92, v92
	v_max_f32_e32 v93, v93, v93
	v_pk_add_f32 v[64:65], v[64:65], v[88:89]
	v_min_f32_e32 v88, v92, v104
	v_min_f32_e32 v89, v93, v105
	v_max_f32_e32 v94, v94, v94
	;; [unrolled: 5-line block ×7, first 2 shown]
	v_max_f32_e32 v105, v107, v107
	v_pk_add_f32 v[52:53], v[52:53], v[88:89]
	v_min_f32_e32 v88, v108, v104
	v_min_f32_e32 v89, v109, v105
	v_pk_add_f32 v[50:51], v[50:51], v[88:89]
	v_min_f32_e32 v88, v90, v104
	v_min_f32_e32 v89, v91, v105
	;; [unrolled: 3-line block ×8, first 2 shown]
	v_pk_add_f32 v[36:37], v[36:37], v[88:89]
	s_waitcnt lgkmcnt(0)
	v_max_f32_e32 v88, v0, v0
	v_max_f32_e32 v89, v1, v1
	v_min_f32_e32 v0, v108, v88
	v_min_f32_e32 v1, v109, v89
	v_pk_add_f32 v[34:35], v[34:35], v[0:1]
	v_min_f32_e32 v0, v90, v88
	v_min_f32_e32 v1, v91, v89
	v_pk_add_f32 v[32:33], v[32:33], v[0:1]
	;; [unrolled: 3-line block ×7, first 2 shown]
	v_min_f32_e32 v0, v102, v88
	v_min_f32_e32 v1, v103, v89
	v_max_f32_e32 v2, v2, v2
	v_max_f32_e32 v3, v3, v3
	v_pk_add_f32 v[20:21], v[20:21], v[0:1]
	v_min_f32_e32 v0, v108, v2
	v_min_f32_e32 v1, v109, v3
	v_pk_add_f32 v[18:19], v[18:19], v[0:1]
	v_min_f32_e32 v0, v90, v2
	v_min_f32_e32 v1, v91, v3
	;; [unrolled: 3-line block ×8, first 2 shown]
	v_pk_add_f32 v[4:5], v[4:5], v[0:1]
	s_mov_b64 s[26:27], 0
	s_mov_b32 s36, 2
	s_cbranch_vccz .LBB101_38
; %bb.39:                               ;   in Loop: Header=BB101_23 Depth=1
	s_add_i32 s29, s29, 8
	s_add_i32 s35, s35, 8
	s_cmp_ge_i32 s35, s28
	ds_write_b32 v82, v87
	ds_write2st64_b32 v83, v86, v72 offset1:4
	s_waitcnt lgkmcnt(0)
	s_barrier
	s_cbranch_scc0 .LBB101_23
.LBB101_40:
	v_mov_b32_e32 v0, 0x1400
	v_lshl_add_u32 v68, v74, 4, v0
	v_mov_b32_e32 v0, 0x800
	v_lshl_add_u32 v69, v75, 4, v0
	s_mov_b32 s6, 0
	s_mov_b64 s[4:5], -1
.LBB101_41:                             ; =>This Inner Loop Header: Depth=1
	v_cndmask_b32_e64 v0, 0, 1, s[4:5]
	s_lshl_b32 s4, s6, 2
	v_cmp_ne_u32_e32 vcc, 1, v0
	v_add_u32_e32 v0, s4, v68
	ds_read2_b64 v[70:73], v0 offset1:16
	ds_read2_b64 v[76:79], v0 offset0:32 offset1:48
	ds_read2_b64 v[80:83], v0 offset0:64 offset1:80
	ds_read2_b64 v[84:87], v0 offset0:96 offset1:112
	v_add_u32_e32 v0, s4, v69
	ds_read2st64_b64 v[88:91], v0 offset1:1
	ds_read2st64_b64 v[0:3], v0 offset0:2 offset1:3
	s_waitcnt lgkmcnt(5)
	v_max_f32_e32 v92, v70, v70
	v_max_f32_e32 v93, v71, v71
	;; [unrolled: 1-line block ×3, first 2 shown]
	s_waitcnt lgkmcnt(1)
	v_max_f32_e32 v88, v88, v88
	v_max_f32_e32 v89, v89, v89
	v_min_f32_e32 v70, v92, v88
	v_min_f32_e32 v71, v93, v89
	v_max_f32_e32 v73, v73, v73
	v_pk_add_f32 v[66:67], v[66:67], v[70:71]
	v_min_f32_e32 v70, v72, v88
	v_min_f32_e32 v71, v73, v89
	v_max_f32_e32 v76, v76, v76
	v_max_f32_e32 v77, v77, v77
	v_pk_add_f32 v[64:65], v[64:65], v[70:71]
	v_min_f32_e32 v70, v76, v88
	v_min_f32_e32 v71, v77, v89
	v_max_f32_e32 v78, v78, v78
	;; [unrolled: 5-line block ×7, first 2 shown]
	v_max_f32_e32 v89, v91, v91
	v_pk_add_f32 v[52:53], v[52:53], v[70:71]
	v_min_f32_e32 v70, v92, v88
	v_min_f32_e32 v71, v93, v89
	v_pk_add_f32 v[50:51], v[50:51], v[70:71]
	v_min_f32_e32 v70, v72, v88
	v_min_f32_e32 v71, v73, v89
	;; [unrolled: 3-line block ×8, first 2 shown]
	v_pk_add_f32 v[36:37], v[36:37], v[70:71]
	s_waitcnt lgkmcnt(0)
	v_max_f32_e32 v70, v0, v0
	v_max_f32_e32 v71, v1, v1
	v_min_f32_e32 v0, v92, v70
	v_min_f32_e32 v1, v93, v71
	v_pk_add_f32 v[34:35], v[34:35], v[0:1]
	v_min_f32_e32 v0, v72, v70
	v_min_f32_e32 v1, v73, v71
	v_pk_add_f32 v[32:33], v[32:33], v[0:1]
	;; [unrolled: 3-line block ×7, first 2 shown]
	v_min_f32_e32 v0, v86, v70
	v_min_f32_e32 v1, v87, v71
	v_max_f32_e32 v2, v2, v2
	v_max_f32_e32 v3, v3, v3
	v_pk_add_f32 v[20:21], v[20:21], v[0:1]
	v_min_f32_e32 v0, v92, v2
	v_min_f32_e32 v1, v93, v3
	v_pk_add_f32 v[18:19], v[18:19], v[0:1]
	v_min_f32_e32 v0, v72, v2
	v_min_f32_e32 v1, v73, v3
	;; [unrolled: 3-line block ×8, first 2 shown]
	v_pk_add_f32 v[4:5], v[4:5], v[0:1]
	s_mov_b64 s[4:5], 0
	s_mov_b32 s6, 2
	s_cbranch_vccz .LBB101_41
; %bb.42:
	s_load_dwordx2 s[4:5], s[0:1], 0x70
	s_load_dword s29, s[0:1], 0x50
	s_load_dword s28, s[0:1], 0x68
	v_add_u32_e32 v72, s31, v75
	v_add_u32_e32 v0, s2, v74
	s_waitcnt lgkmcnt(0)
	s_mul_i32 s1, s5, s3
	s_mul_hi_u32 s5, s4, s3
	s_mul_i32 s0, s4, s3
	s_add_i32 s1, s5, s1
	s_lshl_b64 s[0:1], s[0:1], 2
	s_add_u32 s22, s10, s0
	s_addc_u32 s23, s11, s1
	v_mad_i64_i32 v[2:3], s[0:1], v72, s29, 0
	v_lshl_add_u64 v[70:71], v[2:3], 2, s[24:25]
	v_mad_i64_i32 v[2:3], s[0:1], v72, s28, 0
	v_cmp_gt_i32_e64 s[18:19], s21, v72
	v_lshl_add_u64 v[68:69], v[2:3], 2, s[22:23]
	v_cmp_gt_i32_e64 s[2:3], s20, v0
	v_cndmask_b32_e64 v2, 0, 1, s[12:13]
	s_and_b64 s[6:7], s[2:3], s[18:19]
	v_ashrrev_i32_e32 v1, 31, v0
	v_cmp_ne_u32_e64 s[0:1], 1, v2
	s_and_saveexec_b64 s[4:5], s[6:7]
	s_cbranch_execz .LBB101_48
; %bb.43:
	s_and_b64 vcc, exec, s[0:1]
	s_cbranch_vccnz .LBB101_46
; %bb.44:
	v_lshl_add_u64 v[2:3], v[0:1], 2, v[70:71]
	global_load_dword v2, v[2:3], off
	s_waitcnt vmcnt(0)
	v_mul_f32_e32 v2, s30, v2
	s_branch .LBB101_47
.LBB101_45:
	s_mov_b64 s[26:27], 0
	s_andn2_b64 vcc, exec, s[8:9]
	s_mov_b64 s[4:5], -1
	s_cbranch_vccz .LBB101_2
	s_branch .LBB101_3
.LBB101_46:
	v_mov_b32_e32 v2, 0
.LBB101_47:
	v_add_f32_e32 v3, v66, v67
	v_add_f32_e32 v66, v3, v2
	v_lshl_add_u64 v[2:3], v[0:1], 2, v[68:69]
	global_store_dword v[2:3], v66, off
.LBB101_48:
	s_or_b64 exec, exec, s[4:5]
	v_add_u32_e32 v2, 8, v0
	v_cmp_gt_i32_e64 s[4:5], s20, v2
	s_and_b64 s[8:9], s[4:5], s[18:19]
	v_ashrrev_i32_e32 v3, 31, v2
	s_and_saveexec_b64 s[6:7], s[8:9]
	s_cbranch_execz .LBB101_53
; %bb.49:
	s_and_b64 vcc, exec, s[0:1]
	s_cbranch_vccnz .LBB101_51
; %bb.50:
	v_lshl_add_u64 v[66:67], v[2:3], 2, v[70:71]
	global_load_dword v66, v[66:67], off
	s_waitcnt vmcnt(0)
	v_mul_f32_e32 v66, s30, v66
	s_branch .LBB101_52
.LBB101_51:
	v_mov_b32_e32 v66, 0
.LBB101_52:
	v_add_f32_e32 v64, v64, v65
	v_add_f32_e32 v66, v64, v66
	v_lshl_add_u64 v[64:65], v[2:3], 2, v[68:69]
	global_store_dword v[64:65], v66, off
.LBB101_53:
	s_or_b64 exec, exec, s[6:7]
	v_add_u32_e32 v64, 16, v0
	v_cmp_gt_i32_e64 s[6:7], s20, v64
	s_and_b64 s[10:11], s[6:7], s[18:19]
	v_ashrrev_i32_e32 v65, 31, v64
	s_and_saveexec_b64 s[8:9], s[10:11]
	s_cbranch_execz .LBB101_58
; %bb.54:
	s_and_b64 vcc, exec, s[0:1]
	s_cbranch_vccnz .LBB101_56
; %bb.55:
	v_lshl_add_u64 v[66:67], v[64:65], 2, v[70:71]
	global_load_dword v66, v[66:67], off
	s_waitcnt vmcnt(0)
	v_mul_f32_e32 v66, s30, v66
	s_branch .LBB101_57
.LBB101_56:
	v_mov_b32_e32 v66, 0
.LBB101_57:
	v_add_f32_e32 v62, v62, v63
	v_add_f32_e32 v66, v62, v66
	v_lshl_add_u64 v[62:63], v[64:65], 2, v[68:69]
	global_store_dword v[62:63], v66, off
.LBB101_58:
	;; [unrolled: 24-line block ×7, first 2 shown]
	s_or_b64 exec, exec, s[18:19]
	v_add_u32_e32 v68, 32, v72
	v_mad_i64_i32 v[52:53], s[26:27], v68, s29, 0
	v_cmp_gt_i32_e64 s[18:19], s21, v68
	v_lshl_add_u64 v[66:67], v[52:53], 2, s[24:25]
	v_mad_i64_i32 v[52:53], s[26:27], v68, s28, 0
	v_lshl_add_u64 v[52:53], v[52:53], 2, s[22:23]
	s_and_b64 s[34:35], s[2:3], s[18:19]
	s_and_saveexec_b64 s[26:27], s[34:35]
	s_cbranch_execnz .LBB101_91
; %bb.84:
	s_or_b64 exec, exec, s[26:27]
	s_and_b64 s[34:35], s[4:5], s[18:19]
	s_and_saveexec_b64 s[26:27], s[34:35]
	s_cbranch_execnz .LBB101_95
.LBB101_85:
	s_or_b64 exec, exec, s[26:27]
	s_and_b64 s[34:35], s[6:7], s[18:19]
	s_and_saveexec_b64 s[26:27], s[34:35]
	s_cbranch_execnz .LBB101_99
.LBB101_86:
	s_or_b64 exec, exec, s[26:27]
	s_and_b64 s[34:35], s[8:9], s[18:19]
	s_and_saveexec_b64 s[26:27], s[34:35]
	s_cbranch_execnz .LBB101_103
.LBB101_87:
	s_or_b64 exec, exec, s[26:27]
	s_and_b64 s[34:35], s[10:11], s[18:19]
	s_and_saveexec_b64 s[26:27], s[34:35]
	s_cbranch_execnz .LBB101_107
.LBB101_88:
	s_or_b64 exec, exec, s[26:27]
	s_and_b64 s[34:35], s[12:13], s[18:19]
	s_and_saveexec_b64 s[26:27], s[34:35]
	s_cbranch_execnz .LBB101_111
.LBB101_89:
	s_or_b64 exec, exec, s[26:27]
	s_and_b64 s[34:35], s[14:15], s[18:19]
	s_and_saveexec_b64 s[26:27], s[34:35]
	s_cbranch_execnz .LBB101_115
.LBB101_90:
	s_or_b64 exec, exec, s[26:27]
	s_and_b64 s[26:27], s[16:17], s[18:19]
	s_and_saveexec_b64 s[18:19], s[26:27]
	s_cbranch_execnz .LBB101_119
	s_branch .LBB101_123
.LBB101_91:
	s_and_b64 vcc, exec, s[0:1]
	s_cbranch_vccnz .LBB101_93
; %bb.92:
	v_lshl_add_u64 v[68:69], v[0:1], 2, v[66:67]
	global_load_dword v68, v[68:69], off
	s_waitcnt vmcnt(0)
	v_mul_f32_e32 v68, s30, v68
	s_branch .LBB101_94
.LBB101_93:
	v_mov_b32_e32 v68, 0
.LBB101_94:
	v_add_f32_e32 v50, v50, v51
	v_add_f32_e32 v68, v50, v68
	v_lshl_add_u64 v[50:51], v[0:1], 2, v[52:53]
	global_store_dword v[50:51], v68, off
	s_or_b64 exec, exec, s[26:27]
	s_and_b64 s[34:35], s[4:5], s[18:19]
	s_and_saveexec_b64 s[26:27], s[34:35]
	s_cbranch_execz .LBB101_85
.LBB101_95:
	s_and_b64 vcc, exec, s[0:1]
	s_cbranch_vccnz .LBB101_97
; %bb.96:
	v_lshl_add_u64 v[50:51], v[2:3], 2, v[66:67]
	global_load_dword v50, v[50:51], off
	s_waitcnt vmcnt(0)
	v_mul_f32_e32 v50, s30, v50
	s_branch .LBB101_98
.LBB101_97:
	v_mov_b32_e32 v50, 0
.LBB101_98:
	v_add_f32_e32 v48, v48, v49
	v_add_f32_e32 v50, v48, v50
	v_lshl_add_u64 v[48:49], v[2:3], 2, v[52:53]
	global_store_dword v[48:49], v50, off
	s_or_b64 exec, exec, s[26:27]
	s_and_b64 s[34:35], s[6:7], s[18:19]
	s_and_saveexec_b64 s[26:27], s[34:35]
	s_cbranch_execz .LBB101_86
.LBB101_99:
	s_and_b64 vcc, exec, s[0:1]
	s_cbranch_vccnz .LBB101_101
; %bb.100:
	v_lshl_add_u64 v[48:49], v[64:65], 2, v[66:67]
	global_load_dword v48, v[48:49], off
	s_waitcnt vmcnt(0)
	v_mul_f32_e32 v48, s30, v48
	s_branch .LBB101_102
.LBB101_101:
	v_mov_b32_e32 v48, 0
.LBB101_102:
	v_add_f32_e32 v46, v46, v47
	v_add_f32_e32 v48, v46, v48
	v_lshl_add_u64 v[46:47], v[64:65], 2, v[52:53]
	global_store_dword v[46:47], v48, off
	s_or_b64 exec, exec, s[26:27]
	s_and_b64 s[34:35], s[8:9], s[18:19]
	s_and_saveexec_b64 s[26:27], s[34:35]
	s_cbranch_execz .LBB101_87
.LBB101_103:
	s_and_b64 vcc, exec, s[0:1]
	s_cbranch_vccnz .LBB101_105
; %bb.104:
	v_lshl_add_u64 v[46:47], v[62:63], 2, v[66:67]
	global_load_dword v46, v[46:47], off
	s_waitcnt vmcnt(0)
	v_mul_f32_e32 v46, s30, v46
	s_branch .LBB101_106
.LBB101_105:
	v_mov_b32_e32 v46, 0
.LBB101_106:
	v_add_f32_e32 v44, v44, v45
	v_add_f32_e32 v46, v44, v46
	v_lshl_add_u64 v[44:45], v[62:63], 2, v[52:53]
	global_store_dword v[44:45], v46, off
	s_or_b64 exec, exec, s[26:27]
	s_and_b64 s[34:35], s[10:11], s[18:19]
	s_and_saveexec_b64 s[26:27], s[34:35]
	s_cbranch_execz .LBB101_88
.LBB101_107:
	s_and_b64 vcc, exec, s[0:1]
	s_cbranch_vccnz .LBB101_109
; %bb.108:
	v_lshl_add_u64 v[44:45], v[60:61], 2, v[66:67]
	global_load_dword v44, v[44:45], off
	s_waitcnt vmcnt(0)
	v_mul_f32_e32 v44, s30, v44
	s_branch .LBB101_110
.LBB101_109:
	v_mov_b32_e32 v44, 0
.LBB101_110:
	v_add_f32_e32 v42, v42, v43
	v_add_f32_e32 v44, v42, v44
	v_lshl_add_u64 v[42:43], v[60:61], 2, v[52:53]
	global_store_dword v[42:43], v44, off
	s_or_b64 exec, exec, s[26:27]
	s_and_b64 s[34:35], s[12:13], s[18:19]
	s_and_saveexec_b64 s[26:27], s[34:35]
	s_cbranch_execz .LBB101_89
.LBB101_111:
	s_and_b64 vcc, exec, s[0:1]
	s_cbranch_vccnz .LBB101_113
; %bb.112:
	v_lshl_add_u64 v[42:43], v[58:59], 2, v[66:67]
	global_load_dword v42, v[42:43], off
	s_waitcnt vmcnt(0)
	v_mul_f32_e32 v42, s30, v42
	s_branch .LBB101_114
.LBB101_113:
	v_mov_b32_e32 v42, 0
.LBB101_114:
	v_add_f32_e32 v40, v40, v41
	v_add_f32_e32 v42, v40, v42
	v_lshl_add_u64 v[40:41], v[58:59], 2, v[52:53]
	global_store_dword v[40:41], v42, off
	s_or_b64 exec, exec, s[26:27]
	s_and_b64 s[34:35], s[14:15], s[18:19]
	s_and_saveexec_b64 s[26:27], s[34:35]
	s_cbranch_execz .LBB101_90
.LBB101_115:
	s_and_b64 vcc, exec, s[0:1]
	s_cbranch_vccnz .LBB101_117
; %bb.116:
	v_lshl_add_u64 v[40:41], v[56:57], 2, v[66:67]
	global_load_dword v40, v[40:41], off
	s_waitcnt vmcnt(0)
	v_mul_f32_e32 v40, s30, v40
	s_branch .LBB101_118
.LBB101_117:
	v_mov_b32_e32 v40, 0
.LBB101_118:
	v_add_f32_e32 v38, v38, v39
	v_add_f32_e32 v40, v38, v40
	v_lshl_add_u64 v[38:39], v[56:57], 2, v[52:53]
	global_store_dword v[38:39], v40, off
	s_or_b64 exec, exec, s[26:27]
	s_and_b64 s[26:27], s[16:17], s[18:19]
	s_and_saveexec_b64 s[18:19], s[26:27]
	s_cbranch_execz .LBB101_123
.LBB101_119:
	s_and_b64 vcc, exec, s[0:1]
	s_cbranch_vccnz .LBB101_121
; %bb.120:
	v_lshl_add_u64 v[38:39], v[54:55], 2, v[66:67]
	global_load_dword v38, v[38:39], off
	s_waitcnt vmcnt(0)
	v_mul_f32_e32 v38, s30, v38
	s_branch .LBB101_122
.LBB101_121:
	v_mov_b32_e32 v38, 0
.LBB101_122:
	v_add_f32_e32 v36, v36, v37
	v_add_f32_e32 v38, v36, v38
	v_lshl_add_u64 v[36:37], v[54:55], 2, v[52:53]
	global_store_dword v[36:37], v38, off
.LBB101_123:
	s_or_b64 exec, exec, s[18:19]
	v_add_u32_e32 v40, 64, v72
	v_mad_i64_i32 v[36:37], s[26:27], v40, s29, 0
	v_cmp_gt_i32_e64 s[18:19], s21, v40
	v_lshl_add_u64 v[38:39], v[36:37], 2, s[24:25]
	v_mad_i64_i32 v[36:37], s[26:27], v40, s28, 0
	v_lshl_add_u64 v[36:37], v[36:37], 2, s[22:23]
	s_and_b64 s[34:35], s[2:3], s[18:19]
	s_and_saveexec_b64 s[26:27], s[34:35]
	s_cbranch_execnz .LBB101_131
; %bb.124:
	s_or_b64 exec, exec, s[26:27]
	s_and_b64 s[34:35], s[4:5], s[18:19]
	s_and_saveexec_b64 s[26:27], s[34:35]
	s_cbranch_execnz .LBB101_135
.LBB101_125:
	s_or_b64 exec, exec, s[26:27]
	s_and_b64 s[34:35], s[6:7], s[18:19]
	s_and_saveexec_b64 s[26:27], s[34:35]
	s_cbranch_execnz .LBB101_139
.LBB101_126:
	s_or_b64 exec, exec, s[26:27]
	s_and_b64 s[34:35], s[8:9], s[18:19]
	s_and_saveexec_b64 s[26:27], s[34:35]
	s_cbranch_execnz .LBB101_143
.LBB101_127:
	s_or_b64 exec, exec, s[26:27]
	s_and_b64 s[34:35], s[10:11], s[18:19]
	s_and_saveexec_b64 s[26:27], s[34:35]
	s_cbranch_execnz .LBB101_147
.LBB101_128:
	s_or_b64 exec, exec, s[26:27]
	s_and_b64 s[34:35], s[12:13], s[18:19]
	s_and_saveexec_b64 s[26:27], s[34:35]
	s_cbranch_execnz .LBB101_151
.LBB101_129:
	s_or_b64 exec, exec, s[26:27]
	s_and_b64 s[34:35], s[14:15], s[18:19]
	s_and_saveexec_b64 s[26:27], s[34:35]
	s_cbranch_execnz .LBB101_155
.LBB101_130:
	s_or_b64 exec, exec, s[26:27]
	s_and_b64 s[26:27], s[16:17], s[18:19]
	s_and_saveexec_b64 s[18:19], s[26:27]
	s_cbranch_execnz .LBB101_159
	s_branch .LBB101_163
.LBB101_131:
	s_and_b64 vcc, exec, s[0:1]
	s_cbranch_vccnz .LBB101_133
; %bb.132:
	v_lshl_add_u64 v[40:41], v[0:1], 2, v[38:39]
	global_load_dword v40, v[40:41], off
	s_waitcnt vmcnt(0)
	v_mul_f32_e32 v40, s30, v40
	s_branch .LBB101_134
.LBB101_133:
	v_mov_b32_e32 v40, 0
.LBB101_134:
	v_add_f32_e32 v34, v34, v35
	v_add_f32_e32 v40, v34, v40
	v_lshl_add_u64 v[34:35], v[0:1], 2, v[36:37]
	global_store_dword v[34:35], v40, off
	s_or_b64 exec, exec, s[26:27]
	s_and_b64 s[34:35], s[4:5], s[18:19]
	s_and_saveexec_b64 s[26:27], s[34:35]
	s_cbranch_execz .LBB101_125
.LBB101_135:
	s_and_b64 vcc, exec, s[0:1]
	s_cbranch_vccnz .LBB101_137
; %bb.136:
	v_lshl_add_u64 v[34:35], v[2:3], 2, v[38:39]
	global_load_dword v34, v[34:35], off
	s_waitcnt vmcnt(0)
	v_mul_f32_e32 v34, s30, v34
	s_branch .LBB101_138
.LBB101_137:
	v_mov_b32_e32 v34, 0
.LBB101_138:
	v_add_f32_e32 v32, v32, v33
	v_add_f32_e32 v34, v32, v34
	v_lshl_add_u64 v[32:33], v[2:3], 2, v[36:37]
	global_store_dword v[32:33], v34, off
	s_or_b64 exec, exec, s[26:27]
	s_and_b64 s[34:35], s[6:7], s[18:19]
	s_and_saveexec_b64 s[26:27], s[34:35]
	s_cbranch_execz .LBB101_126
.LBB101_139:
	s_and_b64 vcc, exec, s[0:1]
	s_cbranch_vccnz .LBB101_141
; %bb.140:
	v_lshl_add_u64 v[32:33], v[64:65], 2, v[38:39]
	global_load_dword v32, v[32:33], off
	s_waitcnt vmcnt(0)
	v_mul_f32_e32 v32, s30, v32
	s_branch .LBB101_142
.LBB101_141:
	v_mov_b32_e32 v32, 0
.LBB101_142:
	v_add_f32_e32 v30, v30, v31
	v_add_f32_e32 v32, v30, v32
	v_lshl_add_u64 v[30:31], v[64:65], 2, v[36:37]
	global_store_dword v[30:31], v32, off
	s_or_b64 exec, exec, s[26:27]
	s_and_b64 s[34:35], s[8:9], s[18:19]
	s_and_saveexec_b64 s[26:27], s[34:35]
	s_cbranch_execz .LBB101_127
.LBB101_143:
	s_and_b64 vcc, exec, s[0:1]
	s_cbranch_vccnz .LBB101_145
; %bb.144:
	v_lshl_add_u64 v[30:31], v[62:63], 2, v[38:39]
	global_load_dword v30, v[30:31], off
	s_waitcnt vmcnt(0)
	v_mul_f32_e32 v30, s30, v30
	s_branch .LBB101_146
.LBB101_145:
	v_mov_b32_e32 v30, 0
.LBB101_146:
	v_add_f32_e32 v28, v28, v29
	v_add_f32_e32 v30, v28, v30
	v_lshl_add_u64 v[28:29], v[62:63], 2, v[36:37]
	global_store_dword v[28:29], v30, off
	s_or_b64 exec, exec, s[26:27]
	s_and_b64 s[34:35], s[10:11], s[18:19]
	s_and_saveexec_b64 s[26:27], s[34:35]
	s_cbranch_execz .LBB101_128
.LBB101_147:
	s_and_b64 vcc, exec, s[0:1]
	s_cbranch_vccnz .LBB101_149
; %bb.148:
	v_lshl_add_u64 v[28:29], v[60:61], 2, v[38:39]
	global_load_dword v28, v[28:29], off
	s_waitcnt vmcnt(0)
	v_mul_f32_e32 v28, s30, v28
	s_branch .LBB101_150
.LBB101_149:
	v_mov_b32_e32 v28, 0
.LBB101_150:
	v_add_f32_e32 v26, v26, v27
	v_add_f32_e32 v28, v26, v28
	v_lshl_add_u64 v[26:27], v[60:61], 2, v[36:37]
	global_store_dword v[26:27], v28, off
	s_or_b64 exec, exec, s[26:27]
	s_and_b64 s[34:35], s[12:13], s[18:19]
	s_and_saveexec_b64 s[26:27], s[34:35]
	s_cbranch_execz .LBB101_129
.LBB101_151:
	s_and_b64 vcc, exec, s[0:1]
	s_cbranch_vccnz .LBB101_153
; %bb.152:
	v_lshl_add_u64 v[26:27], v[58:59], 2, v[38:39]
	global_load_dword v26, v[26:27], off
	s_waitcnt vmcnt(0)
	v_mul_f32_e32 v26, s30, v26
	s_branch .LBB101_154
.LBB101_153:
	v_mov_b32_e32 v26, 0
.LBB101_154:
	v_add_f32_e32 v24, v24, v25
	v_add_f32_e32 v26, v24, v26
	v_lshl_add_u64 v[24:25], v[58:59], 2, v[36:37]
	global_store_dword v[24:25], v26, off
	s_or_b64 exec, exec, s[26:27]
	s_and_b64 s[34:35], s[14:15], s[18:19]
	s_and_saveexec_b64 s[26:27], s[34:35]
	s_cbranch_execz .LBB101_130
.LBB101_155:
	s_and_b64 vcc, exec, s[0:1]
	s_cbranch_vccnz .LBB101_157
; %bb.156:
	v_lshl_add_u64 v[24:25], v[56:57], 2, v[38:39]
	global_load_dword v24, v[24:25], off
	s_waitcnt vmcnt(0)
	v_mul_f32_e32 v24, s30, v24
	s_branch .LBB101_158
.LBB101_157:
	v_mov_b32_e32 v24, 0
.LBB101_158:
	v_add_f32_e32 v22, v22, v23
	v_add_f32_e32 v24, v22, v24
	v_lshl_add_u64 v[22:23], v[56:57], 2, v[36:37]
	global_store_dword v[22:23], v24, off
	s_or_b64 exec, exec, s[26:27]
	s_and_b64 s[26:27], s[16:17], s[18:19]
	s_and_saveexec_b64 s[18:19], s[26:27]
	s_cbranch_execz .LBB101_163
.LBB101_159:
	s_and_b64 vcc, exec, s[0:1]
	s_cbranch_vccnz .LBB101_161
; %bb.160:
	v_lshl_add_u64 v[22:23], v[54:55], 2, v[38:39]
	global_load_dword v22, v[22:23], off
	s_waitcnt vmcnt(0)
	v_mul_f32_e32 v22, s30, v22
	s_branch .LBB101_162
.LBB101_161:
	v_mov_b32_e32 v22, 0
.LBB101_162:
	v_add_f32_e32 v20, v20, v21
	v_add_f32_e32 v22, v20, v22
	v_lshl_add_u64 v[20:21], v[54:55], 2, v[36:37]
	global_store_dword v[20:21], v22, off
.LBB101_163:
	s_or_b64 exec, exec, s[18:19]
	v_add_u32_e32 v24, 0x60, v72
	v_cmp_gt_i32_e64 s[18:19], s21, v24
	v_mad_i64_i32 v[20:21], s[20:21], v24, s29, 0
	v_lshl_add_u64 v[22:23], v[20:21], 2, s[24:25]
	v_mad_i64_i32 v[20:21], s[20:21], v24, s28, 0
	v_lshl_add_u64 v[20:21], v[20:21], 2, s[22:23]
	s_and_b64 s[20:21], s[2:3], s[18:19]
	s_and_saveexec_b64 s[2:3], s[20:21]
	s_cbranch_execnz .LBB101_172
; %bb.164:
	s_or_b64 exec, exec, s[2:3]
	s_and_b64 s[4:5], s[4:5], s[18:19]
	s_and_saveexec_b64 s[2:3], s[4:5]
	s_cbranch_execnz .LBB101_176
.LBB101_165:
	s_or_b64 exec, exec, s[2:3]
	s_and_b64 s[4:5], s[6:7], s[18:19]
	s_and_saveexec_b64 s[2:3], s[4:5]
	s_cbranch_execnz .LBB101_180
.LBB101_166:
	s_or_b64 exec, exec, s[2:3]
	s_and_b64 s[4:5], s[8:9], s[18:19]
	s_and_saveexec_b64 s[2:3], s[4:5]
	s_cbranch_execnz .LBB101_184
.LBB101_167:
	s_or_b64 exec, exec, s[2:3]
	s_and_b64 s[4:5], s[10:11], s[18:19]
	s_and_saveexec_b64 s[2:3], s[4:5]
	s_cbranch_execnz .LBB101_188
.LBB101_168:
	s_or_b64 exec, exec, s[2:3]
	s_and_b64 s[4:5], s[12:13], s[18:19]
	s_and_saveexec_b64 s[2:3], s[4:5]
	s_cbranch_execnz .LBB101_192
.LBB101_169:
	s_or_b64 exec, exec, s[2:3]
	s_and_b64 s[4:5], s[14:15], s[18:19]
	s_and_saveexec_b64 s[2:3], s[4:5]
	s_cbranch_execnz .LBB101_196
.LBB101_170:
	s_or_b64 exec, exec, s[2:3]
	s_and_b64 s[2:3], s[16:17], s[18:19]
	s_and_saveexec_b64 s[4:5], s[2:3]
	s_cbranch_execnz .LBB101_200
.LBB101_171:
	s_endpgm
.LBB101_172:
	s_and_b64 vcc, exec, s[0:1]
	s_cbranch_vccnz .LBB101_174
; %bb.173:
	v_lshl_add_u64 v[24:25], v[0:1], 2, v[22:23]
	global_load_dword v24, v[24:25], off
	s_waitcnt vmcnt(0)
	v_mul_f32_e32 v24, s30, v24
	s_branch .LBB101_175
.LBB101_174:
	v_mov_b32_e32 v24, 0
.LBB101_175:
	v_add_f32_e32 v18, v18, v19
	v_add_f32_e32 v18, v18, v24
	v_lshl_add_u64 v[0:1], v[0:1], 2, v[20:21]
	global_store_dword v[0:1], v18, off
	s_or_b64 exec, exec, s[2:3]
	s_and_b64 s[4:5], s[4:5], s[18:19]
	s_and_saveexec_b64 s[2:3], s[4:5]
	s_cbranch_execz .LBB101_165
.LBB101_176:
	s_and_b64 vcc, exec, s[0:1]
	s_cbranch_vccnz .LBB101_178
; %bb.177:
	v_lshl_add_u64 v[0:1], v[2:3], 2, v[22:23]
	global_load_dword v0, v[0:1], off
	s_waitcnt vmcnt(0)
	v_mul_f32_e32 v0, s30, v0
	s_branch .LBB101_179
.LBB101_178:
	v_mov_b32_e32 v0, 0
.LBB101_179:
	v_add_f32_e32 v1, v16, v17
	v_add_f32_e32 v16, v1, v0
	v_lshl_add_u64 v[0:1], v[2:3], 2, v[20:21]
	global_store_dword v[0:1], v16, off
	s_or_b64 exec, exec, s[2:3]
	s_and_b64 s[4:5], s[6:7], s[18:19]
	s_and_saveexec_b64 s[2:3], s[4:5]
	s_cbranch_execz .LBB101_166
.LBB101_180:
	s_and_b64 vcc, exec, s[0:1]
	s_cbranch_vccnz .LBB101_182
; %bb.181:
	v_lshl_add_u64 v[0:1], v[64:65], 2, v[22:23]
	global_load_dword v0, v[0:1], off
	s_waitcnt vmcnt(0)
	v_mul_f32_e32 v0, s30, v0
	s_branch .LBB101_183
.LBB101_182:
	v_mov_b32_e32 v0, 0
.LBB101_183:
	v_add_f32_e32 v1, v14, v15
	v_add_f32_e32 v2, v1, v0
	v_lshl_add_u64 v[0:1], v[64:65], 2, v[20:21]
	global_store_dword v[0:1], v2, off
	s_or_b64 exec, exec, s[2:3]
	s_and_b64 s[4:5], s[8:9], s[18:19]
	s_and_saveexec_b64 s[2:3], s[4:5]
	s_cbranch_execz .LBB101_167
.LBB101_184:
	s_and_b64 vcc, exec, s[0:1]
	s_cbranch_vccnz .LBB101_186
; %bb.185:
	v_lshl_add_u64 v[0:1], v[62:63], 2, v[22:23]
	global_load_dword v0, v[0:1], off
	s_waitcnt vmcnt(0)
	v_mul_f32_e32 v0, s30, v0
	s_branch .LBB101_187
.LBB101_186:
	v_mov_b32_e32 v0, 0
.LBB101_187:
	v_add_f32_e32 v1, v12, v13
	v_add_f32_e32 v2, v1, v0
	v_lshl_add_u64 v[0:1], v[62:63], 2, v[20:21]
	global_store_dword v[0:1], v2, off
	s_or_b64 exec, exec, s[2:3]
	s_and_b64 s[4:5], s[10:11], s[18:19]
	s_and_saveexec_b64 s[2:3], s[4:5]
	s_cbranch_execz .LBB101_168
.LBB101_188:
	s_and_b64 vcc, exec, s[0:1]
	s_cbranch_vccnz .LBB101_190
; %bb.189:
	v_lshl_add_u64 v[0:1], v[60:61], 2, v[22:23]
	global_load_dword v0, v[0:1], off
	s_waitcnt vmcnt(0)
	v_mul_f32_e32 v0, s30, v0
	s_branch .LBB101_191
.LBB101_190:
	v_mov_b32_e32 v0, 0
.LBB101_191:
	v_add_f32_e32 v1, v10, v11
	v_add_f32_e32 v2, v1, v0
	v_lshl_add_u64 v[0:1], v[60:61], 2, v[20:21]
	global_store_dword v[0:1], v2, off
	s_or_b64 exec, exec, s[2:3]
	s_and_b64 s[4:5], s[12:13], s[18:19]
	s_and_saveexec_b64 s[2:3], s[4:5]
	s_cbranch_execz .LBB101_169
.LBB101_192:
	s_and_b64 vcc, exec, s[0:1]
	s_cbranch_vccnz .LBB101_194
; %bb.193:
	v_lshl_add_u64 v[0:1], v[58:59], 2, v[22:23]
	global_load_dword v0, v[0:1], off
	s_waitcnt vmcnt(0)
	v_mul_f32_e32 v0, s30, v0
	s_branch .LBB101_195
.LBB101_194:
	v_mov_b32_e32 v0, 0
.LBB101_195:
	v_add_f32_e32 v1, v8, v9
	v_add_f32_e32 v2, v1, v0
	v_lshl_add_u64 v[0:1], v[58:59], 2, v[20:21]
	global_store_dword v[0:1], v2, off
	s_or_b64 exec, exec, s[2:3]
	s_and_b64 s[4:5], s[14:15], s[18:19]
	s_and_saveexec_b64 s[2:3], s[4:5]
	s_cbranch_execz .LBB101_170
.LBB101_196:
	s_and_b64 vcc, exec, s[0:1]
	s_cbranch_vccnz .LBB101_198
; %bb.197:
	v_lshl_add_u64 v[0:1], v[56:57], 2, v[22:23]
	global_load_dword v0, v[0:1], off
	s_waitcnt vmcnt(0)
	v_mul_f32_e32 v0, s30, v0
	s_branch .LBB101_199
.LBB101_198:
	v_mov_b32_e32 v0, 0
.LBB101_199:
	v_add_f32_e32 v1, v6, v7
	v_add_f32_e32 v2, v1, v0
	v_lshl_add_u64 v[0:1], v[56:57], 2, v[20:21]
	global_store_dword v[0:1], v2, off
	s_or_b64 exec, exec, s[2:3]
	s_and_b64 s[2:3], s[16:17], s[18:19]
	s_and_saveexec_b64 s[4:5], s[2:3]
	s_cbranch_execz .LBB101_171
.LBB101_200:
	s_and_b64 vcc, exec, s[0:1]
	s_cbranch_vccnz .LBB101_202
; %bb.201:
	v_lshl_add_u64 v[0:1], v[54:55], 2, v[22:23]
	global_load_dword v0, v[0:1], off
	s_waitcnt vmcnt(0)
	v_mul_f32_e32 v0, s30, v0
	s_branch .LBB101_203
.LBB101_202:
	v_mov_b32_e32 v0, 0
.LBB101_203:
	v_add_f32_e32 v1, v4, v5
	v_add_f32_e32 v2, v1, v0
	v_lshl_add_u64 v[0:1], v[54:55], 2, v[20:21]
	global_store_dword v[0:1], v2, off
	s_endpgm
	.section	.rodata,"a",@progbits
	.p2align	6, 0x0
	.amdhsa_kernel _ZN12_GLOBAL__N_120geam_min_plus_kernelIf15HIP_vector_typeIfLj2EES2_Li8ELi32ELi64ELi128ELi4ELi4ELi64ELi64ELi4ELc84ELc84ELb0ELb1ELb0EfKffEEviiiT16_PT17_ilS6_ilS4_S6_ilPT18_ili26rocblas_geam_ex_operation_
		.amdhsa_group_segment_fixed_size 6144
		.amdhsa_private_segment_fixed_size 0
		.amdhsa_kernarg_size 128
		.amdhsa_user_sgpr_count 2
		.amdhsa_user_sgpr_dispatch_ptr 0
		.amdhsa_user_sgpr_queue_ptr 0
		.amdhsa_user_sgpr_kernarg_segment_ptr 1
		.amdhsa_user_sgpr_dispatch_id 0
		.amdhsa_user_sgpr_kernarg_preload_length 0
		.amdhsa_user_sgpr_kernarg_preload_offset 0
		.amdhsa_user_sgpr_private_segment_size 0
		.amdhsa_uses_dynamic_stack 0
		.amdhsa_enable_private_segment 0
		.amdhsa_system_sgpr_workgroup_id_x 1
		.amdhsa_system_sgpr_workgroup_id_y 0
		.amdhsa_system_sgpr_workgroup_id_z 1
		.amdhsa_system_sgpr_workgroup_info 0
		.amdhsa_system_vgpr_workitem_id 1
		.amdhsa_next_free_vgpr 111
		.amdhsa_next_free_sgpr 38
		.amdhsa_accum_offset 112
		.amdhsa_reserve_vcc 1
		.amdhsa_float_round_mode_32 0
		.amdhsa_float_round_mode_16_64 0
		.amdhsa_float_denorm_mode_32 3
		.amdhsa_float_denorm_mode_16_64 3
		.amdhsa_dx10_clamp 1
		.amdhsa_ieee_mode 1
		.amdhsa_fp16_overflow 0
		.amdhsa_tg_split 0
		.amdhsa_exception_fp_ieee_invalid_op 0
		.amdhsa_exception_fp_denorm_src 0
		.amdhsa_exception_fp_ieee_div_zero 0
		.amdhsa_exception_fp_ieee_overflow 0
		.amdhsa_exception_fp_ieee_underflow 0
		.amdhsa_exception_fp_ieee_inexact 0
		.amdhsa_exception_int_div_zero 0
	.end_amdhsa_kernel
	.section	.text._ZN12_GLOBAL__N_120geam_min_plus_kernelIf15HIP_vector_typeIfLj2EES2_Li8ELi32ELi64ELi128ELi4ELi4ELi64ELi64ELi4ELc84ELc84ELb0ELb1ELb0EfKffEEviiiT16_PT17_ilS6_ilS4_S6_ilPT18_ili26rocblas_geam_ex_operation_,"axG",@progbits,_ZN12_GLOBAL__N_120geam_min_plus_kernelIf15HIP_vector_typeIfLj2EES2_Li8ELi32ELi64ELi128ELi4ELi4ELi64ELi64ELi4ELc84ELc84ELb0ELb1ELb0EfKffEEviiiT16_PT17_ilS6_ilS4_S6_ilPT18_ili26rocblas_geam_ex_operation_,comdat
.Lfunc_end101:
	.size	_ZN12_GLOBAL__N_120geam_min_plus_kernelIf15HIP_vector_typeIfLj2EES2_Li8ELi32ELi64ELi128ELi4ELi4ELi64ELi64ELi4ELc84ELc84ELb0ELb1ELb0EfKffEEviiiT16_PT17_ilS6_ilS4_S6_ilPT18_ili26rocblas_geam_ex_operation_, .Lfunc_end101-_ZN12_GLOBAL__N_120geam_min_plus_kernelIf15HIP_vector_typeIfLj2EES2_Li8ELi32ELi64ELi128ELi4ELi4ELi64ELi64ELi4ELc84ELc84ELb0ELb1ELb0EfKffEEviiiT16_PT17_ilS6_ilS4_S6_ilPT18_ili26rocblas_geam_ex_operation_
                                        ; -- End function
	.set _ZN12_GLOBAL__N_120geam_min_plus_kernelIf15HIP_vector_typeIfLj2EES2_Li8ELi32ELi64ELi128ELi4ELi4ELi64ELi64ELi4ELc84ELc84ELb0ELb1ELb0EfKffEEviiiT16_PT17_ilS6_ilS4_S6_ilPT18_ili26rocblas_geam_ex_operation_.num_vgpr, 111
	.set _ZN12_GLOBAL__N_120geam_min_plus_kernelIf15HIP_vector_typeIfLj2EES2_Li8ELi32ELi64ELi128ELi4ELi4ELi64ELi64ELi4ELc84ELc84ELb0ELb1ELb0EfKffEEviiiT16_PT17_ilS6_ilS4_S6_ilPT18_ili26rocblas_geam_ex_operation_.num_agpr, 0
	.set _ZN12_GLOBAL__N_120geam_min_plus_kernelIf15HIP_vector_typeIfLj2EES2_Li8ELi32ELi64ELi128ELi4ELi4ELi64ELi64ELi4ELc84ELc84ELb0ELb1ELb0EfKffEEviiiT16_PT17_ilS6_ilS4_S6_ilPT18_ili26rocblas_geam_ex_operation_.numbered_sgpr, 38
	.set _ZN12_GLOBAL__N_120geam_min_plus_kernelIf15HIP_vector_typeIfLj2EES2_Li8ELi32ELi64ELi128ELi4ELi4ELi64ELi64ELi4ELc84ELc84ELb0ELb1ELb0EfKffEEviiiT16_PT17_ilS6_ilS4_S6_ilPT18_ili26rocblas_geam_ex_operation_.num_named_barrier, 0
	.set _ZN12_GLOBAL__N_120geam_min_plus_kernelIf15HIP_vector_typeIfLj2EES2_Li8ELi32ELi64ELi128ELi4ELi4ELi64ELi64ELi4ELc84ELc84ELb0ELb1ELb0EfKffEEviiiT16_PT17_ilS6_ilS4_S6_ilPT18_ili26rocblas_geam_ex_operation_.private_seg_size, 0
	.set _ZN12_GLOBAL__N_120geam_min_plus_kernelIf15HIP_vector_typeIfLj2EES2_Li8ELi32ELi64ELi128ELi4ELi4ELi64ELi64ELi4ELc84ELc84ELb0ELb1ELb0EfKffEEviiiT16_PT17_ilS6_ilS4_S6_ilPT18_ili26rocblas_geam_ex_operation_.uses_vcc, 1
	.set _ZN12_GLOBAL__N_120geam_min_plus_kernelIf15HIP_vector_typeIfLj2EES2_Li8ELi32ELi64ELi128ELi4ELi4ELi64ELi64ELi4ELc84ELc84ELb0ELb1ELb0EfKffEEviiiT16_PT17_ilS6_ilS4_S6_ilPT18_ili26rocblas_geam_ex_operation_.uses_flat_scratch, 0
	.set _ZN12_GLOBAL__N_120geam_min_plus_kernelIf15HIP_vector_typeIfLj2EES2_Li8ELi32ELi64ELi128ELi4ELi4ELi64ELi64ELi4ELc84ELc84ELb0ELb1ELb0EfKffEEviiiT16_PT17_ilS6_ilS4_S6_ilPT18_ili26rocblas_geam_ex_operation_.has_dyn_sized_stack, 0
	.set _ZN12_GLOBAL__N_120geam_min_plus_kernelIf15HIP_vector_typeIfLj2EES2_Li8ELi32ELi64ELi128ELi4ELi4ELi64ELi64ELi4ELc84ELc84ELb0ELb1ELb0EfKffEEviiiT16_PT17_ilS6_ilS4_S6_ilPT18_ili26rocblas_geam_ex_operation_.has_recursion, 0
	.set _ZN12_GLOBAL__N_120geam_min_plus_kernelIf15HIP_vector_typeIfLj2EES2_Li8ELi32ELi64ELi128ELi4ELi4ELi64ELi64ELi4ELc84ELc84ELb0ELb1ELb0EfKffEEviiiT16_PT17_ilS6_ilS4_S6_ilPT18_ili26rocblas_geam_ex_operation_.has_indirect_call, 0
	.section	.AMDGPU.csdata,"",@progbits
; Kernel info:
; codeLenInByte = 7912
; TotalNumSgprs: 44
; NumVgprs: 111
; NumAgprs: 0
; TotalNumVgprs: 111
; ScratchSize: 0
; MemoryBound: 0
; FloatMode: 240
; IeeeMode: 1
; LDSByteSize: 6144 bytes/workgroup (compile time only)
; SGPRBlocks: 5
; VGPRBlocks: 13
; NumSGPRsForWavesPerEU: 44
; NumVGPRsForWavesPerEU: 111
; AccumOffset: 112
; Occupancy: 4
; WaveLimiterHint : 0
; COMPUTE_PGM_RSRC2:SCRATCH_EN: 0
; COMPUTE_PGM_RSRC2:USER_SGPR: 2
; COMPUTE_PGM_RSRC2:TRAP_HANDLER: 0
; COMPUTE_PGM_RSRC2:TGID_X_EN: 1
; COMPUTE_PGM_RSRC2:TGID_Y_EN: 0
; COMPUTE_PGM_RSRC2:TGID_Z_EN: 1
; COMPUTE_PGM_RSRC2:TIDIG_COMP_CNT: 1
; COMPUTE_PGM_RSRC3_GFX90A:ACCUM_OFFSET: 27
; COMPUTE_PGM_RSRC3_GFX90A:TG_SPLIT: 0
	.section	.text._ZN12_GLOBAL__N_120geam_ex_scale_kernelILi32ELi32EddPKPKdPKPdEEviiT2_T3_lilT4_lil,"axG",@progbits,_ZN12_GLOBAL__N_120geam_ex_scale_kernelILi32ELi32EddPKPKdPKPdEEviiT2_T3_lilT4_lil,comdat
	.globl	_ZN12_GLOBAL__N_120geam_ex_scale_kernelILi32ELi32EddPKPKdPKPdEEviiT2_T3_lilT4_lil ; -- Begin function _ZN12_GLOBAL__N_120geam_ex_scale_kernelILi32ELi32EddPKPKdPKPdEEviiT2_T3_lilT4_lil
	.p2align	8
	.type	_ZN12_GLOBAL__N_120geam_ex_scale_kernelILi32ELi32EddPKPKdPKPdEEviiT2_T3_lilT4_lil,@function
_ZN12_GLOBAL__N_120geam_ex_scale_kernelILi32ELi32EddPKPKdPKPdEEviiT2_T3_lilT4_lil: ; @_ZN12_GLOBAL__N_120geam_ex_scale_kernelILi32ELi32EddPKPKdPKPdEEviiT2_T3_lilT4_lil
; %bb.0:
	s_load_dwordx4 s[4:7], s[0:1], 0x8
	s_mov_b32 s16, s3
	s_mov_b64 s[12:13], 0
	s_mov_b32 s17, 0
	s_waitcnt lgkmcnt(0)
	v_cmp_eq_f64_e64 s[14:15], s[4:5], 0
	s_and_b64 vcc, exec, s[14:15]
	s_cbranch_vccnz .LBB102_2
; %bb.1:
	s_lshl_b64 s[10:11], s[16:17], 3
	s_add_u32 s6, s6, s10
	s_load_dwordx2 s[8:9], s[0:1], 0x18
	s_addc_u32 s7, s7, s11
	s_load_dwordx2 s[6:7], s[6:7], 0x0
	s_waitcnt lgkmcnt(0)
	s_lshl_b64 s[8:9], s[8:9], 3
	s_add_u32 s12, s6, s8
	s_addc_u32 s13, s7, s9
.LBB102_2:
	s_load_dwordx2 s[6:7], s[0:1], 0x0
	v_and_b32_e32 v2, 0x3ff, v0
	v_bfe_u32 v0, v0, 10, 10
	s_waitcnt lgkmcnt(0)
	s_add_i32 s3, s6, -1
	s_ashr_i32 s8, s3, 31
	s_lshr_b32 s8, s8, 27
	s_add_i32 s3, s3, s8
	s_ashr_i32 s3, s3, 5
	s_add_i32 s8, s3, 1
	v_cvt_f32_u32_e32 v1, s8
	s_not_b32 s3, s3
	v_rcp_iflag_f32_e32 v1, v1
	s_nop 0
	v_mul_f32_e32 v1, 0x4f7ffffe, v1
	v_cvt_u32_f32_e32 v1, v1
	s_nop 0
	v_readfirstlane_b32 s9, v1
	s_mul_i32 s3, s3, s9
	s_mul_hi_u32 s3, s9, s3
	s_add_i32 s9, s9, s3
	s_mul_hi_u32 s3, s2, s9
	s_mul_i32 s9, s3, s8
	s_sub_i32 s9, s2, s9
	s_add_i32 s10, s3, 1
	s_sub_i32 s11, s9, s8
	s_cmp_ge_u32 s9, s8
	s_cselect_b32 s3, s10, s3
	s_cselect_b32 s9, s11, s9
	s_add_i32 s10, s3, 1
	s_cmp_ge_u32 s9, s8
	s_cselect_b32 s3, s10, s3
	s_mul_i32 s8, s3, s8
	s_sub_i32 s2, s2, s8
	v_lshl_add_u32 v4, s3, 5, v0
	v_lshl_add_u32 v0, s2, 5, v2
	v_cmp_gt_u32_e32 vcc, s6, v0
	v_cmp_gt_u32_e64 s[2:3], s7, v4
	s_and_b64 s[2:3], vcc, s[2:3]
	s_and_saveexec_b64 s[6:7], s[2:3]
	s_cbranch_execz .LBB102_8
; %bb.3:
	s_load_dwordx4 s[8:11], s[0:1], 0x30
	s_lshl_b64 s[2:3], s[16:17], 3
	v_mov_b32_e32 v1, 0
	s_waitcnt lgkmcnt(0)
	s_add_u32 s2, s8, s2
	s_addc_u32 s3, s9, s3
	s_load_dwordx2 s[2:3], s[2:3], 0x0
	s_andn2_b64 vcc, exec, s[14:15]
	s_cbranch_vccnz .LBB102_5
; %bb.4:
	v_mov_b64_e32 v[2:3], 0
	s_cbranch_execz .LBB102_6
	s_branch .LBB102_7
.LBB102_5:
	v_mov_b64_e32 v[2:3], 0
.LBB102_6:
	s_load_dword s6, s[0:1], 0x20
	s_waitcnt lgkmcnt(0)
	s_ashr_i32 s8, s6, 31
	v_mad_u64_u32 v[2:3], s[6:7], v4, s6, 0
	v_mov_b32_e32 v6, v3
	v_mad_u64_u32 v[6:7], s[6:7], v4, s8, v[6:7]
	v_mov_b32_e32 v3, v6
	v_lshl_add_u64 v[2:3], v[2:3], 3, s[12:13]
	v_lshl_add_u64 v[2:3], v[0:1], 3, v[2:3]
	flat_load_dwordx2 v[2:3], v[2:3]
	s_waitcnt vmcnt(0) lgkmcnt(0)
	v_mul_f64 v[2:3], s[4:5], v[2:3]
.LBB102_7:
	s_load_dword s4, s[0:1], 0x40
	s_lshl_b64 s[0:1], s[10:11], 3
	s_waitcnt lgkmcnt(0)
	s_add_u32 s0, s2, s0
	s_addc_u32 s1, s3, s1
	v_mad_u64_u32 v[6:7], s[2:3], v4, s4, 0
	s_ashr_i32 s5, s4, 31
	v_mov_b32_e32 v8, v7
	v_mad_u64_u32 v[4:5], s[2:3], v4, s5, v[8:9]
	v_mov_b32_e32 v7, v4
	v_lshl_add_u64 v[4:5], v[6:7], 3, s[0:1]
	v_lshl_add_u64 v[0:1], v[0:1], 3, v[4:5]
	flat_store_dwordx2 v[0:1], v[2:3]
.LBB102_8:
	s_endpgm
	.section	.rodata,"a",@progbits
	.p2align	6, 0x0
	.amdhsa_kernel _ZN12_GLOBAL__N_120geam_ex_scale_kernelILi32ELi32EddPKPKdPKPdEEviiT2_T3_lilT4_lil
		.amdhsa_group_segment_fixed_size 0
		.amdhsa_private_segment_fixed_size 0
		.amdhsa_kernarg_size 80
		.amdhsa_user_sgpr_count 2
		.amdhsa_user_sgpr_dispatch_ptr 0
		.amdhsa_user_sgpr_queue_ptr 0
		.amdhsa_user_sgpr_kernarg_segment_ptr 1
		.amdhsa_user_sgpr_dispatch_id 0
		.amdhsa_user_sgpr_kernarg_preload_length 0
		.amdhsa_user_sgpr_kernarg_preload_offset 0
		.amdhsa_user_sgpr_private_segment_size 0
		.amdhsa_uses_dynamic_stack 0
		.amdhsa_enable_private_segment 0
		.amdhsa_system_sgpr_workgroup_id_x 1
		.amdhsa_system_sgpr_workgroup_id_y 0
		.amdhsa_system_sgpr_workgroup_id_z 1
		.amdhsa_system_sgpr_workgroup_info 0
		.amdhsa_system_vgpr_workitem_id 1
		.amdhsa_next_free_vgpr 10
		.amdhsa_next_free_sgpr 18
		.amdhsa_accum_offset 12
		.amdhsa_reserve_vcc 1
		.amdhsa_float_round_mode_32 0
		.amdhsa_float_round_mode_16_64 0
		.amdhsa_float_denorm_mode_32 3
		.amdhsa_float_denorm_mode_16_64 3
		.amdhsa_dx10_clamp 1
		.amdhsa_ieee_mode 1
		.amdhsa_fp16_overflow 0
		.amdhsa_tg_split 0
		.amdhsa_exception_fp_ieee_invalid_op 0
		.amdhsa_exception_fp_denorm_src 0
		.amdhsa_exception_fp_ieee_div_zero 0
		.amdhsa_exception_fp_ieee_overflow 0
		.amdhsa_exception_fp_ieee_underflow 0
		.amdhsa_exception_fp_ieee_inexact 0
		.amdhsa_exception_int_div_zero 0
	.end_amdhsa_kernel
	.section	.text._ZN12_GLOBAL__N_120geam_ex_scale_kernelILi32ELi32EddPKPKdPKPdEEviiT2_T3_lilT4_lil,"axG",@progbits,_ZN12_GLOBAL__N_120geam_ex_scale_kernelILi32ELi32EddPKPKdPKPdEEviiT2_T3_lilT4_lil,comdat
.Lfunc_end102:
	.size	_ZN12_GLOBAL__N_120geam_ex_scale_kernelILi32ELi32EddPKPKdPKPdEEviiT2_T3_lilT4_lil, .Lfunc_end102-_ZN12_GLOBAL__N_120geam_ex_scale_kernelILi32ELi32EddPKPKdPKPdEEviiT2_T3_lilT4_lil
                                        ; -- End function
	.set _ZN12_GLOBAL__N_120geam_ex_scale_kernelILi32ELi32EddPKPKdPKPdEEviiT2_T3_lilT4_lil.num_vgpr, 10
	.set _ZN12_GLOBAL__N_120geam_ex_scale_kernelILi32ELi32EddPKPKdPKPdEEviiT2_T3_lilT4_lil.num_agpr, 0
	.set _ZN12_GLOBAL__N_120geam_ex_scale_kernelILi32ELi32EddPKPKdPKPdEEviiT2_T3_lilT4_lil.numbered_sgpr, 18
	.set _ZN12_GLOBAL__N_120geam_ex_scale_kernelILi32ELi32EddPKPKdPKPdEEviiT2_T3_lilT4_lil.num_named_barrier, 0
	.set _ZN12_GLOBAL__N_120geam_ex_scale_kernelILi32ELi32EddPKPKdPKPdEEviiT2_T3_lilT4_lil.private_seg_size, 0
	.set _ZN12_GLOBAL__N_120geam_ex_scale_kernelILi32ELi32EddPKPKdPKPdEEviiT2_T3_lilT4_lil.uses_vcc, 1
	.set _ZN12_GLOBAL__N_120geam_ex_scale_kernelILi32ELi32EddPKPKdPKPdEEviiT2_T3_lilT4_lil.uses_flat_scratch, 0
	.set _ZN12_GLOBAL__N_120geam_ex_scale_kernelILi32ELi32EddPKPKdPKPdEEviiT2_T3_lilT4_lil.has_dyn_sized_stack, 0
	.set _ZN12_GLOBAL__N_120geam_ex_scale_kernelILi32ELi32EddPKPKdPKPdEEviiT2_T3_lilT4_lil.has_recursion, 0
	.set _ZN12_GLOBAL__N_120geam_ex_scale_kernelILi32ELi32EddPKPKdPKPdEEviiT2_T3_lilT4_lil.has_indirect_call, 0
	.section	.AMDGPU.csdata,"",@progbits
; Kernel info:
; codeLenInByte = 492
; TotalNumSgprs: 24
; NumVgprs: 10
; NumAgprs: 0
; TotalNumVgprs: 10
; ScratchSize: 0
; MemoryBound: 0
; FloatMode: 240
; IeeeMode: 1
; LDSByteSize: 0 bytes/workgroup (compile time only)
; SGPRBlocks: 2
; VGPRBlocks: 1
; NumSGPRsForWavesPerEU: 24
; NumVGPRsForWavesPerEU: 10
; AccumOffset: 12
; Occupancy: 8
; WaveLimiterHint : 1
; COMPUTE_PGM_RSRC2:SCRATCH_EN: 0
; COMPUTE_PGM_RSRC2:USER_SGPR: 2
; COMPUTE_PGM_RSRC2:TRAP_HANDLER: 0
; COMPUTE_PGM_RSRC2:TGID_X_EN: 1
; COMPUTE_PGM_RSRC2:TGID_Y_EN: 0
; COMPUTE_PGM_RSRC2:TGID_Z_EN: 1
; COMPUTE_PGM_RSRC2:TIDIG_COMP_CNT: 1
; COMPUTE_PGM_RSRC3_GFX90A:ACCUM_OFFSET: 2
; COMPUTE_PGM_RSRC3_GFX90A:TG_SPLIT: 0
	.section	.text._ZN12_GLOBAL__N_120geam_ex_scale_kernelILi32ELi32EdPKdPKS2_PKPdEEviiT2_T3_lilT4_lil,"axG",@progbits,_ZN12_GLOBAL__N_120geam_ex_scale_kernelILi32ELi32EdPKdPKS2_PKPdEEviiT2_T3_lilT4_lil,comdat
	.globl	_ZN12_GLOBAL__N_120geam_ex_scale_kernelILi32ELi32EdPKdPKS2_PKPdEEviiT2_T3_lilT4_lil ; -- Begin function _ZN12_GLOBAL__N_120geam_ex_scale_kernelILi32ELi32EdPKdPKS2_PKPdEEviiT2_T3_lilT4_lil
	.p2align	8
	.type	_ZN12_GLOBAL__N_120geam_ex_scale_kernelILi32ELi32EdPKdPKS2_PKPdEEviiT2_T3_lilT4_lil,@function
_ZN12_GLOBAL__N_120geam_ex_scale_kernelILi32ELi32EdPKdPKS2_PKPdEEviiT2_T3_lilT4_lil: ; @_ZN12_GLOBAL__N_120geam_ex_scale_kernelILi32ELi32EdPKdPKS2_PKPdEEviiT2_T3_lilT4_lil
; %bb.0:
	s_load_dwordx4 s[4:7], s[0:1], 0x8
	s_mov_b32 s14, s3
	s_mov_b64 s[10:11], 0
	s_mov_b32 s15, 0
	s_waitcnt lgkmcnt(0)
	s_load_dwordx2 s[8:9], s[4:5], 0x0
	s_waitcnt lgkmcnt(0)
	v_cmp_eq_f64_e64 s[12:13], s[8:9], 0
	s_and_b64 vcc, exec, s[12:13]
	s_cbranch_vccnz .LBB103_2
; %bb.1:
	s_lshl_b64 s[10:11], s[14:15], 3
	s_add_u32 s6, s6, s10
	s_load_dwordx2 s[4:5], s[0:1], 0x18
	s_addc_u32 s7, s7, s11
	s_load_dwordx2 s[6:7], s[6:7], 0x0
	s_waitcnt lgkmcnt(0)
	s_lshl_b64 s[4:5], s[4:5], 3
	s_add_u32 s10, s6, s4
	s_addc_u32 s11, s7, s5
.LBB103_2:
	s_load_dwordx2 s[4:5], s[0:1], 0x0
	v_and_b32_e32 v2, 0x3ff, v0
	v_bfe_u32 v0, v0, 10, 10
	s_waitcnt lgkmcnt(0)
	s_add_i32 s3, s4, -1
	s_ashr_i32 s6, s3, 31
	s_lshr_b32 s6, s6, 27
	s_add_i32 s3, s3, s6
	s_ashr_i32 s3, s3, 5
	s_add_i32 s6, s3, 1
	v_cvt_f32_u32_e32 v1, s6
	s_not_b32 s3, s3
	v_rcp_iflag_f32_e32 v1, v1
	s_nop 0
	v_mul_f32_e32 v1, 0x4f7ffffe, v1
	v_cvt_u32_f32_e32 v1, v1
	s_nop 0
	v_readfirstlane_b32 s7, v1
	s_mul_i32 s3, s3, s7
	s_mul_hi_u32 s3, s7, s3
	s_add_i32 s7, s7, s3
	s_mul_hi_u32 s3, s2, s7
	s_mul_i32 s7, s3, s6
	s_sub_i32 s7, s2, s7
	s_add_i32 s16, s3, 1
	s_sub_i32 s17, s7, s6
	s_cmp_ge_u32 s7, s6
	s_cselect_b32 s3, s16, s3
	s_cselect_b32 s7, s17, s7
	s_add_i32 s16, s3, 1
	s_cmp_ge_u32 s7, s6
	s_cselect_b32 s3, s16, s3
	s_mul_i32 s6, s3, s6
	s_sub_i32 s2, s2, s6
	v_lshl_add_u32 v4, s3, 5, v0
	v_lshl_add_u32 v0, s2, 5, v2
	v_cmp_gt_u32_e32 vcc, s4, v0
	v_cmp_gt_u32_e64 s[2:3], s5, v4
	s_and_b64 s[2:3], vcc, s[2:3]
	s_and_saveexec_b64 s[4:5], s[2:3]
	s_cbranch_execz .LBB103_8
; %bb.3:
	s_load_dwordx4 s[4:7], s[0:1], 0x30
	s_lshl_b64 s[2:3], s[14:15], 3
	v_mov_b32_e32 v1, 0
	s_waitcnt lgkmcnt(0)
	s_add_u32 s2, s4, s2
	s_addc_u32 s3, s5, s3
	s_load_dwordx2 s[2:3], s[2:3], 0x0
	s_andn2_b64 vcc, exec, s[12:13]
	s_cbranch_vccnz .LBB103_5
; %bb.4:
	v_mov_b64_e32 v[2:3], 0
	s_cbranch_execz .LBB103_6
	s_branch .LBB103_7
.LBB103_5:
	v_mov_b64_e32 v[2:3], 0
.LBB103_6:
	s_load_dword s4, s[0:1], 0x20
	s_waitcnt lgkmcnt(0)
	s_ashr_i32 s12, s4, 31
	v_mad_u64_u32 v[2:3], s[4:5], v4, s4, 0
	v_mov_b32_e32 v6, v3
	v_mad_u64_u32 v[6:7], s[4:5], v4, s12, v[6:7]
	v_mov_b32_e32 v3, v6
	v_lshl_add_u64 v[2:3], v[2:3], 3, s[10:11]
	v_lshl_add_u64 v[2:3], v[0:1], 3, v[2:3]
	flat_load_dwordx2 v[2:3], v[2:3]
	s_waitcnt vmcnt(0) lgkmcnt(0)
	v_mul_f64 v[2:3], s[8:9], v[2:3]
.LBB103_7:
	s_load_dword s4, s[0:1], 0x40
	s_lshl_b64 s[0:1], s[6:7], 3
	s_waitcnt lgkmcnt(0)
	s_add_u32 s0, s2, s0
	s_addc_u32 s1, s3, s1
	v_mad_u64_u32 v[6:7], s[2:3], v4, s4, 0
	s_ashr_i32 s5, s4, 31
	v_mov_b32_e32 v8, v7
	v_mad_u64_u32 v[4:5], s[2:3], v4, s5, v[8:9]
	v_mov_b32_e32 v7, v4
	v_lshl_add_u64 v[4:5], v[6:7], 3, s[0:1]
	v_lshl_add_u64 v[0:1], v[0:1], 3, v[4:5]
	flat_store_dwordx2 v[0:1], v[2:3]
.LBB103_8:
	s_endpgm
	.section	.rodata,"a",@progbits
	.p2align	6, 0x0
	.amdhsa_kernel _ZN12_GLOBAL__N_120geam_ex_scale_kernelILi32ELi32EdPKdPKS2_PKPdEEviiT2_T3_lilT4_lil
		.amdhsa_group_segment_fixed_size 0
		.amdhsa_private_segment_fixed_size 0
		.amdhsa_kernarg_size 80
		.amdhsa_user_sgpr_count 2
		.amdhsa_user_sgpr_dispatch_ptr 0
		.amdhsa_user_sgpr_queue_ptr 0
		.amdhsa_user_sgpr_kernarg_segment_ptr 1
		.amdhsa_user_sgpr_dispatch_id 0
		.amdhsa_user_sgpr_kernarg_preload_length 0
		.amdhsa_user_sgpr_kernarg_preload_offset 0
		.amdhsa_user_sgpr_private_segment_size 0
		.amdhsa_uses_dynamic_stack 0
		.amdhsa_enable_private_segment 0
		.amdhsa_system_sgpr_workgroup_id_x 1
		.amdhsa_system_sgpr_workgroup_id_y 0
		.amdhsa_system_sgpr_workgroup_id_z 1
		.amdhsa_system_sgpr_workgroup_info 0
		.amdhsa_system_vgpr_workitem_id 1
		.amdhsa_next_free_vgpr 10
		.amdhsa_next_free_sgpr 18
		.amdhsa_accum_offset 12
		.amdhsa_reserve_vcc 1
		.amdhsa_float_round_mode_32 0
		.amdhsa_float_round_mode_16_64 0
		.amdhsa_float_denorm_mode_32 3
		.amdhsa_float_denorm_mode_16_64 3
		.amdhsa_dx10_clamp 1
		.amdhsa_ieee_mode 1
		.amdhsa_fp16_overflow 0
		.amdhsa_tg_split 0
		.amdhsa_exception_fp_ieee_invalid_op 0
		.amdhsa_exception_fp_denorm_src 0
		.amdhsa_exception_fp_ieee_div_zero 0
		.amdhsa_exception_fp_ieee_overflow 0
		.amdhsa_exception_fp_ieee_underflow 0
		.amdhsa_exception_fp_ieee_inexact 0
		.amdhsa_exception_int_div_zero 0
	.end_amdhsa_kernel
	.section	.text._ZN12_GLOBAL__N_120geam_ex_scale_kernelILi32ELi32EdPKdPKS2_PKPdEEviiT2_T3_lilT4_lil,"axG",@progbits,_ZN12_GLOBAL__N_120geam_ex_scale_kernelILi32ELi32EdPKdPKS2_PKPdEEviiT2_T3_lilT4_lil,comdat
.Lfunc_end103:
	.size	_ZN12_GLOBAL__N_120geam_ex_scale_kernelILi32ELi32EdPKdPKS2_PKPdEEviiT2_T3_lilT4_lil, .Lfunc_end103-_ZN12_GLOBAL__N_120geam_ex_scale_kernelILi32ELi32EdPKdPKS2_PKPdEEviiT2_T3_lilT4_lil
                                        ; -- End function
	.set _ZN12_GLOBAL__N_120geam_ex_scale_kernelILi32ELi32EdPKdPKS2_PKPdEEviiT2_T3_lilT4_lil.num_vgpr, 10
	.set _ZN12_GLOBAL__N_120geam_ex_scale_kernelILi32ELi32EdPKdPKS2_PKPdEEviiT2_T3_lilT4_lil.num_agpr, 0
	.set _ZN12_GLOBAL__N_120geam_ex_scale_kernelILi32ELi32EdPKdPKS2_PKPdEEviiT2_T3_lilT4_lil.numbered_sgpr, 18
	.set _ZN12_GLOBAL__N_120geam_ex_scale_kernelILi32ELi32EdPKdPKS2_PKPdEEviiT2_T3_lilT4_lil.num_named_barrier, 0
	.set _ZN12_GLOBAL__N_120geam_ex_scale_kernelILi32ELi32EdPKdPKS2_PKPdEEviiT2_T3_lilT4_lil.private_seg_size, 0
	.set _ZN12_GLOBAL__N_120geam_ex_scale_kernelILi32ELi32EdPKdPKS2_PKPdEEviiT2_T3_lilT4_lil.uses_vcc, 1
	.set _ZN12_GLOBAL__N_120geam_ex_scale_kernelILi32ELi32EdPKdPKS2_PKPdEEviiT2_T3_lilT4_lil.uses_flat_scratch, 0
	.set _ZN12_GLOBAL__N_120geam_ex_scale_kernelILi32ELi32EdPKdPKS2_PKPdEEviiT2_T3_lilT4_lil.has_dyn_sized_stack, 0
	.set _ZN12_GLOBAL__N_120geam_ex_scale_kernelILi32ELi32EdPKdPKS2_PKPdEEviiT2_T3_lilT4_lil.has_recursion, 0
	.set _ZN12_GLOBAL__N_120geam_ex_scale_kernelILi32ELi32EdPKdPKS2_PKPdEEviiT2_T3_lilT4_lil.has_indirect_call, 0
	.section	.AMDGPU.csdata,"",@progbits
; Kernel info:
; codeLenInByte = 504
; TotalNumSgprs: 24
; NumVgprs: 10
; NumAgprs: 0
; TotalNumVgprs: 10
; ScratchSize: 0
; MemoryBound: 0
; FloatMode: 240
; IeeeMode: 1
; LDSByteSize: 0 bytes/workgroup (compile time only)
; SGPRBlocks: 2
; VGPRBlocks: 1
; NumSGPRsForWavesPerEU: 24
; NumVGPRsForWavesPerEU: 10
; AccumOffset: 12
; Occupancy: 8
; WaveLimiterHint : 1
; COMPUTE_PGM_RSRC2:SCRATCH_EN: 0
; COMPUTE_PGM_RSRC2:USER_SGPR: 2
; COMPUTE_PGM_RSRC2:TRAP_HANDLER: 0
; COMPUTE_PGM_RSRC2:TGID_X_EN: 1
; COMPUTE_PGM_RSRC2:TGID_Y_EN: 0
; COMPUTE_PGM_RSRC2:TGID_Z_EN: 1
; COMPUTE_PGM_RSRC2:TIDIG_COMP_CNT: 1
; COMPUTE_PGM_RSRC3_GFX90A:ACCUM_OFFSET: 2
; COMPUTE_PGM_RSRC3_GFX90A:TG_SPLIT: 0
	.section	.text._ZN12_GLOBAL__N_120geam_ex_round_kernelILi32ELi32EddPKPKdPKPdEEviiT2_T3_lilT4_lil,"axG",@progbits,_ZN12_GLOBAL__N_120geam_ex_round_kernelILi32ELi32EddPKPKdPKPdEEviiT2_T3_lilT4_lil,comdat
	.globl	_ZN12_GLOBAL__N_120geam_ex_round_kernelILi32ELi32EddPKPKdPKPdEEviiT2_T3_lilT4_lil ; -- Begin function _ZN12_GLOBAL__N_120geam_ex_round_kernelILi32ELi32EddPKPKdPKPdEEviiT2_T3_lilT4_lil
	.p2align	8
	.type	_ZN12_GLOBAL__N_120geam_ex_round_kernelILi32ELi32EddPKPKdPKPdEEviiT2_T3_lilT4_lil,@function
_ZN12_GLOBAL__N_120geam_ex_round_kernelILi32ELi32EddPKPKdPKPdEEviiT2_T3_lilT4_lil: ; @_ZN12_GLOBAL__N_120geam_ex_round_kernelILi32ELi32EddPKPKdPKPdEEviiT2_T3_lilT4_lil
; %bb.0:
	s_load_dwordx4 s[4:7], s[0:1], 0x8
	s_mov_b32 s16, s3
	s_mov_b64 s[12:13], 0
	s_mov_b32 s17, 0
	s_waitcnt lgkmcnt(0)
	v_cmp_eq_f64_e64 s[14:15], s[4:5], 0
	s_and_b64 vcc, exec, s[14:15]
	s_cbranch_vccnz .LBB104_2
; %bb.1:
	s_lshl_b64 s[10:11], s[16:17], 3
	s_add_u32 s6, s6, s10
	s_load_dwordx2 s[8:9], s[0:1], 0x18
	s_addc_u32 s7, s7, s11
	s_load_dwordx2 s[6:7], s[6:7], 0x0
	s_waitcnt lgkmcnt(0)
	s_lshl_b64 s[8:9], s[8:9], 3
	s_add_u32 s12, s6, s8
	s_addc_u32 s13, s7, s9
.LBB104_2:
	s_load_dwordx2 s[6:7], s[0:1], 0x0
	v_and_b32_e32 v3, 0x3ff, v0
	v_bfe_u32 v0, v0, 10, 10
	s_waitcnt lgkmcnt(0)
	s_add_i32 s3, s6, -1
	s_ashr_i32 s8, s3, 31
	s_lshr_b32 s8, s8, 27
	s_add_i32 s3, s3, s8
	s_ashr_i32 s3, s3, 5
	s_add_i32 s8, s3, 1
	v_cvt_f32_u32_e32 v1, s8
	s_not_b32 s3, s3
	v_rcp_iflag_f32_e32 v1, v1
	s_nop 0
	v_mul_f32_e32 v1, 0x4f7ffffe, v1
	v_cvt_u32_f32_e32 v1, v1
	s_nop 0
	v_readfirstlane_b32 s9, v1
	s_mul_i32 s3, s3, s9
	s_mul_hi_u32 s3, s9, s3
	s_add_i32 s9, s9, s3
	s_mul_hi_u32 s3, s2, s9
	s_mul_i32 s9, s3, s8
	s_sub_i32 s9, s2, s9
	s_add_i32 s10, s3, 1
	s_sub_i32 s11, s9, s8
	s_cmp_ge_u32 s9, s8
	s_cselect_b32 s3, s10, s3
	s_cselect_b32 s9, s11, s9
	s_add_i32 s10, s3, 1
	s_cmp_ge_u32 s9, s8
	s_cselect_b32 s3, s10, s3
	s_mul_i32 s8, s3, s8
	s_sub_i32 s2, s2, s8
	v_lshl_add_u32 v2, s3, 5, v0
	v_lshl_add_u32 v0, s2, 5, v3
	v_cmp_gt_u32_e32 vcc, s6, v0
	v_cmp_gt_u32_e64 s[2:3], s7, v2
	s_and_b64 s[2:3], vcc, s[2:3]
	s_and_saveexec_b64 s[6:7], s[2:3]
	s_cbranch_execz .LBB104_8
; %bb.3:
	s_load_dwordx4 s[8:11], s[0:1], 0x30
	s_lshl_b64 s[2:3], s[16:17], 3
	v_mov_b32_e32 v1, 0
	s_waitcnt lgkmcnt(0)
	s_add_u32 s2, s8, s2
	s_addc_u32 s3, s9, s3
	s_load_dwordx2 s[2:3], s[2:3], 0x0
	s_andn2_b64 vcc, exec, s[14:15]
	s_cbranch_vccnz .LBB104_5
; %bb.4:
	v_mov_b64_e32 v[4:5], 0
	s_cbranch_execz .LBB104_6
	s_branch .LBB104_7
.LBB104_5:
	v_mov_b64_e32 v[4:5], 0
.LBB104_6:
	s_load_dword s6, s[0:1], 0x20
	s_waitcnt lgkmcnt(0)
	s_ashr_i32 s8, s6, 31
	v_mad_u64_u32 v[4:5], s[6:7], v2, s6, 0
	v_mov_b32_e32 v6, v5
	v_mad_u64_u32 v[6:7], s[6:7], v2, s8, v[6:7]
	v_mov_b32_e32 v5, v6
	v_lshl_add_u64 v[4:5], v[4:5], 3, s[12:13]
	v_lshl_add_u64 v[4:5], v[0:1], 3, v[4:5]
	flat_load_dwordx2 v[4:5], v[4:5]
	s_waitcnt vmcnt(0) lgkmcnt(0)
	v_mul_f64 v[4:5], s[4:5], v[4:5]
.LBB104_7:
	s_load_dword s4, s[0:1], 0x40
	s_lshl_b64 s[0:1], s[10:11], 3
	s_waitcnt lgkmcnt(0)
	s_add_u32 s0, s2, s0
	s_addc_u32 s1, s3, s1
	v_cmp_nlt_f64_e32 vcc, 0, v[4:5]
	v_mad_u64_u32 v[6:7], s[2:3], v2, s4, 0
	s_ashr_i32 s5, s4, 31
	v_mov_b32_e32 v8, v7
	v_mad_u64_u32 v[2:3], s[2:3], v2, s5, v[8:9]
	v_mov_b32_e32 v7, v2
	v_lshl_add_u64 v[2:3], v[6:7], 3, s[0:1]
	v_lshl_add_u64 v[0:1], v[0:1], 3, v[2:3]
	v_cndmask_b32_e32 v3, 0, v5, vcc
	v_cndmask_b32_e32 v2, 0, v4, vcc
	flat_store_dwordx2 v[0:1], v[2:3]
.LBB104_8:
	s_endpgm
	.section	.rodata,"a",@progbits
	.p2align	6, 0x0
	.amdhsa_kernel _ZN12_GLOBAL__N_120geam_ex_round_kernelILi32ELi32EddPKPKdPKPdEEviiT2_T3_lilT4_lil
		.amdhsa_group_segment_fixed_size 0
		.amdhsa_private_segment_fixed_size 0
		.amdhsa_kernarg_size 80
		.amdhsa_user_sgpr_count 2
		.amdhsa_user_sgpr_dispatch_ptr 0
		.amdhsa_user_sgpr_queue_ptr 0
		.amdhsa_user_sgpr_kernarg_segment_ptr 1
		.amdhsa_user_sgpr_dispatch_id 0
		.amdhsa_user_sgpr_kernarg_preload_length 0
		.amdhsa_user_sgpr_kernarg_preload_offset 0
		.amdhsa_user_sgpr_private_segment_size 0
		.amdhsa_uses_dynamic_stack 0
		.amdhsa_enable_private_segment 0
		.amdhsa_system_sgpr_workgroup_id_x 1
		.amdhsa_system_sgpr_workgroup_id_y 0
		.amdhsa_system_sgpr_workgroup_id_z 1
		.amdhsa_system_sgpr_workgroup_info 0
		.amdhsa_system_vgpr_workitem_id 1
		.amdhsa_next_free_vgpr 10
		.amdhsa_next_free_sgpr 18
		.amdhsa_accum_offset 12
		.amdhsa_reserve_vcc 1
		.amdhsa_float_round_mode_32 0
		.amdhsa_float_round_mode_16_64 0
		.amdhsa_float_denorm_mode_32 3
		.amdhsa_float_denorm_mode_16_64 3
		.amdhsa_dx10_clamp 1
		.amdhsa_ieee_mode 1
		.amdhsa_fp16_overflow 0
		.amdhsa_tg_split 0
		.amdhsa_exception_fp_ieee_invalid_op 0
		.amdhsa_exception_fp_denorm_src 0
		.amdhsa_exception_fp_ieee_div_zero 0
		.amdhsa_exception_fp_ieee_overflow 0
		.amdhsa_exception_fp_ieee_underflow 0
		.amdhsa_exception_fp_ieee_inexact 0
		.amdhsa_exception_int_div_zero 0
	.end_amdhsa_kernel
	.section	.text._ZN12_GLOBAL__N_120geam_ex_round_kernelILi32ELi32EddPKPKdPKPdEEviiT2_T3_lilT4_lil,"axG",@progbits,_ZN12_GLOBAL__N_120geam_ex_round_kernelILi32ELi32EddPKPKdPKPdEEviiT2_T3_lilT4_lil,comdat
.Lfunc_end104:
	.size	_ZN12_GLOBAL__N_120geam_ex_round_kernelILi32ELi32EddPKPKdPKPdEEviiT2_T3_lilT4_lil, .Lfunc_end104-_ZN12_GLOBAL__N_120geam_ex_round_kernelILi32ELi32EddPKPKdPKPdEEviiT2_T3_lilT4_lil
                                        ; -- End function
	.set _ZN12_GLOBAL__N_120geam_ex_round_kernelILi32ELi32EddPKPKdPKPdEEviiT2_T3_lilT4_lil.num_vgpr, 10
	.set _ZN12_GLOBAL__N_120geam_ex_round_kernelILi32ELi32EddPKPKdPKPdEEviiT2_T3_lilT4_lil.num_agpr, 0
	.set _ZN12_GLOBAL__N_120geam_ex_round_kernelILi32ELi32EddPKPKdPKPdEEviiT2_T3_lilT4_lil.numbered_sgpr, 18
	.set _ZN12_GLOBAL__N_120geam_ex_round_kernelILi32ELi32EddPKPKdPKPdEEviiT2_T3_lilT4_lil.num_named_barrier, 0
	.set _ZN12_GLOBAL__N_120geam_ex_round_kernelILi32ELi32EddPKPKdPKPdEEviiT2_T3_lilT4_lil.private_seg_size, 0
	.set _ZN12_GLOBAL__N_120geam_ex_round_kernelILi32ELi32EddPKPKdPKPdEEviiT2_T3_lilT4_lil.uses_vcc, 1
	.set _ZN12_GLOBAL__N_120geam_ex_round_kernelILi32ELi32EddPKPKdPKPdEEviiT2_T3_lilT4_lil.uses_flat_scratch, 0
	.set _ZN12_GLOBAL__N_120geam_ex_round_kernelILi32ELi32EddPKPKdPKPdEEviiT2_T3_lilT4_lil.has_dyn_sized_stack, 0
	.set _ZN12_GLOBAL__N_120geam_ex_round_kernelILi32ELi32EddPKPKdPKPdEEviiT2_T3_lilT4_lil.has_recursion, 0
	.set _ZN12_GLOBAL__N_120geam_ex_round_kernelILi32ELi32EddPKPKdPKPdEEviiT2_T3_lilT4_lil.has_indirect_call, 0
	.section	.AMDGPU.csdata,"",@progbits
; Kernel info:
; codeLenInByte = 504
; TotalNumSgprs: 24
; NumVgprs: 10
; NumAgprs: 0
; TotalNumVgprs: 10
; ScratchSize: 0
; MemoryBound: 0
; FloatMode: 240
; IeeeMode: 1
; LDSByteSize: 0 bytes/workgroup (compile time only)
; SGPRBlocks: 2
; VGPRBlocks: 1
; NumSGPRsForWavesPerEU: 24
; NumVGPRsForWavesPerEU: 10
; AccumOffset: 12
; Occupancy: 8
; WaveLimiterHint : 1
; COMPUTE_PGM_RSRC2:SCRATCH_EN: 0
; COMPUTE_PGM_RSRC2:USER_SGPR: 2
; COMPUTE_PGM_RSRC2:TRAP_HANDLER: 0
; COMPUTE_PGM_RSRC2:TGID_X_EN: 1
; COMPUTE_PGM_RSRC2:TGID_Y_EN: 0
; COMPUTE_PGM_RSRC2:TGID_Z_EN: 1
; COMPUTE_PGM_RSRC2:TIDIG_COMP_CNT: 1
; COMPUTE_PGM_RSRC3_GFX90A:ACCUM_OFFSET: 2
; COMPUTE_PGM_RSRC3_GFX90A:TG_SPLIT: 0
	.section	.text._ZN12_GLOBAL__N_120geam_min_plus_kernelId15HIP_vector_typeIdLj2EEdLi32ELi8ELi256ELi64ELi4ELi64ELi4ELi4ELi64ELc78ELc78ELb0ELb0ELb1EPKdKS4_KPdEEviiiT16_PT17_ilSA_ilS8_SA_ilPT18_ili26rocblas_geam_ex_operation_,"axG",@progbits,_ZN12_GLOBAL__N_120geam_min_plus_kernelId15HIP_vector_typeIdLj2EEdLi32ELi8ELi256ELi64ELi4ELi64ELi4ELi4ELi64ELc78ELc78ELb0ELb0ELb1EPKdKS4_KPdEEviiiT16_PT17_ilSA_ilS8_SA_ilPT18_ili26rocblas_geam_ex_operation_,comdat
	.globl	_ZN12_GLOBAL__N_120geam_min_plus_kernelId15HIP_vector_typeIdLj2EEdLi32ELi8ELi256ELi64ELi4ELi64ELi4ELi4ELi64ELc78ELc78ELb0ELb0ELb1EPKdKS4_KPdEEviiiT16_PT17_ilSA_ilS8_SA_ilPT18_ili26rocblas_geam_ex_operation_ ; -- Begin function _ZN12_GLOBAL__N_120geam_min_plus_kernelId15HIP_vector_typeIdLj2EEdLi32ELi8ELi256ELi64ELi4ELi64ELi4ELi4ELi64ELc78ELc78ELb0ELb0ELb1EPKdKS4_KPdEEviiiT16_PT17_ilSA_ilS8_SA_ilPT18_ili26rocblas_geam_ex_operation_
	.p2align	8
	.type	_ZN12_GLOBAL__N_120geam_min_plus_kernelId15HIP_vector_typeIdLj2EEdLi32ELi8ELi256ELi64ELi4ELi64ELi4ELi4ELi64ELc78ELc78ELb0ELb0ELb1EPKdKS4_KPdEEviiiT16_PT17_ilSA_ilS8_SA_ilPT18_ili26rocblas_geam_ex_operation_,@function
_ZN12_GLOBAL__N_120geam_min_plus_kernelId15HIP_vector_typeIdLj2EEdLi32ELi8ELi256ELi64ELi4ELi64ELi4ELi4ELi64ELc78ELc78ELb0ELb0ELb1EPKdKS4_KPdEEviiiT16_PT17_ilSA_ilS8_SA_ilPT18_ili26rocblas_geam_ex_operation_: ; @_ZN12_GLOBAL__N_120geam_min_plus_kernelId15HIP_vector_typeIdLj2EEdLi32ELi8ELi256ELi64ELi4ELi64ELi4ELi4ELi64ELc78ELc78ELb0ELb0ELb1EPKdKS4_KPdEEviiiT16_PT17_ilSA_ilS8_SA_ilPT18_ili26rocblas_geam_ex_operation_
; %bb.0:
	s_load_dwordx4 s[4:7], s[0:1], 0x10
	s_load_dwordx4 s[12:15], s[0:1], 0x28
	;; [unrolled: 1-line block ×3, first 2 shown]
	s_mov_b32 s16, s3
	s_mov_b32 s17, 0
	s_lshl_b64 s[26:27], s[16:17], 3
	s_waitcnt lgkmcnt(0)
	s_add_u32 s4, s4, s26
	s_addc_u32 s5, s5, s27
	s_load_dwordx2 s[18:19], s[4:5], 0x0
	s_load_dwordx2 s[24:25], s[0:1], 0x50
	s_add_u32 s10, s10, s26
	s_addc_u32 s11, s11, s27
	s_mov_b64 s[22:23], 0
	s_waitcnt lgkmcnt(0)
	v_cmp_eq_f64_e64 s[4:5], s[18:19], 0
	s_and_b64 s[4:5], exec, s[4:5]
	v_cmp_neq_f64_e64 s[16:17], s[18:19], 0
	s_mov_b64 s[20:21], 0
	s_mov_b64 vcc, s[4:5]
	s_cbranch_vccnz .LBB105_2
; %bb.1:
	s_add_u32 s6, s6, s26
	s_addc_u32 s7, s7, s27
	s_load_dwordx2 s[6:7], s[6:7], 0x0
	s_lshl_b64 s[12:13], s[12:13], 3
	s_waitcnt lgkmcnt(0)
	s_add_u32 s20, s6, s12
	s_addc_u32 s21, s7, s13
.LBB105_2:
	s_load_dwordx2 s[10:11], s[10:11], 0x0
	v_cndmask_b32_e64 v1, 0, 1, s[16:17]
	v_cmp_ne_u32_e64 s[6:7], 1, v1
	s_andn2_b64 vcc, exec, s[16:17]
	s_cbranch_vccnz .LBB105_4
; %bb.3:
	s_add_u32 s12, s14, s26
	s_addc_u32 s13, s15, s27
	s_load_dwordx2 s[12:13], s[12:13], 0x0
	s_lshl_b64 s[8:9], s[8:9], 3
	s_waitcnt lgkmcnt(0)
	s_add_u32 s22, s12, s8
	s_addc_u32 s23, s13, s9
.LBB105_4:
	s_load_dwordx4 s[12:15], s[0:1], 0x60
	s_waitcnt lgkmcnt(0)
	v_cmp_eq_f64_e64 s[8:9], s[10:11], 0
	s_and_b64 s[8:9], exec, s[8:9]
	s_mov_b64 s[16:17], 0
	s_mov_b64 vcc, s[8:9]
	s_cbranch_vccnz .LBB105_6
; %bb.5:
	s_add_u32 s16, s24, s26
	s_addc_u32 s17, s25, s27
	s_load_dwordx2 s[16:17], s[16:17], 0x0
	s_lshl_b64 s[12:13], s[12:13], 3
	s_waitcnt lgkmcnt(0)
	s_add_u32 s16, s16, s12
	s_addc_u32 s17, s17, s13
.LBB105_6:
	s_load_dword s3, s[0:1], 0x0
	s_load_dword s24, s[0:1], 0x20
	s_add_u32 s14, s14, s26
	s_addc_u32 s15, s15, s27
	v_and_b32_e32 v152, 0x3ff, v0
	s_waitcnt lgkmcnt(0)
	s_add_i32 s3, s3, -1
	s_ashr_i32 s12, s3, 31
	s_lshr_b32 s12, s12, 24
	s_add_i32 s3, s3, s12
	s_ashr_i32 s3, s3, 8
	s_add_i32 s25, s3, 1
	v_cvt_f32_u32_e32 v1, s25
	v_bfe_u32 v153, v0, 10, 10
	v_lshl_add_u32 v14, v153, 5, v152
	v_lshrrev_b32_e32 v112, 6, v14
	v_rcp_iflag_f32_e32 v0, v1
	s_not_b32 s3, s3
	v_and_b32_e32 v113, 63, v14
	v_mul_f32_e32 v0, 0x4f7ffffe, v0
	v_cvt_u32_f32_e32 v2, v0
	v_mad_i64_i32 v[0:1], s[12:13], s24, v112, 0
	v_lshl_add_u64 v[12:13], v[0:1], 3, s[20:21]
	v_readfirstlane_b32 s12, v2
	s_mul_i32 s3, s3, s12
	s_mul_hi_u32 s3, s12, s3
	s_add_i32 s12, s12, s3
	s_mul_hi_u32 s3, s2, s12
	s_mul_i32 s12, s3, s25
	s_sub_i32 s12, s2, s12
	s_add_i32 s13, s3, 1
	s_sub_i32 s26, s12, s25
	s_cmp_ge_u32 s12, s25
	s_cselect_b32 s3, s13, s3
	s_cselect_b32 s12, s26, s12
	s_add_i32 s13, s3, 1
	s_cmp_ge_u32 s12, s25
	s_cselect_b32 s27, s13, s3
	s_mul_i32 s3, s27, s25
	s_sub_i32 s12, s2, s3
	s_lshl_b32 s26, s12, 8
	v_or_b32_e32 v4, s26, v113
	s_and_b64 vcc, exec, s[6:7]
	v_ashrrev_i32_e32 v5, 31, v4
	s_cbranch_vccnz .LBB105_9
; %bb.7:
	v_lshl_add_u64 v[0:1], v[4:5], 3, v[12:13]
	flat_load_dwordx2 v[2:3], v[0:1]
	flat_load_dwordx2 v[6:7], v[0:1] offset:512
	s_waitcnt vmcnt(0) lgkmcnt(0)
	v_mul_f64 v[2:3], s[18:19], v[2:3]
	v_mul_f64 v[0:1], s[18:19], v[6:7]
	s_ashr_i32 s25, s24, 31
	s_mov_b64 vcc, s[4:5]
	s_cbranch_vccz .LBB105_10
.LBB105_8:
	s_mov_b32 s12, 0
	v_mov_b32_e32 v6, s12
	v_mov_b32_e32 v7, s12
	v_mov_b64_e32 v[8:9], 0
	v_mov_b64_e32 v[10:11], 0
	s_cbranch_execz .LBB105_11
	s_branch .LBB105_12
.LBB105_9:
	v_mov_b64_e32 v[0:1], 0
	v_mov_b64_e32 v[2:3], v[0:1]
	s_ashr_i32 s25, s24, 31
	s_mov_b64 vcc, s[4:5]
	s_cbranch_vccnz .LBB105_8
.LBB105_10:
                                        ; implicit-def: $vgpr6_vgpr7
	v_mov_b64_e32 v[8:9], 0
	v_mov_b64_e32 v[10:11], 0
.LBB105_11:
	v_lshl_add_u64 v[6:7], v[4:5], 3, v[12:13]
	flat_load_dwordx2 v[10:11], v[6:7] offset:1024
	flat_load_dwordx2 v[12:13], v[6:7] offset:1536
	s_waitcnt vmcnt(0) lgkmcnt(0)
	v_mul_f64 v[6:7], s[18:19], v[10:11]
	v_mul_f64 v[10:11], s[18:19], v[12:13]
.LBB105_12:
	s_load_dword s29, s[0:1], 0x38
	v_and_b32_e32 v12, 3, v152
	v_lshrrev_b32_e32 v14, 2, v14
	s_lshl_b32 s27, s27, 6
	s_and_b64 vcc, exec, s[6:7]
	v_add_u32_e32 v114, s27, v14
	v_lshlrev_b32_e32 v100, 3, v12
	s_cbranch_vccnz .LBB105_14
; %bb.13:
	s_waitcnt lgkmcnt(0)
	v_mad_i64_i32 v[8:9], s[12:13], v114, s29, 0
	v_lshl_add_u64 v[8:9], v[8:9], 3, s[22:23]
	v_mov_b32_e32 v101, 0
	v_lshl_add_u64 v[8:9], v[8:9], 0, v[100:101]
	flat_load_dwordx2 v[8:9], v[8:9]
	s_waitcnt vmcnt(0) lgkmcnt(0)
	v_mul_f64 v[8:9], s[18:19], v[8:9]
.LBB105_14:
	v_add_u32_e32 v12, 4, v112
	v_mad_i64_i32 v[12:13], s[12:13], s24, v12, 0
	s_and_b64 vcc, exec, s[6:7]
	v_lshl_add_u64 v[12:13], v[12:13], 3, s[20:21]
	s_cbranch_vccnz .LBB105_17
; %bb.15:
	v_lshl_add_u64 v[16:17], v[4:5], 3, v[12:13]
	flat_load_dwordx2 v[18:19], v[16:17]
	flat_load_dwordx2 v[20:21], v[16:17] offset:512
	s_waitcnt vmcnt(0) lgkmcnt(0)
	v_mul_f64 v[106:107], s[18:19], v[18:19]
	v_mul_f64 v[104:105], s[18:19], v[20:21]
	s_mov_b64 vcc, s[4:5]
	s_cbranch_vccz .LBB105_18
.LBB105_16:
	s_mov_b32 s12, 0
	v_mov_b32_e32 v108, s12
	v_mov_b32_e32 v109, s12
	v_mov_b64_e32 v[102:103], 0
	v_mov_b64_e32 v[110:111], 0
	s_cbranch_execz .LBB105_19
	s_branch .LBB105_20
.LBB105_17:
	v_mov_b64_e32 v[104:105], 0
	v_mov_b64_e32 v[106:107], v[104:105]
	s_mov_b64 vcc, s[4:5]
	s_cbranch_vccnz .LBB105_16
.LBB105_18:
                                        ; implicit-def: $vgpr108_vgpr109
	v_mov_b64_e32 v[102:103], 0
	v_mov_b64_e32 v[110:111], 0
.LBB105_19:
	v_lshl_add_u64 v[4:5], v[4:5], 3, v[12:13]
	flat_load_dwordx2 v[12:13], v[4:5] offset:1024
	flat_load_dwordx2 v[16:17], v[4:5] offset:1536
	s_waitcnt vmcnt(0) lgkmcnt(0)
	v_mul_f64 v[108:109], s[18:19], v[12:13]
	v_mul_f64 v[110:111], s[18:19], v[16:17]
.LBB105_20:
	s_and_b64 vcc, exec, s[6:7]
	s_cbranch_vccnz .LBB105_22
; %bb.21:
	s_waitcnt lgkmcnt(0)
	v_mad_i64_i32 v[4:5], s[12:13], v114, s29, 0
	v_lshl_add_u64 v[4:5], v[4:5], 3, s[22:23]
	v_mov_b32_e32 v101, 0
	v_lshl_add_u64 v[4:5], v[4:5], 0, v[100:101]
	flat_load_dwordx2 v[4:5], v[4:5] offset:32
	s_waitcnt vmcnt(0) lgkmcnt(0)
	v_mul_f64 v[102:103], s[18:19], v[4:5]
.LBB105_22:
	v_lshlrev_b32_e32 v4, 5, v113
	v_lshl_add_u32 v159, v112, 3, v4
	v_lshl_or_b32 v101, v14, 5, v100
	v_lshlrev_b32_e32 v155, 5, v152
	s_load_dwordx2 s[12:13], s[14:15], 0x0
	s_load_dword s28, s[0:1], 0x8
	ds_write2st64_b64 v159, v[2:3], v[0:1] offset1:4
	ds_write2st64_b64 v159, v[6:7], v[10:11] offset0:8 offset1:12
	ds_write_b64 v101, v[8:9] offset:16384
	s_waitcnt lgkmcnt(0)
	s_barrier
	v_lshlrev_b32_e32 v154, 5, v153
	ds_read_b128 v[32:35], v155 offset:1024
	ds_read_b128 v[28:31], v155 offset:2048
	;; [unrolled: 1-line block ×12, first 2 shown]
	ds_read_b128 v[40:43], v155
	ds_read_b128 v[96:99], v154 offset:16384
	ds_read_b128 v[44:47], v154 offset:17920
	ds_read_b128 v[36:39], v154 offset:18176
	ds_read_b128 v[0:3], v155 offset:16
	ds_read_b128 v[4:7], v154 offset:16400
	s_waitcnt lgkmcnt(5)
	v_add_f64 v[116:117], v[42:43], v[94:95]
	v_add_f64 v[118:119], v[40:41], v[92:93]
	s_mov_b32 s14, 0x7f800000
	v_cvt_f32_f64_e32 v118, v[118:119]
	v_cvt_f32_f64_e32 v116, v[116:117]
	v_min3_f32 v176, v118, v116, s14
	v_add_f64 v[116:117], v[34:35], v[94:95]
	v_add_f64 v[118:119], v[32:33], v[92:93]
	v_cvt_f32_f64_e32 v118, v[118:119]
	v_cvt_f32_f64_e32 v116, v[116:117]
	v_min3_f32 v177, v118, v116, s14
	v_add_f64 v[116:117], v[30:31], v[94:95]
	v_add_f64 v[118:119], v[28:29], v[92:93]
	;; [unrolled: 5-line block ×34, first 2 shown]
	v_cvt_f32_f64_e32 v118, v[118:119]
	v_cvt_f32_f64_e32 v116, v[116:117]
	v_min3_f32 v122, v118, v116, s14
	s_waitcnt lgkmcnt(3)
	v_add_f64 v[116:117], v[42:43], v[46:47]
	v_add_f64 v[118:119], v[40:41], v[44:45]
	v_cvt_f32_f64_e32 v118, v[118:119]
	v_cvt_f32_f64_e32 v116, v[116:117]
	v_min3_f32 v128, v118, v116, s14
	v_add_f64 v[116:117], v[34:35], v[46:47]
	v_add_f64 v[118:119], v[32:33], v[44:45]
	v_cvt_f32_f64_e32 v118, v[118:119]
	v_cvt_f32_f64_e32 v116, v[116:117]
	v_min3_f32 v125, v118, v116, s14
	;; [unrolled: 5-line block ×3, first 2 shown]
	v_add_f64 v[116:117], v[26:27], v[46:47]
	v_add_f64 v[118:119], v[24:25], v[44:45]
	v_cvt_f32_f64_e32 v118, v[118:119]
	v_cvt_f32_f64_e32 v116, v[116:117]
	v_add_f64 v[56:57], v[42:43], v[98:99]
	v_add_f64 v[58:59], v[40:41], v[96:97]
	v_min3_f32 v121, v118, v116, s14
	v_add_f64 v[116:117], v[22:23], v[46:47]
	v_add_f64 v[118:119], v[20:21], v[44:45]
	v_cvt_f32_f64_e32 v58, v[58:59]
	v_cvt_f32_f64_e32 v56, v[56:57]
	;; [unrolled: 1-line block ×4, first 2 shown]
	v_min3_f32 v115, v58, v56, s14
	ds_read_b128 v[56:59], v155 offset:1040
	v_add_f64 v[60:61], v[34:35], v[98:99]
	v_add_f64 v[62:63], v[32:33], v[96:97]
	v_min3_f32 v119, v118, v116, s14
	v_add_f64 v[116:117], v[18:19], v[46:47]
	v_add_f64 v[168:169], v[16:17], v[44:45]
	v_cvt_f32_f64_e32 v62, v[62:63]
	v_cvt_f32_f64_e32 v60, v[60:61]
	;; [unrolled: 1-line block ×4, first 2 shown]
	v_min3_f32 v167, v62, v60, s14
	ds_read_b128 v[60:63], v155 offset:2064
	v_add_f64 v[64:65], v[30:31], v[98:99]
	v_add_f64 v[66:67], v[28:29], v[96:97]
	;; [unrolled: 1-line block ×22, first 2 shown]
	v_min3_f32 v118, v118, v116, s14
	v_add_f64 v[116:117], v[14:15], v[46:47]
	v_add_f64 v[168:169], v[12:13], v[44:45]
	v_add_f64 v[46:47], v[10:11], v[46:47]
	v_add_f64 v[44:45], v[8:9], v[44:45]
	s_waitcnt lgkmcnt(4)
	v_add_f64 v[14:15], v[14:15], v[38:39]
	v_add_f64 v[12:13], v[12:13], v[36:37]
	;; [unrolled: 1-line block ×4, first 2 shown]
	v_cvt_f32_f64_e32 v66, v[66:67]
	v_cvt_f32_f64_e32 v64, v[64:65]
	v_cvt_f32_f64_e32 v12, v[12:13]
	v_cvt_f32_f64_e32 v13, v[14:15]
	v_cvt_f32_f64_e32 v8, v[8:9]
	v_cvt_f32_f64_e32 v9, v[10:11]
	s_waitcnt lgkmcnt(2)
	v_add_f64 v[10:11], v[2:3], v[6:7]
	v_add_f64 v[14:15], v[0:1], v[4:5]
	v_min3_f32 v170, v66, v64, s14
	ds_read_b128 v[64:67], v155 offset:3088
	v_cvt_f32_f64_e32 v168, v[168:169]
	v_cvt_f32_f64_e32 v116, v[116:117]
	;; [unrolled: 1-line block ×4, first 2 shown]
	v_min3_f32 v8, v8, v9, s14
	v_cvt_f32_f64_e32 v9, v[14:15]
	v_cvt_f32_f64_e32 v10, v[10:11]
	v_cvt_f32_f64_e32 v70, v[70:71]
	v_cvt_f32_f64_e32 v68, v[68:69]
	v_min3_f32 v117, v168, v116, s14
	v_min3_f32 v116, v44, v45, s14
	ds_read_b128 v[44:47], v154 offset:18192
	v_min3_f32 v226, v9, v10, v115
	s_waitcnt lgkmcnt(3)
	v_add_f64 v[10:11], v[58:59], v[6:7]
	v_add_f64 v[14:15], v[56:57], v[4:5]
	v_min3_f32 v171, v70, v68, s14
	ds_read_b128 v[68:71], v155 offset:4112
	v_cvt_f32_f64_e32 v9, v[14:15]
	v_cvt_f32_f64_e32 v10, v[10:11]
	;; [unrolled: 1-line block ×4, first 2 shown]
	v_min3_f32 v224, v9, v10, v167
	s_waitcnt lgkmcnt(3)
	v_add_f64 v[10:11], v[62:63], v[6:7]
	v_add_f64 v[14:15], v[60:61], v[4:5]
	v_min3_f32 v172, v74, v72, s14
	ds_read_b128 v[72:75], v155 offset:5136
	v_cvt_f32_f64_e32 v9, v[14:15]
	v_cvt_f32_f64_e32 v10, v[10:11]
	;; [unrolled: 1-line block ×6, first 2 shown]
	v_min3_f32 v225, v9, v10, v170
	s_waitcnt lgkmcnt(3)
	v_add_f64 v[10:11], v[66:67], v[6:7]
	v_add_f64 v[14:15], v[64:65], v[4:5]
	v_min3_f32 v173, v78, v76, s14
	ds_read_b128 v[76:79], v155 offset:6160
	v_min3_f32 v174, v82, v80, s14
	ds_read_b128 v[80:83], v155 offset:7184
	v_cvt_f32_f64_e32 v9, v[14:15]
	v_cvt_f32_f64_e32 v10, v[10:11]
	;; [unrolled: 1-line block ×4, first 2 shown]
	v_min3_f32 v222, v9, v10, v171
	s_waitcnt lgkmcnt(3)
	v_add_f64 v[10:11], v[70:71], v[6:7]
	v_add_f64 v[14:15], v[68:69], v[4:5]
	v_min3_f32 v175, v96, v97, s14
	ds_read_b128 v[96:99], v154 offset:16656
	v_cvt_f32_f64_e32 v9, v[14:15]
	v_cvt_f32_f64_e32 v10, v[10:11]
	v_min3_f32 v223, v9, v10, v172
	s_waitcnt lgkmcnt(3)
	v_add_f64 v[10:11], v[74:75], v[6:7]
	v_add_f64 v[14:15], v[72:73], v[4:5]
	v_cvt_f32_f64_e32 v9, v[14:15]
	v_cvt_f32_f64_e32 v10, v[10:11]
	v_min3_f32 v220, v9, v10, v173
	s_waitcnt lgkmcnt(2)
	v_add_f64 v[10:11], v[78:79], v[6:7]
	v_add_f64 v[14:15], v[76:77], v[4:5]
	s_waitcnt lgkmcnt(1)
	v_add_f64 v[6:7], v[82:83], v[6:7]
	v_add_f64 v[4:5], v[80:81], v[4:5]
	v_cvt_f32_f64_e32 v92, v[92:93]
	v_cvt_f32_f64_e32 v93, v[94:95]
	;; [unrolled: 1-line block ×4, first 2 shown]
	v_min3_f32 v151, v92, v93, s14
	ds_read_b128 v[92:95], v154 offset:16912
	v_min3_f32 v213, v4, v5, v175
	s_waitcnt lgkmcnt(1)
	v_add_f64 v[4:5], v[2:3], v[98:99]
	v_add_f64 v[6:7], v[0:1], v[96:97]
	v_cvt_f32_f64_e32 v6, v[6:7]
	v_cvt_f32_f64_e32 v4, v[4:5]
	v_min3_f32 v212, v6, v4, v176
	v_add_f64 v[4:5], v[58:59], v[98:99]
	v_add_f64 v[6:7], v[56:57], v[96:97]
	v_cvt_f32_f64_e32 v6, v[6:7]
	v_cvt_f32_f64_e32 v4, v[4:5]
	v_min3_f32 v211, v6, v4, v177
	;; [unrolled: 5-line block ×8, first 2 shown]
	s_waitcnt lgkmcnt(0)
	v_add_f64 v[4:5], v[2:3], v[94:95]
	v_add_f64 v[6:7], v[0:1], v[92:93]
	v_cvt_f32_f64_e32 v6, v[6:7]
	v_cvt_f32_f64_e32 v4, v[4:5]
	v_min3_f32 v204, v6, v4, v164
	v_add_f64 v[4:5], v[58:59], v[94:95]
	v_add_f64 v[6:7], v[56:57], v[92:93]
	v_cvt_f32_f64_e32 v6, v[6:7]
	v_cvt_f32_f64_e32 v4, v[4:5]
	v_min3_f32 v203, v6, v4, v162
	;; [unrolled: 5-line block ×4, first 2 shown]
	v_add_f64 v[4:5], v[70:71], v[94:95]
	v_add_f64 v[6:7], v[68:69], v[92:93]
	v_cvt_f32_f64_e32 v6, v[6:7]
	v_cvt_f32_f64_e32 v4, v[4:5]
	v_cvt_f32_f64_e32 v88, v[88:89]
	v_cvt_f32_f64_e32 v89, v[90:91]
	v_min3_f32 v200, v6, v4, v150
	v_add_f64 v[4:5], v[74:75], v[94:95]
	v_add_f64 v[6:7], v[72:73], v[92:93]
	v_min3_f32 v143, v88, v89, s14
	ds_read_b128 v[88:91], v154 offset:17168
	v_cvt_f32_f64_e32 v6, v[6:7]
	v_cvt_f32_f64_e32 v4, v[4:5]
	v_min3_f32 v199, v6, v4, v148
	v_add_f64 v[4:5], v[78:79], v[94:95]
	v_add_f64 v[6:7], v[76:77], v[92:93]
	v_cvt_f32_f64_e32 v6, v[6:7]
	v_cvt_f32_f64_e32 v4, v[4:5]
	v_min3_f32 v198, v6, v4, v146
	v_add_f64 v[4:5], v[82:83], v[94:95]
	v_add_f64 v[6:7], v[80:81], v[92:93]
	v_cvt_f32_f64_e32 v84, v[84:85]
	v_cvt_f32_f64_e32 v85, v[86:87]
	;; [unrolled: 1-line block ×4, first 2 shown]
	v_min3_f32 v135, v84, v85, s14
	ds_read_b128 v[84:87], v154 offset:17424
	v_min3_f32 v197, v6, v4, v143
	s_waitcnt lgkmcnt(1)
	v_add_f64 v[4:5], v[2:3], v[90:91]
	v_add_f64 v[6:7], v[0:1], v[88:89]
	v_cvt_f32_f64_e32 v6, v[6:7]
	v_cvt_f32_f64_e32 v4, v[4:5]
	v_min3_f32 v196, v6, v4, v156
	v_add_f64 v[4:5], v[58:59], v[90:91]
	v_add_f64 v[6:7], v[56:57], v[88:89]
	v_cvt_f32_f64_e32 v6, v[6:7]
	v_cvt_f32_f64_e32 v4, v[4:5]
	v_min3_f32 v195, v6, v4, v149
	;; [unrolled: 5-line block ×8, first 2 shown]
	s_waitcnt lgkmcnt(0)
	v_add_f64 v[4:5], v[2:3], v[86:87]
	v_add_f64 v[6:7], v[0:1], v[84:85]
	v_cvt_f32_f64_e32 v6, v[6:7]
	v_cvt_f32_f64_e32 v4, v[4:5]
	v_min3_f32 v188, v6, v4, v144
	v_add_f64 v[4:5], v[58:59], v[86:87]
	v_add_f64 v[6:7], v[56:57], v[84:85]
	v_cvt_f32_f64_e32 v6, v[6:7]
	v_cvt_f32_f64_e32 v4, v[4:5]
	v_min3_f32 v187, v6, v4, v141
	;; [unrolled: 5-line block ×4, first 2 shown]
	v_add_f64 v[4:5], v[70:71], v[86:87]
	v_add_f64 v[6:7], v[68:69], v[84:85]
	v_cvt_f32_f64_e32 v6, v[6:7]
	v_cvt_f32_f64_e32 v4, v[4:5]
	;; [unrolled: 1-line block ×4, first 2 shown]
	v_min3_f32 v184, v6, v4, v134
	v_add_f64 v[4:5], v[74:75], v[86:87]
	v_add_f64 v[6:7], v[72:73], v[84:85]
	v_min3_f32 v127, v52, v53, s14
	ds_read_b128 v[52:55], v154 offset:17680
	v_cvt_f32_f64_e32 v6, v[6:7]
	v_cvt_f32_f64_e32 v4, v[4:5]
	v_min3_f32 v183, v6, v4, v132
	v_add_f64 v[4:5], v[78:79], v[86:87]
	v_add_f64 v[6:7], v[76:77], v[84:85]
	v_cvt_f32_f64_e32 v6, v[6:7]
	v_cvt_f32_f64_e32 v4, v[4:5]
	v_min3_f32 v182, v6, v4, v130
	v_add_f64 v[4:5], v[82:83], v[86:87]
	v_add_f64 v[6:7], v[80:81], v[84:85]
	v_cvt_f32_f64_e32 v48, v[48:49]
	v_cvt_f32_f64_e32 v49, v[50:51]
	;; [unrolled: 1-line block ×4, first 2 shown]
	v_min3_f32 v120, v48, v49, s14
	ds_read_b128 v[48:51], v154 offset:17936
	v_min3_f32 v181, v6, v4, v127
	s_waitcnt lgkmcnt(1)
	v_add_f64 v[4:5], v[2:3], v[54:55]
	v_add_f64 v[6:7], v[0:1], v[52:53]
	v_cvt_f32_f64_e32 v6, v[6:7]
	v_cvt_f32_f64_e32 v4, v[4:5]
	v_min3_f32 v180, v6, v4, v136
	v_add_f64 v[4:5], v[58:59], v[54:55]
	v_add_f64 v[6:7], v[56:57], v[52:53]
	v_cvt_f32_f64_e32 v6, v[6:7]
	v_cvt_f32_f64_e32 v4, v[4:5]
	v_min3_f32 v179, v6, v4, v133
	;; [unrolled: 5-line block ×6, first 2 shown]
	v_add_f64 v[4:5], v[78:79], v[54:55]
	v_add_f64 v[6:7], v[76:77], v[52:53]
	v_cvt_f32_f64_e32 v9, v[14:15]
	v_cvt_f32_f64_e32 v10, v[10:11]
	;; [unrolled: 1-line block ×4, first 2 shown]
	v_min3_f32 v221, v9, v10, v174
	v_min3_f32 v174, v6, v4, v122
	v_add_f64 v[4:5], v[82:83], v[54:55]
	v_add_f64 v[6:7], v[80:81], v[52:53]
	;; [unrolled: 1-line block ×4, first 2 shown]
	v_cvt_f32_f64_e32 v6, v[6:7]
	v_cvt_f32_f64_e32 v4, v[4:5]
	;; [unrolled: 1-line block ×4, first 2 shown]
	v_min3_f32 v173, v6, v4, v120
	s_waitcnt lgkmcnt(0)
	v_add_f64 v[4:5], v[2:3], v[50:51]
	v_add_f64 v[6:7], v[0:1], v[48:49]
	;; [unrolled: 1-line block ×4, first 2 shown]
	v_min3_f32 v40, v40, v41, s14
	v_add_f64 v[34:35], v[34:35], v[38:39]
	v_add_f64 v[32:33], v[32:33], v[36:37]
	v_cvt_f32_f64_e32 v6, v[6:7]
	v_cvt_f32_f64_e32 v4, v[4:5]
	v_cvt_f32_f64_e32 v0, v[0:1]
	v_cvt_f32_f64_e32 v1, v[2:3]
	v_cvt_f32_f64_e32 v32, v[32:33]
	v_cvt_f32_f64_e32 v33, v[34:35]
	v_min3_f32 v172, v6, v4, v128
	v_add_f64 v[4:5], v[58:59], v[50:51]
	v_add_f64 v[6:7], v[56:57], v[48:49]
	v_min3_f32 v164, v0, v1, v40
	v_add_f64 v[0:1], v[58:59], v[46:47]
	v_add_f64 v[2:3], v[56:57], v[44:45]
	v_min3_f32 v32, v32, v33, s14
	v_add_f64 v[30:31], v[30:31], v[38:39]
	v_add_f64 v[28:29], v[28:29], v[36:37]
	v_cvt_f32_f64_e32 v6, v[6:7]
	v_cvt_f32_f64_e32 v4, v[4:5]
	v_cvt_f32_f64_e32 v2, v[2:3]
	v_cvt_f32_f64_e32 v0, v[0:1]
	v_cvt_f32_f64_e32 v28, v[28:29]
	v_cvt_f32_f64_e32 v29, v[30:31]
	v_min3_f32 v171, v6, v4, v125
	v_add_f64 v[4:5], v[62:63], v[50:51]
	v_add_f64 v[6:7], v[60:61], v[48:49]
	v_min3_f32 v163, v2, v0, v32
	v_add_f64 v[0:1], v[62:63], v[46:47]
	v_add_f64 v[2:3], v[60:61], v[44:45]
	;; [unrolled: 15-line block ×5, first 2 shown]
	v_min3_f32 v16, v16, v17, s14
	v_cvt_f32_f64_e32 v6, v[6:7]
	v_cvt_f32_f64_e32 v4, v[4:5]
	;; [unrolled: 1-line block ×4, first 2 shown]
	v_min3_f32 v167, v6, v4, v118
	v_add_f64 v[4:5], v[78:79], v[50:51]
	v_add_f64 v[6:7], v[76:77], v[48:49]
	v_min3_f32 v158, v2, v0, v16
	v_add_f64 v[0:1], v[78:79], v[46:47]
	v_add_f64 v[2:3], v[76:77], v[44:45]
	v_min3_f32 v12, v12, v13, s14
	v_cvt_f32_f64_e32 v6, v[6:7]
	v_cvt_f32_f64_e32 v4, v[4:5]
	;; [unrolled: 1-line block ×4, first 2 shown]
	v_min3_f32 v166, v6, v4, v117
	v_add_f64 v[4:5], v[82:83], v[50:51]
	v_add_f64 v[6:7], v[80:81], v[48:49]
	v_min3_f32 v157, v2, v0, v12
	v_add_f64 v[0:1], v[82:83], v[46:47]
	v_add_f64 v[2:3], v[80:81], v[44:45]
	v_cvt_f32_f64_e32 v6, v[6:7]
	v_cvt_f32_f64_e32 v4, v[4:5]
	;; [unrolled: 1-line block ×4, first 2 shown]
	v_min3_f32 v165, v6, v4, v116
	v_min3_f32 v156, v2, v0, v8
	s_cmp_lt_i32 s28, 9
	ds_write2st64_b64 v159, v[106:107], v[104:105] offset0:16 offset1:20
	ds_write2st64_b64 v159, v[108:109], v[110:111] offset0:24 offset1:28
	ds_write_b64 v101, v[102:103] offset:18432
	s_waitcnt lgkmcnt(0)
	s_barrier
	s_cbranch_scc1 .LBB105_45
; %bb.23:
	v_mov_b32_e32 v0, 0x2000
	v_lshl_add_u32 v218, v152, 5, v0
	v_mov_b32_e32 v0, 0x4800
	v_add_u32_e32 v214, 0x4000, v101
	v_add_u32_e32 v217, 0x4800, v101
	v_lshl_add_u32 v219, v153, 5, v0
	v_mad_i64_i32 v[0:1], s[14:15], s29, v114, 0
	v_mov_b32_e32 v101, 0
	v_lshl_add_u64 v[0:1], v[0:1], 3, v[100:101]
	v_lshl_add_u64 v[0:1], s[22:23], 0, v[0:1]
	;; [unrolled: 1-line block ×3, first 2 shown]
	v_add_u32_e32 v0, 12, v112
	v_mad_i64_i32 v[0:1], s[14:15], v0, s24, 0
	v_lshlrev_b64 v[138:139], 3, v[0:1]
	v_lshl_or_b32 v0, s2, 8, v113
	s_lshl_b32 s2, s3, 8
	v_subrev_u32_e32 v0, s2, v0
	v_ashrrev_i32_e32 v1, 31, v0
	v_lshl_add_u64 v[140:141], v[0:1], 3, s[20:21]
	v_add_u32_e32 v0, 8, v112
	v_mad_i64_i32 v[0:1], s[14:15], v0, s24, 0
	v_add_u32_e32 v215, 0x4000, v154
	v_add_u32_e32 v216, 0x2000, v159
	s_add_i32 s28, s28, -8
	s_lshl_b64 s[2:3], s[24:25], 6
	v_lshlrev_b64 v[142:143], 3, v[0:1]
	s_mov_b32 s20, 0
	s_mov_b32 s21, 0
	s_branch .LBB105_25
.LBB105_24:                             ;   in Loop: Header=BB105_25 Depth=1
	v_add_f64 v[2:3], v[106:107], v[134:135]
	v_add_f64 v[4:5], v[104:105], v[132:133]
	v_cvt_f32_f64_e32 v4, v[4:5]
	v_cvt_f32_f64_e32 v2, v[2:3]
	v_min3_f32 v6, v4, v2, v226
	v_add_f64 v[2:3], v[102:103], v[134:135]
	v_add_f64 v[4:5], v[100:101], v[132:133]
	v_cvt_f32_f64_e32 v4, v[4:5]
	v_cvt_f32_f64_e32 v2, v[2:3]
	v_min3_f32 v7, v4, v2, v224
	;; [unrolled: 5-line block ×128, first 2 shown]
	ds_read_b128 v[38:41], v155 offset:1024
	ds_read_b128 v[34:37], v155 offset:2048
	ds_read_b128 v[30:33], v155 offset:3072
	ds_read_b128 v[22:25], v155 offset:4096
	ds_read_b128 v[18:21], v155 offset:5120
	ds_read_b128 v[14:17], v155 offset:6144
	ds_read_b128 v[10:13], v155 offset:7168
	ds_read_b128 v[94:97], v215 offset:256
	ds_read_b128 v[90:93], v215 offset:512
	ds_read_b128 v[86:89], v215 offset:768
	ds_read_b128 v[82:85], v215 offset:1024
	ds_read_b128 v[78:81], v215 offset:1280
	ds_read_b128 v[98:101], v215
	ds_read_b128 v[50:53], v155
	ds_read_b128 v[74:77], v215 offset:1536
	ds_read_b128 v[26:29], v215 offset:1792
	;; [unrolled: 1-line block ×4, first 2 shown]
	s_waitcnt lgkmcnt(5)
	v_add_f64 v[46:47], v[40:41], v[100:101]
	v_add_f64 v[48:49], v[38:39], v[98:99]
	;; [unrolled: 1-line block ×4, first 2 shown]
	v_cvt_f32_f64_e32 v48, v[48:49]
	v_cvt_f32_f64_e32 v46, v[46:47]
	;; [unrolled: 1-line block ×4, first 2 shown]
	v_min3_f32 v185, v48, v46, v72
	v_min3_f32 v186, v56, v54, v73
	v_add_f64 v[58:59], v[32:33], v[100:101]
	v_add_f64 v[60:61], v[30:31], v[98:99]
	;; [unrolled: 1-line block ×8, first 2 shown]
	v_cvt_f32_f64_e32 v60, v[60:61]
	v_cvt_f32_f64_e32 v58, v[58:59]
	;; [unrolled: 1-line block ×8, first 2 shown]
	v_min3_f32 v187, v60, v58, v102
	v_min3_f32 v188, v64, v62, v103
	;; [unrolled: 1-line block ×4, first 2 shown]
	s_waitcnt lgkmcnt(4)
	v_add_f64 v[102:103], v[52:53], v[96:97]
	v_add_f64 v[104:105], v[50:51], v[94:95]
	v_cvt_f32_f64_e32 v104, v[104:105]
	v_cvt_f32_f64_e32 v102, v[102:103]
	v_min3_f32 v107, v104, v102, v107
	v_add_f64 v[102:103], v[40:41], v[96:97]
	v_add_f64 v[104:105], v[38:39], v[94:95]
	v_cvt_f32_f64_e32 v104, v[104:105]
	v_cvt_f32_f64_e32 v102, v[102:103]
	v_min3_f32 v108, v104, v102, v108
	;; [unrolled: 5-line block ×35, first 2 shown]
	s_waitcnt lgkmcnt(3)
	v_add_f64 v[102:103], v[52:53], v[76:77]
	v_add_f64 v[104:105], v[50:51], v[74:75]
	v_cvt_f32_f64_e32 v104, v[104:105]
	v_cvt_f32_f64_e32 v102, v[102:103]
	v_min3_f32 v168, v104, v102, v168
	v_add_f64 v[102:103], v[40:41], v[76:77]
	v_add_f64 v[104:105], v[38:39], v[74:75]
	v_cvt_f32_f64_e32 v104, v[104:105]
	v_cvt_f32_f64_e32 v102, v[102:103]
	v_min3_f32 v169, v104, v102, v169
	v_add_f64 v[102:103], v[36:37], v[76:77]
	v_add_f64 v[104:105], v[34:35], v[74:75]
	v_cvt_f32_f64_e32 v104, v[104:105]
	v_cvt_f32_f64_e32 v102, v[102:103]
	v_min3_f32 v170, v104, v102, v170
	v_add_f64 v[102:103], v[32:33], v[76:77]
	v_add_f64 v[104:105], v[30:31], v[74:75]
	v_cvt_f32_f64_e32 v104, v[104:105]
	v_cvt_f32_f64_e32 v102, v[102:103]
	v_min3_f32 v227, v104, v102, v171
	v_add_f64 v[102:103], v[24:25], v[76:77]
	v_add_f64 v[104:105], v[22:23], v[74:75]
	;; [unrolled: 1-line block ×4, first 2 shown]
	v_cvt_f32_f64_e32 v104, v[104:105]
	v_cvt_f32_f64_e32 v102, v[102:103]
	v_cvt_f32_f64_e32 v44, v[44:45]
	v_cvt_f32_f64_e32 v42, v[42:43]
	v_min3_f32 v228, v104, v102, v172
	v_add_f64 v[102:103], v[20:21], v[76:77]
	v_add_f64 v[104:105], v[18:19], v[74:75]
	v_min3_f32 v184, v44, v42, v204
	ds_read_b128 v[42:45], v155 offset:1040
	ds_read_b128 v[46:49], v155 offset:2064
	v_cvt_f32_f64_e32 v104, v[104:105]
	v_cvt_f32_f64_e32 v102, v[102:103]
	v_add_f64 v[100:101], v[12:13], v[100:101]
	v_add_f64 v[98:99], v[10:11], v[98:99]
	;; [unrolled: 1-line block ×12, first 2 shown]
	v_min3_f32 v229, v104, v102, v173
	v_add_f64 v[102:103], v[16:17], v[76:77]
	v_add_f64 v[104:105], v[14:15], v[74:75]
	;; [unrolled: 1-line block ×4, first 2 shown]
	s_waitcnt lgkmcnt(4)
	v_add_f64 v[16:17], v[16:17], v[28:29]
	v_add_f64 v[14:15], v[14:15], v[26:27]
	;; [unrolled: 1-line block ×4, first 2 shown]
	v_cvt_f32_f64_e32 v14, v[14:15]
	v_cvt_f32_f64_e32 v15, v[16:17]
	v_cvt_f32_f64_e32 v10, v[10:11]
	v_cvt_f32_f64_e32 v11, v[12:13]
	v_min3_f32 v14, v14, v15, v182
	v_min3_f32 v15, v10, v11, v183
	s_waitcnt lgkmcnt(2)
	v_add_f64 v[10:11], v[4:5], v[8:9]
	v_add_f64 v[12:13], v[2:3], v[6:7]
	ds_read_b128 v[54:57], v155 offset:3088
	ds_read_b128 v[58:61], v155 offset:4112
	v_cvt_f32_f64_e32 v12, v[12:13]
	v_cvt_f32_f64_e32 v10, v[10:11]
	v_min3_f32 v226, v12, v10, v184
	s_waitcnt lgkmcnt(3)
	v_add_f64 v[10:11], v[44:45], v[8:9]
	v_add_f64 v[12:13], v[42:43], v[6:7]
	v_cvt_f32_f64_e32 v12, v[12:13]
	v_cvt_f32_f64_e32 v10, v[10:11]
	v_min3_f32 v224, v12, v10, v185
	s_waitcnt lgkmcnt(2)
	v_add_f64 v[10:11], v[48:49], v[8:9]
	v_add_f64 v[12:13], v[46:47], v[6:7]
	ds_read_b128 v[62:65], v155 offset:5136
	ds_read_b128 v[66:69], v155 offset:6160
	v_cvt_f32_f64_e32 v12, v[12:13]
	v_cvt_f32_f64_e32 v10, v[10:11]
	v_min3_f32 v225, v12, v10, v186
	s_waitcnt lgkmcnt(3)
	v_add_f64 v[10:11], v[56:57], v[8:9]
	v_add_f64 v[12:13], v[54:55], v[6:7]
	ds_read_b128 v[70:73], v155 offset:7184
	v_cvt_f32_f64_e32 v12, v[12:13]
	v_cvt_f32_f64_e32 v10, v[10:11]
	;; [unrolled: 1-line block ×4, first 2 shown]
	v_min3_f32 v222, v12, v10, v187
	s_waitcnt lgkmcnt(3)
	v_add_f64 v[10:11], v[60:61], v[8:9]
	v_add_f64 v[12:13], v[58:59], v[6:7]
	v_min3_f32 v106, v98, v99, v106
	ds_read_b128 v[98:101], v215 offset:272
	v_cvt_f32_f64_e32 v12, v[12:13]
	v_cvt_f32_f64_e32 v10, v[10:11]
	v_min3_f32 v223, v12, v10, v188
	s_waitcnt lgkmcnt(3)
	v_add_f64 v[10:11], v[64:65], v[8:9]
	v_add_f64 v[12:13], v[62:63], v[6:7]
	v_cvt_f32_f64_e32 v12, v[12:13]
	v_cvt_f32_f64_e32 v10, v[10:11]
	v_min3_f32 v220, v12, v10, v189
	s_waitcnt lgkmcnt(2)
	v_add_f64 v[10:11], v[68:69], v[8:9]
	v_add_f64 v[12:13], v[66:67], v[6:7]
	s_waitcnt lgkmcnt(1)
	v_add_f64 v[8:9], v[72:73], v[8:9]
	v_add_f64 v[6:7], v[70:71], v[6:7]
	v_cvt_f32_f64_e32 v6, v[6:7]
	v_cvt_f32_f64_e32 v7, v[8:9]
	v_min3_f32 v213, v6, v7, v106
	s_waitcnt lgkmcnt(0)
	v_add_f64 v[6:7], v[4:5], v[100:101]
	v_add_f64 v[8:9], v[2:3], v[98:99]
	v_cvt_f32_f64_e32 v8, v[8:9]
	v_cvt_f32_f64_e32 v6, v[6:7]
	v_min3_f32 v212, v8, v6, v107
	v_add_f64 v[6:7], v[44:45], v[100:101]
	v_add_f64 v[8:9], v[42:43], v[98:99]
	v_cvt_f32_f64_e32 v8, v[8:9]
	v_cvt_f32_f64_e32 v6, v[6:7]
	v_min3_f32 v211, v8, v6, v108
	;; [unrolled: 5-line block ×4, first 2 shown]
	v_add_f64 v[6:7], v[60:61], v[100:101]
	v_add_f64 v[8:9], v[58:59], v[98:99]
	v_cvt_f32_f64_e32 v8, v[8:9]
	v_cvt_f32_f64_e32 v6, v[6:7]
	v_cvt_f32_f64_e32 v94, v[94:95]
	v_cvt_f32_f64_e32 v95, v[96:97]
	v_min3_f32 v208, v8, v6, v111
	v_add_f64 v[6:7], v[64:65], v[100:101]
	v_add_f64 v[8:9], v[62:63], v[98:99]
	v_min3_f32 v114, v94, v95, v114
	ds_read_b128 v[94:97], v215 offset:528
	v_cvt_f32_f64_e32 v8, v[8:9]
	v_cvt_f32_f64_e32 v6, v[6:7]
	v_min3_f32 v207, v8, v6, v112
	v_add_f64 v[6:7], v[68:69], v[100:101]
	v_add_f64 v[8:9], v[66:67], v[98:99]
	v_cvt_f32_f64_e32 v8, v[8:9]
	v_cvt_f32_f64_e32 v6, v[6:7]
	v_min3_f32 v206, v8, v6, v113
	v_add_f64 v[6:7], v[72:73], v[100:101]
	v_add_f64 v[8:9], v[70:71], v[98:99]
	v_cvt_f32_f64_e32 v90, v[90:91]
	v_cvt_f32_f64_e32 v91, v[92:93]
	;; [unrolled: 1-line block ×4, first 2 shown]
	v_min3_f32 v122, v90, v91, v122
	ds_read_b128 v[90:93], v215 offset:784
	v_min3_f32 v205, v8, v6, v114
	s_waitcnt lgkmcnt(1)
	v_add_f64 v[6:7], v[4:5], v[96:97]
	v_add_f64 v[8:9], v[2:3], v[94:95]
	v_cvt_f32_f64_e32 v8, v[8:9]
	v_cvt_f32_f64_e32 v6, v[6:7]
	v_min3_f32 v204, v8, v6, v115
	v_add_f64 v[6:7], v[44:45], v[96:97]
	v_add_f64 v[8:9], v[42:43], v[94:95]
	v_cvt_f32_f64_e32 v8, v[8:9]
	v_cvt_f32_f64_e32 v6, v[6:7]
	v_min3_f32 v203, v8, v6, v116
	;; [unrolled: 5-line block ×8, first 2 shown]
	s_waitcnt lgkmcnt(0)
	v_add_f64 v[6:7], v[4:5], v[92:93]
	v_add_f64 v[8:9], v[2:3], v[90:91]
	v_cvt_f32_f64_e32 v8, v[8:9]
	v_cvt_f32_f64_e32 v6, v[6:7]
	v_min3_f32 v196, v8, v6, v123
	v_add_f64 v[6:7], v[44:45], v[92:93]
	v_add_f64 v[8:9], v[42:43], v[90:91]
	v_cvt_f32_f64_e32 v8, v[8:9]
	v_cvt_f32_f64_e32 v6, v[6:7]
	v_min3_f32 v195, v8, v6, v124
	;; [unrolled: 5-line block ×4, first 2 shown]
	v_add_f64 v[6:7], v[60:61], v[92:93]
	v_add_f64 v[8:9], v[58:59], v[90:91]
	v_cvt_f32_f64_e32 v8, v[8:9]
	v_cvt_f32_f64_e32 v6, v[6:7]
	;; [unrolled: 1-line block ×4, first 2 shown]
	v_min3_f32 v192, v8, v6, v127
	v_add_f64 v[6:7], v[64:65], v[92:93]
	v_add_f64 v[8:9], v[62:63], v[90:91]
	v_min3_f32 v130, v86, v87, v130
	ds_read_b128 v[86:89], v215 offset:1040
	v_cvt_f32_f64_e32 v8, v[8:9]
	v_cvt_f32_f64_e32 v6, v[6:7]
	v_min3_f32 v191, v8, v6, v128
	v_add_f64 v[6:7], v[68:69], v[92:93]
	v_add_f64 v[8:9], v[66:67], v[90:91]
	v_cvt_f32_f64_e32 v12, v[12:13]
	v_cvt_f32_f64_e32 v10, v[10:11]
	;; [unrolled: 1-line block ×4, first 2 shown]
	v_min3_f32 v221, v12, v10, v190
	v_min3_f32 v190, v8, v6, v129
	v_add_f64 v[6:7], v[72:73], v[92:93]
	v_add_f64 v[8:9], v[70:71], v[90:91]
	v_cvt_f32_f64_e32 v82, v[82:83]
	v_cvt_f32_f64_e32 v83, v[84:85]
	;; [unrolled: 1-line block ×4, first 2 shown]
	v_min3_f32 v158, v82, v83, v158
	ds_read_b128 v[82:85], v215 offset:1296
	v_min3_f32 v189, v8, v6, v130
	s_waitcnt lgkmcnt(1)
	v_add_f64 v[6:7], v[4:5], v[88:89]
	v_add_f64 v[8:9], v[2:3], v[86:87]
	v_cvt_f32_f64_e32 v8, v[8:9]
	v_cvt_f32_f64_e32 v6, v[6:7]
	v_min3_f32 v188, v8, v6, v131
	v_add_f64 v[6:7], v[44:45], v[88:89]
	v_add_f64 v[8:9], v[42:43], v[86:87]
	v_cvt_f32_f64_e32 v8, v[8:9]
	v_cvt_f32_f64_e32 v6, v[6:7]
	v_min3_f32 v187, v8, v6, v132
	;; [unrolled: 5-line block ×6, first 2 shown]
	v_add_f64 v[6:7], v[68:69], v[88:89]
	v_add_f64 v[8:9], v[66:67], v[86:87]
	v_cvt_f32_f64_e32 v8, v[8:9]
	v_cvt_f32_f64_e32 v6, v[6:7]
	v_add_f64 v[20:21], v[20:21], v[28:29]
	v_add_f64 v[18:19], v[18:19], v[26:27]
	v_min3_f32 v182, v8, v6, v157
	v_add_f64 v[6:7], v[72:73], v[88:89]
	v_add_f64 v[8:9], v[70:71], v[86:87]
	v_cvt_f32_f64_e32 v18, v[18:19]
	v_cvt_f32_f64_e32 v19, v[20:21]
	;; [unrolled: 1-line block ×4, first 2 shown]
	v_add_f64 v[24:25], v[24:25], v[28:29]
	v_add_f64 v[22:23], v[22:23], v[26:27]
	v_min3_f32 v18, v18, v19, v181
	v_min3_f32 v181, v8, v6, v158
	s_waitcnt lgkmcnt(0)
	v_add_f64 v[6:7], v[4:5], v[84:85]
	v_add_f64 v[8:9], v[2:3], v[82:83]
	v_cvt_f32_f64_e32 v22, v[22:23]
	v_cvt_f32_f64_e32 v23, v[24:25]
	v_cvt_f32_f64_e32 v8, v[8:9]
	v_cvt_f32_f64_e32 v6, v[6:7]
	v_add_f64 v[32:33], v[32:33], v[28:29]
	v_add_f64 v[30:31], v[30:31], v[26:27]
	v_min3_f32 v22, v22, v23, v180
	v_min3_f32 v180, v8, v6, v160
	v_add_f64 v[6:7], v[44:45], v[84:85]
	v_add_f64 v[8:9], v[42:43], v[82:83]
	v_cvt_f32_f64_e32 v30, v[30:31]
	v_cvt_f32_f64_e32 v31, v[32:33]
	v_cvt_f32_f64_e32 v8, v[8:9]
	v_cvt_f32_f64_e32 v6, v[6:7]
	v_add_f64 v[36:37], v[36:37], v[28:29]
	v_add_f64 v[34:35], v[34:35], v[26:27]
	v_min3_f32 v30, v30, v31, v179
	v_min3_f32 v179, v8, v6, v161
	;; [unrolled: 10-line block ×4, first 2 shown]
	v_add_f64 v[6:7], v[60:61], v[84:85]
	v_add_f64 v[8:9], v[58:59], v[82:83]
	v_cvt_f32_f64_e32 v50, v[50:51]
	v_cvt_f32_f64_e32 v51, v[52:53]
	v_cvt_f32_f64_e32 v8, v[8:9]
	v_cvt_f32_f64_e32 v6, v[6:7]
	v_cvt_f32_f64_e32 v78, v[78:79]
	v_cvt_f32_f64_e32 v79, v[80:81]
	v_cvt_f32_f64_e32 v74, v[74:75]
	v_cvt_f32_f64_e32 v75, v[76:77]
	v_min3_f32 v50, v50, v51, v176
	v_min3_f32 v176, v8, v6, v164
	v_add_f64 v[6:7], v[64:65], v[84:85]
	v_add_f64 v[8:9], v[62:63], v[82:83]
	v_min3_f32 v167, v78, v79, v167
	ds_read_b128 v[78:81], v215 offset:1552
	v_cvt_f32_f64_e32 v102, v[102:103]
	v_min3_f32 v103, v74, v75, v175
	ds_read_b128 v[74:77], v215 offset:1808
	v_cvt_f32_f64_e32 v8, v[8:9]
	v_cvt_f32_f64_e32 v6, v[6:7]
	v_min3_f32 v175, v8, v6, v165
	v_add_f64 v[6:7], v[68:69], v[84:85]
	v_add_f64 v[8:9], v[66:67], v[82:83]
	v_cvt_f32_f64_e32 v104, v[104:105]
	v_cvt_f32_f64_e32 v8, v[8:9]
	v_cvt_f32_f64_e32 v6, v[6:7]
	v_min3_f32 v102, v104, v102, v174
	v_min3_f32 v174, v8, v6, v166
	v_add_f64 v[6:7], v[72:73], v[84:85]
	v_add_f64 v[8:9], v[70:71], v[82:83]
	v_cvt_f32_f64_e32 v8, v[8:9]
	v_cvt_f32_f64_e32 v6, v[6:7]
	v_min3_f32 v173, v8, v6, v167
	s_waitcnt lgkmcnt(1)
	v_add_f64 v[6:7], v[4:5], v[80:81]
	v_add_f64 v[8:9], v[2:3], v[78:79]
	s_waitcnt lgkmcnt(0)
	v_add_f64 v[4:5], v[4:5], v[76:77]
	v_add_f64 v[2:3], v[2:3], v[74:75]
	v_cvt_f32_f64_e32 v8, v[8:9]
	v_cvt_f32_f64_e32 v6, v[6:7]
	v_cvt_f32_f64_e32 v2, v[2:3]
	v_cvt_f32_f64_e32 v3, v[4:5]
	v_min3_f32 v172, v8, v6, v168
	v_add_f64 v[6:7], v[44:45], v[80:81]
	v_add_f64 v[8:9], v[42:43], v[78:79]
	v_min3_f32 v164, v2, v3, v50
	v_add_f64 v[2:3], v[44:45], v[76:77]
	v_add_f64 v[4:5], v[42:43], v[74:75]
	v_cvt_f32_f64_e32 v8, v[8:9]
	v_cvt_f32_f64_e32 v6, v[6:7]
	v_cvt_f32_f64_e32 v4, v[4:5]
	v_cvt_f32_f64_e32 v2, v[2:3]
	v_min3_f32 v171, v8, v6, v169
	v_add_f64 v[6:7], v[48:49], v[80:81]
	v_add_f64 v[8:9], v[46:47], v[78:79]
	v_min3_f32 v163, v4, v2, v38
	;; [unrolled: 10-line block ×7, first 2 shown]
	v_add_f64 v[2:3], v[72:73], v[76:77]
	v_add_f64 v[4:5], v[70:71], v[74:75]
	v_cvt_f32_f64_e32 v8, v[8:9]
	v_cvt_f32_f64_e32 v6, v[6:7]
	;; [unrolled: 1-line block ×4, first 2 shown]
	s_add_i32 s21, s21, 8
	v_min3_f32 v165, v8, v6, v103
	v_min3_f32 v156, v4, v2, v15
	v_lshl_add_u64 v[136:137], v[136:137], 0, 64
	s_cmp_ge_i32 s21, s28
	v_lshl_add_u64 v[140:141], v[140:141], 0, s[2:3]
	ds_write2st64_b64 v216, v[0:1], v[144:145] offset1:4
	ds_write2st64_b64 v216, v[146:147], v[150:151] offset0:8 offset1:12
	ds_write_b64 v217, v[148:149]
	s_waitcnt lgkmcnt(0)
	s_barrier
	s_cbranch_scc1 .LBB105_45
.LBB105_25:                             ; =>This Inner Loop Header: Depth=1
	s_mov_b64 s[14:15], -1
	s_mov_b64 vcc, s[4:5]
                                        ; implicit-def: $vgpr0_vgpr1_vgpr2_vgpr3_vgpr4_vgpr5_vgpr6_vgpr7
	s_cbranch_vccnz .LBB105_36
; %bb.26:                               ;   in Loop: Header=BB105_25 Depth=1
	v_mov_b64_e32 v[2:3], 0
	s_andn2_b64 vcc, exec, s[14:15]
	v_lshl_add_u64 v[8:9], v[140:141], 0, v[142:143]
	s_cbranch_vccz .LBB105_37
.LBB105_27:                             ;   in Loop: Header=BB105_25 Depth=1
	s_mov_b64 s[14:15], -1
	s_mov_b64 vcc, s[4:5]
                                        ; implicit-def: $vgpr4_vgpr5
	s_cbranch_vccnz .LBB105_38
.LBB105_28:                             ;   in Loop: Header=BB105_25 Depth=1
	v_mov_b64_e32 v[6:7], 0
	s_andn2_b64 vcc, exec, s[14:15]
	v_mov_b64_e32 v[144:145], 0
	s_cbranch_vccz .LBB105_39
.LBB105_29:                             ;   in Loop: Header=BB105_25 Depth=1
	s_and_b64 vcc, exec, s[6:7]
	s_cbranch_vccnz .LBB105_31
.LBB105_30:                             ;   in Loop: Header=BB105_25 Depth=1
	flat_load_dwordx2 v[6:7], v[136:137]
	s_waitcnt vmcnt(0) lgkmcnt(0)
	v_mul_f64 v[6:7], s[18:19], v[6:7]
.LBB105_31:                             ;   in Loop: Header=BB105_25 Depth=1
	ds_read_b128 v[132:135], v219
	ds_read_b128 v[68:71], v219 offset:16
	ds_read_b128 v[104:107], v218
	ds_read_b128 v[40:43], v218 offset:16
	ds_read_b128 v[100:103], v218 offset:1024
	;; [unrolled: 1-line block ×29, first 2 shown]
	s_mov_b64 s[14:15], -1
	s_mov_b64 vcc, s[4:5]
	ds_write2st64_b64 v159, v[0:1], v[2:3] offset1:4
	ds_write2st64_b64 v159, v[4:5], v[144:145] offset0:8 offset1:12
	ds_write_b64 v214, v[6:7]
	s_waitcnt lgkmcnt(0)
	s_barrier
                                        ; implicit-def: $vgpr0_vgpr1_vgpr2_vgpr3_vgpr4_vgpr5_vgpr6_vgpr7
	s_cbranch_vccnz .LBB105_40
; %bb.32:                               ;   in Loop: Header=BB105_25 Depth=1
	v_mov_b64_e32 v[144:145], 0
	s_andn2_b64 vcc, exec, s[14:15]
	v_lshl_add_u64 v[2:3], v[140:141], 0, v[138:139]
	s_cbranch_vccz .LBB105_41
.LBB105_33:                             ;   in Loop: Header=BB105_25 Depth=1
	s_mov_b64 s[14:15], -1
	s_mov_b64 vcc, s[4:5]
                                        ; implicit-def: $vgpr146_vgpr147
	s_cbranch_vccnz .LBB105_42
.LBB105_34:                             ;   in Loop: Header=BB105_25 Depth=1
	v_mov_b64_e32 v[148:149], 0
	s_andn2_b64 vcc, exec, s[14:15]
	v_mov_b64_e32 v[150:151], 0
	s_cbranch_vccz .LBB105_43
.LBB105_35:                             ;   in Loop: Header=BB105_25 Depth=1
	s_and_b64 vcc, exec, s[6:7]
	s_cbranch_vccz .LBB105_44
	s_branch .LBB105_24
.LBB105_36:                             ;   in Loop: Header=BB105_25 Depth=1
	v_mov_b32_e32 v0, s20
	v_mov_b32_e32 v1, s20
	v_mov_b64_e32 v[2:3], 0
	v_lshl_add_u64 v[8:9], v[140:141], 0, v[142:143]
	s_cbranch_execnz .LBB105_27
.LBB105_37:                             ;   in Loop: Header=BB105_25 Depth=1
	flat_load_dwordx2 v[0:1], v[8:9]
	flat_load_dwordx2 v[2:3], v[8:9] offset:512
	s_waitcnt vmcnt(0) lgkmcnt(0)
	v_mul_f64 v[0:1], s[18:19], v[0:1]
	v_mul_f64 v[2:3], s[18:19], v[2:3]
	s_mov_b64 s[14:15], -1
	s_mov_b64 vcc, s[4:5]
                                        ; implicit-def: $vgpr4_vgpr5
	s_cbranch_vccz .LBB105_28
.LBB105_38:                             ;   in Loop: Header=BB105_25 Depth=1
	v_mov_b32_e32 v4, s20
	v_mov_b32_e32 v5, s20
	v_mov_b64_e32 v[6:7], 0
	v_mov_b64_e32 v[144:145], 0
	s_cbranch_execnz .LBB105_29
.LBB105_39:                             ;   in Loop: Header=BB105_25 Depth=1
	flat_load_dwordx2 v[4:5], v[8:9] offset:1024
	flat_load_dwordx2 v[10:11], v[8:9] offset:1536
	s_waitcnt vmcnt(0) lgkmcnt(0)
	v_mul_f64 v[4:5], s[18:19], v[4:5]
	v_mul_f64 v[144:145], s[18:19], v[10:11]
	s_and_b64 vcc, exec, s[6:7]
	s_cbranch_vccz .LBB105_30
	s_branch .LBB105_31
.LBB105_40:                             ;   in Loop: Header=BB105_25 Depth=1
	v_mov_b32_e32 v0, s20
	v_mov_b32_e32 v1, s20
	v_mov_b64_e32 v[144:145], 0
	v_lshl_add_u64 v[2:3], v[140:141], 0, v[138:139]
	s_cbranch_execnz .LBB105_33
.LBB105_41:                             ;   in Loop: Header=BB105_25 Depth=1
	flat_load_dwordx2 v[0:1], v[2:3]
	flat_load_dwordx2 v[4:5], v[2:3] offset:512
	s_waitcnt vmcnt(0) lgkmcnt(0)
	v_mul_f64 v[0:1], s[18:19], v[0:1]
	v_mul_f64 v[144:145], s[18:19], v[4:5]
	s_mov_b64 s[14:15], -1
	s_mov_b64 vcc, s[4:5]
                                        ; implicit-def: $vgpr146_vgpr147
	s_cbranch_vccz .LBB105_34
.LBB105_42:                             ;   in Loop: Header=BB105_25 Depth=1
	v_mov_b32_e32 v146, s20
	v_mov_b32_e32 v147, s20
	v_mov_b64_e32 v[148:149], 0
	v_mov_b64_e32 v[150:151], 0
	s_cbranch_execnz .LBB105_35
.LBB105_43:                             ;   in Loop: Header=BB105_25 Depth=1
	flat_load_dwordx2 v[4:5], v[2:3] offset:1024
	s_nop 0
	flat_load_dwordx2 v[2:3], v[2:3] offset:1536
	s_waitcnt vmcnt(0) lgkmcnt(0)
	v_mul_f64 v[146:147], s[18:19], v[4:5]
	v_mul_f64 v[150:151], s[18:19], v[2:3]
	s_and_b64 vcc, exec, s[6:7]
	s_cbranch_vccnz .LBB105_24
.LBB105_44:                             ;   in Loop: Header=BB105_25 Depth=1
	flat_load_dwordx2 v[2:3], v[136:137] offset:32
	s_waitcnt vmcnt(0) lgkmcnt(0)
	v_mul_f64 v[148:149], s[18:19], v[2:3]
	s_branch .LBB105_24
.LBB105_45:
	s_load_dwordx2 s[2:3], s[0:1], 0x78
	s_load_dword s4, s[0:1], 0x58
	s_load_dword s5, s[0:1], 0x70
	ds_read_b128 v[68:71], v155 offset:8192
	ds_read_b128 v[124:127], v154 offset:18432
	;; [unrolled: 1-line block ×4, first 2 shown]
	s_waitcnt lgkmcnt(0)
	s_lshl_b64 s[0:1], s[2:3], 3
	s_add_u32 s0, s12, s0
	v_add_u32_e32 v159, s27, v153
	v_add_f64 v[0:1], v[70:71], v[126:127]
	v_add_f64 v[2:3], v[68:69], v[124:125]
	v_cvt_f32_f64_e32 v2, v[2:3]
	v_cvt_f32_f64_e32 v0, v[0:1]
	v_min3_f32 v132, v2, v0, v226
	ds_read_b128 v[60:63], v155 offset:9216
	ds_read_b128 v[52:55], v155 offset:9232
	;; [unrolled: 1-line block ×28, first 2 shown]
	v_add_f64 v[128:129], v[66:67], v[122:123]
	v_add_f64 v[130:131], v[64:65], v[120:121]
	v_cvt_f32_f64_e32 v130, v[130:131]
	v_cvt_f32_f64_e32 v128, v[128:129]
	s_addc_u32 s1, s13, s1
	v_min3_f32 v132, v130, v128, v132
	v_add_u32_e32 v136, s26, v152
	v_mad_i64_i32 v[130:131], s[2:3], v159, s5, 0
	v_add_u32_e32 v128, 32, v136
	v_lshl_add_u64 v[152:153], v[130:131], 3, s[0:1]
	v_mad_i64_i32 v[130:131], s[2:3], v159, s4, 0
	v_ashrrev_i32_e32 v137, 31, v136
	v_ashrrev_i32_e32 v129, 31, v128
	s_mov_b64 s[2:3], -1
	v_max_f32_e32 v133, v132, v132
	s_mov_b64 vcc, s[8:9]
	s_cbranch_vccz .LBB105_47
; %bb.46:
	v_min_f32_e32 v132, 0, v133
	v_cvt_f64_f32_e32 v[134:135], v132
	v_lshl_add_u64 v[138:139], v[136:137], 3, v[152:153]
	flat_store_dwordx2 v[138:139], v[134:135]
	s_mov_b64 s[2:3], 0
.LBB105_47:
	v_lshl_add_u64 v[154:155], v[130:131], 3, s[16:17]
	v_mov_b32_e32 v132, 0
	s_andn2_b64 vcc, exec, s[2:3]
	v_lshlrev_b64 v[140:141], 3, v[136:137]
	s_cbranch_vccnz .LBB105_49
; %bb.48:
	v_lshl_add_u64 v[130:131], v[154:155], 0, v[140:141]
	flat_load_dwordx2 v[130:131], v[130:131]
	v_lshl_add_u64 v[134:135], v[152:153], 0, v[140:141]
	s_waitcnt vmcnt(0) lgkmcnt(0)
	v_mul_f64 v[130:131], s[10:11], v[130:131]
	v_cvt_f32_f64_e32 v130, v[130:131]
	v_min_f32_e32 v130, v130, v133
	v_cvt_f64_f32_e32 v[130:131], v130
	flat_store_dwordx2 v[134:135], v[130:131]
	v_lshl_add_u64 v[130:131], v[128:129], 3, v[154:155]
	flat_load_dwordx2 v[130:131], v[130:131]
	s_waitcnt vmcnt(0) lgkmcnt(0)
	v_mul_f64 v[130:131], s[10:11], v[130:131]
	v_cvt_f32_f64_e32 v132, v[130:131]
.LBB105_49:
	s_waitcnt lgkmcnt(0)
	v_add_f64 v[130:131], v[62:63], v[126:127]
	v_add_f64 v[134:135], v[60:61], v[124:125]
	v_cvt_f32_f64_e32 v133, v[134:135]
	v_cvt_f32_f64_e32 v130, v[130:131]
	v_min3_f32 v133, v133, v130, v224
	v_add_f64 v[130:131], v[58:59], v[126:127]
	v_add_f64 v[134:135], v[56:57], v[124:125]
	v_cvt_f32_f64_e32 v134, v[134:135]
	v_cvt_f32_f64_e32 v130, v[130:131]
	v_min3_f32 v138, v134, v130, v225
	v_add_f64 v[130:131], v[54:55], v[122:123]
	v_add_f64 v[134:135], v[52:53], v[120:121]
	v_cvt_f32_f64_e32 v134, v[134:135]
	v_cvt_f32_f64_e32 v130, v[130:131]
	v_min_f32_e32 v142, v134, v130
	v_add_f64 v[130:131], v[50:51], v[122:123]
	v_add_f64 v[134:135], v[48:49], v[120:121]
	v_cvt_f32_f64_e32 v134, v[134:135]
	v_cvt_f32_f64_e32 v130, v[130:131]
	v_min3_f32 v132, v132, v142, v133
	v_min3_f32 v143, v134, v130, v138
	v_add_u32_e32 v138, 64, v136
	v_add_u32_e32 v130, 0x60, v136
	v_cvt_f64_f32_e32 v[132:133], v132
	v_lshl_add_u64 v[134:135], v[128:129], 3, v[152:153]
	v_ashrrev_i32_e32 v139, 31, v138
	v_ashrrev_i32_e32 v131, 31, v130
	flat_store_dwordx2 v[134:135], v[132:133]
	s_mov_b64 s[2:3], -1
	v_max_f32_e32 v132, v143, v143
	s_mov_b64 vcc, s[8:9]
	s_cbranch_vccz .LBB105_51
; %bb.50:
	v_min_f32_e32 v133, 0, v132
	v_cvt_f64_f32_e32 v[134:135], v133
	v_lshl_add_u64 v[142:143], v[138:139], 3, v[152:153]
	flat_store_dwordx2 v[142:143], v[134:135]
	s_mov_b64 s[2:3], 0
.LBB105_51:
	v_mov_b32_e32 v134, 0
	s_andn2_b64 vcc, exec, s[2:3]
	v_lshlrev_b64 v[144:145], 3, v[138:139]
	s_cbranch_vccnz .LBB105_53
; %bb.52:
	v_lshl_add_u64 v[134:135], v[154:155], 0, v[144:145]
	flat_load_dwordx2 v[134:135], v[134:135]
	v_lshl_add_u64 v[142:143], v[152:153], 0, v[144:145]
	s_waitcnt vmcnt(0) lgkmcnt(0)
	v_mul_f64 v[134:135], s[10:11], v[134:135]
	v_cvt_f32_f64_e32 v133, v[134:135]
	v_min_f32_e32 v132, v133, v132
	v_cvt_f64_f32_e32 v[132:133], v132
	flat_store_dwordx2 v[142:143], v[132:133]
	v_lshl_add_u64 v[132:133], v[130:131], 3, v[154:155]
	flat_load_dwordx2 v[132:133], v[132:133]
	s_waitcnt vmcnt(0) lgkmcnt(0)
	v_mul_f64 v[132:133], s[10:11], v[132:133]
	v_cvt_f32_f64_e32 v134, v[132:133]
.LBB105_53:
	v_add_f64 v[132:133], v[46:47], v[126:127]
	v_add_f64 v[142:143], v[44:45], v[124:125]
	v_cvt_f32_f64_e32 v135, v[142:143]
	v_cvt_f32_f64_e32 v132, v[132:133]
	v_min3_f32 v135, v135, v132, v222
	v_add_f64 v[132:133], v[42:43], v[126:127]
	v_add_f64 v[142:143], v[40:41], v[124:125]
	v_cvt_f32_f64_e32 v142, v[142:143]
	v_cvt_f32_f64_e32 v132, v[132:133]
	v_min3_f32 v146, v142, v132, v223
	v_add_f64 v[132:133], v[38:39], v[122:123]
	v_add_f64 v[142:143], v[36:37], v[120:121]
	v_cvt_f32_f64_e32 v142, v[142:143]
	v_cvt_f32_f64_e32 v132, v[132:133]
	v_min_f32_e32 v147, v142, v132
	v_add_f64 v[132:133], v[34:35], v[122:123]
	v_add_f64 v[142:143], v[32:33], v[120:121]
	v_cvt_f32_f64_e32 v142, v[142:143]
	v_cvt_f32_f64_e32 v132, v[132:133]
	v_min3_f32 v134, v134, v147, v135
	v_min3_f32 v148, v142, v132, v146
	v_add_u32_e32 v142, 0x80, v136
	v_add_u32_e32 v132, 0xa0, v136
	v_cvt_f64_f32_e32 v[134:135], v134
	v_lshl_add_u64 v[146:147], v[130:131], 3, v[152:153]
	v_ashrrev_i32_e32 v143, 31, v142
	v_ashrrev_i32_e32 v133, 31, v132
	flat_store_dwordx2 v[146:147], v[134:135]
	s_mov_b64 s[2:3], -1
	v_max_f32_e32 v134, v148, v148
	s_mov_b64 vcc, s[8:9]
	s_cbranch_vccz .LBB105_55
; %bb.54:
	v_min_f32_e32 v135, 0, v134
	v_cvt_f64_f32_e32 v[146:147], v135
	v_lshl_add_u64 v[148:149], v[142:143], 3, v[152:153]
	flat_store_dwordx2 v[148:149], v[146:147]
	s_mov_b64 s[2:3], 0
.LBB105_55:
	v_mov_b32_e32 v150, 0
	s_andn2_b64 vcc, exec, s[2:3]
	v_lshlrev_b64 v[148:149], 3, v[142:143]
	s_cbranch_vccnz .LBB105_57
; %bb.56:
	v_lshl_add_u64 v[146:147], v[154:155], 0, v[148:149]
	flat_load_dwordx2 v[146:147], v[146:147]
	v_lshl_add_u64 v[150:151], v[152:153], 0, v[148:149]
	s_waitcnt vmcnt(0) lgkmcnt(0)
	v_mul_f64 v[146:147], s[10:11], v[146:147]
	v_cvt_f32_f64_e32 v135, v[146:147]
	v_min_f32_e32 v134, v135, v134
	v_cvt_f64_f32_e32 v[134:135], v134
	flat_store_dwordx2 v[150:151], v[134:135]
	v_lshl_add_u64 v[134:135], v[132:133], 3, v[154:155]
	flat_load_dwordx2 v[134:135], v[134:135]
	s_waitcnt vmcnt(0) lgkmcnt(0)
	v_mul_f64 v[134:135], s[10:11], v[134:135]
	v_cvt_f32_f64_e32 v150, v[134:135]
.LBB105_57:
	v_add_f64 v[134:135], v[30:31], v[126:127]
	v_add_f64 v[146:147], v[28:29], v[124:125]
	v_cvt_f32_f64_e32 v146, v[146:147]
	v_cvt_f32_f64_e32 v134, v[134:135]
	v_min3_f32 v151, v146, v134, v220
	v_add_f64 v[134:135], v[26:27], v[126:127]
	v_add_f64 v[146:147], v[24:25], v[124:125]
	v_cvt_f32_f64_e32 v146, v[146:147]
	v_cvt_f32_f64_e32 v134, v[134:135]
	v_min3_f32 v214, v146, v134, v221
	v_add_f64 v[134:135], v[22:23], v[122:123]
	v_add_f64 v[146:147], v[20:21], v[120:121]
	v_cvt_f32_f64_e32 v146, v[146:147]
	v_cvt_f32_f64_e32 v134, v[134:135]
	v_min_f32_e32 v215, v146, v134
	v_add_f64 v[134:135], v[18:19], v[122:123]
	v_add_f64 v[146:147], v[16:17], v[120:121]
	v_cvt_f32_f64_e32 v146, v[146:147]
	v_cvt_f32_f64_e32 v134, v[134:135]
	v_min3_f32 v150, v150, v215, v151
	v_min3_f32 v216, v146, v134, v214
	v_add_u32_e32 v146, 0xc0, v136
	v_add_u32_e32 v134, 0xe0, v136
	v_cvt_f64_f32_e32 v[150:151], v150
	v_lshl_add_u64 v[214:215], v[132:133], 3, v[152:153]
	v_ashrrev_i32_e32 v147, 31, v146
	v_ashrrev_i32_e32 v135, 31, v134
	flat_store_dwordx2 v[214:215], v[150:151]
	s_mov_b64 s[2:3], -1
	v_max_f32_e32 v215, v216, v216
	s_mov_b64 vcc, s[8:9]
	s_cbranch_vccz .LBB105_59
; %bb.58:
	v_min_f32_e32 v150, 0, v215
	v_cvt_f64_f32_e32 v[150:151], v150
	v_lshl_add_u64 v[216:217], v[146:147], 3, v[152:153]
	flat_store_dwordx2 v[216:217], v[150:151]
	s_mov_b64 s[2:3], 0
.LBB105_59:
	v_mov_b32_e32 v214, 0
	s_andn2_b64 vcc, exec, s[2:3]
	v_lshlrev_b64 v[150:151], 3, v[146:147]
	s_cbranch_vccnz .LBB105_61
; %bb.60:
	v_lshl_add_u64 v[216:217], v[154:155], 0, v[150:151]
	flat_load_dwordx2 v[216:217], v[216:217]
	v_lshl_add_u64 v[218:219], v[152:153], 0, v[150:151]
	v_lshl_add_u64 v[154:155], v[134:135], 3, v[154:155]
	s_waitcnt vmcnt(0) lgkmcnt(0)
	v_mul_f64 v[216:217], s[10:11], v[216:217]
	v_cvt_f32_f64_e32 v214, v[216:217]
	v_min_f32_e32 v214, v214, v215
	v_cvt_f64_f32_e32 v[214:215], v214
	flat_store_dwordx2 v[218:219], v[214:215]
	flat_load_dwordx2 v[154:155], v[154:155]
	s_waitcnt vmcnt(0) lgkmcnt(0)
	v_mul_f64 v[154:155], s[10:11], v[154:155]
	v_cvt_f32_f64_e32 v214, v[154:155]
.LBB105_61:
	v_add_f64 v[126:127], v[2:3], v[126:127]
	v_add_f64 v[124:125], v[0:1], v[124:125]
	v_cvt_f32_f64_e32 v124, v[124:125]
	v_cvt_f32_f64_e32 v125, v[126:127]
	v_add_f64 v[122:123], v[10:11], v[122:123]
	v_add_f64 v[120:121], v[8:9], v[120:121]
	v_min3_f32 v154, v124, v125, v213
	v_add_f64 v[124:125], v[70:71], v[118:119]
	v_add_f64 v[126:127], v[68:69], v[116:117]
	v_cvt_f32_f64_e32 v120, v[120:121]
	v_cvt_f32_f64_e32 v121, v[122:123]
	;; [unrolled: 1-line block ×4, first 2 shown]
	v_min_f32_e32 v125, v120, v121
	v_add_f64 v[120:121], v[66:67], v[114:115]
	v_add_f64 v[122:123], v[64:65], v[112:113]
	v_min3_f32 v124, v126, v124, v212
	v_cvt_f32_f64_e32 v122, v[122:123]
	v_cvt_f32_f64_e32 v120, v[120:121]
	v_min3_f32 v124, v122, v120, v124
	v_min3_f32 v120, v214, v125, v154
	v_cvt_f64_f32_e32 v[120:121], v120
	v_lshl_add_u64 v[122:123], v[134:135], 3, v[152:153]
	flat_store_dwordx2 v[122:123], v[120:121]
	v_add_u32_e32 v122, 8, v159
	v_mad_i64_i32 v[120:121], s[2:3], v122, s5, 0
	v_mad_i64_i32 v[122:123], s[2:3], v122, s4, 0
	v_lshl_add_u64 v[120:121], v[120:121], 3, s[0:1]
	s_mov_b64 s[2:3], -1
	v_max_f32_e32 v125, v124, v124
	s_mov_b64 vcc, s[8:9]
	s_cbranch_vccz .LBB105_63
; %bb.62:
	v_min_f32_e32 v124, 0, v125
	v_cvt_f64_f32_e32 v[126:127], v124
	v_lshl_add_u64 v[152:153], v[136:137], 3, v[120:121]
	flat_store_dwordx2 v[152:153], v[126:127]
	s_mov_b64 s[2:3], 0
.LBB105_63:
	v_lshl_add_u64 v[122:123], v[122:123], 3, s[16:17]
	s_andn2_b64 vcc, exec, s[2:3]
	v_mov_b32_e32 v124, 0
	s_cbranch_vccnz .LBB105_65
; %bb.64:
	v_lshl_add_u64 v[126:127], v[122:123], 0, v[140:141]
	flat_load_dwordx2 v[126:127], v[126:127]
	v_lshl_add_u64 v[152:153], v[120:121], 0, v[140:141]
	s_waitcnt vmcnt(0) lgkmcnt(0)
	v_mul_f64 v[126:127], s[10:11], v[126:127]
	v_cvt_f32_f64_e32 v124, v[126:127]
	v_min_f32_e32 v124, v124, v125
	v_cvt_f64_f32_e32 v[124:125], v124
	flat_store_dwordx2 v[152:153], v[124:125]
	v_lshl_add_u64 v[124:125], v[128:129], 3, v[122:123]
	flat_load_dwordx2 v[124:125], v[124:125]
	s_waitcnt vmcnt(0) lgkmcnt(0)
	v_mul_f64 v[124:125], s[10:11], v[124:125]
	v_cvt_f32_f64_e32 v124, v[124:125]
.LBB105_65:
	v_add_f64 v[126:127], v[62:63], v[118:119]
	v_add_f64 v[152:153], v[60:61], v[116:117]
	v_cvt_f32_f64_e32 v125, v[152:153]
	v_cvt_f32_f64_e32 v126, v[126:127]
	v_min3_f32 v125, v125, v126, v211
	v_add_f64 v[126:127], v[58:59], v[118:119]
	v_add_f64 v[152:153], v[56:57], v[116:117]
	v_cvt_f32_f64_e32 v152, v[152:153]
	v_cvt_f32_f64_e32 v126, v[126:127]
	v_min3_f32 v154, v152, v126, v210
	v_add_f64 v[126:127], v[54:55], v[114:115]
	v_add_f64 v[152:153], v[52:53], v[112:113]
	v_cvt_f32_f64_e32 v152, v[152:153]
	v_cvt_f32_f64_e32 v126, v[126:127]
	v_min_f32_e32 v155, v152, v126
	v_add_f64 v[126:127], v[50:51], v[114:115]
	v_add_f64 v[152:153], v[48:49], v[112:113]
	v_cvt_f32_f64_e32 v152, v[152:153]
	v_cvt_f32_f64_e32 v126, v[126:127]
	v_min3_f32 v124, v124, v155, v125
	v_min3_f32 v152, v152, v126, v154
	v_cvt_f64_f32_e32 v[124:125], v124
	v_lshl_add_u64 v[126:127], v[128:129], 3, v[120:121]
	flat_store_dwordx2 v[126:127], v[124:125]
	s_mov_b64 s[2:3], -1
	v_max_f32_e32 v125, v152, v152
	s_mov_b64 vcc, s[8:9]
	s_cbranch_vccz .LBB105_67
; %bb.66:
	v_min_f32_e32 v124, 0, v125
	v_cvt_f64_f32_e32 v[126:127], v124
	v_lshl_add_u64 v[152:153], v[138:139], 3, v[120:121]
	flat_store_dwordx2 v[152:153], v[126:127]
	s_mov_b64 s[2:3], 0
.LBB105_67:
	s_andn2_b64 vcc, exec, s[2:3]
	v_mov_b32_e32 v124, 0
	s_cbranch_vccnz .LBB105_69
; %bb.68:
	v_lshl_add_u64 v[126:127], v[122:123], 0, v[144:145]
	flat_load_dwordx2 v[126:127], v[126:127]
	v_lshl_add_u64 v[152:153], v[120:121], 0, v[144:145]
	s_waitcnt vmcnt(0) lgkmcnt(0)
	v_mul_f64 v[126:127], s[10:11], v[126:127]
	v_cvt_f32_f64_e32 v124, v[126:127]
	v_min_f32_e32 v124, v124, v125
	v_cvt_f64_f32_e32 v[124:125], v124
	flat_store_dwordx2 v[152:153], v[124:125]
	v_lshl_add_u64 v[124:125], v[130:131], 3, v[122:123]
	flat_load_dwordx2 v[124:125], v[124:125]
	s_waitcnt vmcnt(0) lgkmcnt(0)
	v_mul_f64 v[124:125], s[10:11], v[124:125]
	v_cvt_f32_f64_e32 v124, v[124:125]
.LBB105_69:
	v_add_f64 v[126:127], v[46:47], v[118:119]
	v_add_f64 v[152:153], v[44:45], v[116:117]
	v_cvt_f32_f64_e32 v125, v[152:153]
	v_cvt_f32_f64_e32 v126, v[126:127]
	v_min3_f32 v125, v125, v126, v209
	v_add_f64 v[126:127], v[42:43], v[118:119]
	v_add_f64 v[152:153], v[40:41], v[116:117]
	v_cvt_f32_f64_e32 v152, v[152:153]
	v_cvt_f32_f64_e32 v126, v[126:127]
	v_min3_f32 v154, v152, v126, v208
	v_add_f64 v[126:127], v[38:39], v[114:115]
	v_add_f64 v[152:153], v[36:37], v[112:113]
	v_cvt_f32_f64_e32 v152, v[152:153]
	v_cvt_f32_f64_e32 v126, v[126:127]
	v_min_f32_e32 v155, v152, v126
	v_add_f64 v[126:127], v[34:35], v[114:115]
	v_add_f64 v[152:153], v[32:33], v[112:113]
	v_cvt_f32_f64_e32 v152, v[152:153]
	v_cvt_f32_f64_e32 v126, v[126:127]
	v_min3_f32 v124, v124, v155, v125
	v_min3_f32 v152, v152, v126, v154
	v_cvt_f64_f32_e32 v[124:125], v124
	v_lshl_add_u64 v[126:127], v[130:131], 3, v[120:121]
	flat_store_dwordx2 v[126:127], v[124:125]
	s_mov_b64 s[2:3], -1
	v_max_f32_e32 v125, v152, v152
	s_mov_b64 vcc, s[8:9]
	s_cbranch_vccz .LBB105_71
; %bb.70:
	v_min_f32_e32 v124, 0, v125
	v_cvt_f64_f32_e32 v[126:127], v124
	v_lshl_add_u64 v[152:153], v[142:143], 3, v[120:121]
	flat_store_dwordx2 v[152:153], v[126:127]
	s_mov_b64 s[2:3], 0
.LBB105_71:
	;; [unrolled: 54-line block ×3, first 2 shown]
	s_andn2_b64 vcc, exec, s[2:3]
	v_mov_b32_e32 v124, 0
	s_cbranch_vccnz .LBB105_77
; %bb.76:
	v_lshl_add_u64 v[126:127], v[122:123], 0, v[150:151]
	flat_load_dwordx2 v[126:127], v[126:127]
	v_lshl_add_u64 v[152:153], v[120:121], 0, v[150:151]
	v_lshl_add_u64 v[122:123], v[134:135], 3, v[122:123]
	s_waitcnt vmcnt(0) lgkmcnt(0)
	v_mul_f64 v[126:127], s[10:11], v[126:127]
	v_cvt_f32_f64_e32 v124, v[126:127]
	v_min_f32_e32 v124, v124, v125
	v_cvt_f64_f32_e32 v[124:125], v124
	flat_store_dwordx2 v[152:153], v[124:125]
	flat_load_dwordx2 v[122:123], v[122:123]
	s_waitcnt vmcnt(0) lgkmcnt(0)
	v_mul_f64 v[122:123], s[10:11], v[122:123]
	v_cvt_f32_f64_e32 v124, v[122:123]
.LBB105_77:
	v_add_f64 v[118:119], v[2:3], v[118:119]
	v_add_f64 v[116:117], v[0:1], v[116:117]
	v_cvt_f32_f64_e32 v116, v[116:117]
	v_cvt_f32_f64_e32 v117, v[118:119]
	v_add_f64 v[114:115], v[10:11], v[114:115]
	v_add_f64 v[112:113], v[8:9], v[112:113]
	v_min3_f32 v122, v116, v117, v205
	v_add_f64 v[116:117], v[70:71], v[110:111]
	v_add_f64 v[118:119], v[68:69], v[108:109]
	v_cvt_f32_f64_e32 v112, v[112:113]
	v_cvt_f32_f64_e32 v113, v[114:115]
	;; [unrolled: 1-line block ×4, first 2 shown]
	v_min_f32_e32 v117, v112, v113
	v_add_f64 v[112:113], v[66:67], v[106:107]
	v_add_f64 v[114:115], v[64:65], v[104:105]
	v_min3_f32 v116, v118, v116, v204
	v_cvt_f32_f64_e32 v114, v[114:115]
	v_cvt_f32_f64_e32 v112, v[112:113]
	v_min3_f32 v116, v114, v112, v116
	v_min3_f32 v112, v124, v117, v122
	v_cvt_f64_f32_e32 v[112:113], v112
	v_lshl_add_u64 v[114:115], v[134:135], 3, v[120:121]
	flat_store_dwordx2 v[114:115], v[112:113]
	v_add_u32_e32 v114, 16, v159
	v_mad_i64_i32 v[112:113], s[2:3], v114, s5, 0
	v_mad_i64_i32 v[114:115], s[2:3], v114, s4, 0
	v_lshl_add_u64 v[112:113], v[112:113], 3, s[0:1]
	s_mov_b64 s[2:3], -1
	v_max_f32_e32 v117, v116, v116
	s_mov_b64 vcc, s[8:9]
	s_cbranch_vccz .LBB105_79
; %bb.78:
	v_min_f32_e32 v116, 0, v117
	v_cvt_f64_f32_e32 v[118:119], v116
	v_lshl_add_u64 v[120:121], v[136:137], 3, v[112:113]
	flat_store_dwordx2 v[120:121], v[118:119]
	s_mov_b64 s[2:3], 0
.LBB105_79:
	v_lshl_add_u64 v[114:115], v[114:115], 3, s[16:17]
	s_andn2_b64 vcc, exec, s[2:3]
	v_mov_b32_e32 v116, 0
	s_cbranch_vccnz .LBB105_81
; %bb.80:
	v_lshl_add_u64 v[118:119], v[114:115], 0, v[140:141]
	flat_load_dwordx2 v[118:119], v[118:119]
	v_lshl_add_u64 v[120:121], v[112:113], 0, v[140:141]
	s_waitcnt vmcnt(0) lgkmcnt(0)
	v_mul_f64 v[118:119], s[10:11], v[118:119]
	v_cvt_f32_f64_e32 v116, v[118:119]
	v_min_f32_e32 v116, v116, v117
	v_cvt_f64_f32_e32 v[116:117], v116
	flat_store_dwordx2 v[120:121], v[116:117]
	v_lshl_add_u64 v[116:117], v[128:129], 3, v[114:115]
	flat_load_dwordx2 v[116:117], v[116:117]
	s_waitcnt vmcnt(0) lgkmcnt(0)
	v_mul_f64 v[116:117], s[10:11], v[116:117]
	v_cvt_f32_f64_e32 v116, v[116:117]
.LBB105_81:
	v_add_f64 v[118:119], v[62:63], v[110:111]
	v_add_f64 v[120:121], v[60:61], v[108:109]
	v_cvt_f32_f64_e32 v117, v[120:121]
	v_cvt_f32_f64_e32 v118, v[118:119]
	v_min3_f32 v117, v117, v118, v203
	v_add_f64 v[118:119], v[58:59], v[110:111]
	v_add_f64 v[120:121], v[56:57], v[108:109]
	v_cvt_f32_f64_e32 v120, v[120:121]
	v_cvt_f32_f64_e32 v118, v[118:119]
	v_min3_f32 v122, v120, v118, v202
	v_add_f64 v[118:119], v[54:55], v[106:107]
	v_add_f64 v[120:121], v[52:53], v[104:105]
	v_cvt_f32_f64_e32 v120, v[120:121]
	v_cvt_f32_f64_e32 v118, v[118:119]
	v_min_f32_e32 v123, v120, v118
	v_add_f64 v[118:119], v[50:51], v[106:107]
	v_add_f64 v[120:121], v[48:49], v[104:105]
	v_cvt_f32_f64_e32 v120, v[120:121]
	v_cvt_f32_f64_e32 v118, v[118:119]
	v_min3_f32 v116, v116, v123, v117
	v_min3_f32 v120, v120, v118, v122
	v_cvt_f64_f32_e32 v[116:117], v116
	v_lshl_add_u64 v[118:119], v[128:129], 3, v[112:113]
	flat_store_dwordx2 v[118:119], v[116:117]
	s_mov_b64 s[2:3], -1
	v_max_f32_e32 v117, v120, v120
	s_mov_b64 vcc, s[8:9]
	s_cbranch_vccz .LBB105_83
; %bb.82:
	v_min_f32_e32 v116, 0, v117
	v_cvt_f64_f32_e32 v[118:119], v116
	v_lshl_add_u64 v[120:121], v[138:139], 3, v[112:113]
	flat_store_dwordx2 v[120:121], v[118:119]
	s_mov_b64 s[2:3], 0
.LBB105_83:
	s_andn2_b64 vcc, exec, s[2:3]
	v_mov_b32_e32 v116, 0
	s_cbranch_vccnz .LBB105_85
; %bb.84:
	v_lshl_add_u64 v[118:119], v[114:115], 0, v[144:145]
	flat_load_dwordx2 v[118:119], v[118:119]
	v_lshl_add_u64 v[120:121], v[112:113], 0, v[144:145]
	s_waitcnt vmcnt(0) lgkmcnt(0)
	v_mul_f64 v[118:119], s[10:11], v[118:119]
	v_cvt_f32_f64_e32 v116, v[118:119]
	v_min_f32_e32 v116, v116, v117
	v_cvt_f64_f32_e32 v[116:117], v116
	flat_store_dwordx2 v[120:121], v[116:117]
	v_lshl_add_u64 v[116:117], v[130:131], 3, v[114:115]
	flat_load_dwordx2 v[116:117], v[116:117]
	s_waitcnt vmcnt(0) lgkmcnt(0)
	v_mul_f64 v[116:117], s[10:11], v[116:117]
	v_cvt_f32_f64_e32 v116, v[116:117]
.LBB105_85:
	v_add_f64 v[118:119], v[46:47], v[110:111]
	v_add_f64 v[120:121], v[44:45], v[108:109]
	v_cvt_f32_f64_e32 v117, v[120:121]
	v_cvt_f32_f64_e32 v118, v[118:119]
	v_min3_f32 v117, v117, v118, v201
	v_add_f64 v[118:119], v[42:43], v[110:111]
	v_add_f64 v[120:121], v[40:41], v[108:109]
	v_cvt_f32_f64_e32 v120, v[120:121]
	v_cvt_f32_f64_e32 v118, v[118:119]
	v_min3_f32 v122, v120, v118, v200
	v_add_f64 v[118:119], v[38:39], v[106:107]
	v_add_f64 v[120:121], v[36:37], v[104:105]
	v_cvt_f32_f64_e32 v120, v[120:121]
	v_cvt_f32_f64_e32 v118, v[118:119]
	v_min_f32_e32 v123, v120, v118
	v_add_f64 v[118:119], v[34:35], v[106:107]
	v_add_f64 v[120:121], v[32:33], v[104:105]
	v_cvt_f32_f64_e32 v120, v[120:121]
	v_cvt_f32_f64_e32 v118, v[118:119]
	v_min3_f32 v116, v116, v123, v117
	v_min3_f32 v120, v120, v118, v122
	v_cvt_f64_f32_e32 v[116:117], v116
	v_lshl_add_u64 v[118:119], v[130:131], 3, v[112:113]
	flat_store_dwordx2 v[118:119], v[116:117]
	s_mov_b64 s[2:3], -1
	v_max_f32_e32 v117, v120, v120
	s_mov_b64 vcc, s[8:9]
	s_cbranch_vccz .LBB105_87
; %bb.86:
	v_min_f32_e32 v116, 0, v117
	v_cvt_f64_f32_e32 v[118:119], v116
	v_lshl_add_u64 v[120:121], v[142:143], 3, v[112:113]
	flat_store_dwordx2 v[120:121], v[118:119]
	s_mov_b64 s[2:3], 0
.LBB105_87:
	s_andn2_b64 vcc, exec, s[2:3]
	v_mov_b32_e32 v116, 0
	s_cbranch_vccnz .LBB105_89
; %bb.88:
	v_lshl_add_u64 v[118:119], v[114:115], 0, v[148:149]
	flat_load_dwordx2 v[118:119], v[118:119]
	v_lshl_add_u64 v[120:121], v[112:113], 0, v[148:149]
	s_waitcnt vmcnt(0) lgkmcnt(0)
	v_mul_f64 v[118:119], s[10:11], v[118:119]
	v_cvt_f32_f64_e32 v116, v[118:119]
	v_min_f32_e32 v116, v116, v117
	v_cvt_f64_f32_e32 v[116:117], v116
	flat_store_dwordx2 v[120:121], v[116:117]
	v_lshl_add_u64 v[116:117], v[132:133], 3, v[114:115]
	flat_load_dwordx2 v[116:117], v[116:117]
	s_waitcnt vmcnt(0) lgkmcnt(0)
	v_mul_f64 v[116:117], s[10:11], v[116:117]
	v_cvt_f32_f64_e32 v116, v[116:117]
.LBB105_89:
	v_add_f64 v[118:119], v[30:31], v[110:111]
	v_add_f64 v[120:121], v[28:29], v[108:109]
	v_cvt_f32_f64_e32 v117, v[120:121]
	v_cvt_f32_f64_e32 v118, v[118:119]
	v_min3_f32 v117, v117, v118, v199
	v_add_f64 v[118:119], v[26:27], v[110:111]
	v_add_f64 v[120:121], v[24:25], v[108:109]
	v_cvt_f32_f64_e32 v120, v[120:121]
	v_cvt_f32_f64_e32 v118, v[118:119]
	v_min3_f32 v122, v120, v118, v198
	v_add_f64 v[118:119], v[22:23], v[106:107]
	v_add_f64 v[120:121], v[20:21], v[104:105]
	v_cvt_f32_f64_e32 v120, v[120:121]
	v_cvt_f32_f64_e32 v118, v[118:119]
	v_min_f32_e32 v123, v120, v118
	v_add_f64 v[118:119], v[18:19], v[106:107]
	v_add_f64 v[120:121], v[16:17], v[104:105]
	v_cvt_f32_f64_e32 v120, v[120:121]
	v_cvt_f32_f64_e32 v118, v[118:119]
	v_min3_f32 v116, v116, v123, v117
	v_min3_f32 v120, v120, v118, v122
	v_cvt_f64_f32_e32 v[116:117], v116
	v_lshl_add_u64 v[118:119], v[132:133], 3, v[112:113]
	flat_store_dwordx2 v[118:119], v[116:117]
	s_mov_b64 s[2:3], -1
	v_max_f32_e32 v117, v120, v120
	s_mov_b64 vcc, s[8:9]
	s_cbranch_vccz .LBB105_91
; %bb.90:
	v_min_f32_e32 v116, 0, v117
	v_cvt_f64_f32_e32 v[118:119], v116
	v_lshl_add_u64 v[120:121], v[146:147], 3, v[112:113]
	flat_store_dwordx2 v[120:121], v[118:119]
	s_mov_b64 s[2:3], 0
.LBB105_91:
	s_andn2_b64 vcc, exec, s[2:3]
	v_mov_b32_e32 v116, 0
	s_cbranch_vccnz .LBB105_93
; %bb.92:
	v_lshl_add_u64 v[118:119], v[114:115], 0, v[150:151]
	flat_load_dwordx2 v[118:119], v[118:119]
	v_lshl_add_u64 v[120:121], v[112:113], 0, v[150:151]
	v_lshl_add_u64 v[114:115], v[134:135], 3, v[114:115]
	s_waitcnt vmcnt(0) lgkmcnt(0)
	v_mul_f64 v[118:119], s[10:11], v[118:119]
	v_cvt_f32_f64_e32 v116, v[118:119]
	v_min_f32_e32 v116, v116, v117
	v_cvt_f64_f32_e32 v[116:117], v116
	flat_store_dwordx2 v[120:121], v[116:117]
	flat_load_dwordx2 v[114:115], v[114:115]
	s_waitcnt vmcnt(0) lgkmcnt(0)
	v_mul_f64 v[114:115], s[10:11], v[114:115]
	v_cvt_f32_f64_e32 v116, v[114:115]
.LBB105_93:
	v_add_f64 v[110:111], v[2:3], v[110:111]
	v_add_f64 v[108:109], v[0:1], v[108:109]
	v_cvt_f32_f64_e32 v108, v[108:109]
	v_cvt_f32_f64_e32 v109, v[110:111]
	v_add_f64 v[106:107], v[10:11], v[106:107]
	v_add_f64 v[104:105], v[8:9], v[104:105]
	v_min3_f32 v114, v108, v109, v197
	v_add_f64 v[108:109], v[70:71], v[102:103]
	v_add_f64 v[110:111], v[68:69], v[100:101]
	v_cvt_f32_f64_e32 v104, v[104:105]
	v_cvt_f32_f64_e32 v105, v[106:107]
	;; [unrolled: 1-line block ×4, first 2 shown]
	v_min_f32_e32 v109, v104, v105
	v_add_f64 v[104:105], v[66:67], v[98:99]
	v_add_f64 v[106:107], v[64:65], v[96:97]
	v_min3_f32 v108, v110, v108, v196
	v_cvt_f32_f64_e32 v106, v[106:107]
	v_cvt_f32_f64_e32 v104, v[104:105]
	v_min3_f32 v108, v106, v104, v108
	v_min3_f32 v104, v116, v109, v114
	v_cvt_f64_f32_e32 v[104:105], v104
	v_lshl_add_u64 v[106:107], v[134:135], 3, v[112:113]
	flat_store_dwordx2 v[106:107], v[104:105]
	v_add_u32_e32 v106, 24, v159
	v_mad_i64_i32 v[104:105], s[2:3], v106, s5, 0
	v_mad_i64_i32 v[106:107], s[2:3], v106, s4, 0
	v_lshl_add_u64 v[104:105], v[104:105], 3, s[0:1]
	s_mov_b64 s[2:3], -1
	v_max_f32_e32 v109, v108, v108
	s_mov_b64 vcc, s[8:9]
	s_cbranch_vccz .LBB105_95
; %bb.94:
	v_min_f32_e32 v108, 0, v109
	v_cvt_f64_f32_e32 v[110:111], v108
	v_lshl_add_u64 v[112:113], v[136:137], 3, v[104:105]
	flat_store_dwordx2 v[112:113], v[110:111]
	s_mov_b64 s[2:3], 0
.LBB105_95:
	v_lshl_add_u64 v[106:107], v[106:107], 3, s[16:17]
	s_andn2_b64 vcc, exec, s[2:3]
	v_mov_b32_e32 v108, 0
	s_cbranch_vccnz .LBB105_97
; %bb.96:
	v_lshl_add_u64 v[110:111], v[106:107], 0, v[140:141]
	flat_load_dwordx2 v[110:111], v[110:111]
	v_lshl_add_u64 v[112:113], v[104:105], 0, v[140:141]
	s_waitcnt vmcnt(0) lgkmcnt(0)
	v_mul_f64 v[110:111], s[10:11], v[110:111]
	v_cvt_f32_f64_e32 v108, v[110:111]
	v_min_f32_e32 v108, v108, v109
	v_cvt_f64_f32_e32 v[108:109], v108
	flat_store_dwordx2 v[112:113], v[108:109]
	v_lshl_add_u64 v[108:109], v[128:129], 3, v[106:107]
	flat_load_dwordx2 v[108:109], v[108:109]
	s_waitcnt vmcnt(0) lgkmcnt(0)
	v_mul_f64 v[108:109], s[10:11], v[108:109]
	v_cvt_f32_f64_e32 v108, v[108:109]
.LBB105_97:
	v_add_f64 v[110:111], v[62:63], v[102:103]
	v_add_f64 v[112:113], v[60:61], v[100:101]
	v_cvt_f32_f64_e32 v109, v[112:113]
	v_cvt_f32_f64_e32 v110, v[110:111]
	v_min3_f32 v109, v109, v110, v195
	v_add_f64 v[110:111], v[58:59], v[102:103]
	v_add_f64 v[112:113], v[56:57], v[100:101]
	v_cvt_f32_f64_e32 v112, v[112:113]
	v_cvt_f32_f64_e32 v110, v[110:111]
	v_min3_f32 v114, v112, v110, v194
	v_add_f64 v[110:111], v[54:55], v[98:99]
	v_add_f64 v[112:113], v[52:53], v[96:97]
	v_cvt_f32_f64_e32 v112, v[112:113]
	v_cvt_f32_f64_e32 v110, v[110:111]
	v_min_f32_e32 v115, v112, v110
	v_add_f64 v[110:111], v[50:51], v[98:99]
	v_add_f64 v[112:113], v[48:49], v[96:97]
	v_cvt_f32_f64_e32 v112, v[112:113]
	v_cvt_f32_f64_e32 v110, v[110:111]
	v_min3_f32 v108, v108, v115, v109
	v_min3_f32 v112, v112, v110, v114
	v_cvt_f64_f32_e32 v[108:109], v108
	v_lshl_add_u64 v[110:111], v[128:129], 3, v[104:105]
	flat_store_dwordx2 v[110:111], v[108:109]
	s_mov_b64 s[2:3], -1
	v_max_f32_e32 v109, v112, v112
	s_mov_b64 vcc, s[8:9]
	s_cbranch_vccz .LBB105_99
; %bb.98:
	v_min_f32_e32 v108, 0, v109
	v_cvt_f64_f32_e32 v[110:111], v108
	v_lshl_add_u64 v[112:113], v[138:139], 3, v[104:105]
	flat_store_dwordx2 v[112:113], v[110:111]
	s_mov_b64 s[2:3], 0
.LBB105_99:
	s_andn2_b64 vcc, exec, s[2:3]
	v_mov_b32_e32 v108, 0
	s_cbranch_vccnz .LBB105_101
; %bb.100:
	v_lshl_add_u64 v[110:111], v[106:107], 0, v[144:145]
	flat_load_dwordx2 v[110:111], v[110:111]
	v_lshl_add_u64 v[112:113], v[104:105], 0, v[144:145]
	s_waitcnt vmcnt(0) lgkmcnt(0)
	v_mul_f64 v[110:111], s[10:11], v[110:111]
	v_cvt_f32_f64_e32 v108, v[110:111]
	v_min_f32_e32 v108, v108, v109
	v_cvt_f64_f32_e32 v[108:109], v108
	flat_store_dwordx2 v[112:113], v[108:109]
	v_lshl_add_u64 v[108:109], v[130:131], 3, v[106:107]
	flat_load_dwordx2 v[108:109], v[108:109]
	s_waitcnt vmcnt(0) lgkmcnt(0)
	v_mul_f64 v[108:109], s[10:11], v[108:109]
	v_cvt_f32_f64_e32 v108, v[108:109]
.LBB105_101:
	v_add_f64 v[110:111], v[46:47], v[102:103]
	v_add_f64 v[112:113], v[44:45], v[100:101]
	v_cvt_f32_f64_e32 v109, v[112:113]
	v_cvt_f32_f64_e32 v110, v[110:111]
	v_min3_f32 v109, v109, v110, v193
	v_add_f64 v[110:111], v[42:43], v[102:103]
	v_add_f64 v[112:113], v[40:41], v[100:101]
	v_cvt_f32_f64_e32 v112, v[112:113]
	v_cvt_f32_f64_e32 v110, v[110:111]
	v_min3_f32 v114, v112, v110, v192
	v_add_f64 v[110:111], v[38:39], v[98:99]
	v_add_f64 v[112:113], v[36:37], v[96:97]
	v_cvt_f32_f64_e32 v112, v[112:113]
	v_cvt_f32_f64_e32 v110, v[110:111]
	v_min_f32_e32 v115, v112, v110
	v_add_f64 v[110:111], v[34:35], v[98:99]
	v_add_f64 v[112:113], v[32:33], v[96:97]
	v_cvt_f32_f64_e32 v112, v[112:113]
	v_cvt_f32_f64_e32 v110, v[110:111]
	v_min3_f32 v108, v108, v115, v109
	v_min3_f32 v112, v112, v110, v114
	v_cvt_f64_f32_e32 v[108:109], v108
	v_lshl_add_u64 v[110:111], v[130:131], 3, v[104:105]
	flat_store_dwordx2 v[110:111], v[108:109]
	s_mov_b64 s[2:3], -1
	v_max_f32_e32 v109, v112, v112
	s_mov_b64 vcc, s[8:9]
	s_cbranch_vccz .LBB105_103
; %bb.102:
	v_min_f32_e32 v108, 0, v109
	v_cvt_f64_f32_e32 v[110:111], v108
	v_lshl_add_u64 v[112:113], v[142:143], 3, v[104:105]
	flat_store_dwordx2 v[112:113], v[110:111]
	s_mov_b64 s[2:3], 0
.LBB105_103:
	;; [unrolled: 54-line block ×3, first 2 shown]
	s_andn2_b64 vcc, exec, s[2:3]
	v_mov_b32_e32 v108, 0
	s_cbranch_vccnz .LBB105_109
; %bb.108:
	v_lshl_add_u64 v[110:111], v[106:107], 0, v[150:151]
	flat_load_dwordx2 v[110:111], v[110:111]
	v_lshl_add_u64 v[112:113], v[104:105], 0, v[150:151]
	v_lshl_add_u64 v[106:107], v[134:135], 3, v[106:107]
	s_waitcnt vmcnt(0) lgkmcnt(0)
	v_mul_f64 v[110:111], s[10:11], v[110:111]
	v_cvt_f32_f64_e32 v108, v[110:111]
	v_min_f32_e32 v108, v108, v109
	v_cvt_f64_f32_e32 v[108:109], v108
	flat_store_dwordx2 v[112:113], v[108:109]
	flat_load_dwordx2 v[106:107], v[106:107]
	s_waitcnt vmcnt(0) lgkmcnt(0)
	v_mul_f64 v[106:107], s[10:11], v[106:107]
	v_cvt_f32_f64_e32 v108, v[106:107]
.LBB105_109:
	v_add_f64 v[102:103], v[2:3], v[102:103]
	v_add_f64 v[100:101], v[0:1], v[100:101]
	v_cvt_f32_f64_e32 v100, v[100:101]
	v_cvt_f32_f64_e32 v101, v[102:103]
	v_add_f64 v[98:99], v[10:11], v[98:99]
	v_add_f64 v[96:97], v[8:9], v[96:97]
	v_min3_f32 v106, v100, v101, v189
	v_add_f64 v[100:101], v[70:71], v[94:95]
	v_add_f64 v[102:103], v[68:69], v[92:93]
	v_cvt_f32_f64_e32 v96, v[96:97]
	v_cvt_f32_f64_e32 v97, v[98:99]
	;; [unrolled: 1-line block ×4, first 2 shown]
	v_min_f32_e32 v101, v96, v97
	v_add_f64 v[96:97], v[66:67], v[90:91]
	v_add_f64 v[98:99], v[64:65], v[88:89]
	v_min3_f32 v100, v102, v100, v188
	v_cvt_f32_f64_e32 v98, v[98:99]
	v_cvt_f32_f64_e32 v96, v[96:97]
	v_min3_f32 v100, v98, v96, v100
	v_min3_f32 v96, v108, v101, v106
	v_cvt_f64_f32_e32 v[96:97], v96
	v_lshl_add_u64 v[98:99], v[134:135], 3, v[104:105]
	flat_store_dwordx2 v[98:99], v[96:97]
	v_add_u32_e32 v98, 32, v159
	v_mad_i64_i32 v[96:97], s[2:3], v98, s5, 0
	v_mad_i64_i32 v[98:99], s[2:3], v98, s4, 0
	v_lshl_add_u64 v[96:97], v[96:97], 3, s[0:1]
	s_mov_b64 s[2:3], -1
	v_max_f32_e32 v101, v100, v100
	s_mov_b64 vcc, s[8:9]
	s_cbranch_vccz .LBB105_111
; %bb.110:
	v_min_f32_e32 v100, 0, v101
	v_cvt_f64_f32_e32 v[102:103], v100
	v_lshl_add_u64 v[104:105], v[136:137], 3, v[96:97]
	flat_store_dwordx2 v[104:105], v[102:103]
	s_mov_b64 s[2:3], 0
.LBB105_111:
	v_lshl_add_u64 v[98:99], v[98:99], 3, s[16:17]
	s_andn2_b64 vcc, exec, s[2:3]
	v_mov_b32_e32 v100, 0
	s_cbranch_vccnz .LBB105_113
; %bb.112:
	v_lshl_add_u64 v[102:103], v[98:99], 0, v[140:141]
	flat_load_dwordx2 v[102:103], v[102:103]
	v_lshl_add_u64 v[104:105], v[96:97], 0, v[140:141]
	s_waitcnt vmcnt(0) lgkmcnt(0)
	v_mul_f64 v[102:103], s[10:11], v[102:103]
	v_cvt_f32_f64_e32 v100, v[102:103]
	v_min_f32_e32 v100, v100, v101
	v_cvt_f64_f32_e32 v[100:101], v100
	flat_store_dwordx2 v[104:105], v[100:101]
	v_lshl_add_u64 v[100:101], v[128:129], 3, v[98:99]
	flat_load_dwordx2 v[100:101], v[100:101]
	s_waitcnt vmcnt(0) lgkmcnt(0)
	v_mul_f64 v[100:101], s[10:11], v[100:101]
	v_cvt_f32_f64_e32 v100, v[100:101]
.LBB105_113:
	v_add_f64 v[102:103], v[62:63], v[94:95]
	v_add_f64 v[104:105], v[60:61], v[92:93]
	v_cvt_f32_f64_e32 v101, v[104:105]
	v_cvt_f32_f64_e32 v102, v[102:103]
	v_min3_f32 v101, v101, v102, v187
	v_add_f64 v[102:103], v[58:59], v[94:95]
	v_add_f64 v[104:105], v[56:57], v[92:93]
	v_cvt_f32_f64_e32 v104, v[104:105]
	v_cvt_f32_f64_e32 v102, v[102:103]
	v_min3_f32 v106, v104, v102, v186
	v_add_f64 v[102:103], v[54:55], v[90:91]
	v_add_f64 v[104:105], v[52:53], v[88:89]
	v_cvt_f32_f64_e32 v104, v[104:105]
	v_cvt_f32_f64_e32 v102, v[102:103]
	v_min_f32_e32 v107, v104, v102
	v_add_f64 v[102:103], v[50:51], v[90:91]
	v_add_f64 v[104:105], v[48:49], v[88:89]
	v_cvt_f32_f64_e32 v104, v[104:105]
	v_cvt_f32_f64_e32 v102, v[102:103]
	v_min3_f32 v100, v100, v107, v101
	v_min3_f32 v104, v104, v102, v106
	v_cvt_f64_f32_e32 v[100:101], v100
	v_lshl_add_u64 v[102:103], v[128:129], 3, v[96:97]
	flat_store_dwordx2 v[102:103], v[100:101]
	s_mov_b64 s[2:3], -1
	v_max_f32_e32 v101, v104, v104
	s_mov_b64 vcc, s[8:9]
	s_cbranch_vccz .LBB105_115
; %bb.114:
	v_min_f32_e32 v100, 0, v101
	v_cvt_f64_f32_e32 v[102:103], v100
	v_lshl_add_u64 v[104:105], v[138:139], 3, v[96:97]
	flat_store_dwordx2 v[104:105], v[102:103]
	s_mov_b64 s[2:3], 0
.LBB105_115:
	s_andn2_b64 vcc, exec, s[2:3]
	v_mov_b32_e32 v100, 0
	s_cbranch_vccnz .LBB105_117
; %bb.116:
	v_lshl_add_u64 v[102:103], v[98:99], 0, v[144:145]
	flat_load_dwordx2 v[102:103], v[102:103]
	v_lshl_add_u64 v[104:105], v[96:97], 0, v[144:145]
	s_waitcnt vmcnt(0) lgkmcnt(0)
	v_mul_f64 v[102:103], s[10:11], v[102:103]
	v_cvt_f32_f64_e32 v100, v[102:103]
	v_min_f32_e32 v100, v100, v101
	v_cvt_f64_f32_e32 v[100:101], v100
	flat_store_dwordx2 v[104:105], v[100:101]
	v_lshl_add_u64 v[100:101], v[130:131], 3, v[98:99]
	flat_load_dwordx2 v[100:101], v[100:101]
	s_waitcnt vmcnt(0) lgkmcnt(0)
	v_mul_f64 v[100:101], s[10:11], v[100:101]
	v_cvt_f32_f64_e32 v100, v[100:101]
.LBB105_117:
	v_add_f64 v[102:103], v[46:47], v[94:95]
	v_add_f64 v[104:105], v[44:45], v[92:93]
	v_cvt_f32_f64_e32 v101, v[104:105]
	v_cvt_f32_f64_e32 v102, v[102:103]
	v_min3_f32 v101, v101, v102, v185
	v_add_f64 v[102:103], v[42:43], v[94:95]
	v_add_f64 v[104:105], v[40:41], v[92:93]
	v_cvt_f32_f64_e32 v104, v[104:105]
	v_cvt_f32_f64_e32 v102, v[102:103]
	v_min3_f32 v106, v104, v102, v184
	v_add_f64 v[102:103], v[38:39], v[90:91]
	v_add_f64 v[104:105], v[36:37], v[88:89]
	v_cvt_f32_f64_e32 v104, v[104:105]
	v_cvt_f32_f64_e32 v102, v[102:103]
	v_min_f32_e32 v107, v104, v102
	v_add_f64 v[102:103], v[34:35], v[90:91]
	v_add_f64 v[104:105], v[32:33], v[88:89]
	v_cvt_f32_f64_e32 v104, v[104:105]
	v_cvt_f32_f64_e32 v102, v[102:103]
	v_min3_f32 v100, v100, v107, v101
	v_min3_f32 v104, v104, v102, v106
	v_cvt_f64_f32_e32 v[100:101], v100
	v_lshl_add_u64 v[102:103], v[130:131], 3, v[96:97]
	flat_store_dwordx2 v[102:103], v[100:101]
	s_mov_b64 s[2:3], -1
	v_max_f32_e32 v101, v104, v104
	s_mov_b64 vcc, s[8:9]
	s_cbranch_vccz .LBB105_119
; %bb.118:
	v_min_f32_e32 v100, 0, v101
	v_cvt_f64_f32_e32 v[102:103], v100
	v_lshl_add_u64 v[104:105], v[142:143], 3, v[96:97]
	flat_store_dwordx2 v[104:105], v[102:103]
	s_mov_b64 s[2:3], 0
.LBB105_119:
	s_andn2_b64 vcc, exec, s[2:3]
	v_mov_b32_e32 v100, 0
	s_cbranch_vccnz .LBB105_121
; %bb.120:
	v_lshl_add_u64 v[102:103], v[98:99], 0, v[148:149]
	flat_load_dwordx2 v[102:103], v[102:103]
	v_lshl_add_u64 v[104:105], v[96:97], 0, v[148:149]
	s_waitcnt vmcnt(0) lgkmcnt(0)
	v_mul_f64 v[102:103], s[10:11], v[102:103]
	v_cvt_f32_f64_e32 v100, v[102:103]
	v_min_f32_e32 v100, v100, v101
	v_cvt_f64_f32_e32 v[100:101], v100
	flat_store_dwordx2 v[104:105], v[100:101]
	v_lshl_add_u64 v[100:101], v[132:133], 3, v[98:99]
	flat_load_dwordx2 v[100:101], v[100:101]
	s_waitcnt vmcnt(0) lgkmcnt(0)
	v_mul_f64 v[100:101], s[10:11], v[100:101]
	v_cvt_f32_f64_e32 v100, v[100:101]
.LBB105_121:
	v_add_f64 v[102:103], v[30:31], v[94:95]
	v_add_f64 v[104:105], v[28:29], v[92:93]
	v_cvt_f32_f64_e32 v101, v[104:105]
	v_cvt_f32_f64_e32 v102, v[102:103]
	v_min3_f32 v101, v101, v102, v183
	v_add_f64 v[102:103], v[26:27], v[94:95]
	v_add_f64 v[104:105], v[24:25], v[92:93]
	v_cvt_f32_f64_e32 v104, v[104:105]
	v_cvt_f32_f64_e32 v102, v[102:103]
	v_min3_f32 v106, v104, v102, v182
	v_add_f64 v[102:103], v[22:23], v[90:91]
	v_add_f64 v[104:105], v[20:21], v[88:89]
	v_cvt_f32_f64_e32 v104, v[104:105]
	v_cvt_f32_f64_e32 v102, v[102:103]
	v_min_f32_e32 v107, v104, v102
	v_add_f64 v[102:103], v[18:19], v[90:91]
	v_add_f64 v[104:105], v[16:17], v[88:89]
	v_cvt_f32_f64_e32 v104, v[104:105]
	v_cvt_f32_f64_e32 v102, v[102:103]
	v_min3_f32 v100, v100, v107, v101
	v_min3_f32 v104, v104, v102, v106
	v_cvt_f64_f32_e32 v[100:101], v100
	v_lshl_add_u64 v[102:103], v[132:133], 3, v[96:97]
	flat_store_dwordx2 v[102:103], v[100:101]
	s_mov_b64 s[2:3], -1
	v_max_f32_e32 v101, v104, v104
	s_mov_b64 vcc, s[8:9]
	s_cbranch_vccz .LBB105_123
; %bb.122:
	v_min_f32_e32 v100, 0, v101
	v_cvt_f64_f32_e32 v[102:103], v100
	v_lshl_add_u64 v[104:105], v[146:147], 3, v[96:97]
	flat_store_dwordx2 v[104:105], v[102:103]
	s_mov_b64 s[2:3], 0
.LBB105_123:
	s_andn2_b64 vcc, exec, s[2:3]
	v_mov_b32_e32 v100, 0
	s_cbranch_vccnz .LBB105_125
; %bb.124:
	v_lshl_add_u64 v[102:103], v[98:99], 0, v[150:151]
	flat_load_dwordx2 v[102:103], v[102:103]
	v_lshl_add_u64 v[104:105], v[96:97], 0, v[150:151]
	v_lshl_add_u64 v[98:99], v[134:135], 3, v[98:99]
	s_waitcnt vmcnt(0) lgkmcnt(0)
	v_mul_f64 v[102:103], s[10:11], v[102:103]
	v_cvt_f32_f64_e32 v100, v[102:103]
	v_min_f32_e32 v100, v100, v101
	v_cvt_f64_f32_e32 v[100:101], v100
	flat_store_dwordx2 v[104:105], v[100:101]
	flat_load_dwordx2 v[98:99], v[98:99]
	s_waitcnt vmcnt(0) lgkmcnt(0)
	v_mul_f64 v[98:99], s[10:11], v[98:99]
	v_cvt_f32_f64_e32 v100, v[98:99]
.LBB105_125:
	v_add_f64 v[94:95], v[2:3], v[94:95]
	v_add_f64 v[92:93], v[0:1], v[92:93]
	v_cvt_f32_f64_e32 v92, v[92:93]
	v_cvt_f32_f64_e32 v93, v[94:95]
	v_add_f64 v[90:91], v[10:11], v[90:91]
	v_add_f64 v[88:89], v[8:9], v[88:89]
	v_min3_f32 v98, v92, v93, v181
	v_add_f64 v[92:93], v[70:71], v[86:87]
	v_add_f64 v[94:95], v[68:69], v[84:85]
	v_cvt_f32_f64_e32 v88, v[88:89]
	v_cvt_f32_f64_e32 v89, v[90:91]
	v_cvt_f32_f64_e32 v94, v[94:95]
	v_cvt_f32_f64_e32 v92, v[92:93]
	v_min_f32_e32 v93, v88, v89
	v_add_f64 v[88:89], v[66:67], v[82:83]
	v_add_f64 v[90:91], v[64:65], v[80:81]
	v_min3_f32 v92, v94, v92, v180
	v_cvt_f32_f64_e32 v90, v[90:91]
	v_cvt_f32_f64_e32 v88, v[88:89]
	v_min3_f32 v92, v90, v88, v92
	v_min3_f32 v88, v100, v93, v98
	v_cvt_f64_f32_e32 v[88:89], v88
	v_lshl_add_u64 v[90:91], v[134:135], 3, v[96:97]
	flat_store_dwordx2 v[90:91], v[88:89]
	v_add_u32_e32 v90, 40, v159
	v_mad_i64_i32 v[88:89], s[2:3], v90, s5, 0
	v_mad_i64_i32 v[90:91], s[2:3], v90, s4, 0
	v_lshl_add_u64 v[88:89], v[88:89], 3, s[0:1]
	s_mov_b64 s[2:3], -1
	v_max_f32_e32 v93, v92, v92
	s_mov_b64 vcc, s[8:9]
	s_cbranch_vccz .LBB105_127
; %bb.126:
	v_min_f32_e32 v92, 0, v93
	v_cvt_f64_f32_e32 v[94:95], v92
	v_lshl_add_u64 v[96:97], v[136:137], 3, v[88:89]
	flat_store_dwordx2 v[96:97], v[94:95]
	s_mov_b64 s[2:3], 0
.LBB105_127:
	v_lshl_add_u64 v[90:91], v[90:91], 3, s[16:17]
	s_andn2_b64 vcc, exec, s[2:3]
	v_mov_b32_e32 v92, 0
	s_cbranch_vccnz .LBB105_129
; %bb.128:
	v_lshl_add_u64 v[94:95], v[90:91], 0, v[140:141]
	flat_load_dwordx2 v[94:95], v[94:95]
	v_lshl_add_u64 v[96:97], v[88:89], 0, v[140:141]
	s_waitcnt vmcnt(0) lgkmcnt(0)
	v_mul_f64 v[94:95], s[10:11], v[94:95]
	v_cvt_f32_f64_e32 v92, v[94:95]
	v_min_f32_e32 v92, v92, v93
	v_cvt_f64_f32_e32 v[92:93], v92
	flat_store_dwordx2 v[96:97], v[92:93]
	v_lshl_add_u64 v[92:93], v[128:129], 3, v[90:91]
	flat_load_dwordx2 v[92:93], v[92:93]
	s_waitcnt vmcnt(0) lgkmcnt(0)
	v_mul_f64 v[92:93], s[10:11], v[92:93]
	v_cvt_f32_f64_e32 v92, v[92:93]
.LBB105_129:
	v_add_f64 v[94:95], v[62:63], v[86:87]
	v_add_f64 v[96:97], v[60:61], v[84:85]
	v_cvt_f32_f64_e32 v93, v[96:97]
	v_cvt_f32_f64_e32 v94, v[94:95]
	v_min3_f32 v93, v93, v94, v179
	v_add_f64 v[94:95], v[58:59], v[86:87]
	v_add_f64 v[96:97], v[56:57], v[84:85]
	v_cvt_f32_f64_e32 v96, v[96:97]
	v_cvt_f32_f64_e32 v94, v[94:95]
	v_min3_f32 v98, v96, v94, v178
	v_add_f64 v[94:95], v[54:55], v[82:83]
	v_add_f64 v[96:97], v[52:53], v[80:81]
	v_cvt_f32_f64_e32 v96, v[96:97]
	v_cvt_f32_f64_e32 v94, v[94:95]
	v_min_f32_e32 v99, v96, v94
	v_add_f64 v[94:95], v[50:51], v[82:83]
	v_add_f64 v[96:97], v[48:49], v[80:81]
	v_cvt_f32_f64_e32 v96, v[96:97]
	v_cvt_f32_f64_e32 v94, v[94:95]
	v_min3_f32 v92, v92, v99, v93
	v_min3_f32 v96, v96, v94, v98
	v_cvt_f64_f32_e32 v[92:93], v92
	v_lshl_add_u64 v[94:95], v[128:129], 3, v[88:89]
	flat_store_dwordx2 v[94:95], v[92:93]
	s_mov_b64 s[2:3], -1
	v_max_f32_e32 v93, v96, v96
	s_mov_b64 vcc, s[8:9]
	s_cbranch_vccz .LBB105_131
; %bb.130:
	v_min_f32_e32 v92, 0, v93
	v_cvt_f64_f32_e32 v[94:95], v92
	v_lshl_add_u64 v[96:97], v[138:139], 3, v[88:89]
	flat_store_dwordx2 v[96:97], v[94:95]
	s_mov_b64 s[2:3], 0
.LBB105_131:
	s_andn2_b64 vcc, exec, s[2:3]
	v_mov_b32_e32 v92, 0
	s_cbranch_vccnz .LBB105_133
; %bb.132:
	v_lshl_add_u64 v[94:95], v[90:91], 0, v[144:145]
	flat_load_dwordx2 v[94:95], v[94:95]
	v_lshl_add_u64 v[96:97], v[88:89], 0, v[144:145]
	s_waitcnt vmcnt(0) lgkmcnt(0)
	v_mul_f64 v[94:95], s[10:11], v[94:95]
	v_cvt_f32_f64_e32 v92, v[94:95]
	v_min_f32_e32 v92, v92, v93
	v_cvt_f64_f32_e32 v[92:93], v92
	flat_store_dwordx2 v[96:97], v[92:93]
	v_lshl_add_u64 v[92:93], v[130:131], 3, v[90:91]
	flat_load_dwordx2 v[92:93], v[92:93]
	s_waitcnt vmcnt(0) lgkmcnt(0)
	v_mul_f64 v[92:93], s[10:11], v[92:93]
	v_cvt_f32_f64_e32 v92, v[92:93]
.LBB105_133:
	v_add_f64 v[94:95], v[46:47], v[86:87]
	v_add_f64 v[96:97], v[44:45], v[84:85]
	v_cvt_f32_f64_e32 v93, v[96:97]
	v_cvt_f32_f64_e32 v94, v[94:95]
	v_min3_f32 v93, v93, v94, v177
	v_add_f64 v[94:95], v[42:43], v[86:87]
	v_add_f64 v[96:97], v[40:41], v[84:85]
	v_cvt_f32_f64_e32 v96, v[96:97]
	v_cvt_f32_f64_e32 v94, v[94:95]
	v_min3_f32 v98, v96, v94, v176
	v_add_f64 v[94:95], v[38:39], v[82:83]
	v_add_f64 v[96:97], v[36:37], v[80:81]
	v_cvt_f32_f64_e32 v96, v[96:97]
	v_cvt_f32_f64_e32 v94, v[94:95]
	v_min_f32_e32 v99, v96, v94
	v_add_f64 v[94:95], v[34:35], v[82:83]
	v_add_f64 v[96:97], v[32:33], v[80:81]
	v_cvt_f32_f64_e32 v96, v[96:97]
	v_cvt_f32_f64_e32 v94, v[94:95]
	v_min3_f32 v92, v92, v99, v93
	v_min3_f32 v96, v96, v94, v98
	v_cvt_f64_f32_e32 v[92:93], v92
	v_lshl_add_u64 v[94:95], v[130:131], 3, v[88:89]
	flat_store_dwordx2 v[94:95], v[92:93]
	s_mov_b64 s[2:3], -1
	v_max_f32_e32 v93, v96, v96
	s_mov_b64 vcc, s[8:9]
	s_cbranch_vccz .LBB105_135
; %bb.134:
	v_min_f32_e32 v92, 0, v93
	v_cvt_f64_f32_e32 v[94:95], v92
	v_lshl_add_u64 v[96:97], v[142:143], 3, v[88:89]
	flat_store_dwordx2 v[96:97], v[94:95]
	s_mov_b64 s[2:3], 0
.LBB105_135:
	;; [unrolled: 54-line block ×3, first 2 shown]
	s_andn2_b64 vcc, exec, s[2:3]
	v_mov_b32_e32 v92, 0
	s_cbranch_vccnz .LBB105_141
; %bb.140:
	v_lshl_add_u64 v[94:95], v[90:91], 0, v[150:151]
	flat_load_dwordx2 v[94:95], v[94:95]
	v_lshl_add_u64 v[96:97], v[88:89], 0, v[150:151]
	v_lshl_add_u64 v[90:91], v[134:135], 3, v[90:91]
	s_waitcnt vmcnt(0) lgkmcnt(0)
	v_mul_f64 v[94:95], s[10:11], v[94:95]
	v_cvt_f32_f64_e32 v92, v[94:95]
	v_min_f32_e32 v92, v92, v93
	v_cvt_f64_f32_e32 v[92:93], v92
	flat_store_dwordx2 v[96:97], v[92:93]
	flat_load_dwordx2 v[90:91], v[90:91]
	s_waitcnt vmcnt(0) lgkmcnt(0)
	v_mul_f64 v[90:91], s[10:11], v[90:91]
	v_cvt_f32_f64_e32 v92, v[90:91]
.LBB105_141:
	v_add_f64 v[86:87], v[2:3], v[86:87]
	v_add_f64 v[84:85], v[0:1], v[84:85]
	v_cvt_f32_f64_e32 v84, v[84:85]
	v_cvt_f32_f64_e32 v85, v[86:87]
	v_add_f64 v[82:83], v[10:11], v[82:83]
	v_add_f64 v[80:81], v[8:9], v[80:81]
	v_min3_f32 v90, v84, v85, v173
	v_add_f64 v[84:85], v[70:71], v[78:79]
	v_add_f64 v[86:87], v[68:69], v[76:77]
	v_cvt_f32_f64_e32 v80, v[80:81]
	v_cvt_f32_f64_e32 v81, v[82:83]
	;; [unrolled: 1-line block ×4, first 2 shown]
	v_min_f32_e32 v85, v80, v81
	v_add_f64 v[80:81], v[66:67], v[74:75]
	v_add_f64 v[82:83], v[64:65], v[72:73]
	v_min3_f32 v84, v86, v84, v172
	v_cvt_f32_f64_e32 v82, v[82:83]
	v_cvt_f32_f64_e32 v80, v[80:81]
	v_min3_f32 v84, v82, v80, v84
	v_min3_f32 v80, v92, v85, v90
	v_cvt_f64_f32_e32 v[80:81], v80
	v_lshl_add_u64 v[82:83], v[134:135], 3, v[88:89]
	flat_store_dwordx2 v[82:83], v[80:81]
	v_add_u32_e32 v82, 48, v159
	v_mad_i64_i32 v[80:81], s[2:3], v82, s5, 0
	v_mad_i64_i32 v[82:83], s[2:3], v82, s4, 0
	v_lshl_add_u64 v[80:81], v[80:81], 3, s[0:1]
	s_mov_b64 s[2:3], -1
	v_max_f32_e32 v85, v84, v84
	s_mov_b64 vcc, s[8:9]
	s_cbranch_vccz .LBB105_143
; %bb.142:
	v_min_f32_e32 v84, 0, v85
	v_cvt_f64_f32_e32 v[86:87], v84
	v_lshl_add_u64 v[88:89], v[136:137], 3, v[80:81]
	flat_store_dwordx2 v[88:89], v[86:87]
	s_mov_b64 s[2:3], 0
.LBB105_143:
	v_lshl_add_u64 v[82:83], v[82:83], 3, s[16:17]
	s_andn2_b64 vcc, exec, s[2:3]
	v_mov_b32_e32 v84, 0
	s_cbranch_vccnz .LBB105_145
; %bb.144:
	v_lshl_add_u64 v[86:87], v[82:83], 0, v[140:141]
	flat_load_dwordx2 v[86:87], v[86:87]
	v_lshl_add_u64 v[88:89], v[80:81], 0, v[140:141]
	s_waitcnt vmcnt(0) lgkmcnt(0)
	v_mul_f64 v[86:87], s[10:11], v[86:87]
	v_cvt_f32_f64_e32 v84, v[86:87]
	v_min_f32_e32 v84, v84, v85
	v_cvt_f64_f32_e32 v[84:85], v84
	flat_store_dwordx2 v[88:89], v[84:85]
	v_lshl_add_u64 v[84:85], v[128:129], 3, v[82:83]
	flat_load_dwordx2 v[84:85], v[84:85]
	s_waitcnt vmcnt(0) lgkmcnt(0)
	v_mul_f64 v[84:85], s[10:11], v[84:85]
	v_cvt_f32_f64_e32 v84, v[84:85]
.LBB105_145:
	v_add_f64 v[86:87], v[62:63], v[78:79]
	v_add_f64 v[88:89], v[60:61], v[76:77]
	v_cvt_f32_f64_e32 v85, v[88:89]
	v_cvt_f32_f64_e32 v86, v[86:87]
	v_min3_f32 v85, v85, v86, v171
	v_add_f64 v[86:87], v[58:59], v[78:79]
	v_add_f64 v[88:89], v[56:57], v[76:77]
	v_cvt_f32_f64_e32 v88, v[88:89]
	v_cvt_f32_f64_e32 v86, v[86:87]
	v_min3_f32 v90, v88, v86, v170
	v_add_f64 v[86:87], v[54:55], v[74:75]
	v_add_f64 v[88:89], v[52:53], v[72:73]
	v_cvt_f32_f64_e32 v88, v[88:89]
	v_cvt_f32_f64_e32 v86, v[86:87]
	v_min_f32_e32 v91, v88, v86
	v_add_f64 v[86:87], v[50:51], v[74:75]
	v_add_f64 v[88:89], v[48:49], v[72:73]
	v_cvt_f32_f64_e32 v88, v[88:89]
	v_cvt_f32_f64_e32 v86, v[86:87]
	v_min3_f32 v84, v84, v91, v85
	v_min3_f32 v88, v88, v86, v90
	v_cvt_f64_f32_e32 v[84:85], v84
	v_lshl_add_u64 v[86:87], v[128:129], 3, v[80:81]
	flat_store_dwordx2 v[86:87], v[84:85]
	s_mov_b64 s[2:3], -1
	v_max_f32_e32 v85, v88, v88
	s_mov_b64 vcc, s[8:9]
	s_cbranch_vccz .LBB105_147
; %bb.146:
	v_min_f32_e32 v84, 0, v85
	v_cvt_f64_f32_e32 v[86:87], v84
	v_lshl_add_u64 v[88:89], v[138:139], 3, v[80:81]
	flat_store_dwordx2 v[88:89], v[86:87]
	s_mov_b64 s[2:3], 0
.LBB105_147:
	s_andn2_b64 vcc, exec, s[2:3]
	v_mov_b32_e32 v84, 0
	s_cbranch_vccnz .LBB105_149
; %bb.148:
	v_lshl_add_u64 v[86:87], v[82:83], 0, v[144:145]
	flat_load_dwordx2 v[86:87], v[86:87]
	v_lshl_add_u64 v[88:89], v[80:81], 0, v[144:145]
	s_waitcnt vmcnt(0) lgkmcnt(0)
	v_mul_f64 v[86:87], s[10:11], v[86:87]
	v_cvt_f32_f64_e32 v84, v[86:87]
	v_min_f32_e32 v84, v84, v85
	v_cvt_f64_f32_e32 v[84:85], v84
	flat_store_dwordx2 v[88:89], v[84:85]
	v_lshl_add_u64 v[84:85], v[130:131], 3, v[82:83]
	flat_load_dwordx2 v[84:85], v[84:85]
	s_waitcnt vmcnt(0) lgkmcnt(0)
	v_mul_f64 v[84:85], s[10:11], v[84:85]
	v_cvt_f32_f64_e32 v84, v[84:85]
.LBB105_149:
	v_add_f64 v[86:87], v[46:47], v[78:79]
	v_add_f64 v[88:89], v[44:45], v[76:77]
	v_cvt_f32_f64_e32 v85, v[88:89]
	v_cvt_f32_f64_e32 v86, v[86:87]
	v_min3_f32 v85, v85, v86, v169
	v_add_f64 v[86:87], v[42:43], v[78:79]
	v_add_f64 v[88:89], v[40:41], v[76:77]
	v_cvt_f32_f64_e32 v88, v[88:89]
	v_cvt_f32_f64_e32 v86, v[86:87]
	v_min3_f32 v90, v88, v86, v168
	v_add_f64 v[86:87], v[38:39], v[74:75]
	v_add_f64 v[88:89], v[36:37], v[72:73]
	v_cvt_f32_f64_e32 v88, v[88:89]
	v_cvt_f32_f64_e32 v86, v[86:87]
	v_min_f32_e32 v91, v88, v86
	v_add_f64 v[86:87], v[34:35], v[74:75]
	v_add_f64 v[88:89], v[32:33], v[72:73]
	v_cvt_f32_f64_e32 v88, v[88:89]
	v_cvt_f32_f64_e32 v86, v[86:87]
	v_min3_f32 v84, v84, v91, v85
	v_min3_f32 v88, v88, v86, v90
	v_cvt_f64_f32_e32 v[84:85], v84
	v_lshl_add_u64 v[86:87], v[130:131], 3, v[80:81]
	flat_store_dwordx2 v[86:87], v[84:85]
	s_mov_b64 s[2:3], -1
	v_max_f32_e32 v85, v88, v88
	s_mov_b64 vcc, s[8:9]
	s_cbranch_vccz .LBB105_151
; %bb.150:
	v_min_f32_e32 v84, 0, v85
	v_cvt_f64_f32_e32 v[86:87], v84
	v_lshl_add_u64 v[88:89], v[142:143], 3, v[80:81]
	flat_store_dwordx2 v[88:89], v[86:87]
	s_mov_b64 s[2:3], 0
.LBB105_151:
	;; [unrolled: 54-line block ×3, first 2 shown]
	s_andn2_b64 vcc, exec, s[2:3]
	v_mov_b32_e32 v84, 0
	s_cbranch_vccnz .LBB105_157
; %bb.156:
	v_lshl_add_u64 v[86:87], v[82:83], 0, v[150:151]
	flat_load_dwordx2 v[86:87], v[86:87]
	v_lshl_add_u64 v[88:89], v[80:81], 0, v[150:151]
	v_lshl_add_u64 v[82:83], v[134:135], 3, v[82:83]
	s_waitcnt vmcnt(0) lgkmcnt(0)
	v_mul_f64 v[86:87], s[10:11], v[86:87]
	v_cvt_f32_f64_e32 v84, v[86:87]
	v_min_f32_e32 v84, v84, v85
	v_cvt_f64_f32_e32 v[84:85], v84
	flat_store_dwordx2 v[88:89], v[84:85]
	flat_load_dwordx2 v[82:83], v[82:83]
	s_waitcnt vmcnt(0) lgkmcnt(0)
	v_mul_f64 v[82:83], s[10:11], v[82:83]
	v_cvt_f32_f64_e32 v84, v[82:83]
.LBB105_157:
	v_add_f64 v[78:79], v[2:3], v[78:79]
	v_add_f64 v[76:77], v[0:1], v[76:77]
	;; [unrolled: 1-line block ×4, first 2 shown]
	v_cvt_f32_f64_e32 v76, v[76:77]
	v_cvt_f32_f64_e32 v77, v[78:79]
	;; [unrolled: 1-line block ×4, first 2 shown]
	v_min3_f32 v76, v76, v77, v165
	v_min3_f32 v77, v68, v69, v164
	v_add_f64 v[68:69], v[10:11], v[74:75]
	v_add_f64 v[70:71], v[8:9], v[72:73]
	v_cvt_f32_f64_e32 v70, v[70:71]
	v_cvt_f32_f64_e32 v68, v[68:69]
	v_add_f64 v[66:67], v[66:67], v[14:15]
	v_add_f64 v[64:65], v[64:65], v[12:13]
	v_min_f32_e32 v68, v70, v68
	v_cvt_f32_f64_e32 v64, v[64:65]
	v_cvt_f32_f64_e32 v65, v[66:67]
	v_min3_f32 v69, v64, v65, v77
	v_min3_f32 v64, v84, v68, v76
	v_cvt_f64_f32_e32 v[64:65], v64
	v_lshl_add_u64 v[66:67], v[134:135], 3, v[80:81]
	flat_store_dwordx2 v[66:67], v[64:65]
	v_add_u32_e32 v66, 56, v159
	v_mad_i64_i32 v[64:65], s[2:3], v66, s5, 0
	v_lshl_add_u64 v[64:65], v[64:65], 3, s[0:1]
	v_mad_i64_i32 v[66:67], s[0:1], v66, s4, 0
	s_mov_b64 s[0:1], -1
	v_max_f32_e32 v69, v69, v69
	s_mov_b64 vcc, s[8:9]
	s_cbranch_vccz .LBB105_159
; %bb.158:
	v_min_f32_e32 v68, 0, v69
	v_cvt_f64_f32_e32 v[70:71], v68
	v_lshl_add_u64 v[72:73], v[136:137], 3, v[64:65]
	flat_store_dwordx2 v[72:73], v[70:71]
	s_mov_b64 s[0:1], 0
.LBB105_159:
	v_lshl_add_u64 v[66:67], v[66:67], 3, s[16:17]
	s_andn2_b64 vcc, exec, s[0:1]
	v_mov_b32_e32 v68, 0
	s_cbranch_vccnz .LBB105_161
; %bb.160:
	v_lshl_add_u64 v[70:71], v[66:67], 0, v[140:141]
	flat_load_dwordx2 v[70:71], v[70:71]
	v_lshl_add_u64 v[72:73], v[64:65], 0, v[140:141]
	s_waitcnt vmcnt(0) lgkmcnt(0)
	v_mul_f64 v[70:71], s[10:11], v[70:71]
	v_cvt_f32_f64_e32 v68, v[70:71]
	v_min_f32_e32 v68, v68, v69
	v_cvt_f64_f32_e32 v[68:69], v68
	flat_store_dwordx2 v[72:73], v[68:69]
	v_lshl_add_u64 v[68:69], v[128:129], 3, v[66:67]
	flat_load_dwordx2 v[68:69], v[68:69]
	s_waitcnt vmcnt(0) lgkmcnt(0)
	v_mul_f64 v[68:69], s[10:11], v[68:69]
	v_cvt_f32_f64_e32 v68, v[68:69]
.LBB105_161:
	v_add_f64 v[62:63], v[62:63], v[6:7]
	v_add_f64 v[60:61], v[60:61], v[4:5]
	v_add_f64 v[58:59], v[58:59], v[6:7]
	v_add_f64 v[56:57], v[56:57], v[4:5]
	v_add_f64 v[54:55], v[54:55], v[14:15]
	v_add_f64 v[52:53], v[52:53], v[12:13]
	v_cvt_f32_f64_e32 v60, v[60:61]
	v_cvt_f32_f64_e32 v61, v[62:63]
	v_cvt_f32_f64_e32 v56, v[56:57]
	v_cvt_f32_f64_e32 v57, v[58:59]
	v_cvt_f32_f64_e32 v52, v[52:53]
	v_cvt_f32_f64_e32 v53, v[54:55]
	v_add_f64 v[50:51], v[50:51], v[14:15]
	v_add_f64 v[48:49], v[48:49], v[12:13]
	v_min3_f32 v60, v60, v61, v163
	v_min3_f32 v56, v56, v57, v162
	v_min_f32_e32 v52, v52, v53
	v_cvt_f32_f64_e32 v48, v[48:49]
	v_cvt_f32_f64_e32 v49, v[50:51]
	v_min3_f32 v53, v48, v49, v56
	v_min3_f32 v48, v68, v52, v60
	v_cvt_f64_f32_e32 v[48:49], v48
	v_lshl_add_u64 v[50:51], v[128:129], 3, v[64:65]
	flat_store_dwordx2 v[50:51], v[48:49]
	s_mov_b64 s[0:1], -1
	v_max_f32_e32 v49, v53, v53
	s_mov_b64 vcc, s[8:9]
	s_cbranch_vccz .LBB105_163
; %bb.162:
	v_min_f32_e32 v48, 0, v49
	v_cvt_f64_f32_e32 v[50:51], v48
	v_lshl_add_u64 v[52:53], v[138:139], 3, v[64:65]
	flat_store_dwordx2 v[52:53], v[50:51]
	s_mov_b64 s[0:1], 0
.LBB105_163:
	s_andn2_b64 vcc, exec, s[0:1]
	v_mov_b32_e32 v48, 0
	s_cbranch_vccnz .LBB105_165
; %bb.164:
	v_lshl_add_u64 v[50:51], v[66:67], 0, v[144:145]
	flat_load_dwordx2 v[50:51], v[50:51]
	v_lshl_add_u64 v[52:53], v[64:65], 0, v[144:145]
	s_waitcnt vmcnt(0) lgkmcnt(0)
	v_mul_f64 v[50:51], s[10:11], v[50:51]
	v_cvt_f32_f64_e32 v48, v[50:51]
	v_min_f32_e32 v48, v48, v49
	v_cvt_f64_f32_e32 v[48:49], v48
	flat_store_dwordx2 v[52:53], v[48:49]
	v_lshl_add_u64 v[48:49], v[130:131], 3, v[66:67]
	flat_load_dwordx2 v[48:49], v[48:49]
	s_waitcnt vmcnt(0) lgkmcnt(0)
	v_mul_f64 v[48:49], s[10:11], v[48:49]
	v_cvt_f32_f64_e32 v48, v[48:49]
.LBB105_165:
	v_add_f64 v[46:47], v[46:47], v[6:7]
	v_add_f64 v[44:45], v[44:45], v[4:5]
	v_add_f64 v[42:43], v[42:43], v[6:7]
	v_add_f64 v[40:41], v[40:41], v[4:5]
	v_add_f64 v[38:39], v[38:39], v[14:15]
	v_add_f64 v[36:37], v[36:37], v[12:13]
	v_cvt_f32_f64_e32 v44, v[44:45]
	v_cvt_f32_f64_e32 v45, v[46:47]
	v_cvt_f32_f64_e32 v40, v[40:41]
	v_cvt_f32_f64_e32 v41, v[42:43]
	v_cvt_f32_f64_e32 v36, v[36:37]
	v_cvt_f32_f64_e32 v37, v[38:39]
	v_add_f64 v[34:35], v[34:35], v[14:15]
	v_add_f64 v[32:33], v[32:33], v[12:13]
	v_min3_f32 v44, v44, v45, v161
	v_min3_f32 v40, v40, v41, v160
	v_min_f32_e32 v36, v36, v37
	v_cvt_f32_f64_e32 v32, v[32:33]
	v_cvt_f32_f64_e32 v33, v[34:35]
	v_min3_f32 v37, v32, v33, v40
	v_min3_f32 v32, v48, v36, v44
	v_cvt_f64_f32_e32 v[32:33], v32
	v_lshl_add_u64 v[34:35], v[130:131], 3, v[64:65]
	flat_store_dwordx2 v[34:35], v[32:33]
	s_mov_b64 s[0:1], -1
	v_max_f32_e32 v33, v37, v37
	s_mov_b64 vcc, s[8:9]
	s_cbranch_vccz .LBB105_167
; %bb.166:
	v_min_f32_e32 v32, 0, v33
	v_cvt_f64_f32_e32 v[34:35], v32
	v_lshl_add_u64 v[36:37], v[142:143], 3, v[64:65]
	flat_store_dwordx2 v[36:37], v[34:35]
	s_mov_b64 s[0:1], 0
.LBB105_167:
	;; [unrolled: 54-line block ×3, first 2 shown]
	s_andn2_b64 vcc, exec, s[0:1]
	v_mov_b32_e32 v16, 0
	s_cbranch_vccnz .LBB105_173
; %bb.172:
	v_lshl_add_u64 v[18:19], v[66:67], 0, v[150:151]
	flat_load_dwordx2 v[18:19], v[18:19]
	v_lshl_add_u64 v[20:21], v[64:65], 0, v[150:151]
	s_waitcnt vmcnt(0) lgkmcnt(0)
	v_mul_f64 v[18:19], s[10:11], v[18:19]
	v_cvt_f32_f64_e32 v16, v[18:19]
	v_min_f32_e32 v16, v16, v17
	v_cvt_f64_f32_e32 v[16:17], v16
	flat_store_dwordx2 v[20:21], v[16:17]
	v_lshl_add_u64 v[16:17], v[134:135], 3, v[66:67]
	flat_load_dwordx2 v[16:17], v[16:17]
	s_waitcnt vmcnt(0) lgkmcnt(0)
	v_mul_f64 v[16:17], s[10:11], v[16:17]
	v_cvt_f32_f64_e32 v16, v[16:17]
.LBB105_173:
	v_add_f64 v[10:11], v[10:11], v[14:15]
	v_add_f64 v[8:9], v[8:9], v[12:13]
	;; [unrolled: 1-line block ×4, first 2 shown]
	v_cvt_f32_f64_e32 v8, v[8:9]
	v_cvt_f32_f64_e32 v9, v[10:11]
	;; [unrolled: 1-line block ×4, first 2 shown]
	v_min_f32_e32 v8, v8, v9
	v_min3_f32 v0, v0, v1, v156
	v_min3_f32 v0, v16, v8, v0
	v_cvt_f64_f32_e32 v[0:1], v0
	v_lshl_add_u64 v[2:3], v[134:135], 3, v[64:65]
	flat_store_dwordx2 v[2:3], v[0:1]
	s_endpgm
	.section	.rodata,"a",@progbits
	.p2align	6, 0x0
	.amdhsa_kernel _ZN12_GLOBAL__N_120geam_min_plus_kernelId15HIP_vector_typeIdLj2EEdLi32ELi8ELi256ELi64ELi4ELi64ELi4ELi4ELi64ELc78ELc78ELb0ELb0ELb1EPKdKS4_KPdEEviiiT16_PT17_ilSA_ilS8_SA_ilPT18_ili26rocblas_geam_ex_operation_
		.amdhsa_group_segment_fixed_size 20480
		.amdhsa_private_segment_fixed_size 0
		.amdhsa_kernarg_size 136
		.amdhsa_user_sgpr_count 2
		.amdhsa_user_sgpr_dispatch_ptr 0
		.amdhsa_user_sgpr_queue_ptr 0
		.amdhsa_user_sgpr_kernarg_segment_ptr 1
		.amdhsa_user_sgpr_dispatch_id 0
		.amdhsa_user_sgpr_kernarg_preload_length 0
		.amdhsa_user_sgpr_kernarg_preload_offset 0
		.amdhsa_user_sgpr_private_segment_size 0
		.amdhsa_uses_dynamic_stack 0
		.amdhsa_enable_private_segment 0
		.amdhsa_system_sgpr_workgroup_id_x 1
		.amdhsa_system_sgpr_workgroup_id_y 0
		.amdhsa_system_sgpr_workgroup_id_z 1
		.amdhsa_system_sgpr_workgroup_info 0
		.amdhsa_system_vgpr_workitem_id 1
		.amdhsa_next_free_vgpr 230
		.amdhsa_next_free_sgpr 30
		.amdhsa_accum_offset 232
		.amdhsa_reserve_vcc 1
		.amdhsa_float_round_mode_32 0
		.amdhsa_float_round_mode_16_64 0
		.amdhsa_float_denorm_mode_32 3
		.amdhsa_float_denorm_mode_16_64 3
		.amdhsa_dx10_clamp 1
		.amdhsa_ieee_mode 1
		.amdhsa_fp16_overflow 0
		.amdhsa_tg_split 0
		.amdhsa_exception_fp_ieee_invalid_op 0
		.amdhsa_exception_fp_denorm_src 0
		.amdhsa_exception_fp_ieee_div_zero 0
		.amdhsa_exception_fp_ieee_overflow 0
		.amdhsa_exception_fp_ieee_underflow 0
		.amdhsa_exception_fp_ieee_inexact 0
		.amdhsa_exception_int_div_zero 0
	.end_amdhsa_kernel
	.section	.text._ZN12_GLOBAL__N_120geam_min_plus_kernelId15HIP_vector_typeIdLj2EEdLi32ELi8ELi256ELi64ELi4ELi64ELi4ELi4ELi64ELc78ELc78ELb0ELb0ELb1EPKdKS4_KPdEEviiiT16_PT17_ilSA_ilS8_SA_ilPT18_ili26rocblas_geam_ex_operation_,"axG",@progbits,_ZN12_GLOBAL__N_120geam_min_plus_kernelId15HIP_vector_typeIdLj2EEdLi32ELi8ELi256ELi64ELi4ELi64ELi4ELi4ELi64ELc78ELc78ELb0ELb0ELb1EPKdKS4_KPdEEviiiT16_PT17_ilSA_ilS8_SA_ilPT18_ili26rocblas_geam_ex_operation_,comdat
.Lfunc_end105:
	.size	_ZN12_GLOBAL__N_120geam_min_plus_kernelId15HIP_vector_typeIdLj2EEdLi32ELi8ELi256ELi64ELi4ELi64ELi4ELi4ELi64ELc78ELc78ELb0ELb0ELb1EPKdKS4_KPdEEviiiT16_PT17_ilSA_ilS8_SA_ilPT18_ili26rocblas_geam_ex_operation_, .Lfunc_end105-_ZN12_GLOBAL__N_120geam_min_plus_kernelId15HIP_vector_typeIdLj2EEdLi32ELi8ELi256ELi64ELi4ELi64ELi4ELi4ELi64ELc78ELc78ELb0ELb0ELb1EPKdKS4_KPdEEviiiT16_PT17_ilSA_ilS8_SA_ilPT18_ili26rocblas_geam_ex_operation_
                                        ; -- End function
	.set _ZN12_GLOBAL__N_120geam_min_plus_kernelId15HIP_vector_typeIdLj2EEdLi32ELi8ELi256ELi64ELi4ELi64ELi4ELi4ELi64ELc78ELc78ELb0ELb0ELb1EPKdKS4_KPdEEviiiT16_PT17_ilSA_ilS8_SA_ilPT18_ili26rocblas_geam_ex_operation_.num_vgpr, 230
	.set _ZN12_GLOBAL__N_120geam_min_plus_kernelId15HIP_vector_typeIdLj2EEdLi32ELi8ELi256ELi64ELi4ELi64ELi4ELi4ELi64ELc78ELc78ELb0ELb0ELb1EPKdKS4_KPdEEviiiT16_PT17_ilSA_ilS8_SA_ilPT18_ili26rocblas_geam_ex_operation_.num_agpr, 0
	.set _ZN12_GLOBAL__N_120geam_min_plus_kernelId15HIP_vector_typeIdLj2EEdLi32ELi8ELi256ELi64ELi4ELi64ELi4ELi4ELi64ELc78ELc78ELb0ELb0ELb1EPKdKS4_KPdEEviiiT16_PT17_ilSA_ilS8_SA_ilPT18_ili26rocblas_geam_ex_operation_.numbered_sgpr, 30
	.set _ZN12_GLOBAL__N_120geam_min_plus_kernelId15HIP_vector_typeIdLj2EEdLi32ELi8ELi256ELi64ELi4ELi64ELi4ELi4ELi64ELc78ELc78ELb0ELb0ELb1EPKdKS4_KPdEEviiiT16_PT17_ilSA_ilS8_SA_ilPT18_ili26rocblas_geam_ex_operation_.num_named_barrier, 0
	.set _ZN12_GLOBAL__N_120geam_min_plus_kernelId15HIP_vector_typeIdLj2EEdLi32ELi8ELi256ELi64ELi4ELi64ELi4ELi4ELi64ELc78ELc78ELb0ELb0ELb1EPKdKS4_KPdEEviiiT16_PT17_ilSA_ilS8_SA_ilPT18_ili26rocblas_geam_ex_operation_.private_seg_size, 0
	.set _ZN12_GLOBAL__N_120geam_min_plus_kernelId15HIP_vector_typeIdLj2EEdLi32ELi8ELi256ELi64ELi4ELi64ELi4ELi4ELi64ELc78ELc78ELb0ELb0ELb1EPKdKS4_KPdEEviiiT16_PT17_ilSA_ilS8_SA_ilPT18_ili26rocblas_geam_ex_operation_.uses_vcc, 1
	.set _ZN12_GLOBAL__N_120geam_min_plus_kernelId15HIP_vector_typeIdLj2EEdLi32ELi8ELi256ELi64ELi4ELi64ELi4ELi4ELi64ELc78ELc78ELb0ELb0ELb1EPKdKS4_KPdEEviiiT16_PT17_ilSA_ilS8_SA_ilPT18_ili26rocblas_geam_ex_operation_.uses_flat_scratch, 0
	.set _ZN12_GLOBAL__N_120geam_min_plus_kernelId15HIP_vector_typeIdLj2EEdLi32ELi8ELi256ELi64ELi4ELi64ELi4ELi4ELi64ELc78ELc78ELb0ELb0ELb1EPKdKS4_KPdEEviiiT16_PT17_ilSA_ilS8_SA_ilPT18_ili26rocblas_geam_ex_operation_.has_dyn_sized_stack, 0
	.set _ZN12_GLOBAL__N_120geam_min_plus_kernelId15HIP_vector_typeIdLj2EEdLi32ELi8ELi256ELi64ELi4ELi64ELi4ELi4ELi64ELc78ELc78ELb0ELb0ELb1EPKdKS4_KPdEEviiiT16_PT17_ilSA_ilS8_SA_ilPT18_ili26rocblas_geam_ex_operation_.has_recursion, 0
	.set _ZN12_GLOBAL__N_120geam_min_plus_kernelId15HIP_vector_typeIdLj2EEdLi32ELi8ELi256ELi64ELi4ELi64ELi4ELi4ELi64ELc78ELc78ELb0ELb0ELb1EPKdKS4_KPdEEviiiT16_PT17_ilSA_ilS8_SA_ilPT18_ili26rocblas_geam_ex_operation_.has_indirect_call, 0
	.section	.AMDGPU.csdata,"",@progbits
; Kernel info:
; codeLenInByte = 25216
; TotalNumSgprs: 36
; NumVgprs: 230
; NumAgprs: 0
; TotalNumVgprs: 230
; ScratchSize: 0
; MemoryBound: 1
; FloatMode: 240
; IeeeMode: 1
; LDSByteSize: 20480 bytes/workgroup (compile time only)
; SGPRBlocks: 4
; VGPRBlocks: 28
; NumSGPRsForWavesPerEU: 36
; NumVGPRsForWavesPerEU: 230
; AccumOffset: 232
; Occupancy: 2
; WaveLimiterHint : 1
; COMPUTE_PGM_RSRC2:SCRATCH_EN: 0
; COMPUTE_PGM_RSRC2:USER_SGPR: 2
; COMPUTE_PGM_RSRC2:TRAP_HANDLER: 0
; COMPUTE_PGM_RSRC2:TGID_X_EN: 1
; COMPUTE_PGM_RSRC2:TGID_Y_EN: 0
; COMPUTE_PGM_RSRC2:TGID_Z_EN: 1
; COMPUTE_PGM_RSRC2:TIDIG_COMP_CNT: 1
; COMPUTE_PGM_RSRC3_GFX90A:ACCUM_OFFSET: 57
; COMPUTE_PGM_RSRC3_GFX90A:TG_SPLIT: 0
	.section	.text._ZN12_GLOBAL__N_120geam_min_plus_kernelId15HIP_vector_typeIdLj2EEdLi32ELi8ELi256ELi64ELi4ELi64ELi4ELi4ELi64ELc78ELc78ELb1ELb0ELb1EdKPKdKPdEEviiiT16_PT17_ilSA_ilS8_SA_ilPT18_ili26rocblas_geam_ex_operation_,"axG",@progbits,_ZN12_GLOBAL__N_120geam_min_plus_kernelId15HIP_vector_typeIdLj2EEdLi32ELi8ELi256ELi64ELi4ELi64ELi4ELi4ELi64ELc78ELc78ELb1ELb0ELb1EdKPKdKPdEEviiiT16_PT17_ilSA_ilS8_SA_ilPT18_ili26rocblas_geam_ex_operation_,comdat
	.globl	_ZN12_GLOBAL__N_120geam_min_plus_kernelId15HIP_vector_typeIdLj2EEdLi32ELi8ELi256ELi64ELi4ELi64ELi4ELi4ELi64ELc78ELc78ELb1ELb0ELb1EdKPKdKPdEEviiiT16_PT17_ilSA_ilS8_SA_ilPT18_ili26rocblas_geam_ex_operation_ ; -- Begin function _ZN12_GLOBAL__N_120geam_min_plus_kernelId15HIP_vector_typeIdLj2EEdLi32ELi8ELi256ELi64ELi4ELi64ELi4ELi4ELi64ELc78ELc78ELb1ELb0ELb1EdKPKdKPdEEviiiT16_PT17_ilSA_ilS8_SA_ilPT18_ili26rocblas_geam_ex_operation_
	.p2align	8
	.type	_ZN12_GLOBAL__N_120geam_min_plus_kernelId15HIP_vector_typeIdLj2EEdLi32ELi8ELi256ELi64ELi4ELi64ELi4ELi4ELi64ELc78ELc78ELb1ELb0ELb1EdKPKdKPdEEviiiT16_PT17_ilSA_ilS8_SA_ilPT18_ili26rocblas_geam_ex_operation_,@function
_ZN12_GLOBAL__N_120geam_min_plus_kernelId15HIP_vector_typeIdLj2EEdLi32ELi8ELi256ELi64ELi4ELi64ELi4ELi4ELi64ELc78ELc78ELb1ELb0ELb1EdKPKdKPdEEviiiT16_PT17_ilSA_ilS8_SA_ilPT18_ili26rocblas_geam_ex_operation_: ; @_ZN12_GLOBAL__N_120geam_min_plus_kernelId15HIP_vector_typeIdLj2EEdLi32ELi8ELi256ELi64ELi4ELi64ELi4ELi4ELi64ELc78ELc78ELb1ELb0ELb1EdKPKdKPdEEviiiT16_PT17_ilSA_ilS8_SA_ilPT18_ili26rocblas_geam_ex_operation_
; %bb.0:
	s_load_dwordx4 s[4:7], s[0:1], 0x10
	s_load_dwordx4 s[8:11], s[0:1], 0x28
	s_mov_b32 s18, s3
	s_mov_b64 s[14:15], 0
	s_waitcnt lgkmcnt(0)
	v_cmp_eq_f64_e64 s[12:13], s[4:5], 0
	s_and_b64 vcc, exec, s[12:13]
	s_cbranch_vccnz .LBB106_2
; %bb.1:
	s_mov_b32 s19, 0
	s_lshl_b64 s[4:5], s[18:19], 3
	s_add_u32 s4, s6, s4
	s_addc_u32 s5, s7, s5
	s_load_dwordx2 s[4:5], s[4:5], 0x0
	s_lshl_b64 s[6:7], s[8:9], 3
	s_waitcnt lgkmcnt(0)
	s_add_u32 s14, s4, s6
	s_addc_u32 s15, s5, s7
.LBB106_2:
	s_load_dwordx4 s[4:7], s[0:1], 0x40
	s_load_dwordx2 s[20:21], s[0:1], 0x50
	s_andn2_b64 vcc, exec, s[12:13]
	s_mov_b32 s19, 0
	s_cbranch_vccnz .LBB106_4
; %bb.3:
	s_mov_b64 s[12:13], 0
	s_mov_b64 s[16:17], 0
	s_cbranch_execz .LBB106_5
	s_branch .LBB106_6
.LBB106_4:
	s_mov_b64 s[12:13], 0
	s_mov_b64 s[16:17], 0
.LBB106_5:
	s_lshl_b64 s[8:9], s[18:19], 3
	s_add_u32 s8, s10, s8
	s_addc_u32 s9, s11, s9
	s_load_dwordx2 s[8:9], s[8:9], 0x0
	s_waitcnt lgkmcnt(0)
	s_lshl_b64 s[4:5], s[4:5], 3
	s_add_u32 s16, s8, s4
	s_addc_u32 s17, s9, s5
.LBB106_6:
	s_load_dwordx4 s[8:11], s[0:1], 0x60
	s_waitcnt lgkmcnt(0)
	v_cmp_eq_f64_e64 s[4:5], s[6:7], 0
	s_and_b64 s[4:5], exec, s[4:5]
	s_mov_b64 vcc, s[4:5]
	s_cbranch_vccnz .LBB106_8
; %bb.7:
	s_lshl_b64 s[12:13], s[18:19], 3
	s_add_u32 s12, s20, s12
	s_addc_u32 s13, s21, s13
	s_load_dwordx2 s[12:13], s[12:13], 0x0
	s_lshl_b64 s[8:9], s[8:9], 3
	s_waitcnt lgkmcnt(0)
	s_add_u32 s12, s12, s8
	s_addc_u32 s13, s13, s9
.LBB106_8:
	s_load_dword s3, s[0:1], 0x0
	s_lshl_b64 s[8:9], s[18:19], 3
	s_add_u32 s8, s10, s8
	s_addc_u32 s9, s11, s9
	v_bfe_u32 v129, v0, 10, 10
	s_waitcnt lgkmcnt(0)
	s_add_i32 s3, s3, -1
	s_ashr_i32 s10, s3, 31
	s_lshr_b32 s10, s10, 24
	s_add_i32 s3, s3, s10
	s_ashr_i32 s3, s3, 8
	s_add_i32 s18, s3, 1
	v_cvt_f32_u32_e32 v1, s18
	s_not_b32 s3, s3
	s_load_dword s11, s[0:1], 0x38
	s_load_dword s20, s[0:1], 0x8
	;; [unrolled: 1-line block ×3, first 2 shown]
	v_rcp_iflag_f32_e32 v1, v1
	v_and_b32_e32 v128, 0x3ff, v0
	v_lshlrev_b32_e32 v130, 5, v129
	v_add_u32_e32 v2, v130, v128
	v_mul_f32_e32 v1, 0x4f7ffffe, v1
	v_cvt_u32_f32_e32 v1, v1
	v_lshrrev_b32_e32 v17, 2, v2
	v_and_b32_e32 v16, 63, v2
	v_lshrrev_b32_e32 v118, 6, v2
	v_readfirstlane_b32 s19, v1
	s_mul_i32 s3, s3, s19
	s_mul_hi_u32 s3, s19, s3
	s_add_i32 s19, s19, s3
	s_mul_hi_u32 s3, s2, s19
	s_mul_i32 s19, s3, s18
	s_sub_i32 s19, s2, s19
	s_add_i32 s21, s3, 1
	s_sub_i32 s22, s19, s18
	s_cmp_ge_u32 s19, s18
	s_cselect_b32 s3, s21, s3
	s_cselect_b32 s19, s22, s19
	s_add_i32 s21, s3, 1
	s_cmp_ge_u32 s19, s18
	s_cselect_b32 s3, s21, s3
	s_mul_i32 s18, s3, s18
	s_sub_i32 s2, s2, s18
	s_lshl_b32 s19, s3, 6
	s_lshl_b32 s18, s2, 8
	v_add_u32_e32 v1, s19, v17
	v_or_b32_e32 v100, s18, v16
	s_waitcnt lgkmcnt(0)
	v_mad_i64_i32 v[102:103], s[2:3], v1, s11, 0
	v_lshlrev_b32_e32 v0, 3, v0
	v_mad_i64_i32 v[2:3], s[2:3], s10, v118, 0
	v_ashrrev_i32_e32 v101, 31, v100
	v_lshl_add_u64 v[6:7], v[102:103], 3, s[16:17]
	v_and_b32_e32 v104, 24, v0
	v_mov_b32_e32 v105, 0
	v_lshl_add_u64 v[2:3], v[2:3], 3, s[14:15]
	v_lshlrev_b64 v[4:5], 3, v[100:101]
	v_lshl_add_u64 v[0:1], v[6:7], 0, v[104:105]
	v_lshl_add_u64 v[2:3], v[2:3], 0, v[4:5]
	flat_load_dwordx2 v[6:7], v[0:1]
	flat_load_dwordx2 v[8:9], v[2:3]
	flat_load_dwordx2 v[10:11], v[2:3] offset:512
	flat_load_dwordx2 v[12:13], v[2:3] offset:1024
	flat_load_dwordx2 v[14:15], v[2:3] offset:1536
	v_add_u32_e32 v2, 4, v118
	s_load_dwordx2 s[2:3], s[8:9], 0x0
	v_mad_i64_i32 v[2:3], s[8:9], s10, v2, 0
	v_lshl_add_u64 v[2:3], v[2:3], 3, s[14:15]
	v_lshlrev_b32_e32 v116, 5, v128
	v_lshlrev_b32_e32 v16, 5, v16
	v_lshl_or_b32 v104, v17, 5, v104
	flat_load_dwordx2 v[106:107], v[0:1] offset:32
	v_lshl_add_u64 v[0:1], v[2:3], 0, v[4:5]
	v_lshl_add_u32 v117, v118, 3, v16
	flat_load_dwordx2 v[108:109], v[0:1]
	flat_load_dwordx2 v[112:113], v[0:1] offset:512
	flat_load_dwordx2 v[110:111], v[0:1] offset:1024
	;; [unrolled: 1-line block ×3, first 2 shown]
	s_mov_b32 s11, 0x7f800000
	s_cmp_lt_i32 s20, 9
	s_waitcnt vmcnt(0) lgkmcnt(0)
	ds_write_b64 v104, v[6:7] offset:16384
	ds_write2st64_b64 v117, v[8:9], v[10:11] offset1:4
	ds_write2st64_b64 v117, v[12:13], v[14:15] offset0:8 offset1:12
	s_waitcnt lgkmcnt(0)
	s_barrier
	ds_read_b128 v[12:15], v116 offset:6144
	ds_read_b128 v[8:11], v116 offset:7168
	;; [unrolled: 1-line block ×9, first 2 shown]
	ds_read_b128 v[24:27], v116
	ds_read_b128 v[0:3], v116 offset:16
	ds_read_b128 v[80:83], v130 offset:16384
	ds_read_b128 v[4:7], v130 offset:16400
	ds_read_b128 v[20:23], v116 offset:1024
	ds_read_b128 v[56:59], v116 offset:1040
	ds_read_b128 v[84:87], v116 offset:2048
	ds_read_b128 v[52:55], v116 offset:2064
	ds_read_b128 v[88:91], v116 offset:3072
	ds_read_b128 v[48:51], v116 offset:3088
	ds_read_b128 v[92:95], v116 offset:4096
	ds_read_b128 v[44:47], v116 offset:4112
	ds_read_b128 v[96:99], v116 offset:5120
	ds_read_b128 v[40:43], v116 offset:5136
	s_waitcnt lgkmcnt(11)
	v_add_f64 v[60:61], v[26:27], v[82:83]
	v_add_f64 v[62:63], v[24:25], v[80:81]
	s_waitcnt lgkmcnt(9)
	v_add_f64 v[64:65], v[22:23], v[82:83]
	s_waitcnt lgkmcnt(7)
	;; [unrolled: 2-line block ×3, first 2 shown]
	v_add_f64 v[132:133], v[94:95], v[82:83]
	v_add_f64 v[134:135], v[92:93], v[80:81]
	s_waitcnt lgkmcnt(1)
	v_add_f64 v[136:137], v[98:99], v[82:83]
	v_add_f64 v[138:139], v[96:97], v[80:81]
	v_cvt_f32_f64_e32 v62, v[62:63]
	v_cvt_f32_f64_e32 v60, v[60:61]
	v_add_f64 v[122:123], v[84:85], v[80:81]
	v_cvt_f32_f64_e32 v63, v[64:65]
	v_cvt_f32_f64_e32 v65, v[120:121]
	;; [unrolled: 1-line block ×5, first 2 shown]
	v_min3_f32 v138, v62, v60, s11
	v_cvt_f32_f64_e32 v60, v[136:137]
	v_cvt_f32_f64_e32 v64, v[122:123]
	v_min3_f32 v176, v119, v120, s11
	v_min3_f32 v177, v121, v60, s11
	v_add_f64 v[120:121], v[26:27], v[78:79]
	v_add_f64 v[122:123], v[24:25], v[76:77]
	v_cvt_f32_f64_e32 v119, v[122:123]
	v_cvt_f32_f64_e32 v120, v[120:121]
	v_min3_f32 v180, v119, v120, s11
	v_add_f64 v[120:121], v[22:23], v[78:79]
	v_add_f64 v[122:123], v[20:21], v[76:77]
	v_cvt_f32_f64_e32 v119, v[122:123]
	v_cvt_f32_f64_e32 v120, v[120:121]
	v_min3_f32 v181, v119, v120, s11
	v_add_f64 v[120:121], v[86:87], v[78:79]
	v_add_f64 v[122:123], v[84:85], v[76:77]
	v_cvt_f32_f64_e32 v119, v[122:123]
	v_cvt_f32_f64_e32 v120, v[120:121]
	v_min3_f32 v173, v119, v120, s11
	v_add_f64 v[120:121], v[90:91], v[78:79]
	v_add_f64 v[122:123], v[88:89], v[76:77]
	v_cvt_f32_f64_e32 v119, v[122:123]
	v_cvt_f32_f64_e32 v120, v[120:121]
	v_min3_f32 v172, v119, v120, s11
	v_add_f64 v[120:121], v[94:95], v[78:79]
	v_add_f64 v[122:123], v[92:93], v[76:77]
	v_cvt_f32_f64_e32 v119, v[122:123]
	v_cvt_f32_f64_e32 v120, v[120:121]
	v_min3_f32 v170, v119, v120, s11
	v_add_f64 v[120:121], v[98:99], v[78:79]
	v_add_f64 v[122:123], v[96:97], v[76:77]
	v_cvt_f32_f64_e32 v119, v[122:123]
	v_cvt_f32_f64_e32 v120, v[120:121]
	v_min3_f32 v168, v119, v120, s11
	v_add_f64 v[120:121], v[14:15], v[78:79]
	v_add_f64 v[122:123], v[12:13], v[76:77]
	v_cvt_f32_f64_e32 v119, v[122:123]
	v_cvt_f32_f64_e32 v120, v[120:121]
	v_min3_f32 v166, v119, v120, s11
	v_add_f64 v[120:121], v[26:27], v[74:75]
	v_add_f64 v[122:123], v[24:25], v[72:73]
	v_cvt_f32_f64_e32 v119, v[122:123]
	v_cvt_f32_f64_e32 v120, v[120:121]
	v_min3_f32 v171, v119, v120, s11
	v_add_f64 v[120:121], v[22:23], v[74:75]
	v_add_f64 v[122:123], v[20:21], v[72:73]
	v_cvt_f32_f64_e32 v119, v[122:123]
	v_cvt_f32_f64_e32 v120, v[120:121]
	v_min3_f32 v169, v119, v120, s11
	v_add_f64 v[120:121], v[86:87], v[74:75]
	v_add_f64 v[122:123], v[84:85], v[72:73]
	v_cvt_f32_f64_e32 v119, v[122:123]
	v_cvt_f32_f64_e32 v120, v[120:121]
	v_min3_f32 v167, v119, v120, s11
	v_add_f64 v[120:121], v[90:91], v[74:75]
	v_add_f64 v[122:123], v[88:89], v[72:73]
	v_cvt_f32_f64_e32 v119, v[122:123]
	v_cvt_f32_f64_e32 v120, v[120:121]
	v_min3_f32 v165, v119, v120, s11
	v_add_f64 v[120:121], v[94:95], v[74:75]
	v_add_f64 v[122:123], v[92:93], v[72:73]
	v_cvt_f32_f64_e32 v119, v[122:123]
	v_cvt_f32_f64_e32 v120, v[120:121]
	v_min3_f32 v162, v119, v120, s11
	v_add_f64 v[120:121], v[98:99], v[74:75]
	v_add_f64 v[122:123], v[96:97], v[72:73]
	v_cvt_f32_f64_e32 v119, v[122:123]
	v_cvt_f32_f64_e32 v120, v[120:121]
	v_min3_f32 v160, v119, v120, s11
	v_add_f64 v[120:121], v[14:15], v[74:75]
	v_add_f64 v[122:123], v[12:13], v[72:73]
	v_cvt_f32_f64_e32 v119, v[122:123]
	v_cvt_f32_f64_e32 v120, v[120:121]
	v_min3_f32 v158, v119, v120, s11
	v_add_f64 v[120:121], v[26:27], v[70:71]
	v_add_f64 v[122:123], v[24:25], v[68:69]
	v_cvt_f32_f64_e32 v119, v[122:123]
	v_cvt_f32_f64_e32 v120, v[120:121]
	v_min3_f32 v164, v119, v120, s11
	v_add_f64 v[120:121], v[22:23], v[70:71]
	v_add_f64 v[122:123], v[20:21], v[68:69]
	v_cvt_f32_f64_e32 v119, v[122:123]
	v_cvt_f32_f64_e32 v120, v[120:121]
	v_min3_f32 v161, v119, v120, s11
	v_add_f64 v[120:121], v[86:87], v[70:71]
	v_add_f64 v[122:123], v[84:85], v[68:69]
	v_cvt_f32_f64_e32 v119, v[122:123]
	v_cvt_f32_f64_e32 v120, v[120:121]
	v_min3_f32 v159, v119, v120, s11
	v_add_f64 v[120:121], v[90:91], v[70:71]
	v_add_f64 v[122:123], v[88:89], v[68:69]
	v_cvt_f32_f64_e32 v119, v[122:123]
	v_cvt_f32_f64_e32 v120, v[120:121]
	v_min3_f32 v157, v119, v120, s11
	v_add_f64 v[120:121], v[94:95], v[70:71]
	v_add_f64 v[122:123], v[92:93], v[68:69]
	v_cvt_f32_f64_e32 v119, v[122:123]
	v_cvt_f32_f64_e32 v120, v[120:121]
	v_min3_f32 v154, v119, v120, s11
	v_add_f64 v[120:121], v[98:99], v[70:71]
	v_add_f64 v[122:123], v[96:97], v[68:69]
	v_cvt_f32_f64_e32 v119, v[122:123]
	v_cvt_f32_f64_e32 v120, v[120:121]
	v_min3_f32 v152, v119, v120, s11
	v_add_f64 v[120:121], v[14:15], v[70:71]
	v_add_f64 v[122:123], v[12:13], v[68:69]
	v_cvt_f32_f64_e32 v119, v[122:123]
	v_cvt_f32_f64_e32 v120, v[120:121]
	v_min3_f32 v150, v119, v120, s11
	v_add_f64 v[120:121], v[26:27], v[38:39]
	v_add_f64 v[122:123], v[24:25], v[36:37]
	v_cvt_f32_f64_e32 v119, v[122:123]
	v_cvt_f32_f64_e32 v120, v[120:121]
	v_min3_f32 v156, v119, v120, s11
	v_add_f64 v[120:121], v[22:23], v[38:39]
	v_add_f64 v[122:123], v[20:21], v[36:37]
	v_cvt_f32_f64_e32 v119, v[122:123]
	v_cvt_f32_f64_e32 v120, v[120:121]
	v_min3_f32 v153, v119, v120, s11
	v_add_f64 v[120:121], v[86:87], v[38:39]
	v_add_f64 v[122:123], v[84:85], v[36:37]
	v_cvt_f32_f64_e32 v119, v[122:123]
	v_cvt_f32_f64_e32 v120, v[120:121]
	v_min3_f32 v151, v119, v120, s11
	v_add_f64 v[120:121], v[90:91], v[38:39]
	v_add_f64 v[122:123], v[88:89], v[36:37]
	v_cvt_f32_f64_e32 v119, v[122:123]
	v_cvt_f32_f64_e32 v120, v[120:121]
	v_min3_f32 v149, v119, v120, s11
	v_add_f64 v[120:121], v[94:95], v[38:39]
	v_add_f64 v[122:123], v[92:93], v[36:37]
	v_cvt_f32_f64_e32 v119, v[122:123]
	v_cvt_f32_f64_e32 v120, v[120:121]
	v_min3_f32 v146, v119, v120, s11
	v_add_f64 v[120:121], v[98:99], v[38:39]
	v_add_f64 v[122:123], v[96:97], v[36:37]
	v_cvt_f32_f64_e32 v119, v[122:123]
	v_cvt_f32_f64_e32 v120, v[120:121]
	v_min3_f32 v144, v119, v120, s11
	v_add_f64 v[120:121], v[14:15], v[38:39]
	v_add_f64 v[122:123], v[12:13], v[36:37]
	v_cvt_f32_f64_e32 v119, v[122:123]
	v_cvt_f32_f64_e32 v120, v[120:121]
	v_min3_f32 v142, v119, v120, s11
	v_add_f64 v[120:121], v[26:27], v[34:35]
	v_add_f64 v[122:123], v[24:25], v[32:33]
	v_cvt_f32_f64_e32 v119, v[122:123]
	v_cvt_f32_f64_e32 v120, v[120:121]
	v_min3_f32 v148, v119, v120, s11
	v_add_f64 v[120:121], v[22:23], v[34:35]
	v_add_f64 v[122:123], v[20:21], v[32:33]
	v_cvt_f32_f64_e32 v119, v[122:123]
	v_cvt_f32_f64_e32 v120, v[120:121]
	v_min3_f32 v145, v119, v120, s11
	v_add_f64 v[120:121], v[86:87], v[34:35]
	v_add_f64 v[122:123], v[84:85], v[32:33]
	v_cvt_f32_f64_e32 v119, v[122:123]
	v_cvt_f32_f64_e32 v120, v[120:121]
	v_min3_f32 v143, v119, v120, s11
	v_add_f64 v[120:121], v[90:91], v[34:35]
	v_add_f64 v[122:123], v[88:89], v[32:33]
	v_cvt_f32_f64_e32 v119, v[122:123]
	v_cvt_f32_f64_e32 v120, v[120:121]
	v_min3_f32 v141, v119, v120, s11
	v_add_f64 v[120:121], v[94:95], v[34:35]
	v_add_f64 v[122:123], v[92:93], v[32:33]
	v_cvt_f32_f64_e32 v119, v[122:123]
	v_cvt_f32_f64_e32 v120, v[120:121]
	v_min3_f32 v136, v119, v120, s11
	v_add_f64 v[120:121], v[98:99], v[34:35]
	v_add_f64 v[122:123], v[96:97], v[32:33]
	;; [unrolled: 1-line block ×4, first 2 shown]
	v_cvt_f32_f64_e32 v119, v[122:123]
	v_cvt_f32_f64_e32 v120, v[120:121]
	;; [unrolled: 1-line block ×4, first 2 shown]
	v_min3_f32 v127, v119, v120, s11
	v_add_f64 v[120:121], v[14:15], v[34:35]
	v_add_f64 v[122:123], v[12:13], v[32:33]
	;; [unrolled: 1-line block ×3, first 2 shown]
	v_cvt_f32_f64_e32 v119, v[122:123]
	v_cvt_f32_f64_e32 v120, v[120:121]
	;; [unrolled: 1-line block ×3, first 2 shown]
	v_min3_f32 v125, v119, v120, s11
	v_add_f64 v[120:121], v[26:27], v[30:31]
	v_add_f64 v[132:133], v[24:25], v[28:29]
	v_cvt_f32_f64_e32 v119, v[132:133]
	v_cvt_f32_f64_e32 v120, v[120:121]
	v_min3_f32 v140, v119, v120, s11
	v_add_f64 v[120:121], v[22:23], v[30:31]
	v_add_f64 v[132:133], v[20:21], v[28:29]
	v_cvt_f32_f64_e32 v119, v[132:133]
	v_cvt_f32_f64_e32 v120, v[120:121]
	;; [unrolled: 5-line block ×5, first 2 shown]
	v_add_f64 v[132:133], v[96:97], v[28:29]
	v_min3_f32 v174, v64, v65, s11
	v_min3_f32 v175, v66, v67, s11
	v_add_f64 v[64:65], v[14:15], v[82:83]
	v_add_f64 v[66:67], v[12:13], v[80:81]
	;; [unrolled: 1-line block ×14, first 2 shown]
	v_min3_f32 v122, v119, v120, s11
	v_add_f64 v[120:121], v[98:99], v[30:31]
	v_cvt_f32_f64_e32 v119, v[132:133]
	v_add_f64 v[132:133], v[14:15], v[30:31]
	v_add_f64 v[134:135], v[12:13], v[28:29]
	;; [unrolled: 1-line block ×8, first 2 shown]
	v_cvt_f32_f64_e32 v12, v[12:13]
	v_cvt_f32_f64_e32 v13, v[14:15]
	;; [unrolled: 1-line block ×4, first 2 shown]
	v_add_f64 v[10:11], v[2:3], v[6:7]
	v_add_f64 v[14:15], v[0:1], v[4:5]
	v_add_f64 v[26:27], v[26:27], v[18:19]
	v_add_f64 v[24:25], v[24:25], v[16:17]
	v_min3_f32 v8, v8, v9, s11
	v_cvt_f32_f64_e32 v9, v[14:15]
	v_cvt_f32_f64_e32 v10, v[10:11]
	;; [unrolled: 1-line block ×4, first 2 shown]
	v_add_f64 v[26:27], v[88:89], v[16:17]
	v_min3_f32 v88, v9, v10, v138
	v_add_f64 v[10:11], v[58:59], v[6:7]
	v_add_f64 v[14:15], v[56:57], v[4:5]
	v_min3_f32 v139, v61, v63, s11
	v_cvt_f32_f64_e32 v9, v[14:15]
	v_cvt_f32_f64_e32 v10, v[10:11]
	v_min3_f32 v138, v9, v10, v139
	v_add_f64 v[10:11], v[54:55], v[6:7]
	v_add_f64 v[14:15], v[52:53], v[4:5]
	v_cvt_f32_f64_e32 v9, v[14:15]
	v_cvt_f32_f64_e32 v10, v[10:11]
	;; [unrolled: 1-line block ×4, first 2 shown]
	v_min3_f32 v139, v9, v10, v174
	v_add_f64 v[10:11], v[50:51], v[6:7]
	v_add_f64 v[14:15], v[48:49], v[4:5]
	ds_read_b128 v[60:63], v116 offset:6160
	v_min3_f32 v178, v66, v64, s11
	ds_read_b128 v[64:67], v116 offset:7184
	v_cvt_f32_f64_e32 v120, v[120:121]
	v_cvt_f32_f64_e32 v9, v[14:15]
	;; [unrolled: 1-line block ×5, first 2 shown]
	v_min3_f32 v121, v119, v120, s11
	v_cvt_f32_f64_e32 v120, v[132:133]
	v_min3_f32 v132, v9, v10, v175
	v_add_f64 v[10:11], v[46:47], v[6:7]
	v_add_f64 v[14:15], v[44:45], v[4:5]
	v_min3_f32 v179, v80, v81, s11
	ds_read_b128 v[80:83], v130 offset:16656
	v_cvt_f32_f64_e32 v9, v[14:15]
	v_cvt_f32_f64_e32 v10, v[10:11]
	v_min3_f32 v133, v9, v10, v176
	s_waitcnt lgkmcnt(3)
	v_add_f64 v[10:11], v[42:43], v[6:7]
	v_add_f64 v[14:15], v[40:41], v[4:5]
	v_cvt_f32_f64_e32 v9, v[14:15]
	v_cvt_f32_f64_e32 v10, v[10:11]
	;; [unrolled: 1-line block ×3, first 2 shown]
	v_min3_f32 v134, v9, v10, v177
	s_waitcnt lgkmcnt(2)
	v_add_f64 v[10:11], v[62:63], v[6:7]
	v_add_f64 v[14:15], v[60:61], v[4:5]
	s_waitcnt lgkmcnt(1)
	v_add_f64 v[6:7], v[66:67], v[6:7]
	v_add_f64 v[4:5], v[64:65], v[4:5]
	v_cvt_f32_f64_e32 v76, v[76:77]
	v_cvt_f32_f64_e32 v77, v[78:79]
	;; [unrolled: 1-line block ×4, first 2 shown]
	v_min3_f32 v163, v76, v77, s11
	ds_read_b128 v[76:79], v130 offset:16912
	v_min3_f32 v211, v4, v5, v179
	s_waitcnt lgkmcnt(1)
	v_add_f64 v[4:5], v[2:3], v[82:83]
	v_add_f64 v[6:7], v[0:1], v[80:81]
	v_cvt_f32_f64_e32 v6, v[6:7]
	v_cvt_f32_f64_e32 v4, v[4:5]
	v_min3_f32 v212, v6, v4, v180
	v_add_f64 v[4:5], v[58:59], v[82:83]
	v_add_f64 v[6:7], v[56:57], v[80:81]
	v_cvt_f32_f64_e32 v6, v[6:7]
	v_cvt_f32_f64_e32 v4, v[4:5]
	v_min3_f32 v209, v6, v4, v181
	;; [unrolled: 5-line block ×8, first 2 shown]
	s_waitcnt lgkmcnt(0)
	v_add_f64 v[4:5], v[2:3], v[78:79]
	v_add_f64 v[6:7], v[0:1], v[76:77]
	v_cvt_f32_f64_e32 v6, v[6:7]
	v_cvt_f32_f64_e32 v4, v[4:5]
	v_min3_f32 v205, v6, v4, v171
	v_add_f64 v[4:5], v[58:59], v[78:79]
	v_add_f64 v[6:7], v[56:57], v[76:77]
	v_cvt_f32_f64_e32 v6, v[6:7]
	v_cvt_f32_f64_e32 v4, v[4:5]
	v_min3_f32 v201, v6, v4, v169
	;; [unrolled: 5-line block ×4, first 2 shown]
	v_add_f64 v[4:5], v[46:47], v[78:79]
	v_add_f64 v[6:7], v[44:45], v[76:77]
	v_cvt_f32_f64_e32 v6, v[6:7]
	v_cvt_f32_f64_e32 v4, v[4:5]
	;; [unrolled: 1-line block ×4, first 2 shown]
	v_min3_f32 v200, v6, v4, v162
	v_add_f64 v[4:5], v[42:43], v[78:79]
	v_add_f64 v[6:7], v[40:41], v[76:77]
	v_min3_f32 v155, v72, v73, s11
	ds_read_b128 v[72:75], v130 offset:17168
	v_cvt_f32_f64_e32 v6, v[6:7]
	v_cvt_f32_f64_e32 v4, v[4:5]
	v_min3_f32 v195, v6, v4, v160
	v_add_f64 v[4:5], v[62:63], v[78:79]
	v_add_f64 v[6:7], v[60:61], v[76:77]
	v_cvt_f32_f64_e32 v6, v[6:7]
	v_cvt_f32_f64_e32 v4, v[4:5]
	v_min3_f32 v197, v6, v4, v158
	v_add_f64 v[4:5], v[66:67], v[78:79]
	v_add_f64 v[6:7], v[64:65], v[76:77]
	v_cvt_f32_f64_e32 v68, v[68:69]
	v_cvt_f32_f64_e32 v69, v[70:71]
	;; [unrolled: 1-line block ×4, first 2 shown]
	v_min3_f32 v147, v68, v69, s11
	ds_read_b128 v[68:71], v130 offset:17424
	v_min3_f32 v194, v6, v4, v155
	s_waitcnt lgkmcnt(1)
	v_add_f64 v[4:5], v[2:3], v[74:75]
	v_add_f64 v[6:7], v[0:1], v[72:73]
	v_cvt_f32_f64_e32 v6, v[6:7]
	v_cvt_f32_f64_e32 v4, v[4:5]
	v_min3_f32 v196, v6, v4, v164
	v_add_f64 v[4:5], v[58:59], v[74:75]
	v_add_f64 v[6:7], v[56:57], v[72:73]
	v_cvt_f32_f64_e32 v6, v[6:7]
	v_cvt_f32_f64_e32 v4, v[4:5]
	v_min3_f32 v192, v6, v4, v161
	;; [unrolled: 5-line block ×8, first 2 shown]
	s_waitcnt lgkmcnt(0)
	v_add_f64 v[4:5], v[2:3], v[70:71]
	v_add_f64 v[6:7], v[0:1], v[68:69]
	v_cvt_f32_f64_e32 v6, v[6:7]
	v_cvt_f32_f64_e32 v4, v[4:5]
	v_min3_f32 v188, v6, v4, v156
	v_add_f64 v[4:5], v[58:59], v[70:71]
	v_add_f64 v[6:7], v[56:57], v[68:69]
	v_cvt_f32_f64_e32 v6, v[6:7]
	v_cvt_f32_f64_e32 v4, v[4:5]
	v_min3_f32 v184, v6, v4, v153
	;; [unrolled: 5-line block ×4, first 2 shown]
	v_add_f64 v[4:5], v[46:47], v[70:71]
	v_add_f64 v[6:7], v[44:45], v[68:69]
	v_cvt_f32_f64_e32 v6, v[6:7]
	v_cvt_f32_f64_e32 v4, v[4:5]
	;; [unrolled: 1-line block ×4, first 2 shown]
	v_min3_f32 v183, v6, v4, v146
	v_add_f64 v[4:5], v[42:43], v[70:71]
	v_add_f64 v[6:7], v[40:41], v[68:69]
	v_min3_f32 v137, v36, v37, s11
	ds_read_b128 v[36:39], v130 offset:17680
	v_cvt_f32_f64_e32 v6, v[6:7]
	v_cvt_f32_f64_e32 v4, v[4:5]
	v_min3_f32 v179, v6, v4, v144
	v_add_f64 v[4:5], v[62:63], v[70:71]
	v_add_f64 v[6:7], v[60:61], v[68:69]
	v_cvt_f32_f64_e32 v6, v[6:7]
	v_cvt_f32_f64_e32 v4, v[4:5]
	v_min3_f32 v181, v6, v4, v142
	v_add_f64 v[4:5], v[66:67], v[70:71]
	v_add_f64 v[6:7], v[64:65], v[68:69]
	v_cvt_f32_f64_e32 v32, v[32:33]
	v_cvt_f32_f64_e32 v33, v[34:35]
	;; [unrolled: 1-line block ×6, first 2 shown]
	v_min3_f32 v123, v32, v33, s11
	ds_read_b128 v[32:35], v130 offset:17936
	v_min3_f32 v135, v9, v10, v178
	v_min3_f32 v178, v6, v4, v137
	s_waitcnt lgkmcnt(1)
	v_add_f64 v[4:5], v[2:3], v[38:39]
	v_add_f64 v[6:7], v[0:1], v[36:37]
	v_cvt_f32_f64_e32 v6, v[6:7]
	v_cvt_f32_f64_e32 v4, v[4:5]
	v_min3_f32 v180, v6, v4, v148
	v_add_f64 v[4:5], v[58:59], v[38:39]
	v_add_f64 v[6:7], v[56:57], v[36:37]
	v_cvt_f32_f64_e32 v6, v[6:7]
	v_cvt_f32_f64_e32 v4, v[4:5]
	v_min3_f32 v176, v6, v4, v145
	;; [unrolled: 5-line block ×4, first 2 shown]
	v_add_f64 v[4:5], v[46:47], v[38:39]
	v_add_f64 v[6:7], v[44:45], v[36:37]
	v_cvt_f32_f64_e32 v6, v[6:7]
	v_cvt_f32_f64_e32 v4, v[4:5]
	;; [unrolled: 1-line block ×4, first 2 shown]
	v_min3_f32 v175, v6, v4, v136
	v_add_f64 v[4:5], v[42:43], v[38:39]
	v_add_f64 v[6:7], v[40:41], v[36:37]
	v_min3_f32 v120, v119, v120, s11
	v_min3_f32 v119, v28, v29, s11
	ds_read_b128 v[28:31], v130 offset:18192
	v_cvt_f32_f64_e32 v6, v[6:7]
	v_cvt_f32_f64_e32 v4, v[4:5]
	v_min3_f32 v171, v6, v4, v127
	v_add_f64 v[4:5], v[62:63], v[38:39]
	v_add_f64 v[6:7], v[60:61], v[36:37]
	v_cvt_f32_f64_e32 v6, v[6:7]
	v_cvt_f32_f64_e32 v4, v[4:5]
	v_min3_f32 v173, v6, v4, v125
	v_add_f64 v[4:5], v[66:67], v[38:39]
	v_add_f64 v[6:7], v[64:65], v[36:37]
	v_cvt_f32_f64_e32 v6, v[6:7]
	v_cvt_f32_f64_e32 v4, v[4:5]
	v_min3_f32 v170, v6, v4, v123
	s_waitcnt lgkmcnt(1)
	v_add_f64 v[4:5], v[2:3], v[34:35]
	v_add_f64 v[6:7], v[0:1], v[32:33]
	s_waitcnt lgkmcnt(0)
	v_add_f64 v[2:3], v[2:3], v[30:31]
	v_add_f64 v[0:1], v[0:1], v[28:29]
	v_min3_f32 v25, v24, v25, s11
	v_add_f64 v[22:23], v[22:23], v[18:19]
	v_add_f64 v[20:21], v[20:21], v[16:17]
	v_cvt_f32_f64_e32 v6, v[6:7]
	v_cvt_f32_f64_e32 v4, v[4:5]
	;; [unrolled: 1-line block ×6, first 2 shown]
	v_min3_f32 v172, v6, v4, v140
	v_add_f64 v[4:5], v[58:59], v[34:35]
	v_add_f64 v[6:7], v[56:57], v[32:33]
	v_min3_f32 v163, v0, v1, v25
	v_add_f64 v[0:1], v[58:59], v[30:31]
	v_add_f64 v[2:3], v[56:57], v[28:29]
	;; [unrolled: 3-line block ×3, first 2 shown]
	v_cvt_f32_f64_e32 v6, v[6:7]
	v_cvt_f32_f64_e32 v4, v[4:5]
	;; [unrolled: 1-line block ×6, first 2 shown]
	v_min3_f32 v168, v6, v4, v131
	v_add_f64 v[4:5], v[54:55], v[34:35]
	v_add_f64 v[6:7], v[52:53], v[32:33]
	v_min3_f32 v160, v2, v0, v24
	v_add_f64 v[0:1], v[54:55], v[30:31]
	v_add_f64 v[2:3], v[52:53], v[28:29]
	v_min3_f32 v23, v22, v20, s11
	v_add_f64 v[20:21], v[90:91], v[18:19]
	v_cvt_f32_f64_e32 v6, v[6:7]
	v_cvt_f32_f64_e32 v4, v[4:5]
	;; [unrolled: 1-line block ×6, first 2 shown]
	v_min3_f32 v169, v6, v4, v126
	v_add_f64 v[4:5], v[50:51], v[34:35]
	v_add_f64 v[6:7], v[48:49], v[32:33]
	v_min3_f32 v161, v2, v0, v23
	v_add_f64 v[0:1], v[50:51], v[30:31]
	v_add_f64 v[2:3], v[48:49], v[28:29]
	;; [unrolled: 3-line block ×3, first 2 shown]
	v_cvt_f32_f64_e32 v6, v[6:7]
	v_cvt_f32_f64_e32 v4, v[4:5]
	;; [unrolled: 1-line block ×6, first 2 shown]
	v_min3_f32 v166, v6, v4, v124
	v_add_f64 v[4:5], v[46:47], v[34:35]
	v_add_f64 v[6:7], v[44:45], v[32:33]
	v_min3_f32 v158, v2, v0, v22
	v_add_f64 v[0:1], v[46:47], v[30:31]
	v_add_f64 v[2:3], v[44:45], v[28:29]
	;; [unrolled: 3-line block ×3, first 2 shown]
	v_cvt_f32_f64_e32 v6, v[6:7]
	v_cvt_f32_f64_e32 v4, v[4:5]
	;; [unrolled: 1-line block ×6, first 2 shown]
	v_min3_f32 v167, v6, v4, v122
	v_add_f64 v[4:5], v[42:43], v[34:35]
	v_add_f64 v[6:7], v[40:41], v[32:33]
	v_min3_f32 v159, v2, v0, v21
	v_add_f64 v[0:1], v[42:43], v[30:31]
	v_add_f64 v[2:3], v[40:41], v[28:29]
	v_min3_f32 v20, v20, v26, s11
	v_cvt_f32_f64_e32 v6, v[6:7]
	v_cvt_f32_f64_e32 v4, v[4:5]
	;; [unrolled: 1-line block ×4, first 2 shown]
	v_min3_f32 v164, v6, v4, v121
	v_add_f64 v[4:5], v[62:63], v[34:35]
	v_add_f64 v[6:7], v[60:61], v[32:33]
	v_min3_f32 v156, v2, v0, v20
	v_add_f64 v[0:1], v[62:63], v[30:31]
	v_add_f64 v[2:3], v[60:61], v[28:29]
	v_min3_f32 v12, v12, v13, s11
	v_cvt_f32_f64_e32 v6, v[6:7]
	v_cvt_f32_f64_e32 v4, v[4:5]
	;; [unrolled: 1-line block ×4, first 2 shown]
	v_min3_f32 v165, v6, v4, v120
	v_add_f64 v[4:5], v[66:67], v[34:35]
	v_add_f64 v[6:7], v[64:65], v[32:33]
	v_min3_f32 v157, v2, v0, v12
	v_add_f64 v[0:1], v[66:67], v[30:31]
	v_add_f64 v[2:3], v[64:65], v[28:29]
	v_cvt_f32_f64_e32 v6, v[6:7]
	v_cvt_f32_f64_e32 v4, v[4:5]
	;; [unrolled: 1-line block ×4, first 2 shown]
	v_min3_f32 v162, v6, v4, v119
	v_min3_f32 v198, v2, v0, v8
	ds_write2st64_b64 v117, v[108:109], v[112:113] offset0:16 offset1:20
	ds_write2st64_b64 v117, v[110:111], v[114:115] offset0:24 offset1:28
	ds_write_b64 v104, v[106:107] offset:18432
	s_waitcnt lgkmcnt(0)
	s_barrier
	s_cbranch_scc1 .LBB106_11
; %bb.9:
	v_mov_b32_e32 v0, 0x2000
	v_lshl_add_u32 v86, v128, 5, v0
	v_and_b32_e32 v0, 3, v128
	v_add_u32_e32 v82, 0x4000, v104
	v_add_u32_e32 v85, 0x4800, v104
	v_lshlrev_b32_e32 v104, 3, v0
	v_lshl_add_u64 v[0:1], v[102:103], 3, v[104:105]
	v_lshl_add_u64 v[0:1], s[16:17], 0, v[0:1]
	s_mov_b64 s[8:9], 0x60
	v_lshl_add_u64 v[66:67], v[0:1], 0, s[8:9]
	v_add_u32_e32 v0, 8, v118
	v_mad_i64_i32 v[0:1], s[8:9], v0, s10, 0
	s_ashr_i32 s11, s10, 31
	v_lshlrev_b64 v[68:69], 3, v[0:1]
	v_add_u32_e32 v0, 12, v118
	s_lshl_b64 s[8:9], s[10:11], 6
	v_mad_i64_i32 v[0:1], s[10:11], v0, s10, 0
	v_add_u32_e32 v83, 0x4000, v130
	v_add_u32_e32 v84, 0x2000, v117
	s_add_i32 s20, s20, -8
	v_add_u32_e32 v87, 0x4800, v130
	v_lshl_add_u64 v[64:65], v[100:101], 3, s[14:15]
	v_lshlrev_b64 v[70:71], 3, v[0:1]
	s_mov_b32 s10, 0
	s_movk_i32 s11, 0xffe0
.LBB106_10:                             ; =>This Inner Loop Header: Depth=1
	v_lshl_add_u64 v[0:1], v[64:65], 0, v[68:69]
	flat_load_dwordx2 v[78:79], v[0:1]
	flat_load_dwordx2 v[80:81], v[0:1] offset:512
	flat_load_dwordx2 v[74:75], v[0:1] offset:1024
	flat_load_dwordx2 v[76:77], v[0:1] offset:1536
	v_add_co_u32_e32 v0, vcc, s11, v66
	s_add_i32 s10, s10, 8
	s_nop 0
	v_addc_co_u32_e32 v1, vcc, -1, v67, vcc
	flat_load_dwordx2 v[72:73], v[0:1]
	ds_read_b128 v[36:39], v86 offset:1024
	ds_read_b128 v[32:35], v86 offset:2048
	;; [unrolled: 1-line block ×14, first 2 shown]
	ds_read_b128 v[94:97], v87
	ds_read_b128 v[4:7], v87 offset:16
	ds_read_b128 v[56:59], v86
	ds_read_b128 v[0:3], v86 offset:16
	s_cmp_ge_i32 s10, s20
	s_waitcnt lgkmcnt(0)
	v_add_f64 v[98:99], v[58:59], v[96:97]
	v_add_f64 v[100:101], v[56:57], v[94:95]
	v_cvt_f32_f64_e32 v89, v[100:101]
	v_cvt_f32_f64_e32 v98, v[98:99]
	v_min3_f32 v213, v89, v98, v88
	v_add_f64 v[88:89], v[38:39], v[96:97]
	v_add_f64 v[98:99], v[36:37], v[94:95]
	v_cvt_f32_f64_e32 v98, v[98:99]
	v_cvt_f32_f64_e32 v88, v[88:89]
	v_min3_f32 v155, v98, v88, v138
	;; [unrolled: 5-line block ×22, first 2 shown]
	v_add_f64 v[88:89], v[14:15], v[62:63]
	v_add_f64 v[90:91], v[12:13], v[60:61]
	v_add_f64 v[62:63], v[10:11], v[62:63]
	v_add_f64 v[60:61], v[8:9], v[60:61]
	v_cvt_f32_f64_e32 v60, v[60:61]
	v_cvt_f32_f64_e32 v61, v[62:63]
	v_min3_f32 v133, v60, v61, v194
	v_add_f64 v[60:61], v[58:59], v[54:55]
	v_add_f64 v[62:63], v[56:57], v[52:53]
	v_cvt_f32_f64_e32 v62, v[62:63]
	v_cvt_f32_f64_e32 v60, v[60:61]
	v_min3_f32 v132, v62, v60, v196
	v_add_f64 v[60:61], v[38:39], v[54:55]
	v_add_f64 v[62:63], v[36:37], v[52:53]
	v_cvt_f32_f64_e32 v62, v[62:63]
	v_cvt_f32_f64_e32 v60, v[60:61]
	v_min3_f32 v131, v62, v60, v192
	v_add_f64 v[60:61], v[34:35], v[54:55]
	v_add_f64 v[62:63], v[32:33], v[52:53]
	v_cvt_f32_f64_e32 v62, v[62:63]
	v_cvt_f32_f64_e32 v60, v[60:61]
	v_min3_f32 v127, v62, v60, v193
	v_add_f64 v[60:61], v[30:31], v[54:55]
	v_add_f64 v[62:63], v[28:29], v[52:53]
	v_cvt_f32_f64_e32 v62, v[62:63]
	v_cvt_f32_f64_e32 v60, v[60:61]
	v_min3_f32 v126, v62, v60, v190
	v_add_f64 v[60:61], v[26:27], v[54:55]
	v_add_f64 v[62:63], v[24:25], v[52:53]
	v_cvt_f32_f64_e32 v62, v[62:63]
	v_cvt_f32_f64_e32 v60, v[60:61]
	v_min3_f32 v125, v62, v60, v191
	v_add_f64 v[60:61], v[22:23], v[54:55]
	v_add_f64 v[62:63], v[20:21], v[52:53]
	v_cvt_f32_f64_e32 v62, v[62:63]
	v_cvt_f32_f64_e32 v60, v[60:61]
	v_min3_f32 v124, v62, v60, v187
	v_add_f64 v[60:61], v[14:15], v[54:55]
	v_add_f64 v[62:63], v[12:13], v[52:53]
	v_add_f64 v[54:55], v[10:11], v[54:55]
	v_add_f64 v[52:53], v[8:9], v[52:53]
	v_cvt_f32_f64_e32 v52, v[52:53]
	v_cvt_f32_f64_e32 v53, v[54:55]
	v_min3_f32 v122, v52, v53, v186
	v_add_f64 v[52:53], v[58:59], v[50:51]
	v_add_f64 v[54:55], v[56:57], v[48:49]
	v_cvt_f32_f64_e32 v54, v[54:55]
	v_cvt_f32_f64_e32 v52, v[52:53]
	v_min3_f32 v121, v54, v52, v188
	v_add_f64 v[52:53], v[38:39], v[50:51]
	v_add_f64 v[54:55], v[36:37], v[48:49]
	v_cvt_f32_f64_e32 v54, v[54:55]
	v_cvt_f32_f64_e32 v52, v[52:53]
	v_min3_f32 v120, v54, v52, v184
	v_add_f64 v[52:53], v[34:35], v[50:51]
	v_add_f64 v[54:55], v[32:33], v[48:49]
	v_cvt_f32_f64_e32 v54, v[54:55]
	v_cvt_f32_f64_e32 v52, v[52:53]
	v_min3_f32 v119, v54, v52, v185
	v_add_f64 v[52:53], v[30:31], v[50:51]
	v_add_f64 v[54:55], v[28:29], v[48:49]
	v_cvt_f32_f64_e32 v54, v[54:55]
	v_cvt_f32_f64_e32 v52, v[52:53]
	v_min3_f32 v118, v54, v52, v182
	v_add_f64 v[52:53], v[26:27], v[50:51]
	v_add_f64 v[54:55], v[24:25], v[48:49]
	v_cvt_f32_f64_e32 v54, v[54:55]
	v_cvt_f32_f64_e32 v52, v[52:53]
	v_min3_f32 v115, v54, v52, v183
	v_add_f64 v[52:53], v[22:23], v[50:51]
	v_add_f64 v[54:55], v[20:21], v[48:49]
	v_cvt_f32_f64_e32 v54, v[54:55]
	v_cvt_f32_f64_e32 v52, v[52:53]
	v_min3_f32 v114, v54, v52, v179
	;; [unrolled: 37-line block ×4, first 2 shown]
	v_add_f64 v[44:45], v[14:15], v[42:43]
	v_add_f64 v[46:47], v[12:13], v[40:41]
	;; [unrolled: 1-line block ×12, first 2 shown]
	v_cvt_f32_f64_e32 v90, v[90:91]
	v_cvt_f32_f64_e32 v88, v[88:89]
	;; [unrolled: 1-line block ×12, first 2 shown]
	v_min3_f32 v134, v90, v88, v197
	v_min3_f32 v96, v40, v41, v162
	v_add_f64 v[40:41], v[58:59], v[18:19]
	v_add_f64 v[42:43], v[56:57], v[16:17]
	;; [unrolled: 1-line block ×6, first 2 shown]
	v_min3_f32 v92, v28, v29, v158
	v_min3_f32 v91, v24, v25, v159
	;; [unrolled: 1-line block ×4, first 2 shown]
	v_add_f64 v[10:11], v[10:11], v[18:19]
	v_add_f64 v[8:9], v[8:9], v[16:17]
	;; [unrolled: 1-line block ×4, first 2 shown]
	v_cvt_f32_f64_e32 v62, v[62:63]
	v_cvt_f32_f64_e32 v60, v[60:61]
	;; [unrolled: 1-line block ×18, first 2 shown]
	v_min3_f32 v123, v62, v60, v189
	v_min3_f32 v113, v54, v52, v181
	;; [unrolled: 1-line block ×8, first 2 shown]
	ds_read_b128 v[32:35], v86 offset:1040
	ds_read_b128 v[28:31], v86 offset:2064
	ds_read_b128 v[24:27], v86 offset:3088
	ds_read_b128 v[20:23], v86 offset:4112
	ds_read_b128 v[16:19], v86 offset:5136
	ds_read_b128 v[12:15], v86 offset:6160
	ds_read_b128 v[8:11], v86 offset:7184
	ds_read_b128 v[60:63], v87 offset:272
	ds_read_b128 v[56:59], v87 offset:528
	ds_read_b128 v[52:55], v87 offset:784
	ds_read_b128 v[48:51], v87 offset:1040
	ds_read_b128 v[44:47], v87 offset:1296
	ds_read_b128 v[40:43], v87 offset:1552
	ds_read_b128 v[36:39], v87 offset:1808
	v_min3_f32 v156, v158, v156, v213
	s_waitcnt lgkmcnt(0)
	v_add_f64 v[158:159], v[34:35], v[6:7]
	v_add_f64 v[160:161], v[32:33], v[4:5]
	v_cvt_f32_f64_e32 v157, v[160:161]
	v_cvt_f32_f64_e32 v158, v[158:159]
	v_min3_f32 v155, v157, v158, v155
	v_add_f64 v[158:159], v[30:31], v[6:7]
	v_add_f64 v[160:161], v[28:29], v[4:5]
	v_cvt_f32_f64_e32 v157, v[160:161]
	v_cvt_f32_f64_e32 v158, v[158:159]
	v_min3_f32 v154, v157, v158, v154
	;; [unrolled: 5-line block ×5, first 2 shown]
	v_add_f64 v[158:159], v[14:15], v[6:7]
	v_add_f64 v[160:161], v[12:13], v[4:5]
	;; [unrolled: 1-line block ×4, first 2 shown]
	v_cvt_f32_f64_e32 v4, v[4:5]
	v_cvt_f32_f64_e32 v5, v[6:7]
	v_min3_f32 v149, v4, v5, v149
	v_add_f64 v[4:5], v[2:3], v[62:63]
	v_add_f64 v[6:7], v[0:1], v[60:61]
	v_cvt_f32_f64_e32 v6, v[6:7]
	v_cvt_f32_f64_e32 v4, v[4:5]
	v_min3_f32 v148, v6, v4, v148
	v_add_f64 v[4:5], v[34:35], v[62:63]
	v_add_f64 v[6:7], v[32:33], v[60:61]
	;; [unrolled: 5-line block ×41, first 2 shown]
	v_add_f64 v[2:3], v[2:3], v[38:39]
	v_add_f64 v[0:1], v[0:1], v[36:37]
	v_cvt_f32_f64_e32 v0, v[0:1]
	v_cvt_f32_f64_e32 v1, v[2:3]
	v_cvt_f32_f64_e32 v6, v[6:7]
	v_cvt_f32_f64_e32 v4, v[4:5]
	v_min3_f32 v95, v0, v1, v95
	v_add_f64 v[0:1], v[34:35], v[38:39]
	v_add_f64 v[2:3], v[32:33], v[36:37]
	v_min3_f32 v103, v6, v4, v103
	v_add_f64 v[4:5], v[34:35], v[42:43]
	v_add_f64 v[6:7], v[32:33], v[40:41]
	v_cvt_f32_f64_e32 v2, v[2:3]
	v_cvt_f32_f64_e32 v0, v[0:1]
	v_cvt_f32_f64_e32 v6, v[6:7]
	v_cvt_f32_f64_e32 v4, v[4:5]
	v_min3_f32 v94, v2, v0, v94
	v_add_f64 v[0:1], v[30:31], v[38:39]
	v_add_f64 v[2:3], v[28:29], v[36:37]
	v_min3_f32 v102, v6, v4, v102
	;; [unrolled: 10-line block ×6, first 2 shown]
	v_add_f64 v[4:5], v[14:15], v[42:43]
	v_add_f64 v[6:7], v[12:13], v[40:41]
	v_cvt_f32_f64_e32 v2, v[2:3]
	v_cvt_f32_f64_e32 v0, v[0:1]
	;; [unrolled: 1-line block ×4, first 2 shown]
	v_min3_f32 v89, v2, v0, v89
	v_add_f64 v[0:1], v[10:11], v[38:39]
	v_add_f64 v[2:3], v[8:9], v[36:37]
	v_cvt_f32_f64_e32 v157, v[160:161]
	v_cvt_f32_f64_e32 v158, v[158:159]
	v_min3_f32 v97, v6, v4, v97
	v_add_f64 v[4:5], v[10:11], v[42:43]
	v_add_f64 v[6:7], v[8:9], v[40:41]
	v_cvt_f32_f64_e32 v2, v[2:3]
	v_cvt_f32_f64_e32 v0, v[0:1]
	v_min3_f32 v150, v157, v158, v150
	v_cvt_f32_f64_e32 v6, v[6:7]
	v_cvt_f32_f64_e32 v4, v[4:5]
	v_min3_f32 v157, v2, v0, v88
	v_lshl_add_u64 v[0:1], v[64:65], 0, v[70:71]
	v_min3_f32 v96, v6, v4, v96
	s_waitcnt vmcnt(0)
	ds_write2st64_b64 v117, v[78:79], v[80:81] offset1:4
	ds_write2st64_b64 v117, v[74:75], v[76:77] offset0:8 offset1:12
	ds_write_b64 v82, v[72:73]
	s_waitcnt lgkmcnt(0)
	s_barrier
	flat_load_dwordx2 v[72:73], v[0:1]
	flat_load_dwordx2 v[74:75], v[0:1] offset:512
	flat_load_dwordx2 v[76:77], v[0:1] offset:1024
	;; [unrolled: 1-line block ×3, first 2 shown]
	flat_load_dwordx2 v[80:81], v[66:67]
	ds_read_b128 v[32:35], v116 offset:1024
	ds_read_b128 v[28:31], v116 offset:2048
	;; [unrolled: 1-line block ×14, first 2 shown]
	ds_read_b128 v[40:43], v116
	ds_read_b128 v[0:3], v116 offset:16
	ds_read_b128 v[170:173], v83
	ds_read_b128 v[36:39], v83 offset:16
	v_lshl_add_u64 v[66:67], v[66:67], 0, 64
	v_lshl_add_u64 v[64:65], v[64:65], 0, s[8:9]
	s_waitcnt lgkmcnt(0)
	v_add_f64 v[132:133], v[42:43], v[172:173]
	v_add_f64 v[134:135], v[40:41], v[170:171]
	v_cvt_f32_f64_e32 v88, v[134:135]
	v_cvt_f32_f64_e32 v127, v[132:133]
	v_add_f64 v[132:133], v[34:35], v[172:173]
	v_add_f64 v[134:135], v[32:33], v[170:171]
	v_min3_f32 v88, v88, v127, v156
	v_cvt_f32_f64_e32 v127, v[134:135]
	v_cvt_f32_f64_e32 v131, v[132:133]
	v_add_f64 v[132:133], v[30:31], v[172:173]
	v_add_f64 v[134:135], v[28:29], v[170:171]
	v_min3_f32 v138, v127, v131, v155
	;; [unrolled: 5-line block ×4, first 2 shown]
	v_cvt_f32_f64_e32 v127, v[154:155]
	v_cvt_f32_f64_e32 v131, v[134:135]
	v_min3_f32 v133, v127, v131, v152
	v_add_f64 v[134:135], v[18:19], v[172:173]
	v_add_f64 v[152:153], v[16:17], v[170:171]
	v_cvt_f32_f64_e32 v127, v[152:153]
	v_cvt_f32_f64_e32 v131, v[134:135]
	v_add_f64 v[152:153], v[10:11], v[172:173]
	v_add_f64 v[154:155], v[8:9], v[170:171]
	v_min3_f32 v134, v127, v131, v151
	v_cvt_f32_f64_e32 v127, v[154:155]
	v_cvt_f32_f64_e32 v131, v[152:153]
	v_min3_f32 v135, v127, v131, v150
	v_add_f64 v[150:151], v[6:7], v[172:173]
	v_add_f64 v[152:153], v[4:5], v[170:171]
	v_cvt_f32_f64_e32 v127, v[152:153]
	v_cvt_f32_f64_e32 v131, v[150:151]
	v_add_f64 v[150:151], v[42:43], v[160:161]
	v_add_f64 v[152:153], v[40:41], v[158:159]
	v_min3_f32 v156, v127, v131, v149
	;; [unrolled: 10-line block ×6, first 2 shown]
	v_cvt_f32_f64_e32 v60, v[144:145]
	v_cvt_f32_f64_e32 v127, v[142:143]
	v_min3_f32 v147, v60, v127, v61
	v_add_f64 v[60:61], v[34:35], v[164:165]
	v_add_f64 v[142:143], v[32:33], v[162:163]
	v_cvt_f32_f64_e32 v127, v[142:143]
	v_cvt_f32_f64_e32 v60, v[60:61]
	v_min3_f32 v146, v127, v60, v62
	v_add_f64 v[60:61], v[30:31], v[164:165]
	v_add_f64 v[142:143], v[28:29], v[162:163]
	;; [unrolled: 5-line block ×22, first 2 shown]
	v_add_f64 v[54:55], v[6:7], v[54:55]
	v_add_f64 v[52:53], v[4:5], v[52:53]
	v_cvt_f32_f64_e32 v58, v[58:59]
	v_cvt_f32_f64_e32 v56, v[56:57]
	v_cvt_f32_f64_e32 v52, v[52:53]
	v_cvt_f32_f64_e32 v53, v[54:55]
	v_min3_f32 v114, v58, v56, v113
	v_min3_f32 v113, v52, v53, v112
	v_add_f64 v[52:53], v[42:43], v[50:51]
	v_add_f64 v[54:55], v[40:41], v[48:49]
	v_cvt_f32_f64_e32 v54, v[54:55]
	v_cvt_f32_f64_e32 v52, v[52:53]
	v_min3_f32 v112, v54, v52, v111
	v_add_f64 v[52:53], v[34:35], v[50:51]
	v_add_f64 v[54:55], v[32:33], v[48:49]
	v_cvt_f32_f64_e32 v54, v[54:55]
	v_cvt_f32_f64_e32 v52, v[52:53]
	;; [unrolled: 5-line block ×6, first 2 shown]
	v_min3_f32 v107, v54, v52, v106
	v_add_f64 v[52:53], v[10:11], v[50:51]
	v_add_f64 v[54:55], v[8:9], v[48:49]
	;; [unrolled: 1-line block ×4, first 2 shown]
	v_cvt_f32_f64_e32 v54, v[54:55]
	v_cvt_f32_f64_e32 v52, v[52:53]
	;; [unrolled: 1-line block ×4, first 2 shown]
	v_min3_f32 v106, v54, v52, v105
	v_min3_f32 v105, v48, v49, v104
	v_add_f64 v[48:49], v[42:43], v[46:47]
	v_add_f64 v[50:51], v[40:41], v[44:45]
	v_cvt_f32_f64_e32 v50, v[50:51]
	v_cvt_f32_f64_e32 v48, v[48:49]
	v_min3_f32 v104, v50, v48, v103
	v_add_f64 v[48:49], v[34:35], v[46:47]
	v_add_f64 v[50:51], v[32:33], v[44:45]
	v_cvt_f32_f64_e32 v50, v[50:51]
	v_cvt_f32_f64_e32 v48, v[48:49]
	;; [unrolled: 5-line block ×6, first 2 shown]
	v_min3_f32 v99, v50, v48, v98
	v_add_f64 v[48:49], v[10:11], v[46:47]
	v_add_f64 v[50:51], v[8:9], v[44:45]
	;; [unrolled: 1-line block ×20, first 2 shown]
	v_cvt_f32_f64_e32 v50, v[50:51]
	v_cvt_f32_f64_e32 v48, v[48:49]
	v_cvt_f32_f64_e32 v44, v[44:45]
	v_cvt_f32_f64_e32 v45, v[46:47]
	v_cvt_f32_f64_e32 v40, v[40:41]
	v_cvt_f32_f64_e32 v41, v[42:43]
	v_cvt_f32_f64_e32 v32, v[32:33]
	v_cvt_f32_f64_e32 v33, v[34:35]
	v_cvt_f32_f64_e32 v28, v[28:29]
	v_cvt_f32_f64_e32 v29, v[30:31]
	v_cvt_f32_f64_e32 v24, v[24:25]
	v_cvt_f32_f64_e32 v25, v[26:27]
	v_cvt_f32_f64_e32 v20, v[20:21]
	v_cvt_f32_f64_e32 v21, v[22:23]
	v_cvt_f32_f64_e32 v16, v[16:17]
	v_cvt_f32_f64_e32 v17, v[18:19]
	v_cvt_f32_f64_e32 v8, v[8:9]
	v_cvt_f32_f64_e32 v9, v[10:11]
	v_cvt_f32_f64_e32 v4, v[4:5]
	v_cvt_f32_f64_e32 v5, v[6:7]
	v_add_f64 v[158:159], v[2:3], v[38:39]
	v_add_f64 v[160:161], v[0:1], v[36:37]
	v_min3_f32 v98, v50, v48, v97
	v_min3_f32 v97, v44, v45, v96
	v_min3_f32 v96, v40, v41, v95
	v_min3_f32 v95, v32, v33, v94
	v_min3_f32 v94, v28, v29, v93
	v_min3_f32 v93, v24, v25, v92
	v_min3_f32 v92, v20, v21, v91
	v_min3_f32 v91, v16, v17, v90
	v_min3_f32 v90, v8, v9, v89
	v_min3_f32 v89, v4, v5, v157
	v_cvt_f32_f64_e32 v157, v[160:161]
	v_cvt_f32_f64_e32 v158, v[158:159]
	ds_read_b128 v[28:31], v116 offset:1040
	ds_read_b128 v[24:27], v116 offset:2064
	;; [unrolled: 1-line block ×14, first 2 shown]
	v_min3_f32 v88, v157, v158, v88
	s_waitcnt lgkmcnt(0)
	v_add_f64 v[158:159], v[30:31], v[38:39]
	v_add_f64 v[160:161], v[28:29], v[36:37]
	v_cvt_f32_f64_e32 v157, v[160:161]
	v_cvt_f32_f64_e32 v158, v[158:159]
	v_min3_f32 v138, v157, v158, v138
	v_add_f64 v[158:159], v[26:27], v[38:39]
	v_add_f64 v[160:161], v[24:25], v[36:37]
	v_cvt_f32_f64_e32 v157, v[160:161]
	v_cvt_f32_f64_e32 v158, v[158:159]
	v_min3_f32 v139, v157, v158, v139
	;; [unrolled: 5-line block ×5, first 2 shown]
	v_add_f64 v[158:159], v[10:11], v[38:39]
	v_add_f64 v[160:161], v[8:9], v[36:37]
	v_add_f64 v[38:39], v[6:7], v[38:39]
	v_add_f64 v[36:37], v[4:5], v[36:37]
	v_cvt_f32_f64_e32 v36, v[36:37]
	v_cvt_f32_f64_e32 v37, v[38:39]
	v_min3_f32 v211, v36, v37, v156
	v_add_f64 v[36:37], v[2:3], v[62:63]
	v_add_f64 v[38:39], v[0:1], v[60:61]
	v_cvt_f32_f64_e32 v38, v[38:39]
	v_cvt_f32_f64_e32 v36, v[36:37]
	v_min3_f32 v212, v38, v36, v155
	v_add_f64 v[36:37], v[30:31], v[62:63]
	v_add_f64 v[38:39], v[28:29], v[60:61]
	;; [unrolled: 5-line block ×41, first 2 shown]
	v_add_f64 v[2:3], v[2:3], v[34:35]
	v_add_f64 v[0:1], v[0:1], v[32:33]
	v_cvt_f32_f64_e32 v38, v[38:39]
	v_cvt_f32_f64_e32 v36, v[36:37]
	;; [unrolled: 1-line block ×4, first 2 shown]
	v_min3_f32 v172, v38, v36, v104
	v_add_f64 v[36:37], v[30:31], v[42:43]
	v_add_f64 v[38:39], v[28:29], v[40:41]
	v_min3_f32 v163, v0, v1, v96
	v_add_f64 v[0:1], v[30:31], v[34:35]
	v_add_f64 v[2:3], v[28:29], v[32:33]
	v_cvt_f32_f64_e32 v38, v[38:39]
	v_cvt_f32_f64_e32 v36, v[36:37]
	;; [unrolled: 1-line block ×5, first 2 shown]
	v_min3_f32 v168, v38, v36, v103
	v_add_f64 v[36:37], v[26:27], v[42:43]
	v_add_f64 v[38:39], v[24:25], v[40:41]
	v_min3_f32 v160, v2, v0, v95
	v_add_f64 v[0:1], v[26:27], v[34:35]
	v_add_f64 v[2:3], v[24:25], v[32:33]
	v_cvt_f32_f64_e32 v38, v[38:39]
	v_cvt_f32_f64_e32 v36, v[36:37]
	;; [unrolled: 1-line block ×4, first 2 shown]
	v_min3_f32 v169, v38, v36, v102
	v_add_f64 v[36:37], v[22:23], v[42:43]
	v_add_f64 v[38:39], v[20:21], v[40:41]
	v_min3_f32 v161, v2, v0, v94
	v_add_f64 v[0:1], v[22:23], v[34:35]
	v_add_f64 v[2:3], v[20:21], v[32:33]
	v_cvt_f32_f64_e32 v158, v[158:159]
	v_cvt_f32_f64_e32 v38, v[38:39]
	;; [unrolled: 1-line block ×5, first 2 shown]
	v_min3_f32 v135, v157, v158, v135
	v_min3_f32 v166, v38, v36, v101
	v_add_f64 v[36:37], v[18:19], v[42:43]
	v_add_f64 v[38:39], v[16:17], v[40:41]
	v_min3_f32 v158, v2, v0, v93
	v_add_f64 v[0:1], v[18:19], v[34:35]
	v_add_f64 v[2:3], v[16:17], v[32:33]
	v_cvt_f32_f64_e32 v38, v[38:39]
	v_cvt_f32_f64_e32 v36, v[36:37]
	v_cvt_f32_f64_e32 v2, v[2:3]
	v_cvt_f32_f64_e32 v0, v[0:1]
	v_min3_f32 v167, v38, v36, v100
	v_add_f64 v[36:37], v[14:15], v[42:43]
	v_add_f64 v[38:39], v[12:13], v[40:41]
	v_min3_f32 v159, v2, v0, v92
	v_add_f64 v[0:1], v[14:15], v[34:35]
	v_add_f64 v[2:3], v[12:13], v[32:33]
	v_cvt_f32_f64_e32 v38, v[38:39]
	v_cvt_f32_f64_e32 v36, v[36:37]
	v_cvt_f32_f64_e32 v2, v[2:3]
	v_cvt_f32_f64_e32 v0, v[0:1]
	;; [unrolled: 10-line block ×4, first 2 shown]
	v_min3_f32 v162, v38, v36, v97
	v_min3_f32 v198, v2, v0, v89
	s_waitcnt vmcnt(0)
	ds_write2st64_b64 v84, v[72:73], v[74:75] offset1:4
	ds_write2st64_b64 v84, v[76:77], v[78:79] offset0:8 offset1:12
	ds_write_b64 v85, v[80:81]
	s_waitcnt lgkmcnt(0)
	s_barrier
	s_cbranch_scc0 .LBB106_10
.LBB106_11:
	s_load_dwordx2 s[10:11], s[0:1], 0x78
	s_load_dword s8, s[0:1], 0x58
	s_load_dword s9, s[0:1], 0x70
	ds_read_b128 v[68:71], v116 offset:8192
	ds_read_b128 v[124:127], v130 offset:18432
	;; [unrolled: 1-line block ×4, first 2 shown]
	s_waitcnt lgkmcnt(0)
	s_lshl_b64 s[0:1], s[10:11], 3
	s_add_u32 s0, s2, s0
	v_add_u32_e32 v213, s19, v129
	v_add_f64 v[0:1], v[70:71], v[126:127]
	v_add_f64 v[2:3], v[68:69], v[124:125]
	v_cvt_f32_f64_e32 v2, v[2:3]
	v_cvt_f32_f64_e32 v0, v[0:1]
	v_min3_f32 v140, v2, v0, v88
	ds_read_b128 v[60:63], v116 offset:9216
	ds_read_b128 v[52:55], v116 offset:9232
	;; [unrolled: 1-line block ×28, first 2 shown]
	v_add_f64 v[130:131], v[66:67], v[122:123]
	v_add_f64 v[136:137], v[64:65], v[120:121]
	v_cvt_f32_f64_e32 v136, v[136:137]
	v_cvt_f32_f64_e32 v130, v[130:131]
	s_addc_u32 s1, s3, s1
	v_min3_f32 v140, v136, v130, v140
	v_add_u32_e32 v136, s18, v128
	v_mad_i64_i32 v[130:131], s[2:3], v213, s9, 0
	v_add_u32_e32 v128, 32, v136
	v_lshl_add_u64 v[152:153], v[130:131], 3, s[0:1]
	v_mad_i64_i32 v[130:131], s[2:3], v213, s8, 0
	v_ashrrev_i32_e32 v137, 31, v136
	v_ashrrev_i32_e32 v129, 31, v128
	s_mov_b64 s[2:3], -1
	v_max_f32_e32 v143, v140, v140
	s_mov_b64 vcc, s[4:5]
	s_cbranch_vccz .LBB106_13
; %bb.12:
	v_min_f32_e32 v140, 0, v143
	v_cvt_f64_f32_e32 v[140:141], v140
	v_lshl_add_u64 v[144:145], v[136:137], 3, v[152:153]
	flat_store_dwordx2 v[144:145], v[140:141]
	s_mov_b64 s[2:3], 0
.LBB106_13:
	v_lshl_add_u64 v[154:155], v[130:131], 3, s[12:13]
	v_mov_b32_e32 v142, 0
	s_andn2_b64 vcc, exec, s[2:3]
	v_lshlrev_b64 v[140:141], 3, v[136:137]
	s_cbranch_vccnz .LBB106_15
; %bb.14:
	v_lshl_add_u64 v[130:131], v[154:155], 0, v[140:141]
	flat_load_dwordx2 v[130:131], v[130:131]
	v_lshl_add_u64 v[144:145], v[152:153], 0, v[140:141]
	s_waitcnt vmcnt(0) lgkmcnt(0)
	v_mul_f64 v[130:131], s[6:7], v[130:131]
	v_cvt_f32_f64_e32 v130, v[130:131]
	v_min_f32_e32 v130, v130, v143
	v_cvt_f64_f32_e32 v[130:131], v130
	flat_store_dwordx2 v[144:145], v[130:131]
	v_lshl_add_u64 v[130:131], v[128:129], 3, v[154:155]
	flat_load_dwordx2 v[130:131], v[130:131]
	s_waitcnt vmcnt(0) lgkmcnt(0)
	v_mul_f64 v[130:131], s[6:7], v[130:131]
	v_cvt_f32_f64_e32 v142, v[130:131]
.LBB106_15:
	s_waitcnt lgkmcnt(0)
	v_add_f64 v[130:131], v[62:63], v[126:127]
	v_add_f64 v[144:145], v[60:61], v[124:125]
	v_cvt_f32_f64_e32 v143, v[144:145]
	v_cvt_f32_f64_e32 v130, v[130:131]
	v_min3_f32 v143, v143, v130, v138
	v_add_f64 v[130:131], v[58:59], v[126:127]
	v_add_f64 v[144:145], v[56:57], v[124:125]
	v_cvt_f32_f64_e32 v138, v[144:145]
	v_cvt_f32_f64_e32 v130, v[130:131]
	v_min3_f32 v144, v138, v130, v139
	v_add_f64 v[130:131], v[54:55], v[122:123]
	v_add_f64 v[138:139], v[52:53], v[120:121]
	v_cvt_f32_f64_e32 v138, v[138:139]
	v_cvt_f32_f64_e32 v130, v[130:131]
	v_min_f32_e32 v145, v138, v130
	v_add_f64 v[130:131], v[50:51], v[122:123]
	v_add_f64 v[138:139], v[48:49], v[120:121]
	v_cvt_f32_f64_e32 v138, v[138:139]
	v_cvt_f32_f64_e32 v130, v[130:131]
	v_min3_f32 v142, v142, v145, v143
	v_min3_f32 v146, v138, v130, v144
	v_add_u32_e32 v138, 64, v136
	v_add_u32_e32 v130, 0x60, v136
	v_cvt_f64_f32_e32 v[142:143], v142
	v_lshl_add_u64 v[144:145], v[128:129], 3, v[152:153]
	v_ashrrev_i32_e32 v139, 31, v138
	v_ashrrev_i32_e32 v131, 31, v130
	flat_store_dwordx2 v[144:145], v[142:143]
	s_mov_b64 s[2:3], -1
	v_max_f32_e32 v142, v146, v146
	s_mov_b64 vcc, s[4:5]
	s_cbranch_vccz .LBB106_17
; %bb.16:
	v_min_f32_e32 v143, 0, v142
	v_cvt_f64_f32_e32 v[144:145], v143
	v_lshl_add_u64 v[146:147], v[138:139], 3, v[152:153]
	flat_store_dwordx2 v[146:147], v[144:145]
	s_mov_b64 s[2:3], 0
.LBB106_17:
	v_mov_b32_e32 v146, 0
	s_andn2_b64 vcc, exec, s[2:3]
	v_lshlrev_b64 v[144:145], 3, v[138:139]
	s_cbranch_vccnz .LBB106_19
; %bb.18:
	v_lshl_add_u64 v[146:147], v[154:155], 0, v[144:145]
	flat_load_dwordx2 v[146:147], v[146:147]
	v_lshl_add_u64 v[148:149], v[152:153], 0, v[144:145]
	s_waitcnt vmcnt(0) lgkmcnt(0)
	v_mul_f64 v[146:147], s[6:7], v[146:147]
	v_cvt_f32_f64_e32 v143, v[146:147]
	v_min_f32_e32 v142, v143, v142
	v_cvt_f64_f32_e32 v[142:143], v142
	flat_store_dwordx2 v[148:149], v[142:143]
	v_lshl_add_u64 v[142:143], v[130:131], 3, v[154:155]
	flat_load_dwordx2 v[142:143], v[142:143]
	s_waitcnt vmcnt(0) lgkmcnt(0)
	v_mul_f64 v[142:143], s[6:7], v[142:143]
	v_cvt_f32_f64_e32 v146, v[142:143]
.LBB106_19:
	v_add_f64 v[142:143], v[46:47], v[126:127]
	v_add_f64 v[148:149], v[44:45], v[124:125]
	v_cvt_f32_f64_e32 v147, v[148:149]
	v_cvt_f32_f64_e32 v142, v[142:143]
	v_min3_f32 v147, v147, v142, v132
	v_add_f64 v[142:143], v[42:43], v[126:127]
	v_add_f64 v[148:149], v[40:41], v[124:125]
	v_cvt_f32_f64_e32 v132, v[148:149]
	v_cvt_f32_f64_e32 v142, v[142:143]
	v_min3_f32 v148, v132, v142, v133
	v_add_f64 v[132:133], v[38:39], v[122:123]
	v_add_f64 v[142:143], v[36:37], v[120:121]
	v_cvt_f32_f64_e32 v142, v[142:143]
	v_cvt_f32_f64_e32 v132, v[132:133]
	v_min_f32_e32 v149, v142, v132
	v_add_f64 v[132:133], v[34:35], v[122:123]
	v_add_f64 v[142:143], v[32:33], v[120:121]
	v_cvt_f32_f64_e32 v142, v[142:143]
	v_cvt_f32_f64_e32 v132, v[132:133]
	v_min3_f32 v146, v146, v149, v147
	v_min3_f32 v150, v142, v132, v148
	v_add_u32_e32 v142, 0x80, v136
	v_add_u32_e32 v132, 0xa0, v136
	v_cvt_f64_f32_e32 v[146:147], v146
	v_lshl_add_u64 v[148:149], v[130:131], 3, v[152:153]
	v_ashrrev_i32_e32 v143, 31, v142
	v_ashrrev_i32_e32 v133, 31, v132
	flat_store_dwordx2 v[148:149], v[146:147]
	s_mov_b64 s[2:3], -1
	v_max_f32_e32 v146, v150, v150
	s_mov_b64 vcc, s[4:5]
	s_cbranch_vccz .LBB106_21
; %bb.20:
	v_min_f32_e32 v147, 0, v146
	v_cvt_f64_f32_e32 v[148:149], v147
	v_lshl_add_u64 v[150:151], v[142:143], 3, v[152:153]
	flat_store_dwordx2 v[150:151], v[148:149]
	s_mov_b64 s[2:3], 0
.LBB106_21:
	v_mov_b32_e32 v150, 0
	s_andn2_b64 vcc, exec, s[2:3]
	v_lshlrev_b64 v[148:149], 3, v[142:143]
	s_cbranch_vccnz .LBB106_23
; %bb.22:
	v_lshl_add_u64 v[150:151], v[154:155], 0, v[148:149]
	flat_load_dwordx2 v[150:151], v[150:151]
	v_lshl_add_u64 v[214:215], v[152:153], 0, v[148:149]
	s_waitcnt vmcnt(0) lgkmcnt(0)
	v_mul_f64 v[150:151], s[6:7], v[150:151]
	v_cvt_f32_f64_e32 v147, v[150:151]
	v_min_f32_e32 v146, v147, v146
	v_cvt_f64_f32_e32 v[146:147], v146
	flat_store_dwordx2 v[214:215], v[146:147]
	v_lshl_add_u64 v[146:147], v[132:133], 3, v[154:155]
	flat_load_dwordx2 v[146:147], v[146:147]
	s_waitcnt vmcnt(0) lgkmcnt(0)
	v_mul_f64 v[146:147], s[6:7], v[146:147]
	v_cvt_f32_f64_e32 v150, v[146:147]
.LBB106_23:
	v_add_f64 v[146:147], v[30:31], v[126:127]
	v_add_f64 v[214:215], v[28:29], v[124:125]
	v_cvt_f32_f64_e32 v151, v[214:215]
	v_cvt_f32_f64_e32 v146, v[146:147]
	v_min3_f32 v151, v151, v146, v134
	v_add_f64 v[146:147], v[26:27], v[126:127]
	v_add_f64 v[214:215], v[24:25], v[124:125]
	v_cvt_f32_f64_e32 v134, v[214:215]
	v_cvt_f32_f64_e32 v146, v[146:147]
	v_min3_f32 v214, v134, v146, v135
	v_add_f64 v[134:135], v[22:23], v[122:123]
	v_add_f64 v[146:147], v[20:21], v[120:121]
	v_cvt_f32_f64_e32 v146, v[146:147]
	v_cvt_f32_f64_e32 v134, v[134:135]
	v_min_f32_e32 v215, v146, v134
	v_add_f64 v[134:135], v[18:19], v[122:123]
	v_add_f64 v[146:147], v[16:17], v[120:121]
	v_cvt_f32_f64_e32 v146, v[146:147]
	v_cvt_f32_f64_e32 v134, v[134:135]
	v_min3_f32 v150, v150, v215, v151
	v_min3_f32 v216, v146, v134, v214
	v_add_u32_e32 v146, 0xc0, v136
	v_add_u32_e32 v134, 0xe0, v136
	v_cvt_f64_f32_e32 v[150:151], v150
	v_lshl_add_u64 v[214:215], v[132:133], 3, v[152:153]
	v_ashrrev_i32_e32 v147, 31, v146
	v_ashrrev_i32_e32 v135, 31, v134
	flat_store_dwordx2 v[214:215], v[150:151]
	s_mov_b64 s[2:3], -1
	v_max_f32_e32 v215, v216, v216
	s_mov_b64 vcc, s[4:5]
	s_cbranch_vccz .LBB106_25
; %bb.24:
	v_min_f32_e32 v150, 0, v215
	v_cvt_f64_f32_e32 v[150:151], v150
	v_lshl_add_u64 v[216:217], v[146:147], 3, v[152:153]
	flat_store_dwordx2 v[216:217], v[150:151]
	s_mov_b64 s[2:3], 0
.LBB106_25:
	v_mov_b32_e32 v214, 0
	s_andn2_b64 vcc, exec, s[2:3]
	v_lshlrev_b64 v[150:151], 3, v[146:147]
	s_cbranch_vccnz .LBB106_27
; %bb.26:
	v_lshl_add_u64 v[216:217], v[154:155], 0, v[150:151]
	flat_load_dwordx2 v[216:217], v[216:217]
	v_lshl_add_u64 v[218:219], v[152:153], 0, v[150:151]
	v_lshl_add_u64 v[154:155], v[134:135], 3, v[154:155]
	s_waitcnt vmcnt(0) lgkmcnt(0)
	v_mul_f64 v[216:217], s[6:7], v[216:217]
	v_cvt_f32_f64_e32 v214, v[216:217]
	v_min_f32_e32 v214, v214, v215
	v_cvt_f64_f32_e32 v[214:215], v214
	flat_store_dwordx2 v[218:219], v[214:215]
	flat_load_dwordx2 v[154:155], v[154:155]
	s_waitcnt vmcnt(0) lgkmcnt(0)
	v_mul_f64 v[154:155], s[6:7], v[154:155]
	v_cvt_f32_f64_e32 v214, v[154:155]
.LBB106_27:
	v_add_f64 v[126:127], v[2:3], v[126:127]
	v_add_f64 v[124:125], v[0:1], v[124:125]
	v_cvt_f32_f64_e32 v124, v[124:125]
	v_cvt_f32_f64_e32 v125, v[126:127]
	v_add_f64 v[122:123], v[10:11], v[122:123]
	v_add_f64 v[120:121], v[8:9], v[120:121]
	v_min3_f32 v154, v124, v125, v211
	v_add_f64 v[124:125], v[70:71], v[118:119]
	v_add_f64 v[126:127], v[68:69], v[116:117]
	v_cvt_f32_f64_e32 v120, v[120:121]
	v_cvt_f32_f64_e32 v121, v[122:123]
	v_cvt_f32_f64_e32 v126, v[126:127]
	v_cvt_f32_f64_e32 v124, v[124:125]
	v_min_f32_e32 v125, v120, v121
	v_add_f64 v[120:121], v[66:67], v[114:115]
	v_add_f64 v[122:123], v[64:65], v[112:113]
	v_min3_f32 v124, v126, v124, v212
	v_cvt_f32_f64_e32 v122, v[122:123]
	v_cvt_f32_f64_e32 v120, v[120:121]
	v_min3_f32 v124, v122, v120, v124
	v_min3_f32 v120, v214, v125, v154
	v_cvt_f64_f32_e32 v[120:121], v120
	v_lshl_add_u64 v[122:123], v[134:135], 3, v[152:153]
	flat_store_dwordx2 v[122:123], v[120:121]
	v_add_u32_e32 v122, 8, v213
	v_mad_i64_i32 v[120:121], s[2:3], v122, s9, 0
	v_mad_i64_i32 v[122:123], s[2:3], v122, s8, 0
	v_lshl_add_u64 v[120:121], v[120:121], 3, s[0:1]
	s_mov_b64 s[2:3], -1
	v_max_f32_e32 v125, v124, v124
	s_mov_b64 vcc, s[4:5]
	s_cbranch_vccz .LBB106_29
; %bb.28:
	v_min_f32_e32 v124, 0, v125
	v_cvt_f64_f32_e32 v[126:127], v124
	v_lshl_add_u64 v[152:153], v[136:137], 3, v[120:121]
	flat_store_dwordx2 v[152:153], v[126:127]
	s_mov_b64 s[2:3], 0
.LBB106_29:
	v_lshl_add_u64 v[122:123], v[122:123], 3, s[12:13]
	s_andn2_b64 vcc, exec, s[2:3]
	v_mov_b32_e32 v124, 0
	s_cbranch_vccnz .LBB106_31
; %bb.30:
	v_lshl_add_u64 v[126:127], v[122:123], 0, v[140:141]
	flat_load_dwordx2 v[126:127], v[126:127]
	v_lshl_add_u64 v[152:153], v[120:121], 0, v[140:141]
	s_waitcnt vmcnt(0) lgkmcnt(0)
	v_mul_f64 v[126:127], s[6:7], v[126:127]
	v_cvt_f32_f64_e32 v124, v[126:127]
	v_min_f32_e32 v124, v124, v125
	v_cvt_f64_f32_e32 v[124:125], v124
	flat_store_dwordx2 v[152:153], v[124:125]
	v_lshl_add_u64 v[124:125], v[128:129], 3, v[122:123]
	flat_load_dwordx2 v[124:125], v[124:125]
	s_waitcnt vmcnt(0) lgkmcnt(0)
	v_mul_f64 v[124:125], s[6:7], v[124:125]
	v_cvt_f32_f64_e32 v124, v[124:125]
.LBB106_31:
	v_add_f64 v[126:127], v[62:63], v[118:119]
	v_add_f64 v[152:153], v[60:61], v[116:117]
	v_cvt_f32_f64_e32 v125, v[152:153]
	v_cvt_f32_f64_e32 v126, v[126:127]
	v_min3_f32 v125, v125, v126, v209
	v_add_f64 v[126:127], v[58:59], v[118:119]
	v_add_f64 v[152:153], v[56:57], v[116:117]
	v_cvt_f32_f64_e32 v152, v[152:153]
	v_cvt_f32_f64_e32 v126, v[126:127]
	v_min3_f32 v154, v152, v126, v210
	v_add_f64 v[126:127], v[54:55], v[114:115]
	v_add_f64 v[152:153], v[52:53], v[112:113]
	v_cvt_f32_f64_e32 v152, v[152:153]
	v_cvt_f32_f64_e32 v126, v[126:127]
	v_min_f32_e32 v155, v152, v126
	v_add_f64 v[126:127], v[50:51], v[114:115]
	v_add_f64 v[152:153], v[48:49], v[112:113]
	v_cvt_f32_f64_e32 v152, v[152:153]
	v_cvt_f32_f64_e32 v126, v[126:127]
	v_min3_f32 v124, v124, v155, v125
	v_min3_f32 v152, v152, v126, v154
	v_cvt_f64_f32_e32 v[124:125], v124
	v_lshl_add_u64 v[126:127], v[128:129], 3, v[120:121]
	flat_store_dwordx2 v[126:127], v[124:125]
	s_mov_b64 s[2:3], -1
	v_max_f32_e32 v125, v152, v152
	s_mov_b64 vcc, s[4:5]
	s_cbranch_vccz .LBB106_33
; %bb.32:
	v_min_f32_e32 v124, 0, v125
	v_cvt_f64_f32_e32 v[126:127], v124
	v_lshl_add_u64 v[152:153], v[138:139], 3, v[120:121]
	flat_store_dwordx2 v[152:153], v[126:127]
	s_mov_b64 s[2:3], 0
.LBB106_33:
	s_andn2_b64 vcc, exec, s[2:3]
	v_mov_b32_e32 v124, 0
	s_cbranch_vccnz .LBB106_35
; %bb.34:
	v_lshl_add_u64 v[126:127], v[122:123], 0, v[144:145]
	flat_load_dwordx2 v[126:127], v[126:127]
	v_lshl_add_u64 v[152:153], v[120:121], 0, v[144:145]
	s_waitcnt vmcnt(0) lgkmcnt(0)
	v_mul_f64 v[126:127], s[6:7], v[126:127]
	v_cvt_f32_f64_e32 v124, v[126:127]
	v_min_f32_e32 v124, v124, v125
	v_cvt_f64_f32_e32 v[124:125], v124
	flat_store_dwordx2 v[152:153], v[124:125]
	v_lshl_add_u64 v[124:125], v[130:131], 3, v[122:123]
	flat_load_dwordx2 v[124:125], v[124:125]
	s_waitcnt vmcnt(0) lgkmcnt(0)
	v_mul_f64 v[124:125], s[6:7], v[124:125]
	v_cvt_f32_f64_e32 v124, v[124:125]
.LBB106_35:
	v_add_f64 v[126:127], v[46:47], v[118:119]
	v_add_f64 v[152:153], v[44:45], v[116:117]
	v_cvt_f32_f64_e32 v125, v[152:153]
	v_cvt_f32_f64_e32 v126, v[126:127]
	v_min3_f32 v125, v125, v126, v207
	v_add_f64 v[126:127], v[42:43], v[118:119]
	v_add_f64 v[152:153], v[40:41], v[116:117]
	v_cvt_f32_f64_e32 v152, v[152:153]
	v_cvt_f32_f64_e32 v126, v[126:127]
	v_min3_f32 v154, v152, v126, v208
	v_add_f64 v[126:127], v[38:39], v[114:115]
	v_add_f64 v[152:153], v[36:37], v[112:113]
	v_cvt_f32_f64_e32 v152, v[152:153]
	v_cvt_f32_f64_e32 v126, v[126:127]
	v_min_f32_e32 v155, v152, v126
	v_add_f64 v[126:127], v[34:35], v[114:115]
	v_add_f64 v[152:153], v[32:33], v[112:113]
	v_cvt_f32_f64_e32 v152, v[152:153]
	v_cvt_f32_f64_e32 v126, v[126:127]
	v_min3_f32 v124, v124, v155, v125
	v_min3_f32 v152, v152, v126, v154
	v_cvt_f64_f32_e32 v[124:125], v124
	v_lshl_add_u64 v[126:127], v[130:131], 3, v[120:121]
	flat_store_dwordx2 v[126:127], v[124:125]
	s_mov_b64 s[2:3], -1
	v_max_f32_e32 v125, v152, v152
	s_mov_b64 vcc, s[4:5]
	s_cbranch_vccz .LBB106_37
; %bb.36:
	v_min_f32_e32 v124, 0, v125
	v_cvt_f64_f32_e32 v[126:127], v124
	v_lshl_add_u64 v[152:153], v[142:143], 3, v[120:121]
	flat_store_dwordx2 v[152:153], v[126:127]
	s_mov_b64 s[2:3], 0
.LBB106_37:
	;; [unrolled: 54-line block ×3, first 2 shown]
	s_andn2_b64 vcc, exec, s[2:3]
	v_mov_b32_e32 v124, 0
	s_cbranch_vccnz .LBB106_43
; %bb.42:
	v_lshl_add_u64 v[126:127], v[122:123], 0, v[150:151]
	flat_load_dwordx2 v[126:127], v[126:127]
	v_lshl_add_u64 v[152:153], v[120:121], 0, v[150:151]
	v_lshl_add_u64 v[122:123], v[134:135], 3, v[122:123]
	s_waitcnt vmcnt(0) lgkmcnt(0)
	v_mul_f64 v[126:127], s[6:7], v[126:127]
	v_cvt_f32_f64_e32 v124, v[126:127]
	v_min_f32_e32 v124, v124, v125
	v_cvt_f64_f32_e32 v[124:125], v124
	flat_store_dwordx2 v[152:153], v[124:125]
	flat_load_dwordx2 v[122:123], v[122:123]
	s_waitcnt vmcnt(0) lgkmcnt(0)
	v_mul_f64 v[122:123], s[6:7], v[122:123]
	v_cvt_f32_f64_e32 v124, v[122:123]
.LBB106_43:
	v_add_f64 v[118:119], v[2:3], v[118:119]
	v_add_f64 v[116:117], v[0:1], v[116:117]
	v_cvt_f32_f64_e32 v116, v[116:117]
	v_cvt_f32_f64_e32 v117, v[118:119]
	v_add_f64 v[114:115], v[10:11], v[114:115]
	v_add_f64 v[112:113], v[8:9], v[112:113]
	v_min3_f32 v122, v116, v117, v203
	v_add_f64 v[116:117], v[70:71], v[110:111]
	v_add_f64 v[118:119], v[68:69], v[108:109]
	v_cvt_f32_f64_e32 v112, v[112:113]
	v_cvt_f32_f64_e32 v113, v[114:115]
	;; [unrolled: 1-line block ×4, first 2 shown]
	v_min_f32_e32 v117, v112, v113
	v_add_f64 v[112:113], v[66:67], v[106:107]
	v_add_f64 v[114:115], v[64:65], v[104:105]
	v_min3_f32 v116, v118, v116, v205
	v_cvt_f32_f64_e32 v114, v[114:115]
	v_cvt_f32_f64_e32 v112, v[112:113]
	v_min3_f32 v116, v114, v112, v116
	v_min3_f32 v112, v124, v117, v122
	v_cvt_f64_f32_e32 v[112:113], v112
	v_lshl_add_u64 v[114:115], v[134:135], 3, v[120:121]
	flat_store_dwordx2 v[114:115], v[112:113]
	v_add_u32_e32 v114, 16, v213
	v_mad_i64_i32 v[112:113], s[2:3], v114, s9, 0
	v_mad_i64_i32 v[114:115], s[2:3], v114, s8, 0
	v_lshl_add_u64 v[112:113], v[112:113], 3, s[0:1]
	s_mov_b64 s[2:3], -1
	v_max_f32_e32 v117, v116, v116
	s_mov_b64 vcc, s[4:5]
	s_cbranch_vccz .LBB106_45
; %bb.44:
	v_min_f32_e32 v116, 0, v117
	v_cvt_f64_f32_e32 v[118:119], v116
	v_lshl_add_u64 v[120:121], v[136:137], 3, v[112:113]
	flat_store_dwordx2 v[120:121], v[118:119]
	s_mov_b64 s[2:3], 0
.LBB106_45:
	v_lshl_add_u64 v[114:115], v[114:115], 3, s[12:13]
	s_andn2_b64 vcc, exec, s[2:3]
	v_mov_b32_e32 v116, 0
	s_cbranch_vccnz .LBB106_47
; %bb.46:
	v_lshl_add_u64 v[118:119], v[114:115], 0, v[140:141]
	flat_load_dwordx2 v[118:119], v[118:119]
	v_lshl_add_u64 v[120:121], v[112:113], 0, v[140:141]
	s_waitcnt vmcnt(0) lgkmcnt(0)
	v_mul_f64 v[118:119], s[6:7], v[118:119]
	v_cvt_f32_f64_e32 v116, v[118:119]
	v_min_f32_e32 v116, v116, v117
	v_cvt_f64_f32_e32 v[116:117], v116
	flat_store_dwordx2 v[120:121], v[116:117]
	v_lshl_add_u64 v[116:117], v[128:129], 3, v[114:115]
	flat_load_dwordx2 v[116:117], v[116:117]
	s_waitcnt vmcnt(0) lgkmcnt(0)
	v_mul_f64 v[116:117], s[6:7], v[116:117]
	v_cvt_f32_f64_e32 v116, v[116:117]
.LBB106_47:
	v_add_f64 v[118:119], v[62:63], v[110:111]
	v_add_f64 v[120:121], v[60:61], v[108:109]
	v_cvt_f32_f64_e32 v117, v[120:121]
	v_cvt_f32_f64_e32 v118, v[118:119]
	v_min3_f32 v117, v117, v118, v201
	v_add_f64 v[118:119], v[58:59], v[110:111]
	v_add_f64 v[120:121], v[56:57], v[108:109]
	v_cvt_f32_f64_e32 v120, v[120:121]
	v_cvt_f32_f64_e32 v118, v[118:119]
	v_min3_f32 v122, v120, v118, v202
	v_add_f64 v[118:119], v[54:55], v[106:107]
	v_add_f64 v[120:121], v[52:53], v[104:105]
	v_cvt_f32_f64_e32 v120, v[120:121]
	v_cvt_f32_f64_e32 v118, v[118:119]
	v_min_f32_e32 v123, v120, v118
	v_add_f64 v[118:119], v[50:51], v[106:107]
	v_add_f64 v[120:121], v[48:49], v[104:105]
	v_cvt_f32_f64_e32 v120, v[120:121]
	v_cvt_f32_f64_e32 v118, v[118:119]
	v_min3_f32 v116, v116, v123, v117
	v_min3_f32 v120, v120, v118, v122
	v_cvt_f64_f32_e32 v[116:117], v116
	v_lshl_add_u64 v[118:119], v[128:129], 3, v[112:113]
	flat_store_dwordx2 v[118:119], v[116:117]
	s_mov_b64 s[2:3], -1
	v_max_f32_e32 v117, v120, v120
	s_mov_b64 vcc, s[4:5]
	s_cbranch_vccz .LBB106_49
; %bb.48:
	v_min_f32_e32 v116, 0, v117
	v_cvt_f64_f32_e32 v[118:119], v116
	v_lshl_add_u64 v[120:121], v[138:139], 3, v[112:113]
	flat_store_dwordx2 v[120:121], v[118:119]
	s_mov_b64 s[2:3], 0
.LBB106_49:
	s_andn2_b64 vcc, exec, s[2:3]
	v_mov_b32_e32 v116, 0
	s_cbranch_vccnz .LBB106_51
; %bb.50:
	v_lshl_add_u64 v[118:119], v[114:115], 0, v[144:145]
	flat_load_dwordx2 v[118:119], v[118:119]
	v_lshl_add_u64 v[120:121], v[112:113], 0, v[144:145]
	s_waitcnt vmcnt(0) lgkmcnt(0)
	v_mul_f64 v[118:119], s[6:7], v[118:119]
	v_cvt_f32_f64_e32 v116, v[118:119]
	v_min_f32_e32 v116, v116, v117
	v_cvt_f64_f32_e32 v[116:117], v116
	flat_store_dwordx2 v[120:121], v[116:117]
	v_lshl_add_u64 v[116:117], v[130:131], 3, v[114:115]
	flat_load_dwordx2 v[116:117], v[116:117]
	s_waitcnt vmcnt(0) lgkmcnt(0)
	v_mul_f64 v[116:117], s[6:7], v[116:117]
	v_cvt_f32_f64_e32 v116, v[116:117]
.LBB106_51:
	v_add_f64 v[118:119], v[46:47], v[110:111]
	v_add_f64 v[120:121], v[44:45], v[108:109]
	v_cvt_f32_f64_e32 v117, v[120:121]
	v_cvt_f32_f64_e32 v118, v[118:119]
	v_min3_f32 v117, v117, v118, v199
	v_add_f64 v[118:119], v[42:43], v[110:111]
	v_add_f64 v[120:121], v[40:41], v[108:109]
	v_cvt_f32_f64_e32 v120, v[120:121]
	v_cvt_f32_f64_e32 v118, v[118:119]
	v_min3_f32 v122, v120, v118, v200
	v_add_f64 v[118:119], v[38:39], v[106:107]
	v_add_f64 v[120:121], v[36:37], v[104:105]
	v_cvt_f32_f64_e32 v120, v[120:121]
	v_cvt_f32_f64_e32 v118, v[118:119]
	v_min_f32_e32 v123, v120, v118
	v_add_f64 v[118:119], v[34:35], v[106:107]
	v_add_f64 v[120:121], v[32:33], v[104:105]
	v_cvt_f32_f64_e32 v120, v[120:121]
	v_cvt_f32_f64_e32 v118, v[118:119]
	v_min3_f32 v116, v116, v123, v117
	v_min3_f32 v120, v120, v118, v122
	v_cvt_f64_f32_e32 v[116:117], v116
	v_lshl_add_u64 v[118:119], v[130:131], 3, v[112:113]
	flat_store_dwordx2 v[118:119], v[116:117]
	s_mov_b64 s[2:3], -1
	v_max_f32_e32 v117, v120, v120
	s_mov_b64 vcc, s[4:5]
	s_cbranch_vccz .LBB106_53
; %bb.52:
	v_min_f32_e32 v116, 0, v117
	v_cvt_f64_f32_e32 v[118:119], v116
	v_lshl_add_u64 v[120:121], v[142:143], 3, v[112:113]
	flat_store_dwordx2 v[120:121], v[118:119]
	s_mov_b64 s[2:3], 0
.LBB106_53:
	;; [unrolled: 54-line block ×3, first 2 shown]
	s_andn2_b64 vcc, exec, s[2:3]
	v_mov_b32_e32 v116, 0
	s_cbranch_vccnz .LBB106_59
; %bb.58:
	v_lshl_add_u64 v[118:119], v[114:115], 0, v[150:151]
	flat_load_dwordx2 v[118:119], v[118:119]
	v_lshl_add_u64 v[120:121], v[112:113], 0, v[150:151]
	v_lshl_add_u64 v[114:115], v[134:135], 3, v[114:115]
	s_waitcnt vmcnt(0) lgkmcnt(0)
	v_mul_f64 v[118:119], s[6:7], v[118:119]
	v_cvt_f32_f64_e32 v116, v[118:119]
	v_min_f32_e32 v116, v116, v117
	v_cvt_f64_f32_e32 v[116:117], v116
	flat_store_dwordx2 v[120:121], v[116:117]
	flat_load_dwordx2 v[114:115], v[114:115]
	s_waitcnt vmcnt(0) lgkmcnt(0)
	v_mul_f64 v[114:115], s[6:7], v[114:115]
	v_cvt_f32_f64_e32 v116, v[114:115]
.LBB106_59:
	v_add_f64 v[110:111], v[2:3], v[110:111]
	v_add_f64 v[108:109], v[0:1], v[108:109]
	v_cvt_f32_f64_e32 v108, v[108:109]
	v_cvt_f32_f64_e32 v109, v[110:111]
	v_add_f64 v[106:107], v[10:11], v[106:107]
	v_add_f64 v[104:105], v[8:9], v[104:105]
	v_min3_f32 v114, v108, v109, v194
	v_add_f64 v[108:109], v[70:71], v[102:103]
	v_add_f64 v[110:111], v[68:69], v[100:101]
	v_cvt_f32_f64_e32 v104, v[104:105]
	v_cvt_f32_f64_e32 v105, v[106:107]
	;; [unrolled: 1-line block ×4, first 2 shown]
	v_min_f32_e32 v109, v104, v105
	v_add_f64 v[104:105], v[66:67], v[98:99]
	v_add_f64 v[106:107], v[64:65], v[96:97]
	v_min3_f32 v108, v110, v108, v196
	v_cvt_f32_f64_e32 v106, v[106:107]
	v_cvt_f32_f64_e32 v104, v[104:105]
	v_min3_f32 v108, v106, v104, v108
	v_min3_f32 v104, v116, v109, v114
	v_cvt_f64_f32_e32 v[104:105], v104
	v_lshl_add_u64 v[106:107], v[134:135], 3, v[112:113]
	flat_store_dwordx2 v[106:107], v[104:105]
	v_add_u32_e32 v106, 24, v213
	v_mad_i64_i32 v[104:105], s[2:3], v106, s9, 0
	v_mad_i64_i32 v[106:107], s[2:3], v106, s8, 0
	v_lshl_add_u64 v[104:105], v[104:105], 3, s[0:1]
	s_mov_b64 s[2:3], -1
	v_max_f32_e32 v109, v108, v108
	s_mov_b64 vcc, s[4:5]
	s_cbranch_vccz .LBB106_61
; %bb.60:
	v_min_f32_e32 v108, 0, v109
	v_cvt_f64_f32_e32 v[110:111], v108
	v_lshl_add_u64 v[112:113], v[136:137], 3, v[104:105]
	flat_store_dwordx2 v[112:113], v[110:111]
	s_mov_b64 s[2:3], 0
.LBB106_61:
	v_lshl_add_u64 v[106:107], v[106:107], 3, s[12:13]
	s_andn2_b64 vcc, exec, s[2:3]
	v_mov_b32_e32 v108, 0
	s_cbranch_vccnz .LBB106_63
; %bb.62:
	v_lshl_add_u64 v[110:111], v[106:107], 0, v[140:141]
	flat_load_dwordx2 v[110:111], v[110:111]
	v_lshl_add_u64 v[112:113], v[104:105], 0, v[140:141]
	s_waitcnt vmcnt(0) lgkmcnt(0)
	v_mul_f64 v[110:111], s[6:7], v[110:111]
	v_cvt_f32_f64_e32 v108, v[110:111]
	v_min_f32_e32 v108, v108, v109
	v_cvt_f64_f32_e32 v[108:109], v108
	flat_store_dwordx2 v[112:113], v[108:109]
	v_lshl_add_u64 v[108:109], v[128:129], 3, v[106:107]
	flat_load_dwordx2 v[108:109], v[108:109]
	s_waitcnt vmcnt(0) lgkmcnt(0)
	v_mul_f64 v[108:109], s[6:7], v[108:109]
	v_cvt_f32_f64_e32 v108, v[108:109]
.LBB106_63:
	v_add_f64 v[110:111], v[62:63], v[102:103]
	v_add_f64 v[112:113], v[60:61], v[100:101]
	v_cvt_f32_f64_e32 v109, v[112:113]
	v_cvt_f32_f64_e32 v110, v[110:111]
	v_min3_f32 v109, v109, v110, v192
	v_add_f64 v[110:111], v[58:59], v[102:103]
	v_add_f64 v[112:113], v[56:57], v[100:101]
	v_cvt_f32_f64_e32 v112, v[112:113]
	v_cvt_f32_f64_e32 v110, v[110:111]
	v_min3_f32 v114, v112, v110, v193
	v_add_f64 v[110:111], v[54:55], v[98:99]
	v_add_f64 v[112:113], v[52:53], v[96:97]
	v_cvt_f32_f64_e32 v112, v[112:113]
	v_cvt_f32_f64_e32 v110, v[110:111]
	v_min_f32_e32 v115, v112, v110
	v_add_f64 v[110:111], v[50:51], v[98:99]
	v_add_f64 v[112:113], v[48:49], v[96:97]
	v_cvt_f32_f64_e32 v112, v[112:113]
	v_cvt_f32_f64_e32 v110, v[110:111]
	v_min3_f32 v108, v108, v115, v109
	v_min3_f32 v112, v112, v110, v114
	v_cvt_f64_f32_e32 v[108:109], v108
	v_lshl_add_u64 v[110:111], v[128:129], 3, v[104:105]
	flat_store_dwordx2 v[110:111], v[108:109]
	s_mov_b64 s[2:3], -1
	v_max_f32_e32 v109, v112, v112
	s_mov_b64 vcc, s[4:5]
	s_cbranch_vccz .LBB106_65
; %bb.64:
	v_min_f32_e32 v108, 0, v109
	v_cvt_f64_f32_e32 v[110:111], v108
	v_lshl_add_u64 v[112:113], v[138:139], 3, v[104:105]
	flat_store_dwordx2 v[112:113], v[110:111]
	s_mov_b64 s[2:3], 0
.LBB106_65:
	s_andn2_b64 vcc, exec, s[2:3]
	v_mov_b32_e32 v108, 0
	s_cbranch_vccnz .LBB106_67
; %bb.66:
	v_lshl_add_u64 v[110:111], v[106:107], 0, v[144:145]
	flat_load_dwordx2 v[110:111], v[110:111]
	v_lshl_add_u64 v[112:113], v[104:105], 0, v[144:145]
	s_waitcnt vmcnt(0) lgkmcnt(0)
	v_mul_f64 v[110:111], s[6:7], v[110:111]
	v_cvt_f32_f64_e32 v108, v[110:111]
	v_min_f32_e32 v108, v108, v109
	v_cvt_f64_f32_e32 v[108:109], v108
	flat_store_dwordx2 v[112:113], v[108:109]
	v_lshl_add_u64 v[108:109], v[130:131], 3, v[106:107]
	flat_load_dwordx2 v[108:109], v[108:109]
	s_waitcnt vmcnt(0) lgkmcnt(0)
	v_mul_f64 v[108:109], s[6:7], v[108:109]
	v_cvt_f32_f64_e32 v108, v[108:109]
.LBB106_67:
	v_add_f64 v[110:111], v[46:47], v[102:103]
	v_add_f64 v[112:113], v[44:45], v[100:101]
	v_cvt_f32_f64_e32 v109, v[112:113]
	v_cvt_f32_f64_e32 v110, v[110:111]
	v_min3_f32 v109, v109, v110, v190
	v_add_f64 v[110:111], v[42:43], v[102:103]
	v_add_f64 v[112:113], v[40:41], v[100:101]
	v_cvt_f32_f64_e32 v112, v[112:113]
	v_cvt_f32_f64_e32 v110, v[110:111]
	v_min3_f32 v114, v112, v110, v191
	v_add_f64 v[110:111], v[38:39], v[98:99]
	v_add_f64 v[112:113], v[36:37], v[96:97]
	v_cvt_f32_f64_e32 v112, v[112:113]
	v_cvt_f32_f64_e32 v110, v[110:111]
	v_min_f32_e32 v115, v112, v110
	v_add_f64 v[110:111], v[34:35], v[98:99]
	v_add_f64 v[112:113], v[32:33], v[96:97]
	v_cvt_f32_f64_e32 v112, v[112:113]
	v_cvt_f32_f64_e32 v110, v[110:111]
	v_min3_f32 v108, v108, v115, v109
	v_min3_f32 v112, v112, v110, v114
	v_cvt_f64_f32_e32 v[108:109], v108
	v_lshl_add_u64 v[110:111], v[130:131], 3, v[104:105]
	flat_store_dwordx2 v[110:111], v[108:109]
	s_mov_b64 s[2:3], -1
	v_max_f32_e32 v109, v112, v112
	s_mov_b64 vcc, s[4:5]
	s_cbranch_vccz .LBB106_69
; %bb.68:
	v_min_f32_e32 v108, 0, v109
	v_cvt_f64_f32_e32 v[110:111], v108
	v_lshl_add_u64 v[112:113], v[142:143], 3, v[104:105]
	flat_store_dwordx2 v[112:113], v[110:111]
	s_mov_b64 s[2:3], 0
.LBB106_69:
	;; [unrolled: 54-line block ×3, first 2 shown]
	s_andn2_b64 vcc, exec, s[2:3]
	v_mov_b32_e32 v108, 0
	s_cbranch_vccnz .LBB106_75
; %bb.74:
	v_lshl_add_u64 v[110:111], v[106:107], 0, v[150:151]
	flat_load_dwordx2 v[110:111], v[110:111]
	v_lshl_add_u64 v[112:113], v[104:105], 0, v[150:151]
	v_lshl_add_u64 v[106:107], v[134:135], 3, v[106:107]
	s_waitcnt vmcnt(0) lgkmcnt(0)
	v_mul_f64 v[110:111], s[6:7], v[110:111]
	v_cvt_f32_f64_e32 v108, v[110:111]
	v_min_f32_e32 v108, v108, v109
	v_cvt_f64_f32_e32 v[108:109], v108
	flat_store_dwordx2 v[112:113], v[108:109]
	flat_load_dwordx2 v[106:107], v[106:107]
	s_waitcnt vmcnt(0) lgkmcnt(0)
	v_mul_f64 v[106:107], s[6:7], v[106:107]
	v_cvt_f32_f64_e32 v108, v[106:107]
.LBB106_75:
	v_add_f64 v[102:103], v[2:3], v[102:103]
	v_add_f64 v[100:101], v[0:1], v[100:101]
	v_cvt_f32_f64_e32 v100, v[100:101]
	v_cvt_f32_f64_e32 v101, v[102:103]
	v_add_f64 v[98:99], v[10:11], v[98:99]
	v_add_f64 v[96:97], v[8:9], v[96:97]
	v_min3_f32 v106, v100, v101, v186
	v_add_f64 v[100:101], v[70:71], v[94:95]
	v_add_f64 v[102:103], v[68:69], v[92:93]
	v_cvt_f32_f64_e32 v96, v[96:97]
	v_cvt_f32_f64_e32 v97, v[98:99]
	;; [unrolled: 1-line block ×4, first 2 shown]
	v_min_f32_e32 v101, v96, v97
	v_add_f64 v[96:97], v[66:67], v[90:91]
	v_add_f64 v[98:99], v[64:65], v[88:89]
	v_min3_f32 v100, v102, v100, v188
	v_cvt_f32_f64_e32 v98, v[98:99]
	v_cvt_f32_f64_e32 v96, v[96:97]
	v_min3_f32 v100, v98, v96, v100
	v_min3_f32 v96, v108, v101, v106
	v_cvt_f64_f32_e32 v[96:97], v96
	v_lshl_add_u64 v[98:99], v[134:135], 3, v[104:105]
	flat_store_dwordx2 v[98:99], v[96:97]
	v_add_u32_e32 v98, 32, v213
	v_mad_i64_i32 v[96:97], s[2:3], v98, s9, 0
	v_mad_i64_i32 v[98:99], s[2:3], v98, s8, 0
	v_lshl_add_u64 v[96:97], v[96:97], 3, s[0:1]
	s_mov_b64 s[2:3], -1
	v_max_f32_e32 v101, v100, v100
	s_mov_b64 vcc, s[4:5]
	s_cbranch_vccz .LBB106_77
; %bb.76:
	v_min_f32_e32 v100, 0, v101
	v_cvt_f64_f32_e32 v[102:103], v100
	v_lshl_add_u64 v[104:105], v[136:137], 3, v[96:97]
	flat_store_dwordx2 v[104:105], v[102:103]
	s_mov_b64 s[2:3], 0
.LBB106_77:
	v_lshl_add_u64 v[98:99], v[98:99], 3, s[12:13]
	s_andn2_b64 vcc, exec, s[2:3]
	v_mov_b32_e32 v100, 0
	s_cbranch_vccnz .LBB106_79
; %bb.78:
	v_lshl_add_u64 v[102:103], v[98:99], 0, v[140:141]
	flat_load_dwordx2 v[102:103], v[102:103]
	v_lshl_add_u64 v[104:105], v[96:97], 0, v[140:141]
	s_waitcnt vmcnt(0) lgkmcnt(0)
	v_mul_f64 v[102:103], s[6:7], v[102:103]
	v_cvt_f32_f64_e32 v100, v[102:103]
	v_min_f32_e32 v100, v100, v101
	v_cvt_f64_f32_e32 v[100:101], v100
	flat_store_dwordx2 v[104:105], v[100:101]
	v_lshl_add_u64 v[100:101], v[128:129], 3, v[98:99]
	flat_load_dwordx2 v[100:101], v[100:101]
	s_waitcnt vmcnt(0) lgkmcnt(0)
	v_mul_f64 v[100:101], s[6:7], v[100:101]
	v_cvt_f32_f64_e32 v100, v[100:101]
.LBB106_79:
	v_add_f64 v[102:103], v[62:63], v[94:95]
	v_add_f64 v[104:105], v[60:61], v[92:93]
	v_cvt_f32_f64_e32 v101, v[104:105]
	v_cvt_f32_f64_e32 v102, v[102:103]
	v_min3_f32 v101, v101, v102, v184
	v_add_f64 v[102:103], v[58:59], v[94:95]
	v_add_f64 v[104:105], v[56:57], v[92:93]
	v_cvt_f32_f64_e32 v104, v[104:105]
	v_cvt_f32_f64_e32 v102, v[102:103]
	v_min3_f32 v106, v104, v102, v185
	v_add_f64 v[102:103], v[54:55], v[90:91]
	v_add_f64 v[104:105], v[52:53], v[88:89]
	v_cvt_f32_f64_e32 v104, v[104:105]
	v_cvt_f32_f64_e32 v102, v[102:103]
	v_min_f32_e32 v107, v104, v102
	v_add_f64 v[102:103], v[50:51], v[90:91]
	v_add_f64 v[104:105], v[48:49], v[88:89]
	v_cvt_f32_f64_e32 v104, v[104:105]
	v_cvt_f32_f64_e32 v102, v[102:103]
	v_min3_f32 v100, v100, v107, v101
	v_min3_f32 v104, v104, v102, v106
	v_cvt_f64_f32_e32 v[100:101], v100
	v_lshl_add_u64 v[102:103], v[128:129], 3, v[96:97]
	flat_store_dwordx2 v[102:103], v[100:101]
	s_mov_b64 s[2:3], -1
	v_max_f32_e32 v101, v104, v104
	s_mov_b64 vcc, s[4:5]
	s_cbranch_vccz .LBB106_81
; %bb.80:
	v_min_f32_e32 v100, 0, v101
	v_cvt_f64_f32_e32 v[102:103], v100
	v_lshl_add_u64 v[104:105], v[138:139], 3, v[96:97]
	flat_store_dwordx2 v[104:105], v[102:103]
	s_mov_b64 s[2:3], 0
.LBB106_81:
	s_andn2_b64 vcc, exec, s[2:3]
	v_mov_b32_e32 v100, 0
	s_cbranch_vccnz .LBB106_83
; %bb.82:
	v_lshl_add_u64 v[102:103], v[98:99], 0, v[144:145]
	flat_load_dwordx2 v[102:103], v[102:103]
	v_lshl_add_u64 v[104:105], v[96:97], 0, v[144:145]
	s_waitcnt vmcnt(0) lgkmcnt(0)
	v_mul_f64 v[102:103], s[6:7], v[102:103]
	v_cvt_f32_f64_e32 v100, v[102:103]
	v_min_f32_e32 v100, v100, v101
	v_cvt_f64_f32_e32 v[100:101], v100
	flat_store_dwordx2 v[104:105], v[100:101]
	v_lshl_add_u64 v[100:101], v[130:131], 3, v[98:99]
	flat_load_dwordx2 v[100:101], v[100:101]
	s_waitcnt vmcnt(0) lgkmcnt(0)
	v_mul_f64 v[100:101], s[6:7], v[100:101]
	v_cvt_f32_f64_e32 v100, v[100:101]
.LBB106_83:
	v_add_f64 v[102:103], v[46:47], v[94:95]
	v_add_f64 v[104:105], v[44:45], v[92:93]
	v_cvt_f32_f64_e32 v101, v[104:105]
	v_cvt_f32_f64_e32 v102, v[102:103]
	v_min3_f32 v101, v101, v102, v182
	v_add_f64 v[102:103], v[42:43], v[94:95]
	v_add_f64 v[104:105], v[40:41], v[92:93]
	v_cvt_f32_f64_e32 v104, v[104:105]
	v_cvt_f32_f64_e32 v102, v[102:103]
	v_min3_f32 v106, v104, v102, v183
	v_add_f64 v[102:103], v[38:39], v[90:91]
	v_add_f64 v[104:105], v[36:37], v[88:89]
	v_cvt_f32_f64_e32 v104, v[104:105]
	v_cvt_f32_f64_e32 v102, v[102:103]
	v_min_f32_e32 v107, v104, v102
	v_add_f64 v[102:103], v[34:35], v[90:91]
	v_add_f64 v[104:105], v[32:33], v[88:89]
	v_cvt_f32_f64_e32 v104, v[104:105]
	v_cvt_f32_f64_e32 v102, v[102:103]
	v_min3_f32 v100, v100, v107, v101
	v_min3_f32 v104, v104, v102, v106
	v_cvt_f64_f32_e32 v[100:101], v100
	v_lshl_add_u64 v[102:103], v[130:131], 3, v[96:97]
	flat_store_dwordx2 v[102:103], v[100:101]
	s_mov_b64 s[2:3], -1
	v_max_f32_e32 v101, v104, v104
	s_mov_b64 vcc, s[4:5]
	s_cbranch_vccz .LBB106_85
; %bb.84:
	v_min_f32_e32 v100, 0, v101
	v_cvt_f64_f32_e32 v[102:103], v100
	v_lshl_add_u64 v[104:105], v[142:143], 3, v[96:97]
	flat_store_dwordx2 v[104:105], v[102:103]
	s_mov_b64 s[2:3], 0
.LBB106_85:
	;; [unrolled: 54-line block ×3, first 2 shown]
	s_andn2_b64 vcc, exec, s[2:3]
	v_mov_b32_e32 v100, 0
	s_cbranch_vccnz .LBB106_91
; %bb.90:
	v_lshl_add_u64 v[102:103], v[98:99], 0, v[150:151]
	flat_load_dwordx2 v[102:103], v[102:103]
	v_lshl_add_u64 v[104:105], v[96:97], 0, v[150:151]
	v_lshl_add_u64 v[98:99], v[134:135], 3, v[98:99]
	s_waitcnt vmcnt(0) lgkmcnt(0)
	v_mul_f64 v[102:103], s[6:7], v[102:103]
	v_cvt_f32_f64_e32 v100, v[102:103]
	v_min_f32_e32 v100, v100, v101
	v_cvt_f64_f32_e32 v[100:101], v100
	flat_store_dwordx2 v[104:105], v[100:101]
	flat_load_dwordx2 v[98:99], v[98:99]
	s_waitcnt vmcnt(0) lgkmcnt(0)
	v_mul_f64 v[98:99], s[6:7], v[98:99]
	v_cvt_f32_f64_e32 v100, v[98:99]
.LBB106_91:
	v_add_f64 v[94:95], v[2:3], v[94:95]
	v_add_f64 v[92:93], v[0:1], v[92:93]
	v_cvt_f32_f64_e32 v92, v[92:93]
	v_cvt_f32_f64_e32 v93, v[94:95]
	v_add_f64 v[90:91], v[10:11], v[90:91]
	v_add_f64 v[88:89], v[8:9], v[88:89]
	v_min3_f32 v98, v92, v93, v178
	v_add_f64 v[92:93], v[70:71], v[86:87]
	v_add_f64 v[94:95], v[68:69], v[84:85]
	v_cvt_f32_f64_e32 v88, v[88:89]
	v_cvt_f32_f64_e32 v89, v[90:91]
	v_cvt_f32_f64_e32 v94, v[94:95]
	v_cvt_f32_f64_e32 v92, v[92:93]
	v_min_f32_e32 v93, v88, v89
	v_add_f64 v[88:89], v[66:67], v[82:83]
	v_add_f64 v[90:91], v[64:65], v[80:81]
	v_min3_f32 v92, v94, v92, v180
	v_cvt_f32_f64_e32 v90, v[90:91]
	v_cvt_f32_f64_e32 v88, v[88:89]
	v_min3_f32 v92, v90, v88, v92
	v_min3_f32 v88, v100, v93, v98
	v_cvt_f64_f32_e32 v[88:89], v88
	v_lshl_add_u64 v[90:91], v[134:135], 3, v[96:97]
	flat_store_dwordx2 v[90:91], v[88:89]
	v_add_u32_e32 v90, 40, v213
	v_mad_i64_i32 v[88:89], s[2:3], v90, s9, 0
	v_mad_i64_i32 v[90:91], s[2:3], v90, s8, 0
	v_lshl_add_u64 v[88:89], v[88:89], 3, s[0:1]
	s_mov_b64 s[2:3], -1
	v_max_f32_e32 v93, v92, v92
	s_mov_b64 vcc, s[4:5]
	s_cbranch_vccz .LBB106_93
; %bb.92:
	v_min_f32_e32 v92, 0, v93
	v_cvt_f64_f32_e32 v[94:95], v92
	v_lshl_add_u64 v[96:97], v[136:137], 3, v[88:89]
	flat_store_dwordx2 v[96:97], v[94:95]
	s_mov_b64 s[2:3], 0
.LBB106_93:
	v_lshl_add_u64 v[90:91], v[90:91], 3, s[12:13]
	s_andn2_b64 vcc, exec, s[2:3]
	v_mov_b32_e32 v92, 0
	s_cbranch_vccnz .LBB106_95
; %bb.94:
	v_lshl_add_u64 v[94:95], v[90:91], 0, v[140:141]
	flat_load_dwordx2 v[94:95], v[94:95]
	v_lshl_add_u64 v[96:97], v[88:89], 0, v[140:141]
	s_waitcnt vmcnt(0) lgkmcnt(0)
	v_mul_f64 v[94:95], s[6:7], v[94:95]
	v_cvt_f32_f64_e32 v92, v[94:95]
	v_min_f32_e32 v92, v92, v93
	v_cvt_f64_f32_e32 v[92:93], v92
	flat_store_dwordx2 v[96:97], v[92:93]
	v_lshl_add_u64 v[92:93], v[128:129], 3, v[90:91]
	flat_load_dwordx2 v[92:93], v[92:93]
	s_waitcnt vmcnt(0) lgkmcnt(0)
	v_mul_f64 v[92:93], s[6:7], v[92:93]
	v_cvt_f32_f64_e32 v92, v[92:93]
.LBB106_95:
	v_add_f64 v[94:95], v[62:63], v[86:87]
	v_add_f64 v[96:97], v[60:61], v[84:85]
	v_cvt_f32_f64_e32 v93, v[96:97]
	v_cvt_f32_f64_e32 v94, v[94:95]
	v_min3_f32 v93, v93, v94, v176
	v_add_f64 v[94:95], v[58:59], v[86:87]
	v_add_f64 v[96:97], v[56:57], v[84:85]
	v_cvt_f32_f64_e32 v96, v[96:97]
	v_cvt_f32_f64_e32 v94, v[94:95]
	v_min3_f32 v98, v96, v94, v177
	v_add_f64 v[94:95], v[54:55], v[82:83]
	v_add_f64 v[96:97], v[52:53], v[80:81]
	v_cvt_f32_f64_e32 v96, v[96:97]
	v_cvt_f32_f64_e32 v94, v[94:95]
	v_min_f32_e32 v99, v96, v94
	v_add_f64 v[94:95], v[50:51], v[82:83]
	v_add_f64 v[96:97], v[48:49], v[80:81]
	v_cvt_f32_f64_e32 v96, v[96:97]
	v_cvt_f32_f64_e32 v94, v[94:95]
	v_min3_f32 v92, v92, v99, v93
	v_min3_f32 v96, v96, v94, v98
	v_cvt_f64_f32_e32 v[92:93], v92
	v_lshl_add_u64 v[94:95], v[128:129], 3, v[88:89]
	flat_store_dwordx2 v[94:95], v[92:93]
	s_mov_b64 s[2:3], -1
	v_max_f32_e32 v93, v96, v96
	s_mov_b64 vcc, s[4:5]
	s_cbranch_vccz .LBB106_97
; %bb.96:
	v_min_f32_e32 v92, 0, v93
	v_cvt_f64_f32_e32 v[94:95], v92
	v_lshl_add_u64 v[96:97], v[138:139], 3, v[88:89]
	flat_store_dwordx2 v[96:97], v[94:95]
	s_mov_b64 s[2:3], 0
.LBB106_97:
	s_andn2_b64 vcc, exec, s[2:3]
	v_mov_b32_e32 v92, 0
	s_cbranch_vccnz .LBB106_99
; %bb.98:
	v_lshl_add_u64 v[94:95], v[90:91], 0, v[144:145]
	flat_load_dwordx2 v[94:95], v[94:95]
	v_lshl_add_u64 v[96:97], v[88:89], 0, v[144:145]
	s_waitcnt vmcnt(0) lgkmcnt(0)
	v_mul_f64 v[94:95], s[6:7], v[94:95]
	v_cvt_f32_f64_e32 v92, v[94:95]
	v_min_f32_e32 v92, v92, v93
	v_cvt_f64_f32_e32 v[92:93], v92
	flat_store_dwordx2 v[96:97], v[92:93]
	v_lshl_add_u64 v[92:93], v[130:131], 3, v[90:91]
	flat_load_dwordx2 v[92:93], v[92:93]
	s_waitcnt vmcnt(0) lgkmcnt(0)
	v_mul_f64 v[92:93], s[6:7], v[92:93]
	v_cvt_f32_f64_e32 v92, v[92:93]
.LBB106_99:
	v_add_f64 v[94:95], v[46:47], v[86:87]
	v_add_f64 v[96:97], v[44:45], v[84:85]
	v_cvt_f32_f64_e32 v93, v[96:97]
	v_cvt_f32_f64_e32 v94, v[94:95]
	v_min3_f32 v93, v93, v94, v174
	v_add_f64 v[94:95], v[42:43], v[86:87]
	v_add_f64 v[96:97], v[40:41], v[84:85]
	v_cvt_f32_f64_e32 v96, v[96:97]
	v_cvt_f32_f64_e32 v94, v[94:95]
	v_min3_f32 v98, v96, v94, v175
	v_add_f64 v[94:95], v[38:39], v[82:83]
	v_add_f64 v[96:97], v[36:37], v[80:81]
	v_cvt_f32_f64_e32 v96, v[96:97]
	v_cvt_f32_f64_e32 v94, v[94:95]
	v_min_f32_e32 v99, v96, v94
	v_add_f64 v[94:95], v[34:35], v[82:83]
	v_add_f64 v[96:97], v[32:33], v[80:81]
	v_cvt_f32_f64_e32 v96, v[96:97]
	v_cvt_f32_f64_e32 v94, v[94:95]
	v_min3_f32 v92, v92, v99, v93
	v_min3_f32 v96, v96, v94, v98
	v_cvt_f64_f32_e32 v[92:93], v92
	v_lshl_add_u64 v[94:95], v[130:131], 3, v[88:89]
	flat_store_dwordx2 v[94:95], v[92:93]
	s_mov_b64 s[2:3], -1
	v_max_f32_e32 v93, v96, v96
	s_mov_b64 vcc, s[4:5]
	s_cbranch_vccz .LBB106_101
; %bb.100:
	v_min_f32_e32 v92, 0, v93
	v_cvt_f64_f32_e32 v[94:95], v92
	v_lshl_add_u64 v[96:97], v[142:143], 3, v[88:89]
	flat_store_dwordx2 v[96:97], v[94:95]
	s_mov_b64 s[2:3], 0
.LBB106_101:
	;; [unrolled: 54-line block ×3, first 2 shown]
	s_andn2_b64 vcc, exec, s[2:3]
	v_mov_b32_e32 v92, 0
	s_cbranch_vccnz .LBB106_107
; %bb.106:
	v_lshl_add_u64 v[94:95], v[90:91], 0, v[150:151]
	flat_load_dwordx2 v[94:95], v[94:95]
	v_lshl_add_u64 v[96:97], v[88:89], 0, v[150:151]
	v_lshl_add_u64 v[90:91], v[134:135], 3, v[90:91]
	s_waitcnt vmcnt(0) lgkmcnt(0)
	v_mul_f64 v[94:95], s[6:7], v[94:95]
	v_cvt_f32_f64_e32 v92, v[94:95]
	v_min_f32_e32 v92, v92, v93
	v_cvt_f64_f32_e32 v[92:93], v92
	flat_store_dwordx2 v[96:97], v[92:93]
	flat_load_dwordx2 v[90:91], v[90:91]
	s_waitcnt vmcnt(0) lgkmcnt(0)
	v_mul_f64 v[90:91], s[6:7], v[90:91]
	v_cvt_f32_f64_e32 v92, v[90:91]
.LBB106_107:
	v_add_f64 v[86:87], v[2:3], v[86:87]
	v_add_f64 v[84:85], v[0:1], v[84:85]
	v_cvt_f32_f64_e32 v84, v[84:85]
	v_cvt_f32_f64_e32 v85, v[86:87]
	v_add_f64 v[82:83], v[10:11], v[82:83]
	v_add_f64 v[80:81], v[8:9], v[80:81]
	v_min3_f32 v90, v84, v85, v170
	v_add_f64 v[84:85], v[70:71], v[78:79]
	v_add_f64 v[86:87], v[68:69], v[76:77]
	v_cvt_f32_f64_e32 v80, v[80:81]
	v_cvt_f32_f64_e32 v81, v[82:83]
	;; [unrolled: 1-line block ×4, first 2 shown]
	v_min_f32_e32 v85, v80, v81
	v_add_f64 v[80:81], v[66:67], v[74:75]
	v_add_f64 v[82:83], v[64:65], v[72:73]
	v_min3_f32 v84, v86, v84, v172
	v_cvt_f32_f64_e32 v82, v[82:83]
	v_cvt_f32_f64_e32 v80, v[80:81]
	v_min3_f32 v84, v82, v80, v84
	v_min3_f32 v80, v92, v85, v90
	v_cvt_f64_f32_e32 v[80:81], v80
	v_lshl_add_u64 v[82:83], v[134:135], 3, v[88:89]
	flat_store_dwordx2 v[82:83], v[80:81]
	v_add_u32_e32 v82, 48, v213
	v_mad_i64_i32 v[80:81], s[2:3], v82, s9, 0
	v_mad_i64_i32 v[82:83], s[2:3], v82, s8, 0
	v_lshl_add_u64 v[80:81], v[80:81], 3, s[0:1]
	s_mov_b64 s[2:3], -1
	v_max_f32_e32 v85, v84, v84
	s_mov_b64 vcc, s[4:5]
	s_cbranch_vccz .LBB106_109
; %bb.108:
	v_min_f32_e32 v84, 0, v85
	v_cvt_f64_f32_e32 v[86:87], v84
	v_lshl_add_u64 v[88:89], v[136:137], 3, v[80:81]
	flat_store_dwordx2 v[88:89], v[86:87]
	s_mov_b64 s[2:3], 0
.LBB106_109:
	v_lshl_add_u64 v[82:83], v[82:83], 3, s[12:13]
	s_andn2_b64 vcc, exec, s[2:3]
	v_mov_b32_e32 v84, 0
	s_cbranch_vccnz .LBB106_111
; %bb.110:
	v_lshl_add_u64 v[86:87], v[82:83], 0, v[140:141]
	flat_load_dwordx2 v[86:87], v[86:87]
	v_lshl_add_u64 v[88:89], v[80:81], 0, v[140:141]
	s_waitcnt vmcnt(0) lgkmcnt(0)
	v_mul_f64 v[86:87], s[6:7], v[86:87]
	v_cvt_f32_f64_e32 v84, v[86:87]
	v_min_f32_e32 v84, v84, v85
	v_cvt_f64_f32_e32 v[84:85], v84
	flat_store_dwordx2 v[88:89], v[84:85]
	v_lshl_add_u64 v[84:85], v[128:129], 3, v[82:83]
	flat_load_dwordx2 v[84:85], v[84:85]
	s_waitcnt vmcnt(0) lgkmcnt(0)
	v_mul_f64 v[84:85], s[6:7], v[84:85]
	v_cvt_f32_f64_e32 v84, v[84:85]
.LBB106_111:
	v_add_f64 v[86:87], v[62:63], v[78:79]
	v_add_f64 v[88:89], v[60:61], v[76:77]
	v_cvt_f32_f64_e32 v85, v[88:89]
	v_cvt_f32_f64_e32 v86, v[86:87]
	v_min3_f32 v85, v85, v86, v168
	v_add_f64 v[86:87], v[58:59], v[78:79]
	v_add_f64 v[88:89], v[56:57], v[76:77]
	v_cvt_f32_f64_e32 v88, v[88:89]
	v_cvt_f32_f64_e32 v86, v[86:87]
	v_min3_f32 v90, v88, v86, v169
	v_add_f64 v[86:87], v[54:55], v[74:75]
	v_add_f64 v[88:89], v[52:53], v[72:73]
	v_cvt_f32_f64_e32 v88, v[88:89]
	v_cvt_f32_f64_e32 v86, v[86:87]
	v_min_f32_e32 v91, v88, v86
	v_add_f64 v[86:87], v[50:51], v[74:75]
	v_add_f64 v[88:89], v[48:49], v[72:73]
	v_cvt_f32_f64_e32 v88, v[88:89]
	v_cvt_f32_f64_e32 v86, v[86:87]
	v_min3_f32 v84, v84, v91, v85
	v_min3_f32 v88, v88, v86, v90
	v_cvt_f64_f32_e32 v[84:85], v84
	v_lshl_add_u64 v[86:87], v[128:129], 3, v[80:81]
	flat_store_dwordx2 v[86:87], v[84:85]
	s_mov_b64 s[2:3], -1
	v_max_f32_e32 v85, v88, v88
	s_mov_b64 vcc, s[4:5]
	s_cbranch_vccz .LBB106_113
; %bb.112:
	v_min_f32_e32 v84, 0, v85
	v_cvt_f64_f32_e32 v[86:87], v84
	v_lshl_add_u64 v[88:89], v[138:139], 3, v[80:81]
	flat_store_dwordx2 v[88:89], v[86:87]
	s_mov_b64 s[2:3], 0
.LBB106_113:
	s_andn2_b64 vcc, exec, s[2:3]
	v_mov_b32_e32 v84, 0
	s_cbranch_vccnz .LBB106_115
; %bb.114:
	v_lshl_add_u64 v[86:87], v[82:83], 0, v[144:145]
	flat_load_dwordx2 v[86:87], v[86:87]
	v_lshl_add_u64 v[88:89], v[80:81], 0, v[144:145]
	s_waitcnt vmcnt(0) lgkmcnt(0)
	v_mul_f64 v[86:87], s[6:7], v[86:87]
	v_cvt_f32_f64_e32 v84, v[86:87]
	v_min_f32_e32 v84, v84, v85
	v_cvt_f64_f32_e32 v[84:85], v84
	flat_store_dwordx2 v[88:89], v[84:85]
	v_lshl_add_u64 v[84:85], v[130:131], 3, v[82:83]
	flat_load_dwordx2 v[84:85], v[84:85]
	s_waitcnt vmcnt(0) lgkmcnt(0)
	v_mul_f64 v[84:85], s[6:7], v[84:85]
	v_cvt_f32_f64_e32 v84, v[84:85]
.LBB106_115:
	v_add_f64 v[86:87], v[46:47], v[78:79]
	v_add_f64 v[88:89], v[44:45], v[76:77]
	v_cvt_f32_f64_e32 v85, v[88:89]
	v_cvt_f32_f64_e32 v86, v[86:87]
	v_min3_f32 v85, v85, v86, v166
	v_add_f64 v[86:87], v[42:43], v[78:79]
	v_add_f64 v[88:89], v[40:41], v[76:77]
	v_cvt_f32_f64_e32 v88, v[88:89]
	v_cvt_f32_f64_e32 v86, v[86:87]
	v_min3_f32 v90, v88, v86, v167
	v_add_f64 v[86:87], v[38:39], v[74:75]
	v_add_f64 v[88:89], v[36:37], v[72:73]
	v_cvt_f32_f64_e32 v88, v[88:89]
	v_cvt_f32_f64_e32 v86, v[86:87]
	v_min_f32_e32 v91, v88, v86
	v_add_f64 v[86:87], v[34:35], v[74:75]
	v_add_f64 v[88:89], v[32:33], v[72:73]
	v_cvt_f32_f64_e32 v88, v[88:89]
	v_cvt_f32_f64_e32 v86, v[86:87]
	v_min3_f32 v84, v84, v91, v85
	v_min3_f32 v88, v88, v86, v90
	v_cvt_f64_f32_e32 v[84:85], v84
	v_lshl_add_u64 v[86:87], v[130:131], 3, v[80:81]
	flat_store_dwordx2 v[86:87], v[84:85]
	s_mov_b64 s[2:3], -1
	v_max_f32_e32 v85, v88, v88
	s_mov_b64 vcc, s[4:5]
	s_cbranch_vccz .LBB106_117
; %bb.116:
	v_min_f32_e32 v84, 0, v85
	v_cvt_f64_f32_e32 v[86:87], v84
	v_lshl_add_u64 v[88:89], v[142:143], 3, v[80:81]
	flat_store_dwordx2 v[88:89], v[86:87]
	s_mov_b64 s[2:3], 0
.LBB106_117:
	s_andn2_b64 vcc, exec, s[2:3]
	v_mov_b32_e32 v84, 0
	s_cbranch_vccnz .LBB106_119
; %bb.118:
	v_lshl_add_u64 v[86:87], v[82:83], 0, v[148:149]
	flat_load_dwordx2 v[86:87], v[86:87]
	v_lshl_add_u64 v[88:89], v[80:81], 0, v[148:149]
	s_waitcnt vmcnt(0) lgkmcnt(0)
	v_mul_f64 v[86:87], s[6:7], v[86:87]
	v_cvt_f32_f64_e32 v84, v[86:87]
	v_min_f32_e32 v84, v84, v85
	v_cvt_f64_f32_e32 v[84:85], v84
	flat_store_dwordx2 v[88:89], v[84:85]
	v_lshl_add_u64 v[84:85], v[132:133], 3, v[82:83]
	flat_load_dwordx2 v[84:85], v[84:85]
	s_waitcnt vmcnt(0) lgkmcnt(0)
	v_mul_f64 v[84:85], s[6:7], v[84:85]
	v_cvt_f32_f64_e32 v84, v[84:85]
.LBB106_119:
	v_add_f64 v[86:87], v[30:31], v[78:79]
	v_add_f64 v[88:89], v[28:29], v[76:77]
	v_cvt_f32_f64_e32 v85, v[88:89]
	v_cvt_f32_f64_e32 v86, v[86:87]
	v_min3_f32 v85, v85, v86, v164
	v_add_f64 v[86:87], v[26:27], v[78:79]
	v_add_f64 v[88:89], v[24:25], v[76:77]
	v_cvt_f32_f64_e32 v88, v[88:89]
	v_cvt_f32_f64_e32 v86, v[86:87]
	v_min3_f32 v90, v88, v86, v165
	v_add_f64 v[86:87], v[22:23], v[74:75]
	v_add_f64 v[88:89], v[20:21], v[72:73]
	v_cvt_f32_f64_e32 v88, v[88:89]
	v_cvt_f32_f64_e32 v86, v[86:87]
	v_min_f32_e32 v91, v88, v86
	v_add_f64 v[86:87], v[18:19], v[74:75]
	v_add_f64 v[88:89], v[16:17], v[72:73]
	v_cvt_f32_f64_e32 v88, v[88:89]
	v_cvt_f32_f64_e32 v86, v[86:87]
	v_min3_f32 v84, v84, v91, v85
	v_min3_f32 v88, v88, v86, v90
	v_cvt_f64_f32_e32 v[84:85], v84
	v_lshl_add_u64 v[86:87], v[132:133], 3, v[80:81]
	flat_store_dwordx2 v[86:87], v[84:85]
	s_mov_b64 s[2:3], -1
	v_max_f32_e32 v85, v88, v88
	s_mov_b64 vcc, s[4:5]
	s_cbranch_vccz .LBB106_121
; %bb.120:
	v_min_f32_e32 v84, 0, v85
	v_cvt_f64_f32_e32 v[86:87], v84
	v_lshl_add_u64 v[88:89], v[146:147], 3, v[80:81]
	flat_store_dwordx2 v[88:89], v[86:87]
	s_mov_b64 s[2:3], 0
.LBB106_121:
	s_andn2_b64 vcc, exec, s[2:3]
	v_mov_b32_e32 v84, 0
	s_cbranch_vccnz .LBB106_123
; %bb.122:
	v_lshl_add_u64 v[86:87], v[82:83], 0, v[150:151]
	flat_load_dwordx2 v[86:87], v[86:87]
	v_lshl_add_u64 v[88:89], v[80:81], 0, v[150:151]
	v_lshl_add_u64 v[82:83], v[134:135], 3, v[82:83]
	s_waitcnt vmcnt(0) lgkmcnt(0)
	v_mul_f64 v[86:87], s[6:7], v[86:87]
	v_cvt_f32_f64_e32 v84, v[86:87]
	v_min_f32_e32 v84, v84, v85
	v_cvt_f64_f32_e32 v[84:85], v84
	flat_store_dwordx2 v[88:89], v[84:85]
	flat_load_dwordx2 v[82:83], v[82:83]
	s_waitcnt vmcnt(0) lgkmcnt(0)
	v_mul_f64 v[82:83], s[6:7], v[82:83]
	v_cvt_f32_f64_e32 v84, v[82:83]
.LBB106_123:
	v_add_f64 v[78:79], v[2:3], v[78:79]
	v_add_f64 v[76:77], v[0:1], v[76:77]
	;; [unrolled: 1-line block ×4, first 2 shown]
	v_cvt_f32_f64_e32 v76, v[76:77]
	v_cvt_f32_f64_e32 v77, v[78:79]
	;; [unrolled: 1-line block ×4, first 2 shown]
	v_min3_f32 v76, v76, v77, v162
	v_min3_f32 v77, v68, v69, v163
	v_add_f64 v[68:69], v[10:11], v[74:75]
	v_add_f64 v[70:71], v[8:9], v[72:73]
	v_cvt_f32_f64_e32 v70, v[70:71]
	v_cvt_f32_f64_e32 v68, v[68:69]
	v_add_f64 v[66:67], v[66:67], v[14:15]
	v_add_f64 v[64:65], v[64:65], v[12:13]
	v_min_f32_e32 v68, v70, v68
	v_cvt_f32_f64_e32 v64, v[64:65]
	v_cvt_f32_f64_e32 v65, v[66:67]
	v_min3_f32 v69, v64, v65, v77
	v_min3_f32 v64, v84, v68, v76
	v_cvt_f64_f32_e32 v[64:65], v64
	v_lshl_add_u64 v[66:67], v[134:135], 3, v[80:81]
	flat_store_dwordx2 v[66:67], v[64:65]
	v_add_u32_e32 v66, 56, v213
	v_mad_i64_i32 v[64:65], s[2:3], v66, s9, 0
	v_lshl_add_u64 v[64:65], v[64:65], 3, s[0:1]
	v_mad_i64_i32 v[66:67], s[0:1], v66, s8, 0
	s_mov_b64 s[0:1], -1
	v_max_f32_e32 v69, v69, v69
	s_mov_b64 vcc, s[4:5]
	s_cbranch_vccz .LBB106_125
; %bb.124:
	v_min_f32_e32 v68, 0, v69
	v_cvt_f64_f32_e32 v[70:71], v68
	v_lshl_add_u64 v[72:73], v[136:137], 3, v[64:65]
	flat_store_dwordx2 v[72:73], v[70:71]
	s_mov_b64 s[0:1], 0
.LBB106_125:
	v_lshl_add_u64 v[66:67], v[66:67], 3, s[12:13]
	s_andn2_b64 vcc, exec, s[0:1]
	v_mov_b32_e32 v68, 0
	s_cbranch_vccnz .LBB106_127
; %bb.126:
	v_lshl_add_u64 v[70:71], v[66:67], 0, v[140:141]
	flat_load_dwordx2 v[70:71], v[70:71]
	v_lshl_add_u64 v[72:73], v[64:65], 0, v[140:141]
	s_waitcnt vmcnt(0) lgkmcnt(0)
	v_mul_f64 v[70:71], s[6:7], v[70:71]
	v_cvt_f32_f64_e32 v68, v[70:71]
	v_min_f32_e32 v68, v68, v69
	v_cvt_f64_f32_e32 v[68:69], v68
	flat_store_dwordx2 v[72:73], v[68:69]
	v_lshl_add_u64 v[68:69], v[128:129], 3, v[66:67]
	flat_load_dwordx2 v[68:69], v[68:69]
	s_waitcnt vmcnt(0) lgkmcnt(0)
	v_mul_f64 v[68:69], s[6:7], v[68:69]
	v_cvt_f32_f64_e32 v68, v[68:69]
.LBB106_127:
	v_add_f64 v[62:63], v[62:63], v[6:7]
	v_add_f64 v[60:61], v[60:61], v[4:5]
	v_add_f64 v[58:59], v[58:59], v[6:7]
	v_add_f64 v[56:57], v[56:57], v[4:5]
	v_add_f64 v[54:55], v[54:55], v[14:15]
	v_add_f64 v[52:53], v[52:53], v[12:13]
	v_cvt_f32_f64_e32 v60, v[60:61]
	v_cvt_f32_f64_e32 v61, v[62:63]
	v_cvt_f32_f64_e32 v56, v[56:57]
	v_cvt_f32_f64_e32 v57, v[58:59]
	v_cvt_f32_f64_e32 v52, v[52:53]
	v_cvt_f32_f64_e32 v53, v[54:55]
	v_add_f64 v[50:51], v[50:51], v[14:15]
	v_add_f64 v[48:49], v[48:49], v[12:13]
	v_min3_f32 v60, v60, v61, v160
	v_min3_f32 v56, v56, v57, v161
	v_min_f32_e32 v52, v52, v53
	v_cvt_f32_f64_e32 v48, v[48:49]
	v_cvt_f32_f64_e32 v49, v[50:51]
	v_min3_f32 v53, v48, v49, v56
	v_min3_f32 v48, v68, v52, v60
	v_cvt_f64_f32_e32 v[48:49], v48
	v_lshl_add_u64 v[50:51], v[128:129], 3, v[64:65]
	flat_store_dwordx2 v[50:51], v[48:49]
	s_mov_b64 s[0:1], -1
	v_max_f32_e32 v49, v53, v53
	s_mov_b64 vcc, s[4:5]
	s_cbranch_vccz .LBB106_129
; %bb.128:
	v_min_f32_e32 v48, 0, v49
	v_cvt_f64_f32_e32 v[50:51], v48
	v_lshl_add_u64 v[52:53], v[138:139], 3, v[64:65]
	flat_store_dwordx2 v[52:53], v[50:51]
	s_mov_b64 s[0:1], 0
.LBB106_129:
	s_andn2_b64 vcc, exec, s[0:1]
	v_mov_b32_e32 v48, 0
	s_cbranch_vccnz .LBB106_131
; %bb.130:
	v_lshl_add_u64 v[50:51], v[66:67], 0, v[144:145]
	flat_load_dwordx2 v[50:51], v[50:51]
	v_lshl_add_u64 v[52:53], v[64:65], 0, v[144:145]
	s_waitcnt vmcnt(0) lgkmcnt(0)
	v_mul_f64 v[50:51], s[6:7], v[50:51]
	v_cvt_f32_f64_e32 v48, v[50:51]
	v_min_f32_e32 v48, v48, v49
	v_cvt_f64_f32_e32 v[48:49], v48
	flat_store_dwordx2 v[52:53], v[48:49]
	v_lshl_add_u64 v[48:49], v[130:131], 3, v[66:67]
	flat_load_dwordx2 v[48:49], v[48:49]
	s_waitcnt vmcnt(0) lgkmcnt(0)
	v_mul_f64 v[48:49], s[6:7], v[48:49]
	v_cvt_f32_f64_e32 v48, v[48:49]
.LBB106_131:
	v_add_f64 v[46:47], v[46:47], v[6:7]
	v_add_f64 v[44:45], v[44:45], v[4:5]
	v_add_f64 v[42:43], v[42:43], v[6:7]
	v_add_f64 v[40:41], v[40:41], v[4:5]
	v_add_f64 v[38:39], v[38:39], v[14:15]
	v_add_f64 v[36:37], v[36:37], v[12:13]
	v_cvt_f32_f64_e32 v44, v[44:45]
	v_cvt_f32_f64_e32 v45, v[46:47]
	v_cvt_f32_f64_e32 v40, v[40:41]
	v_cvt_f32_f64_e32 v41, v[42:43]
	v_cvt_f32_f64_e32 v36, v[36:37]
	v_cvt_f32_f64_e32 v37, v[38:39]
	v_add_f64 v[34:35], v[34:35], v[14:15]
	v_add_f64 v[32:33], v[32:33], v[12:13]
	v_min3_f32 v44, v44, v45, v158
	v_min3_f32 v40, v40, v41, v159
	v_min_f32_e32 v36, v36, v37
	v_cvt_f32_f64_e32 v32, v[32:33]
	v_cvt_f32_f64_e32 v33, v[34:35]
	v_min3_f32 v37, v32, v33, v40
	v_min3_f32 v32, v48, v36, v44
	v_cvt_f64_f32_e32 v[32:33], v32
	v_lshl_add_u64 v[34:35], v[130:131], 3, v[64:65]
	flat_store_dwordx2 v[34:35], v[32:33]
	s_mov_b64 s[0:1], -1
	v_max_f32_e32 v33, v37, v37
	s_mov_b64 vcc, s[4:5]
	s_cbranch_vccz .LBB106_133
; %bb.132:
	v_min_f32_e32 v32, 0, v33
	v_cvt_f64_f32_e32 v[34:35], v32
	v_lshl_add_u64 v[36:37], v[142:143], 3, v[64:65]
	flat_store_dwordx2 v[36:37], v[34:35]
	s_mov_b64 s[0:1], 0
.LBB106_133:
	;; [unrolled: 54-line block ×3, first 2 shown]
	s_andn2_b64 vcc, exec, s[0:1]
	v_mov_b32_e32 v16, 0
	s_cbranch_vccnz .LBB106_139
; %bb.138:
	v_lshl_add_u64 v[18:19], v[66:67], 0, v[150:151]
	flat_load_dwordx2 v[18:19], v[18:19]
	v_lshl_add_u64 v[20:21], v[64:65], 0, v[150:151]
	s_waitcnt vmcnt(0) lgkmcnt(0)
	v_mul_f64 v[18:19], s[6:7], v[18:19]
	v_cvt_f32_f64_e32 v16, v[18:19]
	v_min_f32_e32 v16, v16, v17
	v_cvt_f64_f32_e32 v[16:17], v16
	flat_store_dwordx2 v[20:21], v[16:17]
	v_lshl_add_u64 v[16:17], v[134:135], 3, v[66:67]
	flat_load_dwordx2 v[16:17], v[16:17]
	s_waitcnt vmcnt(0) lgkmcnt(0)
	v_mul_f64 v[16:17], s[6:7], v[16:17]
	v_cvt_f32_f64_e32 v16, v[16:17]
.LBB106_139:
	v_add_f64 v[10:11], v[10:11], v[14:15]
	v_add_f64 v[8:9], v[8:9], v[12:13]
	v_add_f64 v[2:3], v[2:3], v[6:7]
	v_add_f64 v[0:1], v[0:1], v[4:5]
	v_cvt_f32_f64_e32 v8, v[8:9]
	v_cvt_f32_f64_e32 v9, v[10:11]
	;; [unrolled: 1-line block ×4, first 2 shown]
	v_min_f32_e32 v8, v8, v9
	v_min3_f32 v0, v0, v1, v198
	v_min3_f32 v0, v16, v8, v0
	v_cvt_f64_f32_e32 v[0:1], v0
	v_lshl_add_u64 v[2:3], v[134:135], 3, v[64:65]
	flat_store_dwordx2 v[2:3], v[0:1]
	s_endpgm
	.section	.rodata,"a",@progbits
	.p2align	6, 0x0
	.amdhsa_kernel _ZN12_GLOBAL__N_120geam_min_plus_kernelId15HIP_vector_typeIdLj2EEdLi32ELi8ELi256ELi64ELi4ELi64ELi4ELi4ELi64ELc78ELc78ELb1ELb0ELb1EdKPKdKPdEEviiiT16_PT17_ilSA_ilS8_SA_ilPT18_ili26rocblas_geam_ex_operation_
		.amdhsa_group_segment_fixed_size 20480
		.amdhsa_private_segment_fixed_size 0
		.amdhsa_kernarg_size 136
		.amdhsa_user_sgpr_count 2
		.amdhsa_user_sgpr_dispatch_ptr 0
		.amdhsa_user_sgpr_queue_ptr 0
		.amdhsa_user_sgpr_kernarg_segment_ptr 1
		.amdhsa_user_sgpr_dispatch_id 0
		.amdhsa_user_sgpr_kernarg_preload_length 0
		.amdhsa_user_sgpr_kernarg_preload_offset 0
		.amdhsa_user_sgpr_private_segment_size 0
		.amdhsa_uses_dynamic_stack 0
		.amdhsa_enable_private_segment 0
		.amdhsa_system_sgpr_workgroup_id_x 1
		.amdhsa_system_sgpr_workgroup_id_y 0
		.amdhsa_system_sgpr_workgroup_id_z 1
		.amdhsa_system_sgpr_workgroup_info 0
		.amdhsa_system_vgpr_workitem_id 1
		.amdhsa_next_free_vgpr 220
		.amdhsa_next_free_sgpr 23
		.amdhsa_accum_offset 220
		.amdhsa_reserve_vcc 1
		.amdhsa_float_round_mode_32 0
		.amdhsa_float_round_mode_16_64 0
		.amdhsa_float_denorm_mode_32 3
		.amdhsa_float_denorm_mode_16_64 3
		.amdhsa_dx10_clamp 1
		.amdhsa_ieee_mode 1
		.amdhsa_fp16_overflow 0
		.amdhsa_tg_split 0
		.amdhsa_exception_fp_ieee_invalid_op 0
		.amdhsa_exception_fp_denorm_src 0
		.amdhsa_exception_fp_ieee_div_zero 0
		.amdhsa_exception_fp_ieee_overflow 0
		.amdhsa_exception_fp_ieee_underflow 0
		.amdhsa_exception_fp_ieee_inexact 0
		.amdhsa_exception_int_div_zero 0
	.end_amdhsa_kernel
	.section	.text._ZN12_GLOBAL__N_120geam_min_plus_kernelId15HIP_vector_typeIdLj2EEdLi32ELi8ELi256ELi64ELi4ELi64ELi4ELi4ELi64ELc78ELc78ELb1ELb0ELb1EdKPKdKPdEEviiiT16_PT17_ilSA_ilS8_SA_ilPT18_ili26rocblas_geam_ex_operation_,"axG",@progbits,_ZN12_GLOBAL__N_120geam_min_plus_kernelId15HIP_vector_typeIdLj2EEdLi32ELi8ELi256ELi64ELi4ELi64ELi4ELi4ELi64ELc78ELc78ELb1ELb0ELb1EdKPKdKPdEEviiiT16_PT17_ilSA_ilS8_SA_ilPT18_ili26rocblas_geam_ex_operation_,comdat
.Lfunc_end106:
	.size	_ZN12_GLOBAL__N_120geam_min_plus_kernelId15HIP_vector_typeIdLj2EEdLi32ELi8ELi256ELi64ELi4ELi64ELi4ELi4ELi64ELc78ELc78ELb1ELb0ELb1EdKPKdKPdEEviiiT16_PT17_ilSA_ilS8_SA_ilPT18_ili26rocblas_geam_ex_operation_, .Lfunc_end106-_ZN12_GLOBAL__N_120geam_min_plus_kernelId15HIP_vector_typeIdLj2EEdLi32ELi8ELi256ELi64ELi4ELi64ELi4ELi4ELi64ELc78ELc78ELb1ELb0ELb1EdKPKdKPdEEviiiT16_PT17_ilSA_ilS8_SA_ilPT18_ili26rocblas_geam_ex_operation_
                                        ; -- End function
	.set _ZN12_GLOBAL__N_120geam_min_plus_kernelId15HIP_vector_typeIdLj2EEdLi32ELi8ELi256ELi64ELi4ELi64ELi4ELi4ELi64ELc78ELc78ELb1ELb0ELb1EdKPKdKPdEEviiiT16_PT17_ilSA_ilS8_SA_ilPT18_ili26rocblas_geam_ex_operation_.num_vgpr, 220
	.set _ZN12_GLOBAL__N_120geam_min_plus_kernelId15HIP_vector_typeIdLj2EEdLi32ELi8ELi256ELi64ELi4ELi64ELi4ELi4ELi64ELc78ELc78ELb1ELb0ELb1EdKPKdKPdEEviiiT16_PT17_ilSA_ilS8_SA_ilPT18_ili26rocblas_geam_ex_operation_.num_agpr, 0
	.set _ZN12_GLOBAL__N_120geam_min_plus_kernelId15HIP_vector_typeIdLj2EEdLi32ELi8ELi256ELi64ELi4ELi64ELi4ELi4ELi64ELc78ELc78ELb1ELb0ELb1EdKPKdKPdEEviiiT16_PT17_ilSA_ilS8_SA_ilPT18_ili26rocblas_geam_ex_operation_.numbered_sgpr, 23
	.set _ZN12_GLOBAL__N_120geam_min_plus_kernelId15HIP_vector_typeIdLj2EEdLi32ELi8ELi256ELi64ELi4ELi64ELi4ELi4ELi64ELc78ELc78ELb1ELb0ELb1EdKPKdKPdEEviiiT16_PT17_ilSA_ilS8_SA_ilPT18_ili26rocblas_geam_ex_operation_.num_named_barrier, 0
	.set _ZN12_GLOBAL__N_120geam_min_plus_kernelId15HIP_vector_typeIdLj2EEdLi32ELi8ELi256ELi64ELi4ELi64ELi4ELi4ELi64ELc78ELc78ELb1ELb0ELb1EdKPKdKPdEEviiiT16_PT17_ilSA_ilS8_SA_ilPT18_ili26rocblas_geam_ex_operation_.private_seg_size, 0
	.set _ZN12_GLOBAL__N_120geam_min_plus_kernelId15HIP_vector_typeIdLj2EEdLi32ELi8ELi256ELi64ELi4ELi64ELi4ELi4ELi64ELc78ELc78ELb1ELb0ELb1EdKPKdKPdEEviiiT16_PT17_ilSA_ilS8_SA_ilPT18_ili26rocblas_geam_ex_operation_.uses_vcc, 1
	.set _ZN12_GLOBAL__N_120geam_min_plus_kernelId15HIP_vector_typeIdLj2EEdLi32ELi8ELi256ELi64ELi4ELi64ELi4ELi4ELi64ELc78ELc78ELb1ELb0ELb1EdKPKdKPdEEviiiT16_PT17_ilSA_ilS8_SA_ilPT18_ili26rocblas_geam_ex_operation_.uses_flat_scratch, 0
	.set _ZN12_GLOBAL__N_120geam_min_plus_kernelId15HIP_vector_typeIdLj2EEdLi32ELi8ELi256ELi64ELi4ELi64ELi4ELi4ELi64ELc78ELc78ELb1ELb0ELb1EdKPKdKPdEEviiiT16_PT17_ilSA_ilS8_SA_ilPT18_ili26rocblas_geam_ex_operation_.has_dyn_sized_stack, 0
	.set _ZN12_GLOBAL__N_120geam_min_plus_kernelId15HIP_vector_typeIdLj2EEdLi32ELi8ELi256ELi64ELi4ELi64ELi4ELi4ELi64ELc78ELc78ELb1ELb0ELb1EdKPKdKPdEEviiiT16_PT17_ilSA_ilS8_SA_ilPT18_ili26rocblas_geam_ex_operation_.has_recursion, 0
	.set _ZN12_GLOBAL__N_120geam_min_plus_kernelId15HIP_vector_typeIdLj2EEdLi32ELi8ELi256ELi64ELi4ELi64ELi4ELi4ELi64ELc78ELc78ELb1ELb0ELb1EdKPKdKPdEEviiiT16_PT17_ilSA_ilS8_SA_ilPT18_ili26rocblas_geam_ex_operation_.has_indirect_call, 0
	.section	.AMDGPU.csdata,"",@progbits
; Kernel info:
; codeLenInByte = 24440
; TotalNumSgprs: 29
; NumVgprs: 220
; NumAgprs: 0
; TotalNumVgprs: 220
; ScratchSize: 0
; MemoryBound: 0
; FloatMode: 240
; IeeeMode: 1
; LDSByteSize: 20480 bytes/workgroup (compile time only)
; SGPRBlocks: 3
; VGPRBlocks: 27
; NumSGPRsForWavesPerEU: 29
; NumVGPRsForWavesPerEU: 220
; AccumOffset: 220
; Occupancy: 2
; WaveLimiterHint : 1
; COMPUTE_PGM_RSRC2:SCRATCH_EN: 0
; COMPUTE_PGM_RSRC2:USER_SGPR: 2
; COMPUTE_PGM_RSRC2:TRAP_HANDLER: 0
; COMPUTE_PGM_RSRC2:TGID_X_EN: 1
; COMPUTE_PGM_RSRC2:TGID_Y_EN: 0
; COMPUTE_PGM_RSRC2:TGID_Z_EN: 1
; COMPUTE_PGM_RSRC2:TIDIG_COMP_CNT: 1
; COMPUTE_PGM_RSRC3_GFX90A:ACCUM_OFFSET: 54
; COMPUTE_PGM_RSRC3_GFX90A:TG_SPLIT: 0
	.section	.text._ZN12_GLOBAL__N_120geam_min_plus_kernelId15HIP_vector_typeIdLj2EEdLi32ELi8ELi256ELi64ELi4ELi64ELi4ELi4ELi64ELc78ELc78ELb0ELb0ELb1EdKPKdKPdEEviiiT16_PT17_ilSA_ilS8_SA_ilPT18_ili26rocblas_geam_ex_operation_,"axG",@progbits,_ZN12_GLOBAL__N_120geam_min_plus_kernelId15HIP_vector_typeIdLj2EEdLi32ELi8ELi256ELi64ELi4ELi64ELi4ELi4ELi64ELc78ELc78ELb0ELb0ELb1EdKPKdKPdEEviiiT16_PT17_ilSA_ilS8_SA_ilPT18_ili26rocblas_geam_ex_operation_,comdat
	.globl	_ZN12_GLOBAL__N_120geam_min_plus_kernelId15HIP_vector_typeIdLj2EEdLi32ELi8ELi256ELi64ELi4ELi64ELi4ELi4ELi64ELc78ELc78ELb0ELb0ELb1EdKPKdKPdEEviiiT16_PT17_ilSA_ilS8_SA_ilPT18_ili26rocblas_geam_ex_operation_ ; -- Begin function _ZN12_GLOBAL__N_120geam_min_plus_kernelId15HIP_vector_typeIdLj2EEdLi32ELi8ELi256ELi64ELi4ELi64ELi4ELi4ELi64ELc78ELc78ELb0ELb0ELb1EdKPKdKPdEEviiiT16_PT17_ilSA_ilS8_SA_ilPT18_ili26rocblas_geam_ex_operation_
	.p2align	8
	.type	_ZN12_GLOBAL__N_120geam_min_plus_kernelId15HIP_vector_typeIdLj2EEdLi32ELi8ELi256ELi64ELi4ELi64ELi4ELi4ELi64ELc78ELc78ELb0ELb0ELb1EdKPKdKPdEEviiiT16_PT17_ilSA_ilS8_SA_ilPT18_ili26rocblas_geam_ex_operation_,@function
_ZN12_GLOBAL__N_120geam_min_plus_kernelId15HIP_vector_typeIdLj2EEdLi32ELi8ELi256ELi64ELi4ELi64ELi4ELi4ELi64ELc78ELc78ELb0ELb0ELb1EdKPKdKPdEEviiiT16_PT17_ilSA_ilS8_SA_ilPT18_ili26rocblas_geam_ex_operation_: ; @_ZN12_GLOBAL__N_120geam_min_plus_kernelId15HIP_vector_typeIdLj2EEdLi32ELi8ELi256ELi64ELi4ELi64ELi4ELi4ELi64ELc78ELc78ELb0ELb0ELb1EdKPKdKPdEEviiiT16_PT17_ilSA_ilS8_SA_ilPT18_ili26rocblas_geam_ex_operation_
; %bb.0:
	s_load_dwordx4 s[12:15], s[0:1], 0x10
	s_load_dwordx4 s[16:19], s[0:1], 0x28
	s_mov_b32 s6, s3
	s_mov_b64 s[20:21], 0
	s_waitcnt lgkmcnt(0)
	v_cmp_eq_f64_e64 s[22:23], s[12:13], 0
	s_and_b64 s[4:5], exec, s[22:23]
	s_mov_b64 vcc, s[4:5]
	s_cbranch_vccnz .LBB107_2
; %bb.1:
	s_mov_b32 s7, 0
	s_lshl_b64 s[8:9], s[6:7], 3
	s_add_u32 s8, s14, s8
	s_addc_u32 s9, s15, s9
	s_load_dwordx2 s[8:9], s[8:9], 0x0
	s_lshl_b64 s[10:11], s[16:17], 3
	s_waitcnt lgkmcnt(0)
	s_add_u32 s20, s8, s10
	s_addc_u32 s21, s9, s11
.LBB107_2:
	s_load_dwordx4 s[8:11], s[0:1], 0x40
	s_load_dwordx2 s[24:25], s[0:1], 0x50
	s_andn2_b64 vcc, exec, s[22:23]
	s_mov_b32 s7, 0
	s_cbranch_vccnz .LBB107_4
; %bb.3:
	s_mov_b64 s[14:15], 0
	s_mov_b64 s[22:23], 0
	s_cbranch_execz .LBB107_5
	s_branch .LBB107_6
.LBB107_4:
	s_mov_b64 s[14:15], 0
	s_mov_b64 s[22:23], 0
.LBB107_5:
	s_lshl_b64 s[16:17], s[6:7], 3
	s_add_u32 s16, s18, s16
	s_addc_u32 s17, s19, s17
	s_load_dwordx2 s[16:17], s[16:17], 0x0
	s_waitcnt lgkmcnt(0)
	s_lshl_b64 s[8:9], s[8:9], 3
	s_add_u32 s22, s16, s8
	s_addc_u32 s23, s17, s9
.LBB107_6:
	s_load_dwordx4 s[16:19], s[0:1], 0x60
	s_waitcnt lgkmcnt(0)
	v_cmp_eq_f64_e64 s[8:9], s[10:11], 0
	s_and_b64 s[8:9], exec, s[8:9]
	v_cmp_neq_f64_e64 s[26:27], s[12:13], 0
	s_mov_b64 vcc, s[8:9]
	s_cbranch_vccnz .LBB107_8
; %bb.7:
	s_lshl_b64 s[14:15], s[6:7], 3
	s_add_u32 s14, s24, s14
	s_addc_u32 s15, s25, s15
	s_load_dwordx2 s[14:15], s[14:15], 0x0
	s_lshl_b64 s[16:17], s[16:17], 3
	s_waitcnt lgkmcnt(0)
	s_add_u32 s14, s14, s16
	s_addc_u32 s15, s15, s17
.LBB107_8:
	s_load_dword s3, s[0:1], 0x0
	s_load_dword s24, s[0:1], 0x20
	s_lshl_b64 s[6:7], s[6:7], 3
	s_add_u32 s18, s18, s6
	s_addc_u32 s19, s19, s7
	s_waitcnt lgkmcnt(0)
	s_add_i32 s3, s3, -1
	s_ashr_i32 s6, s3, 31
	s_lshr_b32 s6, s6, 24
	s_add_i32 s3, s3, s6
	s_ashr_i32 s3, s3, 8
	s_add_i32 s6, s3, 1
	v_cvt_f32_u32_e32 v1, s6
	v_and_b32_e32 v152, 0x3ff, v0
	v_bfe_u32 v153, v0, 10, 10
	s_not_b32 s3, s3
	v_rcp_iflag_f32_e32 v1, v1
	v_lshl_add_u32 v14, v153, 5, v152
	v_lshrrev_b32_e32 v112, 6, v14
	v_and_b32_e32 v113, 63, v14
	v_mul_f32_e32 v0, 0x4f7ffffe, v1
	v_cvt_u32_f32_e32 v0, v0
	s_nop 0
	v_readfirstlane_b32 s7, v0
	s_mul_i32 s3, s3, s7
	s_mul_hi_u32 s3, s7, s3
	s_add_i32 s7, s7, s3
	s_mul_hi_u32 s3, s2, s7
	s_mul_i32 s7, s3, s6
	s_sub_i32 s7, s2, s7
	s_add_i32 s16, s3, 1
	s_sub_i32 s17, s7, s6
	s_cmp_ge_u32 s7, s6
	s_cselect_b32 s3, s16, s3
	s_cselect_b32 s7, s17, s7
	s_add_i32 s16, s3, 1
	s_cmp_ge_u32 s7, s6
	s_cselect_b32 s30, s16, s3
	s_mul_i32 s3, s30, s6
	s_sub_i32 s6, s2, s3
	s_lshl_b32 s28, s6, 8
	v_mad_i64_i32 v[0:1], s[6:7], s24, v112, 0
	v_or_b32_e32 v4, s28, v113
	v_lshl_add_u64 v[12:13], v[0:1], 3, s[20:21]
	v_cndmask_b32_e64 v0, 0, 1, s[26:27]
	v_cmp_ne_u32_e64 s[6:7], 1, v0
	s_andn2_b64 vcc, exec, s[26:27]
	v_ashrrev_i32_e32 v5, 31, v4
	s_cbranch_vccnz .LBB107_11
; %bb.9:
	v_lshl_add_u64 v[0:1], v[4:5], 3, v[12:13]
	flat_load_dwordx2 v[2:3], v[0:1]
	flat_load_dwordx2 v[6:7], v[0:1] offset:512
	s_waitcnt vmcnt(0) lgkmcnt(0)
	v_mul_f64 v[2:3], s[12:13], v[2:3]
	v_mul_f64 v[0:1], s[12:13], v[6:7]
	s_ashr_i32 s25, s24, 31
	s_mov_b64 vcc, s[4:5]
	s_cbranch_vccz .LBB107_12
.LBB107_10:
	s_mov_b32 s16, 0
	v_mov_b32_e32 v6, s16
	v_mov_b32_e32 v7, s16
	v_mov_b64_e32 v[8:9], 0
	v_mov_b64_e32 v[10:11], 0
	s_cbranch_execz .LBB107_13
	s_branch .LBB107_14
.LBB107_11:
	v_mov_b64_e32 v[0:1], 0
	v_mov_b64_e32 v[2:3], v[0:1]
	s_ashr_i32 s25, s24, 31
	s_mov_b64 vcc, s[4:5]
	s_cbranch_vccnz .LBB107_10
.LBB107_12:
                                        ; implicit-def: $vgpr6_vgpr7
	v_mov_b64_e32 v[8:9], 0
	v_mov_b64_e32 v[10:11], 0
.LBB107_13:
	v_lshl_add_u64 v[6:7], v[4:5], 3, v[12:13]
	flat_load_dwordx2 v[10:11], v[6:7] offset:1024
	flat_load_dwordx2 v[12:13], v[6:7] offset:1536
	s_waitcnt vmcnt(0) lgkmcnt(0)
	v_mul_f64 v[6:7], s[12:13], v[10:11]
	v_mul_f64 v[10:11], s[12:13], v[12:13]
.LBB107_14:
	s_load_dword s29, s[0:1], 0x38
	v_and_b32_e32 v12, 3, v152
	v_lshrrev_b32_e32 v14, 2, v14
	s_lshl_b32 s26, s30, 6
	s_and_b64 vcc, exec, s[6:7]
	v_add_u32_e32 v114, s26, v14
	v_lshlrev_b32_e32 v100, 3, v12
	s_cbranch_vccnz .LBB107_16
; %bb.15:
	s_waitcnt lgkmcnt(0)
	v_mad_i64_i32 v[8:9], s[16:17], v114, s29, 0
	v_lshl_add_u64 v[8:9], v[8:9], 3, s[22:23]
	v_mov_b32_e32 v101, 0
	v_lshl_add_u64 v[8:9], v[8:9], 0, v[100:101]
	flat_load_dwordx2 v[8:9], v[8:9]
	s_waitcnt vmcnt(0) lgkmcnt(0)
	v_mul_f64 v[8:9], s[12:13], v[8:9]
.LBB107_16:
	v_add_u32_e32 v12, 4, v112
	v_mad_i64_i32 v[12:13], s[16:17], s24, v12, 0
	s_and_b64 vcc, exec, s[6:7]
	v_lshl_add_u64 v[12:13], v[12:13], 3, s[20:21]
	s_cbranch_vccnz .LBB107_19
; %bb.17:
	v_lshl_add_u64 v[16:17], v[4:5], 3, v[12:13]
	flat_load_dwordx2 v[18:19], v[16:17]
	flat_load_dwordx2 v[20:21], v[16:17] offset:512
	s_waitcnt vmcnt(0) lgkmcnt(0)
	v_mul_f64 v[106:107], s[12:13], v[18:19]
	v_mul_f64 v[104:105], s[12:13], v[20:21]
	s_mov_b64 vcc, s[4:5]
	s_cbranch_vccz .LBB107_20
.LBB107_18:
	s_mov_b32 s16, 0
	v_mov_b32_e32 v108, s16
	v_mov_b32_e32 v109, s16
	v_mov_b64_e32 v[102:103], 0
	v_mov_b64_e32 v[110:111], 0
	s_cbranch_execz .LBB107_21
	s_branch .LBB107_22
.LBB107_19:
	v_mov_b64_e32 v[104:105], 0
	v_mov_b64_e32 v[106:107], v[104:105]
	s_mov_b64 vcc, s[4:5]
	s_cbranch_vccnz .LBB107_18
.LBB107_20:
                                        ; implicit-def: $vgpr108_vgpr109
	v_mov_b64_e32 v[102:103], 0
	v_mov_b64_e32 v[110:111], 0
.LBB107_21:
	v_lshl_add_u64 v[4:5], v[4:5], 3, v[12:13]
	flat_load_dwordx2 v[12:13], v[4:5] offset:1024
	flat_load_dwordx2 v[16:17], v[4:5] offset:1536
	s_waitcnt vmcnt(0) lgkmcnt(0)
	v_mul_f64 v[108:109], s[12:13], v[12:13]
	v_mul_f64 v[110:111], s[12:13], v[16:17]
.LBB107_22:
	s_and_b64 vcc, exec, s[6:7]
	s_cbranch_vccnz .LBB107_24
; %bb.23:
	s_waitcnt lgkmcnt(0)
	v_mad_i64_i32 v[4:5], s[16:17], v114, s29, 0
	v_lshl_add_u64 v[4:5], v[4:5], 3, s[22:23]
	v_mov_b32_e32 v101, 0
	v_lshl_add_u64 v[4:5], v[4:5], 0, v[100:101]
	flat_load_dwordx2 v[4:5], v[4:5] offset:32
	s_waitcnt vmcnt(0) lgkmcnt(0)
	v_mul_f64 v[102:103], s[12:13], v[4:5]
.LBB107_24:
	v_lshlrev_b32_e32 v4, 5, v113
	v_lshl_add_u32 v159, v112, 3, v4
	v_lshl_or_b32 v101, v14, 5, v100
	v_lshlrev_b32_e32 v155, 5, v152
	s_load_dwordx2 s[16:17], s[18:19], 0x0
	s_load_dword s27, s[0:1], 0x8
	ds_write2st64_b64 v159, v[2:3], v[0:1] offset1:4
	ds_write2st64_b64 v159, v[6:7], v[10:11] offset0:8 offset1:12
	ds_write_b64 v101, v[8:9] offset:16384
	s_waitcnt lgkmcnt(0)
	s_barrier
	v_lshlrev_b32_e32 v154, 5, v153
	ds_read_b128 v[32:35], v155 offset:1024
	ds_read_b128 v[28:31], v155 offset:2048
	;; [unrolled: 1-line block ×12, first 2 shown]
	ds_read_b128 v[40:43], v155
	ds_read_b128 v[96:99], v154 offset:16384
	ds_read_b128 v[44:47], v154 offset:17920
	;; [unrolled: 1-line block ×5, first 2 shown]
	s_waitcnt lgkmcnt(5)
	v_add_f64 v[116:117], v[42:43], v[94:95]
	v_add_f64 v[118:119], v[40:41], v[92:93]
	s_mov_b32 s18, 0x7f800000
	v_cvt_f32_f64_e32 v118, v[118:119]
	v_cvt_f32_f64_e32 v116, v[116:117]
	v_min3_f32 v176, v118, v116, s18
	v_add_f64 v[116:117], v[34:35], v[94:95]
	v_add_f64 v[118:119], v[32:33], v[92:93]
	v_cvt_f32_f64_e32 v118, v[118:119]
	v_cvt_f32_f64_e32 v116, v[116:117]
	v_min3_f32 v177, v118, v116, s18
	v_add_f64 v[116:117], v[30:31], v[94:95]
	v_add_f64 v[118:119], v[28:29], v[92:93]
	;; [unrolled: 5-line block ×34, first 2 shown]
	v_cvt_f32_f64_e32 v118, v[118:119]
	v_cvt_f32_f64_e32 v116, v[116:117]
	v_min3_f32 v122, v118, v116, s18
	s_waitcnt lgkmcnt(3)
	v_add_f64 v[116:117], v[42:43], v[46:47]
	v_add_f64 v[118:119], v[40:41], v[44:45]
	v_cvt_f32_f64_e32 v118, v[118:119]
	v_cvt_f32_f64_e32 v116, v[116:117]
	v_min3_f32 v128, v118, v116, s18
	v_add_f64 v[116:117], v[34:35], v[46:47]
	v_add_f64 v[118:119], v[32:33], v[44:45]
	v_cvt_f32_f64_e32 v118, v[118:119]
	v_cvt_f32_f64_e32 v116, v[116:117]
	v_min3_f32 v125, v118, v116, s18
	;; [unrolled: 5-line block ×3, first 2 shown]
	v_add_f64 v[116:117], v[26:27], v[46:47]
	v_add_f64 v[118:119], v[24:25], v[44:45]
	v_cvt_f32_f64_e32 v118, v[118:119]
	v_cvt_f32_f64_e32 v116, v[116:117]
	v_add_f64 v[56:57], v[42:43], v[98:99]
	v_add_f64 v[58:59], v[40:41], v[96:97]
	v_min3_f32 v121, v118, v116, s18
	v_add_f64 v[116:117], v[22:23], v[46:47]
	v_add_f64 v[118:119], v[20:21], v[44:45]
	v_cvt_f32_f64_e32 v58, v[58:59]
	v_cvt_f32_f64_e32 v56, v[56:57]
	;; [unrolled: 1-line block ×4, first 2 shown]
	v_min3_f32 v115, v58, v56, s18
	ds_read_b128 v[56:59], v155 offset:1040
	v_add_f64 v[60:61], v[34:35], v[98:99]
	v_add_f64 v[62:63], v[32:33], v[96:97]
	v_min3_f32 v119, v118, v116, s18
	v_add_f64 v[116:117], v[18:19], v[46:47]
	v_add_f64 v[168:169], v[16:17], v[44:45]
	v_cvt_f32_f64_e32 v62, v[62:63]
	v_cvt_f32_f64_e32 v60, v[60:61]
	;; [unrolled: 1-line block ×4, first 2 shown]
	v_min3_f32 v167, v62, v60, s18
	ds_read_b128 v[60:63], v155 offset:2064
	v_add_f64 v[64:65], v[30:31], v[98:99]
	v_add_f64 v[66:67], v[28:29], v[96:97]
	;; [unrolled: 1-line block ×22, first 2 shown]
	v_min3_f32 v118, v118, v116, s18
	v_add_f64 v[116:117], v[14:15], v[46:47]
	v_add_f64 v[168:169], v[12:13], v[44:45]
	v_add_f64 v[46:47], v[10:11], v[46:47]
	v_add_f64 v[44:45], v[8:9], v[44:45]
	s_waitcnt lgkmcnt(4)
	v_add_f64 v[14:15], v[14:15], v[38:39]
	v_add_f64 v[12:13], v[12:13], v[36:37]
	;; [unrolled: 1-line block ×4, first 2 shown]
	v_cvt_f32_f64_e32 v66, v[66:67]
	v_cvt_f32_f64_e32 v64, v[64:65]
	;; [unrolled: 1-line block ×6, first 2 shown]
	s_waitcnt lgkmcnt(2)
	v_add_f64 v[10:11], v[2:3], v[6:7]
	v_add_f64 v[14:15], v[0:1], v[4:5]
	v_min3_f32 v170, v66, v64, s18
	ds_read_b128 v[64:67], v155 offset:3088
	v_cvt_f32_f64_e32 v168, v[168:169]
	v_cvt_f32_f64_e32 v116, v[116:117]
	;; [unrolled: 1-line block ×4, first 2 shown]
	v_min3_f32 v8, v8, v9, s18
	v_cvt_f32_f64_e32 v9, v[14:15]
	v_cvt_f32_f64_e32 v10, v[10:11]
	;; [unrolled: 1-line block ×4, first 2 shown]
	v_min3_f32 v117, v168, v116, s18
	v_min3_f32 v116, v44, v45, s18
	ds_read_b128 v[44:47], v154 offset:18192
	v_min3_f32 v226, v9, v10, v115
	s_waitcnt lgkmcnt(3)
	v_add_f64 v[10:11], v[58:59], v[6:7]
	v_add_f64 v[14:15], v[56:57], v[4:5]
	v_min3_f32 v171, v70, v68, s18
	ds_read_b128 v[68:71], v155 offset:4112
	v_cvt_f32_f64_e32 v9, v[14:15]
	v_cvt_f32_f64_e32 v10, v[10:11]
	;; [unrolled: 1-line block ×4, first 2 shown]
	v_min3_f32 v224, v9, v10, v167
	s_waitcnt lgkmcnt(3)
	v_add_f64 v[10:11], v[62:63], v[6:7]
	v_add_f64 v[14:15], v[60:61], v[4:5]
	v_min3_f32 v172, v74, v72, s18
	ds_read_b128 v[72:75], v155 offset:5136
	v_cvt_f32_f64_e32 v9, v[14:15]
	v_cvt_f32_f64_e32 v10, v[10:11]
	;; [unrolled: 1-line block ×6, first 2 shown]
	v_min3_f32 v225, v9, v10, v170
	s_waitcnt lgkmcnt(3)
	v_add_f64 v[10:11], v[66:67], v[6:7]
	v_add_f64 v[14:15], v[64:65], v[4:5]
	v_min3_f32 v173, v78, v76, s18
	ds_read_b128 v[76:79], v155 offset:6160
	v_min3_f32 v174, v82, v80, s18
	ds_read_b128 v[80:83], v155 offset:7184
	v_cvt_f32_f64_e32 v9, v[14:15]
	v_cvt_f32_f64_e32 v10, v[10:11]
	v_cvt_f32_f64_e32 v96, v[96:97]
	v_cvt_f32_f64_e32 v97, v[98:99]
	v_min3_f32 v222, v9, v10, v171
	s_waitcnt lgkmcnt(3)
	v_add_f64 v[10:11], v[70:71], v[6:7]
	v_add_f64 v[14:15], v[68:69], v[4:5]
	v_min3_f32 v175, v96, v97, s18
	ds_read_b128 v[96:99], v154 offset:16656
	v_cvt_f32_f64_e32 v9, v[14:15]
	v_cvt_f32_f64_e32 v10, v[10:11]
	v_min3_f32 v223, v9, v10, v172
	s_waitcnt lgkmcnt(3)
	v_add_f64 v[10:11], v[74:75], v[6:7]
	v_add_f64 v[14:15], v[72:73], v[4:5]
	v_cvt_f32_f64_e32 v9, v[14:15]
	v_cvt_f32_f64_e32 v10, v[10:11]
	v_min3_f32 v220, v9, v10, v173
	s_waitcnt lgkmcnt(2)
	v_add_f64 v[10:11], v[78:79], v[6:7]
	v_add_f64 v[14:15], v[76:77], v[4:5]
	s_waitcnt lgkmcnt(1)
	v_add_f64 v[6:7], v[82:83], v[6:7]
	v_add_f64 v[4:5], v[80:81], v[4:5]
	v_cvt_f32_f64_e32 v92, v[92:93]
	v_cvt_f32_f64_e32 v93, v[94:95]
	;; [unrolled: 1-line block ×4, first 2 shown]
	v_min3_f32 v151, v92, v93, s18
	ds_read_b128 v[92:95], v154 offset:16912
	v_min3_f32 v213, v4, v5, v175
	s_waitcnt lgkmcnt(1)
	v_add_f64 v[4:5], v[2:3], v[98:99]
	v_add_f64 v[6:7], v[0:1], v[96:97]
	v_cvt_f32_f64_e32 v6, v[6:7]
	v_cvt_f32_f64_e32 v4, v[4:5]
	v_min3_f32 v212, v6, v4, v176
	v_add_f64 v[4:5], v[58:59], v[98:99]
	v_add_f64 v[6:7], v[56:57], v[96:97]
	v_cvt_f32_f64_e32 v6, v[6:7]
	v_cvt_f32_f64_e32 v4, v[4:5]
	v_min3_f32 v211, v6, v4, v177
	;; [unrolled: 5-line block ×8, first 2 shown]
	s_waitcnt lgkmcnt(0)
	v_add_f64 v[4:5], v[2:3], v[94:95]
	v_add_f64 v[6:7], v[0:1], v[92:93]
	v_cvt_f32_f64_e32 v6, v[6:7]
	v_cvt_f32_f64_e32 v4, v[4:5]
	v_min3_f32 v204, v6, v4, v164
	v_add_f64 v[4:5], v[58:59], v[94:95]
	v_add_f64 v[6:7], v[56:57], v[92:93]
	v_cvt_f32_f64_e32 v6, v[6:7]
	v_cvt_f32_f64_e32 v4, v[4:5]
	v_min3_f32 v203, v6, v4, v162
	;; [unrolled: 5-line block ×4, first 2 shown]
	v_add_f64 v[4:5], v[70:71], v[94:95]
	v_add_f64 v[6:7], v[68:69], v[92:93]
	v_cvt_f32_f64_e32 v6, v[6:7]
	v_cvt_f32_f64_e32 v4, v[4:5]
	;; [unrolled: 1-line block ×4, first 2 shown]
	v_min3_f32 v200, v6, v4, v150
	v_add_f64 v[4:5], v[74:75], v[94:95]
	v_add_f64 v[6:7], v[72:73], v[92:93]
	v_min3_f32 v143, v88, v89, s18
	ds_read_b128 v[88:91], v154 offset:17168
	v_cvt_f32_f64_e32 v6, v[6:7]
	v_cvt_f32_f64_e32 v4, v[4:5]
	v_min3_f32 v199, v6, v4, v148
	v_add_f64 v[4:5], v[78:79], v[94:95]
	v_add_f64 v[6:7], v[76:77], v[92:93]
	v_cvt_f32_f64_e32 v6, v[6:7]
	v_cvt_f32_f64_e32 v4, v[4:5]
	v_min3_f32 v198, v6, v4, v146
	v_add_f64 v[4:5], v[82:83], v[94:95]
	v_add_f64 v[6:7], v[80:81], v[92:93]
	v_cvt_f32_f64_e32 v84, v[84:85]
	v_cvt_f32_f64_e32 v85, v[86:87]
	;; [unrolled: 1-line block ×4, first 2 shown]
	v_min3_f32 v135, v84, v85, s18
	ds_read_b128 v[84:87], v154 offset:17424
	v_min3_f32 v197, v6, v4, v143
	s_waitcnt lgkmcnt(1)
	v_add_f64 v[4:5], v[2:3], v[90:91]
	v_add_f64 v[6:7], v[0:1], v[88:89]
	v_cvt_f32_f64_e32 v6, v[6:7]
	v_cvt_f32_f64_e32 v4, v[4:5]
	v_min3_f32 v196, v6, v4, v156
	v_add_f64 v[4:5], v[58:59], v[90:91]
	v_add_f64 v[6:7], v[56:57], v[88:89]
	v_cvt_f32_f64_e32 v6, v[6:7]
	v_cvt_f32_f64_e32 v4, v[4:5]
	v_min3_f32 v195, v6, v4, v149
	;; [unrolled: 5-line block ×8, first 2 shown]
	s_waitcnt lgkmcnt(0)
	v_add_f64 v[4:5], v[2:3], v[86:87]
	v_add_f64 v[6:7], v[0:1], v[84:85]
	v_cvt_f32_f64_e32 v6, v[6:7]
	v_cvt_f32_f64_e32 v4, v[4:5]
	v_min3_f32 v188, v6, v4, v144
	v_add_f64 v[4:5], v[58:59], v[86:87]
	v_add_f64 v[6:7], v[56:57], v[84:85]
	v_cvt_f32_f64_e32 v6, v[6:7]
	v_cvt_f32_f64_e32 v4, v[4:5]
	v_min3_f32 v187, v6, v4, v141
	;; [unrolled: 5-line block ×4, first 2 shown]
	v_add_f64 v[4:5], v[70:71], v[86:87]
	v_add_f64 v[6:7], v[68:69], v[84:85]
	v_cvt_f32_f64_e32 v6, v[6:7]
	v_cvt_f32_f64_e32 v4, v[4:5]
	;; [unrolled: 1-line block ×4, first 2 shown]
	v_min3_f32 v184, v6, v4, v134
	v_add_f64 v[4:5], v[74:75], v[86:87]
	v_add_f64 v[6:7], v[72:73], v[84:85]
	v_min3_f32 v127, v52, v53, s18
	ds_read_b128 v[52:55], v154 offset:17680
	v_cvt_f32_f64_e32 v6, v[6:7]
	v_cvt_f32_f64_e32 v4, v[4:5]
	v_min3_f32 v183, v6, v4, v132
	v_add_f64 v[4:5], v[78:79], v[86:87]
	v_add_f64 v[6:7], v[76:77], v[84:85]
	v_cvt_f32_f64_e32 v6, v[6:7]
	v_cvt_f32_f64_e32 v4, v[4:5]
	v_min3_f32 v182, v6, v4, v130
	v_add_f64 v[4:5], v[82:83], v[86:87]
	v_add_f64 v[6:7], v[80:81], v[84:85]
	v_cvt_f32_f64_e32 v48, v[48:49]
	v_cvt_f32_f64_e32 v49, v[50:51]
	;; [unrolled: 1-line block ×4, first 2 shown]
	v_min3_f32 v120, v48, v49, s18
	ds_read_b128 v[48:51], v154 offset:17936
	v_min3_f32 v181, v6, v4, v127
	s_waitcnt lgkmcnt(1)
	v_add_f64 v[4:5], v[2:3], v[54:55]
	v_add_f64 v[6:7], v[0:1], v[52:53]
	v_cvt_f32_f64_e32 v6, v[6:7]
	v_cvt_f32_f64_e32 v4, v[4:5]
	v_min3_f32 v180, v6, v4, v136
	v_add_f64 v[4:5], v[58:59], v[54:55]
	v_add_f64 v[6:7], v[56:57], v[52:53]
	v_cvt_f32_f64_e32 v6, v[6:7]
	v_cvt_f32_f64_e32 v4, v[4:5]
	v_min3_f32 v179, v6, v4, v133
	;; [unrolled: 5-line block ×6, first 2 shown]
	v_add_f64 v[4:5], v[78:79], v[54:55]
	v_add_f64 v[6:7], v[76:77], v[52:53]
	v_cvt_f32_f64_e32 v9, v[14:15]
	v_cvt_f32_f64_e32 v10, v[10:11]
	;; [unrolled: 1-line block ×4, first 2 shown]
	v_min3_f32 v221, v9, v10, v174
	v_min3_f32 v174, v6, v4, v122
	v_add_f64 v[4:5], v[82:83], v[54:55]
	v_add_f64 v[6:7], v[80:81], v[52:53]
	;; [unrolled: 1-line block ×4, first 2 shown]
	v_cvt_f32_f64_e32 v6, v[6:7]
	v_cvt_f32_f64_e32 v4, v[4:5]
	;; [unrolled: 1-line block ×4, first 2 shown]
	v_min3_f32 v173, v6, v4, v120
	s_waitcnt lgkmcnt(0)
	v_add_f64 v[4:5], v[2:3], v[50:51]
	v_add_f64 v[6:7], v[0:1], v[48:49]
	;; [unrolled: 1-line block ×4, first 2 shown]
	v_min3_f32 v40, v40, v41, s18
	v_add_f64 v[34:35], v[34:35], v[38:39]
	v_add_f64 v[32:33], v[32:33], v[36:37]
	v_cvt_f32_f64_e32 v6, v[6:7]
	v_cvt_f32_f64_e32 v4, v[4:5]
	v_cvt_f32_f64_e32 v0, v[0:1]
	v_cvt_f32_f64_e32 v1, v[2:3]
	v_cvt_f32_f64_e32 v32, v[32:33]
	v_cvt_f32_f64_e32 v33, v[34:35]
	v_min3_f32 v172, v6, v4, v128
	v_add_f64 v[4:5], v[58:59], v[50:51]
	v_add_f64 v[6:7], v[56:57], v[48:49]
	v_min3_f32 v164, v0, v1, v40
	v_add_f64 v[0:1], v[58:59], v[46:47]
	v_add_f64 v[2:3], v[56:57], v[44:45]
	v_min3_f32 v32, v32, v33, s18
	v_add_f64 v[30:31], v[30:31], v[38:39]
	v_add_f64 v[28:29], v[28:29], v[36:37]
	v_cvt_f32_f64_e32 v6, v[6:7]
	v_cvt_f32_f64_e32 v4, v[4:5]
	v_cvt_f32_f64_e32 v2, v[2:3]
	v_cvt_f32_f64_e32 v0, v[0:1]
	v_cvt_f32_f64_e32 v28, v[28:29]
	v_cvt_f32_f64_e32 v29, v[30:31]
	v_min3_f32 v171, v6, v4, v125
	v_add_f64 v[4:5], v[62:63], v[50:51]
	v_add_f64 v[6:7], v[60:61], v[48:49]
	v_min3_f32 v163, v2, v0, v32
	v_add_f64 v[0:1], v[62:63], v[46:47]
	v_add_f64 v[2:3], v[60:61], v[44:45]
	;; [unrolled: 15-line block ×5, first 2 shown]
	v_min3_f32 v16, v16, v17, s18
	v_cvt_f32_f64_e32 v6, v[6:7]
	v_cvt_f32_f64_e32 v4, v[4:5]
	;; [unrolled: 1-line block ×4, first 2 shown]
	v_min3_f32 v167, v6, v4, v118
	v_add_f64 v[4:5], v[78:79], v[50:51]
	v_add_f64 v[6:7], v[76:77], v[48:49]
	v_min3_f32 v158, v2, v0, v16
	v_add_f64 v[0:1], v[78:79], v[46:47]
	v_add_f64 v[2:3], v[76:77], v[44:45]
	v_min3_f32 v12, v12, v13, s18
	v_cvt_f32_f64_e32 v6, v[6:7]
	v_cvt_f32_f64_e32 v4, v[4:5]
	;; [unrolled: 1-line block ×4, first 2 shown]
	v_min3_f32 v166, v6, v4, v117
	v_add_f64 v[4:5], v[82:83], v[50:51]
	v_add_f64 v[6:7], v[80:81], v[48:49]
	v_min3_f32 v157, v2, v0, v12
	v_add_f64 v[0:1], v[82:83], v[46:47]
	v_add_f64 v[2:3], v[80:81], v[44:45]
	v_cvt_f32_f64_e32 v6, v[6:7]
	v_cvt_f32_f64_e32 v4, v[4:5]
	;; [unrolled: 1-line block ×4, first 2 shown]
	v_min3_f32 v165, v6, v4, v116
	v_min3_f32 v156, v2, v0, v8
	s_cmp_lt_i32 s27, 9
	ds_write2st64_b64 v159, v[106:107], v[104:105] offset0:16 offset1:20
	ds_write2st64_b64 v159, v[108:109], v[110:111] offset0:24 offset1:28
	ds_write_b64 v101, v[102:103] offset:18432
	s_waitcnt lgkmcnt(0)
	s_barrier
	s_cbranch_scc1 .LBB107_47
; %bb.25:
	v_mov_b32_e32 v0, 0x2000
	v_lshl_add_u32 v218, v152, 5, v0
	v_mov_b32_e32 v0, 0x4800
	v_add_u32_e32 v214, 0x4000, v101
	v_add_u32_e32 v217, 0x4800, v101
	v_lshl_add_u32 v219, v153, 5, v0
	v_mad_i64_i32 v[0:1], s[18:19], s29, v114, 0
	v_mov_b32_e32 v101, 0
	v_lshl_add_u64 v[0:1], v[0:1], 3, v[100:101]
	v_lshl_add_u64 v[0:1], s[22:23], 0, v[0:1]
	;; [unrolled: 1-line block ×3, first 2 shown]
	v_add_u32_e32 v0, 12, v112
	v_mad_i64_i32 v[0:1], s[18:19], v0, s24, 0
	v_lshlrev_b64 v[138:139], 3, v[0:1]
	v_lshl_or_b32 v0, s2, 8, v113
	s_lshl_b32 s2, s3, 8
	v_subrev_u32_e32 v0, s2, v0
	v_ashrrev_i32_e32 v1, 31, v0
	v_lshl_add_u64 v[140:141], v[0:1], 3, s[20:21]
	v_add_u32_e32 v0, 8, v112
	v_mad_i64_i32 v[0:1], s[18:19], v0, s24, 0
	v_add_u32_e32 v215, 0x4000, v154
	v_add_u32_e32 v216, 0x2000, v159
	s_add_i32 s27, s27, -8
	s_lshl_b64 s[2:3], s[24:25], 6
	v_lshlrev_b64 v[142:143], 3, v[0:1]
	s_mov_b32 s20, 0
	s_mov_b32 s21, 0
	s_branch .LBB107_27
.LBB107_26:                             ;   in Loop: Header=BB107_27 Depth=1
	v_add_f64 v[2:3], v[106:107], v[134:135]
	v_add_f64 v[4:5], v[104:105], v[132:133]
	v_cvt_f32_f64_e32 v4, v[4:5]
	v_cvt_f32_f64_e32 v2, v[2:3]
	v_min3_f32 v6, v4, v2, v226
	v_add_f64 v[2:3], v[102:103], v[134:135]
	v_add_f64 v[4:5], v[100:101], v[132:133]
	v_cvt_f32_f64_e32 v4, v[4:5]
	v_cvt_f32_f64_e32 v2, v[2:3]
	v_min3_f32 v7, v4, v2, v224
	;; [unrolled: 5-line block ×128, first 2 shown]
	ds_read_b128 v[38:41], v155 offset:1024
	ds_read_b128 v[34:37], v155 offset:2048
	;; [unrolled: 1-line block ×12, first 2 shown]
	ds_read_b128 v[98:101], v215
	ds_read_b128 v[50:53], v155
	ds_read_b128 v[74:77], v215 offset:1536
	ds_read_b128 v[26:29], v215 offset:1792
	;; [unrolled: 1-line block ×4, first 2 shown]
	s_waitcnt lgkmcnt(5)
	v_add_f64 v[46:47], v[40:41], v[100:101]
	v_add_f64 v[48:49], v[38:39], v[98:99]
	;; [unrolled: 1-line block ×4, first 2 shown]
	v_cvt_f32_f64_e32 v48, v[48:49]
	v_cvt_f32_f64_e32 v46, v[46:47]
	;; [unrolled: 1-line block ×4, first 2 shown]
	v_min3_f32 v185, v48, v46, v72
	v_min3_f32 v186, v56, v54, v73
	v_add_f64 v[58:59], v[32:33], v[100:101]
	v_add_f64 v[60:61], v[30:31], v[98:99]
	;; [unrolled: 1-line block ×8, first 2 shown]
	v_cvt_f32_f64_e32 v60, v[60:61]
	v_cvt_f32_f64_e32 v58, v[58:59]
	;; [unrolled: 1-line block ×8, first 2 shown]
	v_min3_f32 v187, v60, v58, v102
	v_min3_f32 v188, v64, v62, v103
	;; [unrolled: 1-line block ×4, first 2 shown]
	s_waitcnt lgkmcnt(4)
	v_add_f64 v[102:103], v[52:53], v[96:97]
	v_add_f64 v[104:105], v[50:51], v[94:95]
	v_cvt_f32_f64_e32 v104, v[104:105]
	v_cvt_f32_f64_e32 v102, v[102:103]
	v_min3_f32 v107, v104, v102, v107
	v_add_f64 v[102:103], v[40:41], v[96:97]
	v_add_f64 v[104:105], v[38:39], v[94:95]
	v_cvt_f32_f64_e32 v104, v[104:105]
	v_cvt_f32_f64_e32 v102, v[102:103]
	v_min3_f32 v108, v104, v102, v108
	;; [unrolled: 5-line block ×35, first 2 shown]
	s_waitcnt lgkmcnt(3)
	v_add_f64 v[102:103], v[52:53], v[76:77]
	v_add_f64 v[104:105], v[50:51], v[74:75]
	v_cvt_f32_f64_e32 v104, v[104:105]
	v_cvt_f32_f64_e32 v102, v[102:103]
	v_min3_f32 v168, v104, v102, v168
	v_add_f64 v[102:103], v[40:41], v[76:77]
	v_add_f64 v[104:105], v[38:39], v[74:75]
	v_cvt_f32_f64_e32 v104, v[104:105]
	v_cvt_f32_f64_e32 v102, v[102:103]
	v_min3_f32 v169, v104, v102, v169
	;; [unrolled: 5-line block ×4, first 2 shown]
	v_add_f64 v[102:103], v[24:25], v[76:77]
	v_add_f64 v[104:105], v[22:23], v[74:75]
	;; [unrolled: 1-line block ×4, first 2 shown]
	v_cvt_f32_f64_e32 v104, v[104:105]
	v_cvt_f32_f64_e32 v102, v[102:103]
	;; [unrolled: 1-line block ×4, first 2 shown]
	v_min3_f32 v228, v104, v102, v172
	v_add_f64 v[102:103], v[20:21], v[76:77]
	v_add_f64 v[104:105], v[18:19], v[74:75]
	v_min3_f32 v184, v44, v42, v204
	ds_read_b128 v[42:45], v155 offset:1040
	ds_read_b128 v[46:49], v155 offset:2064
	v_cvt_f32_f64_e32 v104, v[104:105]
	v_cvt_f32_f64_e32 v102, v[102:103]
	v_add_f64 v[100:101], v[12:13], v[100:101]
	v_add_f64 v[98:99], v[10:11], v[98:99]
	v_add_f64 v[96:97], v[12:13], v[96:97]
	v_add_f64 v[94:95], v[10:11], v[94:95]
	v_add_f64 v[92:93], v[12:13], v[92:93]
	v_add_f64 v[90:91], v[10:11], v[90:91]
	v_add_f64 v[88:89], v[12:13], v[88:89]
	v_add_f64 v[86:87], v[10:11], v[86:87]
	v_add_f64 v[84:85], v[12:13], v[84:85]
	v_add_f64 v[82:83], v[10:11], v[82:83]
	v_add_f64 v[80:81], v[12:13], v[80:81]
	v_add_f64 v[78:79], v[10:11], v[78:79]
	v_min3_f32 v229, v104, v102, v173
	v_add_f64 v[102:103], v[16:17], v[76:77]
	v_add_f64 v[104:105], v[14:15], v[74:75]
	;; [unrolled: 1-line block ×4, first 2 shown]
	s_waitcnt lgkmcnt(4)
	v_add_f64 v[16:17], v[16:17], v[28:29]
	v_add_f64 v[14:15], v[14:15], v[26:27]
	v_add_f64 v[12:13], v[12:13], v[28:29]
	v_add_f64 v[10:11], v[10:11], v[26:27]
	v_cvt_f32_f64_e32 v14, v[14:15]
	v_cvt_f32_f64_e32 v15, v[16:17]
	;; [unrolled: 1-line block ×4, first 2 shown]
	v_min3_f32 v14, v14, v15, v182
	v_min3_f32 v15, v10, v11, v183
	s_waitcnt lgkmcnt(2)
	v_add_f64 v[10:11], v[4:5], v[8:9]
	v_add_f64 v[12:13], v[2:3], v[6:7]
	ds_read_b128 v[54:57], v155 offset:3088
	ds_read_b128 v[58:61], v155 offset:4112
	v_cvt_f32_f64_e32 v12, v[12:13]
	v_cvt_f32_f64_e32 v10, v[10:11]
	v_min3_f32 v226, v12, v10, v184
	s_waitcnt lgkmcnt(3)
	v_add_f64 v[10:11], v[44:45], v[8:9]
	v_add_f64 v[12:13], v[42:43], v[6:7]
	v_cvt_f32_f64_e32 v12, v[12:13]
	v_cvt_f32_f64_e32 v10, v[10:11]
	v_min3_f32 v224, v12, v10, v185
	s_waitcnt lgkmcnt(2)
	v_add_f64 v[10:11], v[48:49], v[8:9]
	v_add_f64 v[12:13], v[46:47], v[6:7]
	ds_read_b128 v[62:65], v155 offset:5136
	ds_read_b128 v[66:69], v155 offset:6160
	v_cvt_f32_f64_e32 v12, v[12:13]
	v_cvt_f32_f64_e32 v10, v[10:11]
	v_min3_f32 v225, v12, v10, v186
	s_waitcnt lgkmcnt(3)
	v_add_f64 v[10:11], v[56:57], v[8:9]
	v_add_f64 v[12:13], v[54:55], v[6:7]
	ds_read_b128 v[70:73], v155 offset:7184
	v_cvt_f32_f64_e32 v12, v[12:13]
	v_cvt_f32_f64_e32 v10, v[10:11]
	;; [unrolled: 1-line block ×4, first 2 shown]
	v_min3_f32 v222, v12, v10, v187
	s_waitcnt lgkmcnt(3)
	v_add_f64 v[10:11], v[60:61], v[8:9]
	v_add_f64 v[12:13], v[58:59], v[6:7]
	v_min3_f32 v106, v98, v99, v106
	ds_read_b128 v[98:101], v215 offset:272
	v_cvt_f32_f64_e32 v12, v[12:13]
	v_cvt_f32_f64_e32 v10, v[10:11]
	v_min3_f32 v223, v12, v10, v188
	s_waitcnt lgkmcnt(3)
	v_add_f64 v[10:11], v[64:65], v[8:9]
	v_add_f64 v[12:13], v[62:63], v[6:7]
	v_cvt_f32_f64_e32 v12, v[12:13]
	v_cvt_f32_f64_e32 v10, v[10:11]
	v_min3_f32 v220, v12, v10, v189
	s_waitcnt lgkmcnt(2)
	v_add_f64 v[10:11], v[68:69], v[8:9]
	v_add_f64 v[12:13], v[66:67], v[6:7]
	s_waitcnt lgkmcnt(1)
	v_add_f64 v[8:9], v[72:73], v[8:9]
	v_add_f64 v[6:7], v[70:71], v[6:7]
	v_cvt_f32_f64_e32 v6, v[6:7]
	v_cvt_f32_f64_e32 v7, v[8:9]
	v_min3_f32 v213, v6, v7, v106
	s_waitcnt lgkmcnt(0)
	v_add_f64 v[6:7], v[4:5], v[100:101]
	v_add_f64 v[8:9], v[2:3], v[98:99]
	v_cvt_f32_f64_e32 v8, v[8:9]
	v_cvt_f32_f64_e32 v6, v[6:7]
	v_min3_f32 v212, v8, v6, v107
	v_add_f64 v[6:7], v[44:45], v[100:101]
	v_add_f64 v[8:9], v[42:43], v[98:99]
	v_cvt_f32_f64_e32 v8, v[8:9]
	v_cvt_f32_f64_e32 v6, v[6:7]
	v_min3_f32 v211, v8, v6, v108
	;; [unrolled: 5-line block ×4, first 2 shown]
	v_add_f64 v[6:7], v[60:61], v[100:101]
	v_add_f64 v[8:9], v[58:59], v[98:99]
	v_cvt_f32_f64_e32 v8, v[8:9]
	v_cvt_f32_f64_e32 v6, v[6:7]
	;; [unrolled: 1-line block ×4, first 2 shown]
	v_min3_f32 v208, v8, v6, v111
	v_add_f64 v[6:7], v[64:65], v[100:101]
	v_add_f64 v[8:9], v[62:63], v[98:99]
	v_min3_f32 v114, v94, v95, v114
	ds_read_b128 v[94:97], v215 offset:528
	v_cvt_f32_f64_e32 v8, v[8:9]
	v_cvt_f32_f64_e32 v6, v[6:7]
	v_min3_f32 v207, v8, v6, v112
	v_add_f64 v[6:7], v[68:69], v[100:101]
	v_add_f64 v[8:9], v[66:67], v[98:99]
	v_cvt_f32_f64_e32 v8, v[8:9]
	v_cvt_f32_f64_e32 v6, v[6:7]
	v_min3_f32 v206, v8, v6, v113
	v_add_f64 v[6:7], v[72:73], v[100:101]
	v_add_f64 v[8:9], v[70:71], v[98:99]
	v_cvt_f32_f64_e32 v90, v[90:91]
	v_cvt_f32_f64_e32 v91, v[92:93]
	;; [unrolled: 1-line block ×4, first 2 shown]
	v_min3_f32 v122, v90, v91, v122
	ds_read_b128 v[90:93], v215 offset:784
	v_min3_f32 v205, v8, v6, v114
	s_waitcnt lgkmcnt(1)
	v_add_f64 v[6:7], v[4:5], v[96:97]
	v_add_f64 v[8:9], v[2:3], v[94:95]
	v_cvt_f32_f64_e32 v8, v[8:9]
	v_cvt_f32_f64_e32 v6, v[6:7]
	v_min3_f32 v204, v8, v6, v115
	v_add_f64 v[6:7], v[44:45], v[96:97]
	v_add_f64 v[8:9], v[42:43], v[94:95]
	v_cvt_f32_f64_e32 v8, v[8:9]
	v_cvt_f32_f64_e32 v6, v[6:7]
	v_min3_f32 v203, v8, v6, v116
	;; [unrolled: 5-line block ×8, first 2 shown]
	s_waitcnt lgkmcnt(0)
	v_add_f64 v[6:7], v[4:5], v[92:93]
	v_add_f64 v[8:9], v[2:3], v[90:91]
	v_cvt_f32_f64_e32 v8, v[8:9]
	v_cvt_f32_f64_e32 v6, v[6:7]
	v_min3_f32 v196, v8, v6, v123
	v_add_f64 v[6:7], v[44:45], v[92:93]
	v_add_f64 v[8:9], v[42:43], v[90:91]
	v_cvt_f32_f64_e32 v8, v[8:9]
	v_cvt_f32_f64_e32 v6, v[6:7]
	v_min3_f32 v195, v8, v6, v124
	;; [unrolled: 5-line block ×4, first 2 shown]
	v_add_f64 v[6:7], v[60:61], v[92:93]
	v_add_f64 v[8:9], v[58:59], v[90:91]
	v_cvt_f32_f64_e32 v8, v[8:9]
	v_cvt_f32_f64_e32 v6, v[6:7]
	;; [unrolled: 1-line block ×4, first 2 shown]
	v_min3_f32 v192, v8, v6, v127
	v_add_f64 v[6:7], v[64:65], v[92:93]
	v_add_f64 v[8:9], v[62:63], v[90:91]
	v_min3_f32 v130, v86, v87, v130
	ds_read_b128 v[86:89], v215 offset:1040
	v_cvt_f32_f64_e32 v8, v[8:9]
	v_cvt_f32_f64_e32 v6, v[6:7]
	v_min3_f32 v191, v8, v6, v128
	v_add_f64 v[6:7], v[68:69], v[92:93]
	v_add_f64 v[8:9], v[66:67], v[90:91]
	v_cvt_f32_f64_e32 v12, v[12:13]
	v_cvt_f32_f64_e32 v10, v[10:11]
	;; [unrolled: 1-line block ×4, first 2 shown]
	v_min3_f32 v221, v12, v10, v190
	v_min3_f32 v190, v8, v6, v129
	v_add_f64 v[6:7], v[72:73], v[92:93]
	v_add_f64 v[8:9], v[70:71], v[90:91]
	v_cvt_f32_f64_e32 v82, v[82:83]
	v_cvt_f32_f64_e32 v83, v[84:85]
	;; [unrolled: 1-line block ×4, first 2 shown]
	v_min3_f32 v158, v82, v83, v158
	ds_read_b128 v[82:85], v215 offset:1296
	v_min3_f32 v189, v8, v6, v130
	s_waitcnt lgkmcnt(1)
	v_add_f64 v[6:7], v[4:5], v[88:89]
	v_add_f64 v[8:9], v[2:3], v[86:87]
	v_cvt_f32_f64_e32 v8, v[8:9]
	v_cvt_f32_f64_e32 v6, v[6:7]
	v_min3_f32 v188, v8, v6, v131
	v_add_f64 v[6:7], v[44:45], v[88:89]
	v_add_f64 v[8:9], v[42:43], v[86:87]
	v_cvt_f32_f64_e32 v8, v[8:9]
	v_cvt_f32_f64_e32 v6, v[6:7]
	v_min3_f32 v187, v8, v6, v132
	;; [unrolled: 5-line block ×6, first 2 shown]
	v_add_f64 v[6:7], v[68:69], v[88:89]
	v_add_f64 v[8:9], v[66:67], v[86:87]
	v_cvt_f32_f64_e32 v8, v[8:9]
	v_cvt_f32_f64_e32 v6, v[6:7]
	v_add_f64 v[20:21], v[20:21], v[28:29]
	v_add_f64 v[18:19], v[18:19], v[26:27]
	v_min3_f32 v182, v8, v6, v157
	v_add_f64 v[6:7], v[72:73], v[88:89]
	v_add_f64 v[8:9], v[70:71], v[86:87]
	v_cvt_f32_f64_e32 v18, v[18:19]
	v_cvt_f32_f64_e32 v19, v[20:21]
	;; [unrolled: 1-line block ×4, first 2 shown]
	v_add_f64 v[24:25], v[24:25], v[28:29]
	v_add_f64 v[22:23], v[22:23], v[26:27]
	v_min3_f32 v18, v18, v19, v181
	v_min3_f32 v181, v8, v6, v158
	s_waitcnt lgkmcnt(0)
	v_add_f64 v[6:7], v[4:5], v[84:85]
	v_add_f64 v[8:9], v[2:3], v[82:83]
	v_cvt_f32_f64_e32 v22, v[22:23]
	v_cvt_f32_f64_e32 v23, v[24:25]
	v_cvt_f32_f64_e32 v8, v[8:9]
	v_cvt_f32_f64_e32 v6, v[6:7]
	v_add_f64 v[32:33], v[32:33], v[28:29]
	v_add_f64 v[30:31], v[30:31], v[26:27]
	v_min3_f32 v22, v22, v23, v180
	v_min3_f32 v180, v8, v6, v160
	v_add_f64 v[6:7], v[44:45], v[84:85]
	v_add_f64 v[8:9], v[42:43], v[82:83]
	v_cvt_f32_f64_e32 v30, v[30:31]
	v_cvt_f32_f64_e32 v31, v[32:33]
	v_cvt_f32_f64_e32 v8, v[8:9]
	v_cvt_f32_f64_e32 v6, v[6:7]
	v_add_f64 v[36:37], v[36:37], v[28:29]
	v_add_f64 v[34:35], v[34:35], v[26:27]
	v_min3_f32 v30, v30, v31, v179
	v_min3_f32 v179, v8, v6, v161
	;; [unrolled: 10-line block ×4, first 2 shown]
	v_add_f64 v[6:7], v[60:61], v[84:85]
	v_add_f64 v[8:9], v[58:59], v[82:83]
	v_cvt_f32_f64_e32 v50, v[50:51]
	v_cvt_f32_f64_e32 v51, v[52:53]
	;; [unrolled: 1-line block ×8, first 2 shown]
	v_min3_f32 v50, v50, v51, v176
	v_min3_f32 v176, v8, v6, v164
	v_add_f64 v[6:7], v[64:65], v[84:85]
	v_add_f64 v[8:9], v[62:63], v[82:83]
	v_min3_f32 v167, v78, v79, v167
	ds_read_b128 v[78:81], v215 offset:1552
	v_cvt_f32_f64_e32 v102, v[102:103]
	v_min3_f32 v103, v74, v75, v175
	ds_read_b128 v[74:77], v215 offset:1808
	v_cvt_f32_f64_e32 v8, v[8:9]
	v_cvt_f32_f64_e32 v6, v[6:7]
	v_min3_f32 v175, v8, v6, v165
	v_add_f64 v[6:7], v[68:69], v[84:85]
	v_add_f64 v[8:9], v[66:67], v[82:83]
	v_cvt_f32_f64_e32 v104, v[104:105]
	v_cvt_f32_f64_e32 v8, v[8:9]
	;; [unrolled: 1-line block ×3, first 2 shown]
	v_min3_f32 v102, v104, v102, v174
	v_min3_f32 v174, v8, v6, v166
	v_add_f64 v[6:7], v[72:73], v[84:85]
	v_add_f64 v[8:9], v[70:71], v[82:83]
	v_cvt_f32_f64_e32 v8, v[8:9]
	v_cvt_f32_f64_e32 v6, v[6:7]
	v_min3_f32 v173, v8, v6, v167
	s_waitcnt lgkmcnt(1)
	v_add_f64 v[6:7], v[4:5], v[80:81]
	v_add_f64 v[8:9], v[2:3], v[78:79]
	s_waitcnt lgkmcnt(0)
	v_add_f64 v[4:5], v[4:5], v[76:77]
	v_add_f64 v[2:3], v[2:3], v[74:75]
	v_cvt_f32_f64_e32 v8, v[8:9]
	v_cvt_f32_f64_e32 v6, v[6:7]
	v_cvt_f32_f64_e32 v2, v[2:3]
	v_cvt_f32_f64_e32 v3, v[4:5]
	v_min3_f32 v172, v8, v6, v168
	v_add_f64 v[6:7], v[44:45], v[80:81]
	v_add_f64 v[8:9], v[42:43], v[78:79]
	v_min3_f32 v164, v2, v3, v50
	v_add_f64 v[2:3], v[44:45], v[76:77]
	v_add_f64 v[4:5], v[42:43], v[74:75]
	v_cvt_f32_f64_e32 v8, v[8:9]
	v_cvt_f32_f64_e32 v6, v[6:7]
	v_cvt_f32_f64_e32 v4, v[4:5]
	v_cvt_f32_f64_e32 v2, v[2:3]
	v_min3_f32 v171, v8, v6, v169
	v_add_f64 v[6:7], v[48:49], v[80:81]
	v_add_f64 v[8:9], v[46:47], v[78:79]
	v_min3_f32 v163, v4, v2, v38
	;; [unrolled: 10-line block ×7, first 2 shown]
	v_add_f64 v[2:3], v[72:73], v[76:77]
	v_add_f64 v[4:5], v[70:71], v[74:75]
	v_cvt_f32_f64_e32 v8, v[8:9]
	v_cvt_f32_f64_e32 v6, v[6:7]
	;; [unrolled: 1-line block ×4, first 2 shown]
	s_add_i32 s21, s21, 8
	v_min3_f32 v165, v8, v6, v103
	v_min3_f32 v156, v4, v2, v15
	v_lshl_add_u64 v[136:137], v[136:137], 0, 64
	s_cmp_ge_i32 s21, s27
	v_lshl_add_u64 v[140:141], v[140:141], 0, s[2:3]
	ds_write2st64_b64 v216, v[0:1], v[144:145] offset1:4
	ds_write2st64_b64 v216, v[146:147], v[150:151] offset0:8 offset1:12
	ds_write_b64 v217, v[148:149]
	s_waitcnt lgkmcnt(0)
	s_barrier
	s_cbranch_scc1 .LBB107_47
.LBB107_27:                             ; =>This Inner Loop Header: Depth=1
	s_mov_b64 s[18:19], -1
	s_mov_b64 vcc, s[4:5]
                                        ; implicit-def: $vgpr0_vgpr1_vgpr2_vgpr3_vgpr4_vgpr5_vgpr6_vgpr7
	s_cbranch_vccnz .LBB107_38
; %bb.28:                               ;   in Loop: Header=BB107_27 Depth=1
	v_mov_b64_e32 v[2:3], 0
	s_andn2_b64 vcc, exec, s[18:19]
	v_lshl_add_u64 v[8:9], v[140:141], 0, v[142:143]
	s_cbranch_vccz .LBB107_39
.LBB107_29:                             ;   in Loop: Header=BB107_27 Depth=1
	s_mov_b64 s[18:19], -1
	s_mov_b64 vcc, s[4:5]
                                        ; implicit-def: $vgpr4_vgpr5
	s_cbranch_vccnz .LBB107_40
.LBB107_30:                             ;   in Loop: Header=BB107_27 Depth=1
	v_mov_b64_e32 v[6:7], 0
	s_andn2_b64 vcc, exec, s[18:19]
	v_mov_b64_e32 v[144:145], 0
	s_cbranch_vccz .LBB107_41
.LBB107_31:                             ;   in Loop: Header=BB107_27 Depth=1
	s_and_b64 vcc, exec, s[6:7]
	s_cbranch_vccnz .LBB107_33
.LBB107_32:                             ;   in Loop: Header=BB107_27 Depth=1
	flat_load_dwordx2 v[6:7], v[136:137]
	s_waitcnt vmcnt(0) lgkmcnt(0)
	v_mul_f64 v[6:7], s[12:13], v[6:7]
.LBB107_33:                             ;   in Loop: Header=BB107_27 Depth=1
	ds_read_b128 v[132:135], v219
	ds_read_b128 v[68:71], v219 offset:16
	ds_read_b128 v[104:107], v218
	ds_read_b128 v[40:43], v218 offset:16
	ds_read_b128 v[100:103], v218 offset:1024
	ds_read_b128 v[36:39], v218 offset:1040
	ds_read_b128 v[96:99], v218 offset:2048
	ds_read_b128 v[32:35], v218 offset:2064
	ds_read_b128 v[88:91], v218 offset:3072
	ds_read_b128 v[24:27], v218 offset:3088
	ds_read_b128 v[84:87], v218 offset:4096
	ds_read_b128 v[20:23], v218 offset:4112
	ds_read_b128 v[80:83], v218 offset:5120
	ds_read_b128 v[16:19], v218 offset:5136
	ds_read_b128 v[76:79], v218 offset:6144
	ds_read_b128 v[12:15], v218 offset:6160
	ds_read_b128 v[72:75], v218 offset:7168
	ds_read_b128 v[8:11], v218 offset:7184
	ds_read_b128 v[128:131], v219 offset:256
	ds_read_b128 v[64:67], v219 offset:272
	ds_read_b128 v[124:127], v219 offset:512
	ds_read_b128 v[60:63], v219 offset:528
	ds_read_b128 v[120:123], v219 offset:768
	ds_read_b128 v[56:59], v219 offset:784
	ds_read_b128 v[116:119], v219 offset:1024
	ds_read_b128 v[52:55], v219 offset:1040
	ds_read_b128 v[112:115], v219 offset:1280
	ds_read_b128 v[48:51], v219 offset:1296
	ds_read_b128 v[108:111], v219 offset:1536
	ds_read_b128 v[44:47], v219 offset:1552
	ds_read_b128 v[92:95], v219 offset:1792
	ds_read_b128 v[28:31], v219 offset:1808
	s_mov_b64 s[18:19], -1
	s_mov_b64 vcc, s[4:5]
	ds_write2st64_b64 v159, v[0:1], v[2:3] offset1:4
	ds_write2st64_b64 v159, v[4:5], v[144:145] offset0:8 offset1:12
	ds_write_b64 v214, v[6:7]
	s_waitcnt lgkmcnt(0)
	s_barrier
                                        ; implicit-def: $vgpr0_vgpr1_vgpr2_vgpr3_vgpr4_vgpr5_vgpr6_vgpr7
	s_cbranch_vccnz .LBB107_42
; %bb.34:                               ;   in Loop: Header=BB107_27 Depth=1
	v_mov_b64_e32 v[144:145], 0
	s_andn2_b64 vcc, exec, s[18:19]
	v_lshl_add_u64 v[2:3], v[140:141], 0, v[138:139]
	s_cbranch_vccz .LBB107_43
.LBB107_35:                             ;   in Loop: Header=BB107_27 Depth=1
	s_mov_b64 s[18:19], -1
	s_mov_b64 vcc, s[4:5]
                                        ; implicit-def: $vgpr146_vgpr147
	s_cbranch_vccnz .LBB107_44
.LBB107_36:                             ;   in Loop: Header=BB107_27 Depth=1
	v_mov_b64_e32 v[148:149], 0
	s_andn2_b64 vcc, exec, s[18:19]
	v_mov_b64_e32 v[150:151], 0
	s_cbranch_vccz .LBB107_45
.LBB107_37:                             ;   in Loop: Header=BB107_27 Depth=1
	s_and_b64 vcc, exec, s[6:7]
	s_cbranch_vccz .LBB107_46
	s_branch .LBB107_26
.LBB107_38:                             ;   in Loop: Header=BB107_27 Depth=1
	v_mov_b32_e32 v0, s20
	v_mov_b32_e32 v1, s20
	v_mov_b64_e32 v[2:3], 0
	v_lshl_add_u64 v[8:9], v[140:141], 0, v[142:143]
	s_cbranch_execnz .LBB107_29
.LBB107_39:                             ;   in Loop: Header=BB107_27 Depth=1
	flat_load_dwordx2 v[0:1], v[8:9]
	flat_load_dwordx2 v[2:3], v[8:9] offset:512
	s_waitcnt vmcnt(0) lgkmcnt(0)
	v_mul_f64 v[0:1], s[12:13], v[0:1]
	v_mul_f64 v[2:3], s[12:13], v[2:3]
	s_mov_b64 s[18:19], -1
	s_mov_b64 vcc, s[4:5]
                                        ; implicit-def: $vgpr4_vgpr5
	s_cbranch_vccz .LBB107_30
.LBB107_40:                             ;   in Loop: Header=BB107_27 Depth=1
	v_mov_b32_e32 v4, s20
	v_mov_b32_e32 v5, s20
	v_mov_b64_e32 v[6:7], 0
	v_mov_b64_e32 v[144:145], 0
	s_cbranch_execnz .LBB107_31
.LBB107_41:                             ;   in Loop: Header=BB107_27 Depth=1
	flat_load_dwordx2 v[4:5], v[8:9] offset:1024
	flat_load_dwordx2 v[10:11], v[8:9] offset:1536
	s_waitcnt vmcnt(0) lgkmcnt(0)
	v_mul_f64 v[4:5], s[12:13], v[4:5]
	v_mul_f64 v[144:145], s[12:13], v[10:11]
	s_and_b64 vcc, exec, s[6:7]
	s_cbranch_vccz .LBB107_32
	s_branch .LBB107_33
.LBB107_42:                             ;   in Loop: Header=BB107_27 Depth=1
	v_mov_b32_e32 v0, s20
	v_mov_b32_e32 v1, s20
	v_mov_b64_e32 v[144:145], 0
	v_lshl_add_u64 v[2:3], v[140:141], 0, v[138:139]
	s_cbranch_execnz .LBB107_35
.LBB107_43:                             ;   in Loop: Header=BB107_27 Depth=1
	flat_load_dwordx2 v[0:1], v[2:3]
	flat_load_dwordx2 v[4:5], v[2:3] offset:512
	s_waitcnt vmcnt(0) lgkmcnt(0)
	v_mul_f64 v[0:1], s[12:13], v[0:1]
	v_mul_f64 v[144:145], s[12:13], v[4:5]
	s_mov_b64 s[18:19], -1
	s_mov_b64 vcc, s[4:5]
                                        ; implicit-def: $vgpr146_vgpr147
	s_cbranch_vccz .LBB107_36
.LBB107_44:                             ;   in Loop: Header=BB107_27 Depth=1
	v_mov_b32_e32 v146, s20
	v_mov_b32_e32 v147, s20
	v_mov_b64_e32 v[148:149], 0
	v_mov_b64_e32 v[150:151], 0
	s_cbranch_execnz .LBB107_37
.LBB107_45:                             ;   in Loop: Header=BB107_27 Depth=1
	flat_load_dwordx2 v[4:5], v[2:3] offset:1024
	s_nop 0
	flat_load_dwordx2 v[2:3], v[2:3] offset:1536
	s_waitcnt vmcnt(0) lgkmcnt(0)
	v_mul_f64 v[146:147], s[12:13], v[4:5]
	v_mul_f64 v[150:151], s[12:13], v[2:3]
	s_and_b64 vcc, exec, s[6:7]
	s_cbranch_vccnz .LBB107_26
.LBB107_46:                             ;   in Loop: Header=BB107_27 Depth=1
	flat_load_dwordx2 v[2:3], v[136:137] offset:32
	s_waitcnt vmcnt(0) lgkmcnt(0)
	v_mul_f64 v[148:149], s[12:13], v[2:3]
	s_branch .LBB107_26
.LBB107_47:
	s_load_dwordx2 s[2:3], s[0:1], 0x78
	s_load_dword s4, s[0:1], 0x58
	s_load_dword s5, s[0:1], 0x70
	ds_read_b128 v[68:71], v155 offset:8192
	ds_read_b128 v[124:127], v154 offset:18432
	ds_read_b128 v[64:67], v155 offset:8208
	ds_read_b128 v[120:123], v154 offset:18448
	s_waitcnt lgkmcnt(0)
	s_lshl_b64 s[0:1], s[2:3], 3
	s_add_u32 s0, s16, s0
	v_add_u32_e32 v159, s26, v153
	v_add_f64 v[0:1], v[70:71], v[126:127]
	v_add_f64 v[2:3], v[68:69], v[124:125]
	v_cvt_f32_f64_e32 v2, v[2:3]
	v_cvt_f32_f64_e32 v0, v[0:1]
	v_min3_f32 v132, v2, v0, v226
	ds_read_b128 v[60:63], v155 offset:9216
	ds_read_b128 v[52:55], v155 offset:9232
	;; [unrolled: 1-line block ×28, first 2 shown]
	v_add_f64 v[128:129], v[66:67], v[122:123]
	v_add_f64 v[130:131], v[64:65], v[120:121]
	v_cvt_f32_f64_e32 v130, v[130:131]
	v_cvt_f32_f64_e32 v128, v[128:129]
	s_addc_u32 s1, s17, s1
	v_min3_f32 v132, v130, v128, v132
	v_add_u32_e32 v136, s28, v152
	v_mad_i64_i32 v[130:131], s[2:3], v159, s5, 0
	v_add_u32_e32 v128, 32, v136
	v_lshl_add_u64 v[152:153], v[130:131], 3, s[0:1]
	v_mad_i64_i32 v[130:131], s[2:3], v159, s4, 0
	v_ashrrev_i32_e32 v137, 31, v136
	v_ashrrev_i32_e32 v129, 31, v128
	s_mov_b64 s[2:3], -1
	v_max_f32_e32 v133, v132, v132
	s_mov_b64 vcc, s[8:9]
	s_cbranch_vccz .LBB107_49
; %bb.48:
	v_min_f32_e32 v132, 0, v133
	v_cvt_f64_f32_e32 v[134:135], v132
	v_lshl_add_u64 v[138:139], v[136:137], 3, v[152:153]
	flat_store_dwordx2 v[138:139], v[134:135]
	s_mov_b64 s[2:3], 0
.LBB107_49:
	v_lshl_add_u64 v[154:155], v[130:131], 3, s[14:15]
	v_mov_b32_e32 v132, 0
	s_andn2_b64 vcc, exec, s[2:3]
	v_lshlrev_b64 v[140:141], 3, v[136:137]
	s_cbranch_vccnz .LBB107_51
; %bb.50:
	v_lshl_add_u64 v[130:131], v[154:155], 0, v[140:141]
	flat_load_dwordx2 v[130:131], v[130:131]
	v_lshl_add_u64 v[134:135], v[152:153], 0, v[140:141]
	s_waitcnt vmcnt(0) lgkmcnt(0)
	v_mul_f64 v[130:131], s[10:11], v[130:131]
	v_cvt_f32_f64_e32 v130, v[130:131]
	v_min_f32_e32 v130, v130, v133
	v_cvt_f64_f32_e32 v[130:131], v130
	flat_store_dwordx2 v[134:135], v[130:131]
	v_lshl_add_u64 v[130:131], v[128:129], 3, v[154:155]
	flat_load_dwordx2 v[130:131], v[130:131]
	s_waitcnt vmcnt(0) lgkmcnt(0)
	v_mul_f64 v[130:131], s[10:11], v[130:131]
	v_cvt_f32_f64_e32 v132, v[130:131]
.LBB107_51:
	s_waitcnt lgkmcnt(0)
	v_add_f64 v[130:131], v[62:63], v[126:127]
	v_add_f64 v[134:135], v[60:61], v[124:125]
	v_cvt_f32_f64_e32 v133, v[134:135]
	v_cvt_f32_f64_e32 v130, v[130:131]
	v_min3_f32 v133, v133, v130, v224
	v_add_f64 v[130:131], v[58:59], v[126:127]
	v_add_f64 v[134:135], v[56:57], v[124:125]
	v_cvt_f32_f64_e32 v134, v[134:135]
	v_cvt_f32_f64_e32 v130, v[130:131]
	v_min3_f32 v138, v134, v130, v225
	v_add_f64 v[130:131], v[54:55], v[122:123]
	v_add_f64 v[134:135], v[52:53], v[120:121]
	v_cvt_f32_f64_e32 v134, v[134:135]
	v_cvt_f32_f64_e32 v130, v[130:131]
	v_min_f32_e32 v142, v134, v130
	v_add_f64 v[130:131], v[50:51], v[122:123]
	v_add_f64 v[134:135], v[48:49], v[120:121]
	v_cvt_f32_f64_e32 v134, v[134:135]
	v_cvt_f32_f64_e32 v130, v[130:131]
	v_min3_f32 v132, v132, v142, v133
	v_min3_f32 v143, v134, v130, v138
	v_add_u32_e32 v138, 64, v136
	v_add_u32_e32 v130, 0x60, v136
	v_cvt_f64_f32_e32 v[132:133], v132
	v_lshl_add_u64 v[134:135], v[128:129], 3, v[152:153]
	v_ashrrev_i32_e32 v139, 31, v138
	v_ashrrev_i32_e32 v131, 31, v130
	flat_store_dwordx2 v[134:135], v[132:133]
	s_mov_b64 s[2:3], -1
	v_max_f32_e32 v132, v143, v143
	s_mov_b64 vcc, s[8:9]
	s_cbranch_vccz .LBB107_53
; %bb.52:
	v_min_f32_e32 v133, 0, v132
	v_cvt_f64_f32_e32 v[134:135], v133
	v_lshl_add_u64 v[142:143], v[138:139], 3, v[152:153]
	flat_store_dwordx2 v[142:143], v[134:135]
	s_mov_b64 s[2:3], 0
.LBB107_53:
	v_mov_b32_e32 v134, 0
	s_andn2_b64 vcc, exec, s[2:3]
	v_lshlrev_b64 v[144:145], 3, v[138:139]
	s_cbranch_vccnz .LBB107_55
; %bb.54:
	v_lshl_add_u64 v[134:135], v[154:155], 0, v[144:145]
	flat_load_dwordx2 v[134:135], v[134:135]
	v_lshl_add_u64 v[142:143], v[152:153], 0, v[144:145]
	s_waitcnt vmcnt(0) lgkmcnt(0)
	v_mul_f64 v[134:135], s[10:11], v[134:135]
	v_cvt_f32_f64_e32 v133, v[134:135]
	v_min_f32_e32 v132, v133, v132
	v_cvt_f64_f32_e32 v[132:133], v132
	flat_store_dwordx2 v[142:143], v[132:133]
	v_lshl_add_u64 v[132:133], v[130:131], 3, v[154:155]
	flat_load_dwordx2 v[132:133], v[132:133]
	s_waitcnt vmcnt(0) lgkmcnt(0)
	v_mul_f64 v[132:133], s[10:11], v[132:133]
	v_cvt_f32_f64_e32 v134, v[132:133]
.LBB107_55:
	v_add_f64 v[132:133], v[46:47], v[126:127]
	v_add_f64 v[142:143], v[44:45], v[124:125]
	v_cvt_f32_f64_e32 v135, v[142:143]
	v_cvt_f32_f64_e32 v132, v[132:133]
	v_min3_f32 v135, v135, v132, v222
	v_add_f64 v[132:133], v[42:43], v[126:127]
	v_add_f64 v[142:143], v[40:41], v[124:125]
	v_cvt_f32_f64_e32 v142, v[142:143]
	v_cvt_f32_f64_e32 v132, v[132:133]
	v_min3_f32 v146, v142, v132, v223
	v_add_f64 v[132:133], v[38:39], v[122:123]
	v_add_f64 v[142:143], v[36:37], v[120:121]
	v_cvt_f32_f64_e32 v142, v[142:143]
	v_cvt_f32_f64_e32 v132, v[132:133]
	v_min_f32_e32 v147, v142, v132
	v_add_f64 v[132:133], v[34:35], v[122:123]
	v_add_f64 v[142:143], v[32:33], v[120:121]
	v_cvt_f32_f64_e32 v142, v[142:143]
	v_cvt_f32_f64_e32 v132, v[132:133]
	v_min3_f32 v134, v134, v147, v135
	v_min3_f32 v148, v142, v132, v146
	v_add_u32_e32 v142, 0x80, v136
	v_add_u32_e32 v132, 0xa0, v136
	v_cvt_f64_f32_e32 v[134:135], v134
	v_lshl_add_u64 v[146:147], v[130:131], 3, v[152:153]
	v_ashrrev_i32_e32 v143, 31, v142
	v_ashrrev_i32_e32 v133, 31, v132
	flat_store_dwordx2 v[146:147], v[134:135]
	s_mov_b64 s[2:3], -1
	v_max_f32_e32 v134, v148, v148
	s_mov_b64 vcc, s[8:9]
	s_cbranch_vccz .LBB107_57
; %bb.56:
	v_min_f32_e32 v135, 0, v134
	v_cvt_f64_f32_e32 v[146:147], v135
	v_lshl_add_u64 v[148:149], v[142:143], 3, v[152:153]
	flat_store_dwordx2 v[148:149], v[146:147]
	s_mov_b64 s[2:3], 0
.LBB107_57:
	v_mov_b32_e32 v150, 0
	s_andn2_b64 vcc, exec, s[2:3]
	v_lshlrev_b64 v[148:149], 3, v[142:143]
	s_cbranch_vccnz .LBB107_59
; %bb.58:
	v_lshl_add_u64 v[146:147], v[154:155], 0, v[148:149]
	flat_load_dwordx2 v[146:147], v[146:147]
	v_lshl_add_u64 v[150:151], v[152:153], 0, v[148:149]
	s_waitcnt vmcnt(0) lgkmcnt(0)
	v_mul_f64 v[146:147], s[10:11], v[146:147]
	v_cvt_f32_f64_e32 v135, v[146:147]
	v_min_f32_e32 v134, v135, v134
	v_cvt_f64_f32_e32 v[134:135], v134
	flat_store_dwordx2 v[150:151], v[134:135]
	v_lshl_add_u64 v[134:135], v[132:133], 3, v[154:155]
	flat_load_dwordx2 v[134:135], v[134:135]
	s_waitcnt vmcnt(0) lgkmcnt(0)
	v_mul_f64 v[134:135], s[10:11], v[134:135]
	v_cvt_f32_f64_e32 v150, v[134:135]
.LBB107_59:
	v_add_f64 v[134:135], v[30:31], v[126:127]
	v_add_f64 v[146:147], v[28:29], v[124:125]
	v_cvt_f32_f64_e32 v146, v[146:147]
	v_cvt_f32_f64_e32 v134, v[134:135]
	v_min3_f32 v151, v146, v134, v220
	v_add_f64 v[134:135], v[26:27], v[126:127]
	v_add_f64 v[146:147], v[24:25], v[124:125]
	v_cvt_f32_f64_e32 v146, v[146:147]
	v_cvt_f32_f64_e32 v134, v[134:135]
	v_min3_f32 v214, v146, v134, v221
	v_add_f64 v[134:135], v[22:23], v[122:123]
	v_add_f64 v[146:147], v[20:21], v[120:121]
	v_cvt_f32_f64_e32 v146, v[146:147]
	v_cvt_f32_f64_e32 v134, v[134:135]
	v_min_f32_e32 v215, v146, v134
	v_add_f64 v[134:135], v[18:19], v[122:123]
	v_add_f64 v[146:147], v[16:17], v[120:121]
	v_cvt_f32_f64_e32 v146, v[146:147]
	v_cvt_f32_f64_e32 v134, v[134:135]
	v_min3_f32 v150, v150, v215, v151
	v_min3_f32 v216, v146, v134, v214
	v_add_u32_e32 v146, 0xc0, v136
	v_add_u32_e32 v134, 0xe0, v136
	v_cvt_f64_f32_e32 v[150:151], v150
	v_lshl_add_u64 v[214:215], v[132:133], 3, v[152:153]
	v_ashrrev_i32_e32 v147, 31, v146
	v_ashrrev_i32_e32 v135, 31, v134
	flat_store_dwordx2 v[214:215], v[150:151]
	s_mov_b64 s[2:3], -1
	v_max_f32_e32 v215, v216, v216
	s_mov_b64 vcc, s[8:9]
	s_cbranch_vccz .LBB107_61
; %bb.60:
	v_min_f32_e32 v150, 0, v215
	v_cvt_f64_f32_e32 v[150:151], v150
	v_lshl_add_u64 v[216:217], v[146:147], 3, v[152:153]
	flat_store_dwordx2 v[216:217], v[150:151]
	s_mov_b64 s[2:3], 0
.LBB107_61:
	v_mov_b32_e32 v214, 0
	s_andn2_b64 vcc, exec, s[2:3]
	v_lshlrev_b64 v[150:151], 3, v[146:147]
	s_cbranch_vccnz .LBB107_63
; %bb.62:
	v_lshl_add_u64 v[216:217], v[154:155], 0, v[150:151]
	flat_load_dwordx2 v[216:217], v[216:217]
	v_lshl_add_u64 v[218:219], v[152:153], 0, v[150:151]
	v_lshl_add_u64 v[154:155], v[134:135], 3, v[154:155]
	s_waitcnt vmcnt(0) lgkmcnt(0)
	v_mul_f64 v[216:217], s[10:11], v[216:217]
	v_cvt_f32_f64_e32 v214, v[216:217]
	v_min_f32_e32 v214, v214, v215
	v_cvt_f64_f32_e32 v[214:215], v214
	flat_store_dwordx2 v[218:219], v[214:215]
	flat_load_dwordx2 v[154:155], v[154:155]
	s_waitcnt vmcnt(0) lgkmcnt(0)
	v_mul_f64 v[154:155], s[10:11], v[154:155]
	v_cvt_f32_f64_e32 v214, v[154:155]
.LBB107_63:
	v_add_f64 v[126:127], v[2:3], v[126:127]
	v_add_f64 v[124:125], v[0:1], v[124:125]
	v_cvt_f32_f64_e32 v124, v[124:125]
	v_cvt_f32_f64_e32 v125, v[126:127]
	v_add_f64 v[122:123], v[10:11], v[122:123]
	v_add_f64 v[120:121], v[8:9], v[120:121]
	v_min3_f32 v154, v124, v125, v213
	v_add_f64 v[124:125], v[70:71], v[118:119]
	v_add_f64 v[126:127], v[68:69], v[116:117]
	v_cvt_f32_f64_e32 v120, v[120:121]
	v_cvt_f32_f64_e32 v121, v[122:123]
	v_cvt_f32_f64_e32 v126, v[126:127]
	v_cvt_f32_f64_e32 v124, v[124:125]
	v_min_f32_e32 v125, v120, v121
	v_add_f64 v[120:121], v[66:67], v[114:115]
	v_add_f64 v[122:123], v[64:65], v[112:113]
	v_min3_f32 v124, v126, v124, v212
	v_cvt_f32_f64_e32 v122, v[122:123]
	v_cvt_f32_f64_e32 v120, v[120:121]
	v_min3_f32 v124, v122, v120, v124
	v_min3_f32 v120, v214, v125, v154
	v_cvt_f64_f32_e32 v[120:121], v120
	v_lshl_add_u64 v[122:123], v[134:135], 3, v[152:153]
	flat_store_dwordx2 v[122:123], v[120:121]
	v_add_u32_e32 v122, 8, v159
	v_mad_i64_i32 v[120:121], s[2:3], v122, s5, 0
	v_mad_i64_i32 v[122:123], s[2:3], v122, s4, 0
	v_lshl_add_u64 v[120:121], v[120:121], 3, s[0:1]
	s_mov_b64 s[2:3], -1
	v_max_f32_e32 v125, v124, v124
	s_mov_b64 vcc, s[8:9]
	s_cbranch_vccz .LBB107_65
; %bb.64:
	v_min_f32_e32 v124, 0, v125
	v_cvt_f64_f32_e32 v[126:127], v124
	v_lshl_add_u64 v[152:153], v[136:137], 3, v[120:121]
	flat_store_dwordx2 v[152:153], v[126:127]
	s_mov_b64 s[2:3], 0
.LBB107_65:
	v_lshl_add_u64 v[122:123], v[122:123], 3, s[14:15]
	s_andn2_b64 vcc, exec, s[2:3]
	v_mov_b32_e32 v124, 0
	s_cbranch_vccnz .LBB107_67
; %bb.66:
	v_lshl_add_u64 v[126:127], v[122:123], 0, v[140:141]
	flat_load_dwordx2 v[126:127], v[126:127]
	v_lshl_add_u64 v[152:153], v[120:121], 0, v[140:141]
	s_waitcnt vmcnt(0) lgkmcnt(0)
	v_mul_f64 v[126:127], s[10:11], v[126:127]
	v_cvt_f32_f64_e32 v124, v[126:127]
	v_min_f32_e32 v124, v124, v125
	v_cvt_f64_f32_e32 v[124:125], v124
	flat_store_dwordx2 v[152:153], v[124:125]
	v_lshl_add_u64 v[124:125], v[128:129], 3, v[122:123]
	flat_load_dwordx2 v[124:125], v[124:125]
	s_waitcnt vmcnt(0) lgkmcnt(0)
	v_mul_f64 v[124:125], s[10:11], v[124:125]
	v_cvt_f32_f64_e32 v124, v[124:125]
.LBB107_67:
	v_add_f64 v[126:127], v[62:63], v[118:119]
	v_add_f64 v[152:153], v[60:61], v[116:117]
	v_cvt_f32_f64_e32 v125, v[152:153]
	v_cvt_f32_f64_e32 v126, v[126:127]
	v_min3_f32 v125, v125, v126, v211
	v_add_f64 v[126:127], v[58:59], v[118:119]
	v_add_f64 v[152:153], v[56:57], v[116:117]
	v_cvt_f32_f64_e32 v152, v[152:153]
	v_cvt_f32_f64_e32 v126, v[126:127]
	v_min3_f32 v154, v152, v126, v210
	v_add_f64 v[126:127], v[54:55], v[114:115]
	v_add_f64 v[152:153], v[52:53], v[112:113]
	v_cvt_f32_f64_e32 v152, v[152:153]
	v_cvt_f32_f64_e32 v126, v[126:127]
	v_min_f32_e32 v155, v152, v126
	v_add_f64 v[126:127], v[50:51], v[114:115]
	v_add_f64 v[152:153], v[48:49], v[112:113]
	v_cvt_f32_f64_e32 v152, v[152:153]
	v_cvt_f32_f64_e32 v126, v[126:127]
	v_min3_f32 v124, v124, v155, v125
	v_min3_f32 v152, v152, v126, v154
	v_cvt_f64_f32_e32 v[124:125], v124
	v_lshl_add_u64 v[126:127], v[128:129], 3, v[120:121]
	flat_store_dwordx2 v[126:127], v[124:125]
	s_mov_b64 s[2:3], -1
	v_max_f32_e32 v125, v152, v152
	s_mov_b64 vcc, s[8:9]
	s_cbranch_vccz .LBB107_69
; %bb.68:
	v_min_f32_e32 v124, 0, v125
	v_cvt_f64_f32_e32 v[126:127], v124
	v_lshl_add_u64 v[152:153], v[138:139], 3, v[120:121]
	flat_store_dwordx2 v[152:153], v[126:127]
	s_mov_b64 s[2:3], 0
.LBB107_69:
	s_andn2_b64 vcc, exec, s[2:3]
	v_mov_b32_e32 v124, 0
	s_cbranch_vccnz .LBB107_71
; %bb.70:
	v_lshl_add_u64 v[126:127], v[122:123], 0, v[144:145]
	flat_load_dwordx2 v[126:127], v[126:127]
	v_lshl_add_u64 v[152:153], v[120:121], 0, v[144:145]
	s_waitcnt vmcnt(0) lgkmcnt(0)
	v_mul_f64 v[126:127], s[10:11], v[126:127]
	v_cvt_f32_f64_e32 v124, v[126:127]
	v_min_f32_e32 v124, v124, v125
	v_cvt_f64_f32_e32 v[124:125], v124
	flat_store_dwordx2 v[152:153], v[124:125]
	v_lshl_add_u64 v[124:125], v[130:131], 3, v[122:123]
	flat_load_dwordx2 v[124:125], v[124:125]
	s_waitcnt vmcnt(0) lgkmcnt(0)
	v_mul_f64 v[124:125], s[10:11], v[124:125]
	v_cvt_f32_f64_e32 v124, v[124:125]
.LBB107_71:
	v_add_f64 v[126:127], v[46:47], v[118:119]
	v_add_f64 v[152:153], v[44:45], v[116:117]
	v_cvt_f32_f64_e32 v125, v[152:153]
	v_cvt_f32_f64_e32 v126, v[126:127]
	v_min3_f32 v125, v125, v126, v209
	v_add_f64 v[126:127], v[42:43], v[118:119]
	v_add_f64 v[152:153], v[40:41], v[116:117]
	v_cvt_f32_f64_e32 v152, v[152:153]
	v_cvt_f32_f64_e32 v126, v[126:127]
	v_min3_f32 v154, v152, v126, v208
	v_add_f64 v[126:127], v[38:39], v[114:115]
	v_add_f64 v[152:153], v[36:37], v[112:113]
	v_cvt_f32_f64_e32 v152, v[152:153]
	v_cvt_f32_f64_e32 v126, v[126:127]
	v_min_f32_e32 v155, v152, v126
	v_add_f64 v[126:127], v[34:35], v[114:115]
	v_add_f64 v[152:153], v[32:33], v[112:113]
	v_cvt_f32_f64_e32 v152, v[152:153]
	v_cvt_f32_f64_e32 v126, v[126:127]
	v_min3_f32 v124, v124, v155, v125
	v_min3_f32 v152, v152, v126, v154
	v_cvt_f64_f32_e32 v[124:125], v124
	v_lshl_add_u64 v[126:127], v[130:131], 3, v[120:121]
	flat_store_dwordx2 v[126:127], v[124:125]
	s_mov_b64 s[2:3], -1
	v_max_f32_e32 v125, v152, v152
	s_mov_b64 vcc, s[8:9]
	s_cbranch_vccz .LBB107_73
; %bb.72:
	v_min_f32_e32 v124, 0, v125
	v_cvt_f64_f32_e32 v[126:127], v124
	v_lshl_add_u64 v[152:153], v[142:143], 3, v[120:121]
	flat_store_dwordx2 v[152:153], v[126:127]
	s_mov_b64 s[2:3], 0
.LBB107_73:
	;; [unrolled: 54-line block ×3, first 2 shown]
	s_andn2_b64 vcc, exec, s[2:3]
	v_mov_b32_e32 v124, 0
	s_cbranch_vccnz .LBB107_79
; %bb.78:
	v_lshl_add_u64 v[126:127], v[122:123], 0, v[150:151]
	flat_load_dwordx2 v[126:127], v[126:127]
	v_lshl_add_u64 v[152:153], v[120:121], 0, v[150:151]
	v_lshl_add_u64 v[122:123], v[134:135], 3, v[122:123]
	s_waitcnt vmcnt(0) lgkmcnt(0)
	v_mul_f64 v[126:127], s[10:11], v[126:127]
	v_cvt_f32_f64_e32 v124, v[126:127]
	v_min_f32_e32 v124, v124, v125
	v_cvt_f64_f32_e32 v[124:125], v124
	flat_store_dwordx2 v[152:153], v[124:125]
	flat_load_dwordx2 v[122:123], v[122:123]
	s_waitcnt vmcnt(0) lgkmcnt(0)
	v_mul_f64 v[122:123], s[10:11], v[122:123]
	v_cvt_f32_f64_e32 v124, v[122:123]
.LBB107_79:
	v_add_f64 v[118:119], v[2:3], v[118:119]
	v_add_f64 v[116:117], v[0:1], v[116:117]
	v_cvt_f32_f64_e32 v116, v[116:117]
	v_cvt_f32_f64_e32 v117, v[118:119]
	v_add_f64 v[114:115], v[10:11], v[114:115]
	v_add_f64 v[112:113], v[8:9], v[112:113]
	v_min3_f32 v122, v116, v117, v205
	v_add_f64 v[116:117], v[70:71], v[110:111]
	v_add_f64 v[118:119], v[68:69], v[108:109]
	v_cvt_f32_f64_e32 v112, v[112:113]
	v_cvt_f32_f64_e32 v113, v[114:115]
	;; [unrolled: 1-line block ×4, first 2 shown]
	v_min_f32_e32 v117, v112, v113
	v_add_f64 v[112:113], v[66:67], v[106:107]
	v_add_f64 v[114:115], v[64:65], v[104:105]
	v_min3_f32 v116, v118, v116, v204
	v_cvt_f32_f64_e32 v114, v[114:115]
	v_cvt_f32_f64_e32 v112, v[112:113]
	v_min3_f32 v116, v114, v112, v116
	v_min3_f32 v112, v124, v117, v122
	v_cvt_f64_f32_e32 v[112:113], v112
	v_lshl_add_u64 v[114:115], v[134:135], 3, v[120:121]
	flat_store_dwordx2 v[114:115], v[112:113]
	v_add_u32_e32 v114, 16, v159
	v_mad_i64_i32 v[112:113], s[2:3], v114, s5, 0
	v_mad_i64_i32 v[114:115], s[2:3], v114, s4, 0
	v_lshl_add_u64 v[112:113], v[112:113], 3, s[0:1]
	s_mov_b64 s[2:3], -1
	v_max_f32_e32 v117, v116, v116
	s_mov_b64 vcc, s[8:9]
	s_cbranch_vccz .LBB107_81
; %bb.80:
	v_min_f32_e32 v116, 0, v117
	v_cvt_f64_f32_e32 v[118:119], v116
	v_lshl_add_u64 v[120:121], v[136:137], 3, v[112:113]
	flat_store_dwordx2 v[120:121], v[118:119]
	s_mov_b64 s[2:3], 0
.LBB107_81:
	v_lshl_add_u64 v[114:115], v[114:115], 3, s[14:15]
	s_andn2_b64 vcc, exec, s[2:3]
	v_mov_b32_e32 v116, 0
	s_cbranch_vccnz .LBB107_83
; %bb.82:
	v_lshl_add_u64 v[118:119], v[114:115], 0, v[140:141]
	flat_load_dwordx2 v[118:119], v[118:119]
	v_lshl_add_u64 v[120:121], v[112:113], 0, v[140:141]
	s_waitcnt vmcnt(0) lgkmcnt(0)
	v_mul_f64 v[118:119], s[10:11], v[118:119]
	v_cvt_f32_f64_e32 v116, v[118:119]
	v_min_f32_e32 v116, v116, v117
	v_cvt_f64_f32_e32 v[116:117], v116
	flat_store_dwordx2 v[120:121], v[116:117]
	v_lshl_add_u64 v[116:117], v[128:129], 3, v[114:115]
	flat_load_dwordx2 v[116:117], v[116:117]
	s_waitcnt vmcnt(0) lgkmcnt(0)
	v_mul_f64 v[116:117], s[10:11], v[116:117]
	v_cvt_f32_f64_e32 v116, v[116:117]
.LBB107_83:
	v_add_f64 v[118:119], v[62:63], v[110:111]
	v_add_f64 v[120:121], v[60:61], v[108:109]
	v_cvt_f32_f64_e32 v117, v[120:121]
	v_cvt_f32_f64_e32 v118, v[118:119]
	v_min3_f32 v117, v117, v118, v203
	v_add_f64 v[118:119], v[58:59], v[110:111]
	v_add_f64 v[120:121], v[56:57], v[108:109]
	v_cvt_f32_f64_e32 v120, v[120:121]
	v_cvt_f32_f64_e32 v118, v[118:119]
	v_min3_f32 v122, v120, v118, v202
	v_add_f64 v[118:119], v[54:55], v[106:107]
	v_add_f64 v[120:121], v[52:53], v[104:105]
	v_cvt_f32_f64_e32 v120, v[120:121]
	v_cvt_f32_f64_e32 v118, v[118:119]
	v_min_f32_e32 v123, v120, v118
	v_add_f64 v[118:119], v[50:51], v[106:107]
	v_add_f64 v[120:121], v[48:49], v[104:105]
	v_cvt_f32_f64_e32 v120, v[120:121]
	v_cvt_f32_f64_e32 v118, v[118:119]
	v_min3_f32 v116, v116, v123, v117
	v_min3_f32 v120, v120, v118, v122
	v_cvt_f64_f32_e32 v[116:117], v116
	v_lshl_add_u64 v[118:119], v[128:129], 3, v[112:113]
	flat_store_dwordx2 v[118:119], v[116:117]
	s_mov_b64 s[2:3], -1
	v_max_f32_e32 v117, v120, v120
	s_mov_b64 vcc, s[8:9]
	s_cbranch_vccz .LBB107_85
; %bb.84:
	v_min_f32_e32 v116, 0, v117
	v_cvt_f64_f32_e32 v[118:119], v116
	v_lshl_add_u64 v[120:121], v[138:139], 3, v[112:113]
	flat_store_dwordx2 v[120:121], v[118:119]
	s_mov_b64 s[2:3], 0
.LBB107_85:
	s_andn2_b64 vcc, exec, s[2:3]
	v_mov_b32_e32 v116, 0
	s_cbranch_vccnz .LBB107_87
; %bb.86:
	v_lshl_add_u64 v[118:119], v[114:115], 0, v[144:145]
	flat_load_dwordx2 v[118:119], v[118:119]
	v_lshl_add_u64 v[120:121], v[112:113], 0, v[144:145]
	s_waitcnt vmcnt(0) lgkmcnt(0)
	v_mul_f64 v[118:119], s[10:11], v[118:119]
	v_cvt_f32_f64_e32 v116, v[118:119]
	v_min_f32_e32 v116, v116, v117
	v_cvt_f64_f32_e32 v[116:117], v116
	flat_store_dwordx2 v[120:121], v[116:117]
	v_lshl_add_u64 v[116:117], v[130:131], 3, v[114:115]
	flat_load_dwordx2 v[116:117], v[116:117]
	s_waitcnt vmcnt(0) lgkmcnt(0)
	v_mul_f64 v[116:117], s[10:11], v[116:117]
	v_cvt_f32_f64_e32 v116, v[116:117]
.LBB107_87:
	v_add_f64 v[118:119], v[46:47], v[110:111]
	v_add_f64 v[120:121], v[44:45], v[108:109]
	v_cvt_f32_f64_e32 v117, v[120:121]
	v_cvt_f32_f64_e32 v118, v[118:119]
	v_min3_f32 v117, v117, v118, v201
	v_add_f64 v[118:119], v[42:43], v[110:111]
	v_add_f64 v[120:121], v[40:41], v[108:109]
	v_cvt_f32_f64_e32 v120, v[120:121]
	v_cvt_f32_f64_e32 v118, v[118:119]
	v_min3_f32 v122, v120, v118, v200
	v_add_f64 v[118:119], v[38:39], v[106:107]
	v_add_f64 v[120:121], v[36:37], v[104:105]
	v_cvt_f32_f64_e32 v120, v[120:121]
	v_cvt_f32_f64_e32 v118, v[118:119]
	v_min_f32_e32 v123, v120, v118
	v_add_f64 v[118:119], v[34:35], v[106:107]
	v_add_f64 v[120:121], v[32:33], v[104:105]
	v_cvt_f32_f64_e32 v120, v[120:121]
	v_cvt_f32_f64_e32 v118, v[118:119]
	v_min3_f32 v116, v116, v123, v117
	v_min3_f32 v120, v120, v118, v122
	v_cvt_f64_f32_e32 v[116:117], v116
	v_lshl_add_u64 v[118:119], v[130:131], 3, v[112:113]
	flat_store_dwordx2 v[118:119], v[116:117]
	s_mov_b64 s[2:3], -1
	v_max_f32_e32 v117, v120, v120
	s_mov_b64 vcc, s[8:9]
	s_cbranch_vccz .LBB107_89
; %bb.88:
	v_min_f32_e32 v116, 0, v117
	v_cvt_f64_f32_e32 v[118:119], v116
	v_lshl_add_u64 v[120:121], v[142:143], 3, v[112:113]
	flat_store_dwordx2 v[120:121], v[118:119]
	s_mov_b64 s[2:3], 0
.LBB107_89:
	;; [unrolled: 54-line block ×3, first 2 shown]
	s_andn2_b64 vcc, exec, s[2:3]
	v_mov_b32_e32 v116, 0
	s_cbranch_vccnz .LBB107_95
; %bb.94:
	v_lshl_add_u64 v[118:119], v[114:115], 0, v[150:151]
	flat_load_dwordx2 v[118:119], v[118:119]
	v_lshl_add_u64 v[120:121], v[112:113], 0, v[150:151]
	v_lshl_add_u64 v[114:115], v[134:135], 3, v[114:115]
	s_waitcnt vmcnt(0) lgkmcnt(0)
	v_mul_f64 v[118:119], s[10:11], v[118:119]
	v_cvt_f32_f64_e32 v116, v[118:119]
	v_min_f32_e32 v116, v116, v117
	v_cvt_f64_f32_e32 v[116:117], v116
	flat_store_dwordx2 v[120:121], v[116:117]
	flat_load_dwordx2 v[114:115], v[114:115]
	s_waitcnt vmcnt(0) lgkmcnt(0)
	v_mul_f64 v[114:115], s[10:11], v[114:115]
	v_cvt_f32_f64_e32 v116, v[114:115]
.LBB107_95:
	v_add_f64 v[110:111], v[2:3], v[110:111]
	v_add_f64 v[108:109], v[0:1], v[108:109]
	v_cvt_f32_f64_e32 v108, v[108:109]
	v_cvt_f32_f64_e32 v109, v[110:111]
	v_add_f64 v[106:107], v[10:11], v[106:107]
	v_add_f64 v[104:105], v[8:9], v[104:105]
	v_min3_f32 v114, v108, v109, v197
	v_add_f64 v[108:109], v[70:71], v[102:103]
	v_add_f64 v[110:111], v[68:69], v[100:101]
	v_cvt_f32_f64_e32 v104, v[104:105]
	v_cvt_f32_f64_e32 v105, v[106:107]
	;; [unrolled: 1-line block ×4, first 2 shown]
	v_min_f32_e32 v109, v104, v105
	v_add_f64 v[104:105], v[66:67], v[98:99]
	v_add_f64 v[106:107], v[64:65], v[96:97]
	v_min3_f32 v108, v110, v108, v196
	v_cvt_f32_f64_e32 v106, v[106:107]
	v_cvt_f32_f64_e32 v104, v[104:105]
	v_min3_f32 v108, v106, v104, v108
	v_min3_f32 v104, v116, v109, v114
	v_cvt_f64_f32_e32 v[104:105], v104
	v_lshl_add_u64 v[106:107], v[134:135], 3, v[112:113]
	flat_store_dwordx2 v[106:107], v[104:105]
	v_add_u32_e32 v106, 24, v159
	v_mad_i64_i32 v[104:105], s[2:3], v106, s5, 0
	v_mad_i64_i32 v[106:107], s[2:3], v106, s4, 0
	v_lshl_add_u64 v[104:105], v[104:105], 3, s[0:1]
	s_mov_b64 s[2:3], -1
	v_max_f32_e32 v109, v108, v108
	s_mov_b64 vcc, s[8:9]
	s_cbranch_vccz .LBB107_97
; %bb.96:
	v_min_f32_e32 v108, 0, v109
	v_cvt_f64_f32_e32 v[110:111], v108
	v_lshl_add_u64 v[112:113], v[136:137], 3, v[104:105]
	flat_store_dwordx2 v[112:113], v[110:111]
	s_mov_b64 s[2:3], 0
.LBB107_97:
	v_lshl_add_u64 v[106:107], v[106:107], 3, s[14:15]
	s_andn2_b64 vcc, exec, s[2:3]
	v_mov_b32_e32 v108, 0
	s_cbranch_vccnz .LBB107_99
; %bb.98:
	v_lshl_add_u64 v[110:111], v[106:107], 0, v[140:141]
	flat_load_dwordx2 v[110:111], v[110:111]
	v_lshl_add_u64 v[112:113], v[104:105], 0, v[140:141]
	s_waitcnt vmcnt(0) lgkmcnt(0)
	v_mul_f64 v[110:111], s[10:11], v[110:111]
	v_cvt_f32_f64_e32 v108, v[110:111]
	v_min_f32_e32 v108, v108, v109
	v_cvt_f64_f32_e32 v[108:109], v108
	flat_store_dwordx2 v[112:113], v[108:109]
	v_lshl_add_u64 v[108:109], v[128:129], 3, v[106:107]
	flat_load_dwordx2 v[108:109], v[108:109]
	s_waitcnt vmcnt(0) lgkmcnt(0)
	v_mul_f64 v[108:109], s[10:11], v[108:109]
	v_cvt_f32_f64_e32 v108, v[108:109]
.LBB107_99:
	v_add_f64 v[110:111], v[62:63], v[102:103]
	v_add_f64 v[112:113], v[60:61], v[100:101]
	v_cvt_f32_f64_e32 v109, v[112:113]
	v_cvt_f32_f64_e32 v110, v[110:111]
	v_min3_f32 v109, v109, v110, v195
	v_add_f64 v[110:111], v[58:59], v[102:103]
	v_add_f64 v[112:113], v[56:57], v[100:101]
	v_cvt_f32_f64_e32 v112, v[112:113]
	v_cvt_f32_f64_e32 v110, v[110:111]
	v_min3_f32 v114, v112, v110, v194
	v_add_f64 v[110:111], v[54:55], v[98:99]
	v_add_f64 v[112:113], v[52:53], v[96:97]
	v_cvt_f32_f64_e32 v112, v[112:113]
	v_cvt_f32_f64_e32 v110, v[110:111]
	v_min_f32_e32 v115, v112, v110
	v_add_f64 v[110:111], v[50:51], v[98:99]
	v_add_f64 v[112:113], v[48:49], v[96:97]
	v_cvt_f32_f64_e32 v112, v[112:113]
	v_cvt_f32_f64_e32 v110, v[110:111]
	v_min3_f32 v108, v108, v115, v109
	v_min3_f32 v112, v112, v110, v114
	v_cvt_f64_f32_e32 v[108:109], v108
	v_lshl_add_u64 v[110:111], v[128:129], 3, v[104:105]
	flat_store_dwordx2 v[110:111], v[108:109]
	s_mov_b64 s[2:3], -1
	v_max_f32_e32 v109, v112, v112
	s_mov_b64 vcc, s[8:9]
	s_cbranch_vccz .LBB107_101
; %bb.100:
	v_min_f32_e32 v108, 0, v109
	v_cvt_f64_f32_e32 v[110:111], v108
	v_lshl_add_u64 v[112:113], v[138:139], 3, v[104:105]
	flat_store_dwordx2 v[112:113], v[110:111]
	s_mov_b64 s[2:3], 0
.LBB107_101:
	s_andn2_b64 vcc, exec, s[2:3]
	v_mov_b32_e32 v108, 0
	s_cbranch_vccnz .LBB107_103
; %bb.102:
	v_lshl_add_u64 v[110:111], v[106:107], 0, v[144:145]
	flat_load_dwordx2 v[110:111], v[110:111]
	v_lshl_add_u64 v[112:113], v[104:105], 0, v[144:145]
	s_waitcnt vmcnt(0) lgkmcnt(0)
	v_mul_f64 v[110:111], s[10:11], v[110:111]
	v_cvt_f32_f64_e32 v108, v[110:111]
	v_min_f32_e32 v108, v108, v109
	v_cvt_f64_f32_e32 v[108:109], v108
	flat_store_dwordx2 v[112:113], v[108:109]
	v_lshl_add_u64 v[108:109], v[130:131], 3, v[106:107]
	flat_load_dwordx2 v[108:109], v[108:109]
	s_waitcnt vmcnt(0) lgkmcnt(0)
	v_mul_f64 v[108:109], s[10:11], v[108:109]
	v_cvt_f32_f64_e32 v108, v[108:109]
.LBB107_103:
	v_add_f64 v[110:111], v[46:47], v[102:103]
	v_add_f64 v[112:113], v[44:45], v[100:101]
	v_cvt_f32_f64_e32 v109, v[112:113]
	v_cvt_f32_f64_e32 v110, v[110:111]
	v_min3_f32 v109, v109, v110, v193
	v_add_f64 v[110:111], v[42:43], v[102:103]
	v_add_f64 v[112:113], v[40:41], v[100:101]
	v_cvt_f32_f64_e32 v112, v[112:113]
	v_cvt_f32_f64_e32 v110, v[110:111]
	v_min3_f32 v114, v112, v110, v192
	v_add_f64 v[110:111], v[38:39], v[98:99]
	v_add_f64 v[112:113], v[36:37], v[96:97]
	v_cvt_f32_f64_e32 v112, v[112:113]
	v_cvt_f32_f64_e32 v110, v[110:111]
	v_min_f32_e32 v115, v112, v110
	v_add_f64 v[110:111], v[34:35], v[98:99]
	v_add_f64 v[112:113], v[32:33], v[96:97]
	v_cvt_f32_f64_e32 v112, v[112:113]
	v_cvt_f32_f64_e32 v110, v[110:111]
	v_min3_f32 v108, v108, v115, v109
	v_min3_f32 v112, v112, v110, v114
	v_cvt_f64_f32_e32 v[108:109], v108
	v_lshl_add_u64 v[110:111], v[130:131], 3, v[104:105]
	flat_store_dwordx2 v[110:111], v[108:109]
	s_mov_b64 s[2:3], -1
	v_max_f32_e32 v109, v112, v112
	s_mov_b64 vcc, s[8:9]
	s_cbranch_vccz .LBB107_105
; %bb.104:
	v_min_f32_e32 v108, 0, v109
	v_cvt_f64_f32_e32 v[110:111], v108
	v_lshl_add_u64 v[112:113], v[142:143], 3, v[104:105]
	flat_store_dwordx2 v[112:113], v[110:111]
	s_mov_b64 s[2:3], 0
.LBB107_105:
	;; [unrolled: 54-line block ×3, first 2 shown]
	s_andn2_b64 vcc, exec, s[2:3]
	v_mov_b32_e32 v108, 0
	s_cbranch_vccnz .LBB107_111
; %bb.110:
	v_lshl_add_u64 v[110:111], v[106:107], 0, v[150:151]
	flat_load_dwordx2 v[110:111], v[110:111]
	v_lshl_add_u64 v[112:113], v[104:105], 0, v[150:151]
	v_lshl_add_u64 v[106:107], v[134:135], 3, v[106:107]
	s_waitcnt vmcnt(0) lgkmcnt(0)
	v_mul_f64 v[110:111], s[10:11], v[110:111]
	v_cvt_f32_f64_e32 v108, v[110:111]
	v_min_f32_e32 v108, v108, v109
	v_cvt_f64_f32_e32 v[108:109], v108
	flat_store_dwordx2 v[112:113], v[108:109]
	flat_load_dwordx2 v[106:107], v[106:107]
	s_waitcnt vmcnt(0) lgkmcnt(0)
	v_mul_f64 v[106:107], s[10:11], v[106:107]
	v_cvt_f32_f64_e32 v108, v[106:107]
.LBB107_111:
	v_add_f64 v[102:103], v[2:3], v[102:103]
	v_add_f64 v[100:101], v[0:1], v[100:101]
	v_cvt_f32_f64_e32 v100, v[100:101]
	v_cvt_f32_f64_e32 v101, v[102:103]
	v_add_f64 v[98:99], v[10:11], v[98:99]
	v_add_f64 v[96:97], v[8:9], v[96:97]
	v_min3_f32 v106, v100, v101, v189
	v_add_f64 v[100:101], v[70:71], v[94:95]
	v_add_f64 v[102:103], v[68:69], v[92:93]
	v_cvt_f32_f64_e32 v96, v[96:97]
	v_cvt_f32_f64_e32 v97, v[98:99]
	;; [unrolled: 1-line block ×4, first 2 shown]
	v_min_f32_e32 v101, v96, v97
	v_add_f64 v[96:97], v[66:67], v[90:91]
	v_add_f64 v[98:99], v[64:65], v[88:89]
	v_min3_f32 v100, v102, v100, v188
	v_cvt_f32_f64_e32 v98, v[98:99]
	v_cvt_f32_f64_e32 v96, v[96:97]
	v_min3_f32 v100, v98, v96, v100
	v_min3_f32 v96, v108, v101, v106
	v_cvt_f64_f32_e32 v[96:97], v96
	v_lshl_add_u64 v[98:99], v[134:135], 3, v[104:105]
	flat_store_dwordx2 v[98:99], v[96:97]
	v_add_u32_e32 v98, 32, v159
	v_mad_i64_i32 v[96:97], s[2:3], v98, s5, 0
	v_mad_i64_i32 v[98:99], s[2:3], v98, s4, 0
	v_lshl_add_u64 v[96:97], v[96:97], 3, s[0:1]
	s_mov_b64 s[2:3], -1
	v_max_f32_e32 v101, v100, v100
	s_mov_b64 vcc, s[8:9]
	s_cbranch_vccz .LBB107_113
; %bb.112:
	v_min_f32_e32 v100, 0, v101
	v_cvt_f64_f32_e32 v[102:103], v100
	v_lshl_add_u64 v[104:105], v[136:137], 3, v[96:97]
	flat_store_dwordx2 v[104:105], v[102:103]
	s_mov_b64 s[2:3], 0
.LBB107_113:
	v_lshl_add_u64 v[98:99], v[98:99], 3, s[14:15]
	s_andn2_b64 vcc, exec, s[2:3]
	v_mov_b32_e32 v100, 0
	s_cbranch_vccnz .LBB107_115
; %bb.114:
	v_lshl_add_u64 v[102:103], v[98:99], 0, v[140:141]
	flat_load_dwordx2 v[102:103], v[102:103]
	v_lshl_add_u64 v[104:105], v[96:97], 0, v[140:141]
	s_waitcnt vmcnt(0) lgkmcnt(0)
	v_mul_f64 v[102:103], s[10:11], v[102:103]
	v_cvt_f32_f64_e32 v100, v[102:103]
	v_min_f32_e32 v100, v100, v101
	v_cvt_f64_f32_e32 v[100:101], v100
	flat_store_dwordx2 v[104:105], v[100:101]
	v_lshl_add_u64 v[100:101], v[128:129], 3, v[98:99]
	flat_load_dwordx2 v[100:101], v[100:101]
	s_waitcnt vmcnt(0) lgkmcnt(0)
	v_mul_f64 v[100:101], s[10:11], v[100:101]
	v_cvt_f32_f64_e32 v100, v[100:101]
.LBB107_115:
	v_add_f64 v[102:103], v[62:63], v[94:95]
	v_add_f64 v[104:105], v[60:61], v[92:93]
	v_cvt_f32_f64_e32 v101, v[104:105]
	v_cvt_f32_f64_e32 v102, v[102:103]
	v_min3_f32 v101, v101, v102, v187
	v_add_f64 v[102:103], v[58:59], v[94:95]
	v_add_f64 v[104:105], v[56:57], v[92:93]
	v_cvt_f32_f64_e32 v104, v[104:105]
	v_cvt_f32_f64_e32 v102, v[102:103]
	v_min3_f32 v106, v104, v102, v186
	v_add_f64 v[102:103], v[54:55], v[90:91]
	v_add_f64 v[104:105], v[52:53], v[88:89]
	v_cvt_f32_f64_e32 v104, v[104:105]
	v_cvt_f32_f64_e32 v102, v[102:103]
	v_min_f32_e32 v107, v104, v102
	v_add_f64 v[102:103], v[50:51], v[90:91]
	v_add_f64 v[104:105], v[48:49], v[88:89]
	v_cvt_f32_f64_e32 v104, v[104:105]
	v_cvt_f32_f64_e32 v102, v[102:103]
	v_min3_f32 v100, v100, v107, v101
	v_min3_f32 v104, v104, v102, v106
	v_cvt_f64_f32_e32 v[100:101], v100
	v_lshl_add_u64 v[102:103], v[128:129], 3, v[96:97]
	flat_store_dwordx2 v[102:103], v[100:101]
	s_mov_b64 s[2:3], -1
	v_max_f32_e32 v101, v104, v104
	s_mov_b64 vcc, s[8:9]
	s_cbranch_vccz .LBB107_117
; %bb.116:
	v_min_f32_e32 v100, 0, v101
	v_cvt_f64_f32_e32 v[102:103], v100
	v_lshl_add_u64 v[104:105], v[138:139], 3, v[96:97]
	flat_store_dwordx2 v[104:105], v[102:103]
	s_mov_b64 s[2:3], 0
.LBB107_117:
	s_andn2_b64 vcc, exec, s[2:3]
	v_mov_b32_e32 v100, 0
	s_cbranch_vccnz .LBB107_119
; %bb.118:
	v_lshl_add_u64 v[102:103], v[98:99], 0, v[144:145]
	flat_load_dwordx2 v[102:103], v[102:103]
	v_lshl_add_u64 v[104:105], v[96:97], 0, v[144:145]
	s_waitcnt vmcnt(0) lgkmcnt(0)
	v_mul_f64 v[102:103], s[10:11], v[102:103]
	v_cvt_f32_f64_e32 v100, v[102:103]
	v_min_f32_e32 v100, v100, v101
	v_cvt_f64_f32_e32 v[100:101], v100
	flat_store_dwordx2 v[104:105], v[100:101]
	v_lshl_add_u64 v[100:101], v[130:131], 3, v[98:99]
	flat_load_dwordx2 v[100:101], v[100:101]
	s_waitcnt vmcnt(0) lgkmcnt(0)
	v_mul_f64 v[100:101], s[10:11], v[100:101]
	v_cvt_f32_f64_e32 v100, v[100:101]
.LBB107_119:
	v_add_f64 v[102:103], v[46:47], v[94:95]
	v_add_f64 v[104:105], v[44:45], v[92:93]
	v_cvt_f32_f64_e32 v101, v[104:105]
	v_cvt_f32_f64_e32 v102, v[102:103]
	v_min3_f32 v101, v101, v102, v185
	v_add_f64 v[102:103], v[42:43], v[94:95]
	v_add_f64 v[104:105], v[40:41], v[92:93]
	v_cvt_f32_f64_e32 v104, v[104:105]
	v_cvt_f32_f64_e32 v102, v[102:103]
	v_min3_f32 v106, v104, v102, v184
	v_add_f64 v[102:103], v[38:39], v[90:91]
	v_add_f64 v[104:105], v[36:37], v[88:89]
	v_cvt_f32_f64_e32 v104, v[104:105]
	v_cvt_f32_f64_e32 v102, v[102:103]
	v_min_f32_e32 v107, v104, v102
	v_add_f64 v[102:103], v[34:35], v[90:91]
	v_add_f64 v[104:105], v[32:33], v[88:89]
	v_cvt_f32_f64_e32 v104, v[104:105]
	v_cvt_f32_f64_e32 v102, v[102:103]
	v_min3_f32 v100, v100, v107, v101
	v_min3_f32 v104, v104, v102, v106
	v_cvt_f64_f32_e32 v[100:101], v100
	v_lshl_add_u64 v[102:103], v[130:131], 3, v[96:97]
	flat_store_dwordx2 v[102:103], v[100:101]
	s_mov_b64 s[2:3], -1
	v_max_f32_e32 v101, v104, v104
	s_mov_b64 vcc, s[8:9]
	s_cbranch_vccz .LBB107_121
; %bb.120:
	v_min_f32_e32 v100, 0, v101
	v_cvt_f64_f32_e32 v[102:103], v100
	v_lshl_add_u64 v[104:105], v[142:143], 3, v[96:97]
	flat_store_dwordx2 v[104:105], v[102:103]
	s_mov_b64 s[2:3], 0
.LBB107_121:
	;; [unrolled: 54-line block ×3, first 2 shown]
	s_andn2_b64 vcc, exec, s[2:3]
	v_mov_b32_e32 v100, 0
	s_cbranch_vccnz .LBB107_127
; %bb.126:
	v_lshl_add_u64 v[102:103], v[98:99], 0, v[150:151]
	flat_load_dwordx2 v[102:103], v[102:103]
	v_lshl_add_u64 v[104:105], v[96:97], 0, v[150:151]
	v_lshl_add_u64 v[98:99], v[134:135], 3, v[98:99]
	s_waitcnt vmcnt(0) lgkmcnt(0)
	v_mul_f64 v[102:103], s[10:11], v[102:103]
	v_cvt_f32_f64_e32 v100, v[102:103]
	v_min_f32_e32 v100, v100, v101
	v_cvt_f64_f32_e32 v[100:101], v100
	flat_store_dwordx2 v[104:105], v[100:101]
	flat_load_dwordx2 v[98:99], v[98:99]
	s_waitcnt vmcnt(0) lgkmcnt(0)
	v_mul_f64 v[98:99], s[10:11], v[98:99]
	v_cvt_f32_f64_e32 v100, v[98:99]
.LBB107_127:
	v_add_f64 v[94:95], v[2:3], v[94:95]
	v_add_f64 v[92:93], v[0:1], v[92:93]
	v_cvt_f32_f64_e32 v92, v[92:93]
	v_cvt_f32_f64_e32 v93, v[94:95]
	v_add_f64 v[90:91], v[10:11], v[90:91]
	v_add_f64 v[88:89], v[8:9], v[88:89]
	v_min3_f32 v98, v92, v93, v181
	v_add_f64 v[92:93], v[70:71], v[86:87]
	v_add_f64 v[94:95], v[68:69], v[84:85]
	v_cvt_f32_f64_e32 v88, v[88:89]
	v_cvt_f32_f64_e32 v89, v[90:91]
	;; [unrolled: 1-line block ×4, first 2 shown]
	v_min_f32_e32 v93, v88, v89
	v_add_f64 v[88:89], v[66:67], v[82:83]
	v_add_f64 v[90:91], v[64:65], v[80:81]
	v_min3_f32 v92, v94, v92, v180
	v_cvt_f32_f64_e32 v90, v[90:91]
	v_cvt_f32_f64_e32 v88, v[88:89]
	v_min3_f32 v92, v90, v88, v92
	v_min3_f32 v88, v100, v93, v98
	v_cvt_f64_f32_e32 v[88:89], v88
	v_lshl_add_u64 v[90:91], v[134:135], 3, v[96:97]
	flat_store_dwordx2 v[90:91], v[88:89]
	v_add_u32_e32 v90, 40, v159
	v_mad_i64_i32 v[88:89], s[2:3], v90, s5, 0
	v_mad_i64_i32 v[90:91], s[2:3], v90, s4, 0
	v_lshl_add_u64 v[88:89], v[88:89], 3, s[0:1]
	s_mov_b64 s[2:3], -1
	v_max_f32_e32 v93, v92, v92
	s_mov_b64 vcc, s[8:9]
	s_cbranch_vccz .LBB107_129
; %bb.128:
	v_min_f32_e32 v92, 0, v93
	v_cvt_f64_f32_e32 v[94:95], v92
	v_lshl_add_u64 v[96:97], v[136:137], 3, v[88:89]
	flat_store_dwordx2 v[96:97], v[94:95]
	s_mov_b64 s[2:3], 0
.LBB107_129:
	v_lshl_add_u64 v[90:91], v[90:91], 3, s[14:15]
	s_andn2_b64 vcc, exec, s[2:3]
	v_mov_b32_e32 v92, 0
	s_cbranch_vccnz .LBB107_131
; %bb.130:
	v_lshl_add_u64 v[94:95], v[90:91], 0, v[140:141]
	flat_load_dwordx2 v[94:95], v[94:95]
	v_lshl_add_u64 v[96:97], v[88:89], 0, v[140:141]
	s_waitcnt vmcnt(0) lgkmcnt(0)
	v_mul_f64 v[94:95], s[10:11], v[94:95]
	v_cvt_f32_f64_e32 v92, v[94:95]
	v_min_f32_e32 v92, v92, v93
	v_cvt_f64_f32_e32 v[92:93], v92
	flat_store_dwordx2 v[96:97], v[92:93]
	v_lshl_add_u64 v[92:93], v[128:129], 3, v[90:91]
	flat_load_dwordx2 v[92:93], v[92:93]
	s_waitcnt vmcnt(0) lgkmcnt(0)
	v_mul_f64 v[92:93], s[10:11], v[92:93]
	v_cvt_f32_f64_e32 v92, v[92:93]
.LBB107_131:
	v_add_f64 v[94:95], v[62:63], v[86:87]
	v_add_f64 v[96:97], v[60:61], v[84:85]
	v_cvt_f32_f64_e32 v93, v[96:97]
	v_cvt_f32_f64_e32 v94, v[94:95]
	v_min3_f32 v93, v93, v94, v179
	v_add_f64 v[94:95], v[58:59], v[86:87]
	v_add_f64 v[96:97], v[56:57], v[84:85]
	v_cvt_f32_f64_e32 v96, v[96:97]
	v_cvt_f32_f64_e32 v94, v[94:95]
	v_min3_f32 v98, v96, v94, v178
	v_add_f64 v[94:95], v[54:55], v[82:83]
	v_add_f64 v[96:97], v[52:53], v[80:81]
	v_cvt_f32_f64_e32 v96, v[96:97]
	v_cvt_f32_f64_e32 v94, v[94:95]
	v_min_f32_e32 v99, v96, v94
	v_add_f64 v[94:95], v[50:51], v[82:83]
	v_add_f64 v[96:97], v[48:49], v[80:81]
	v_cvt_f32_f64_e32 v96, v[96:97]
	v_cvt_f32_f64_e32 v94, v[94:95]
	v_min3_f32 v92, v92, v99, v93
	v_min3_f32 v96, v96, v94, v98
	v_cvt_f64_f32_e32 v[92:93], v92
	v_lshl_add_u64 v[94:95], v[128:129], 3, v[88:89]
	flat_store_dwordx2 v[94:95], v[92:93]
	s_mov_b64 s[2:3], -1
	v_max_f32_e32 v93, v96, v96
	s_mov_b64 vcc, s[8:9]
	s_cbranch_vccz .LBB107_133
; %bb.132:
	v_min_f32_e32 v92, 0, v93
	v_cvt_f64_f32_e32 v[94:95], v92
	v_lshl_add_u64 v[96:97], v[138:139], 3, v[88:89]
	flat_store_dwordx2 v[96:97], v[94:95]
	s_mov_b64 s[2:3], 0
.LBB107_133:
	s_andn2_b64 vcc, exec, s[2:3]
	v_mov_b32_e32 v92, 0
	s_cbranch_vccnz .LBB107_135
; %bb.134:
	v_lshl_add_u64 v[94:95], v[90:91], 0, v[144:145]
	flat_load_dwordx2 v[94:95], v[94:95]
	v_lshl_add_u64 v[96:97], v[88:89], 0, v[144:145]
	s_waitcnt vmcnt(0) lgkmcnt(0)
	v_mul_f64 v[94:95], s[10:11], v[94:95]
	v_cvt_f32_f64_e32 v92, v[94:95]
	v_min_f32_e32 v92, v92, v93
	v_cvt_f64_f32_e32 v[92:93], v92
	flat_store_dwordx2 v[96:97], v[92:93]
	v_lshl_add_u64 v[92:93], v[130:131], 3, v[90:91]
	flat_load_dwordx2 v[92:93], v[92:93]
	s_waitcnt vmcnt(0) lgkmcnt(0)
	v_mul_f64 v[92:93], s[10:11], v[92:93]
	v_cvt_f32_f64_e32 v92, v[92:93]
.LBB107_135:
	v_add_f64 v[94:95], v[46:47], v[86:87]
	v_add_f64 v[96:97], v[44:45], v[84:85]
	v_cvt_f32_f64_e32 v93, v[96:97]
	v_cvt_f32_f64_e32 v94, v[94:95]
	v_min3_f32 v93, v93, v94, v177
	v_add_f64 v[94:95], v[42:43], v[86:87]
	v_add_f64 v[96:97], v[40:41], v[84:85]
	v_cvt_f32_f64_e32 v96, v[96:97]
	v_cvt_f32_f64_e32 v94, v[94:95]
	v_min3_f32 v98, v96, v94, v176
	v_add_f64 v[94:95], v[38:39], v[82:83]
	v_add_f64 v[96:97], v[36:37], v[80:81]
	v_cvt_f32_f64_e32 v96, v[96:97]
	v_cvt_f32_f64_e32 v94, v[94:95]
	v_min_f32_e32 v99, v96, v94
	v_add_f64 v[94:95], v[34:35], v[82:83]
	v_add_f64 v[96:97], v[32:33], v[80:81]
	v_cvt_f32_f64_e32 v96, v[96:97]
	v_cvt_f32_f64_e32 v94, v[94:95]
	v_min3_f32 v92, v92, v99, v93
	v_min3_f32 v96, v96, v94, v98
	v_cvt_f64_f32_e32 v[92:93], v92
	v_lshl_add_u64 v[94:95], v[130:131], 3, v[88:89]
	flat_store_dwordx2 v[94:95], v[92:93]
	s_mov_b64 s[2:3], -1
	v_max_f32_e32 v93, v96, v96
	s_mov_b64 vcc, s[8:9]
	s_cbranch_vccz .LBB107_137
; %bb.136:
	v_min_f32_e32 v92, 0, v93
	v_cvt_f64_f32_e32 v[94:95], v92
	v_lshl_add_u64 v[96:97], v[142:143], 3, v[88:89]
	flat_store_dwordx2 v[96:97], v[94:95]
	s_mov_b64 s[2:3], 0
.LBB107_137:
	;; [unrolled: 54-line block ×3, first 2 shown]
	s_andn2_b64 vcc, exec, s[2:3]
	v_mov_b32_e32 v92, 0
	s_cbranch_vccnz .LBB107_143
; %bb.142:
	v_lshl_add_u64 v[94:95], v[90:91], 0, v[150:151]
	flat_load_dwordx2 v[94:95], v[94:95]
	v_lshl_add_u64 v[96:97], v[88:89], 0, v[150:151]
	v_lshl_add_u64 v[90:91], v[134:135], 3, v[90:91]
	s_waitcnt vmcnt(0) lgkmcnt(0)
	v_mul_f64 v[94:95], s[10:11], v[94:95]
	v_cvt_f32_f64_e32 v92, v[94:95]
	v_min_f32_e32 v92, v92, v93
	v_cvt_f64_f32_e32 v[92:93], v92
	flat_store_dwordx2 v[96:97], v[92:93]
	flat_load_dwordx2 v[90:91], v[90:91]
	s_waitcnt vmcnt(0) lgkmcnt(0)
	v_mul_f64 v[90:91], s[10:11], v[90:91]
	v_cvt_f32_f64_e32 v92, v[90:91]
.LBB107_143:
	v_add_f64 v[86:87], v[2:3], v[86:87]
	v_add_f64 v[84:85], v[0:1], v[84:85]
	v_cvt_f32_f64_e32 v84, v[84:85]
	v_cvt_f32_f64_e32 v85, v[86:87]
	v_add_f64 v[82:83], v[10:11], v[82:83]
	v_add_f64 v[80:81], v[8:9], v[80:81]
	v_min3_f32 v90, v84, v85, v173
	v_add_f64 v[84:85], v[70:71], v[78:79]
	v_add_f64 v[86:87], v[68:69], v[76:77]
	v_cvt_f32_f64_e32 v80, v[80:81]
	v_cvt_f32_f64_e32 v81, v[82:83]
	;; [unrolled: 1-line block ×4, first 2 shown]
	v_min_f32_e32 v85, v80, v81
	v_add_f64 v[80:81], v[66:67], v[74:75]
	v_add_f64 v[82:83], v[64:65], v[72:73]
	v_min3_f32 v84, v86, v84, v172
	v_cvt_f32_f64_e32 v82, v[82:83]
	v_cvt_f32_f64_e32 v80, v[80:81]
	v_min3_f32 v84, v82, v80, v84
	v_min3_f32 v80, v92, v85, v90
	v_cvt_f64_f32_e32 v[80:81], v80
	v_lshl_add_u64 v[82:83], v[134:135], 3, v[88:89]
	flat_store_dwordx2 v[82:83], v[80:81]
	v_add_u32_e32 v82, 48, v159
	v_mad_i64_i32 v[80:81], s[2:3], v82, s5, 0
	v_mad_i64_i32 v[82:83], s[2:3], v82, s4, 0
	v_lshl_add_u64 v[80:81], v[80:81], 3, s[0:1]
	s_mov_b64 s[2:3], -1
	v_max_f32_e32 v85, v84, v84
	s_mov_b64 vcc, s[8:9]
	s_cbranch_vccz .LBB107_145
; %bb.144:
	v_min_f32_e32 v84, 0, v85
	v_cvt_f64_f32_e32 v[86:87], v84
	v_lshl_add_u64 v[88:89], v[136:137], 3, v[80:81]
	flat_store_dwordx2 v[88:89], v[86:87]
	s_mov_b64 s[2:3], 0
.LBB107_145:
	v_lshl_add_u64 v[82:83], v[82:83], 3, s[14:15]
	s_andn2_b64 vcc, exec, s[2:3]
	v_mov_b32_e32 v84, 0
	s_cbranch_vccnz .LBB107_147
; %bb.146:
	v_lshl_add_u64 v[86:87], v[82:83], 0, v[140:141]
	flat_load_dwordx2 v[86:87], v[86:87]
	v_lshl_add_u64 v[88:89], v[80:81], 0, v[140:141]
	s_waitcnt vmcnt(0) lgkmcnt(0)
	v_mul_f64 v[86:87], s[10:11], v[86:87]
	v_cvt_f32_f64_e32 v84, v[86:87]
	v_min_f32_e32 v84, v84, v85
	v_cvt_f64_f32_e32 v[84:85], v84
	flat_store_dwordx2 v[88:89], v[84:85]
	v_lshl_add_u64 v[84:85], v[128:129], 3, v[82:83]
	flat_load_dwordx2 v[84:85], v[84:85]
	s_waitcnt vmcnt(0) lgkmcnt(0)
	v_mul_f64 v[84:85], s[10:11], v[84:85]
	v_cvt_f32_f64_e32 v84, v[84:85]
.LBB107_147:
	v_add_f64 v[86:87], v[62:63], v[78:79]
	v_add_f64 v[88:89], v[60:61], v[76:77]
	v_cvt_f32_f64_e32 v85, v[88:89]
	v_cvt_f32_f64_e32 v86, v[86:87]
	v_min3_f32 v85, v85, v86, v171
	v_add_f64 v[86:87], v[58:59], v[78:79]
	v_add_f64 v[88:89], v[56:57], v[76:77]
	v_cvt_f32_f64_e32 v88, v[88:89]
	v_cvt_f32_f64_e32 v86, v[86:87]
	v_min3_f32 v90, v88, v86, v170
	v_add_f64 v[86:87], v[54:55], v[74:75]
	v_add_f64 v[88:89], v[52:53], v[72:73]
	v_cvt_f32_f64_e32 v88, v[88:89]
	v_cvt_f32_f64_e32 v86, v[86:87]
	v_min_f32_e32 v91, v88, v86
	v_add_f64 v[86:87], v[50:51], v[74:75]
	v_add_f64 v[88:89], v[48:49], v[72:73]
	v_cvt_f32_f64_e32 v88, v[88:89]
	v_cvt_f32_f64_e32 v86, v[86:87]
	v_min3_f32 v84, v84, v91, v85
	v_min3_f32 v88, v88, v86, v90
	v_cvt_f64_f32_e32 v[84:85], v84
	v_lshl_add_u64 v[86:87], v[128:129], 3, v[80:81]
	flat_store_dwordx2 v[86:87], v[84:85]
	s_mov_b64 s[2:3], -1
	v_max_f32_e32 v85, v88, v88
	s_mov_b64 vcc, s[8:9]
	s_cbranch_vccz .LBB107_149
; %bb.148:
	v_min_f32_e32 v84, 0, v85
	v_cvt_f64_f32_e32 v[86:87], v84
	v_lshl_add_u64 v[88:89], v[138:139], 3, v[80:81]
	flat_store_dwordx2 v[88:89], v[86:87]
	s_mov_b64 s[2:3], 0
.LBB107_149:
	s_andn2_b64 vcc, exec, s[2:3]
	v_mov_b32_e32 v84, 0
	s_cbranch_vccnz .LBB107_151
; %bb.150:
	v_lshl_add_u64 v[86:87], v[82:83], 0, v[144:145]
	flat_load_dwordx2 v[86:87], v[86:87]
	v_lshl_add_u64 v[88:89], v[80:81], 0, v[144:145]
	s_waitcnt vmcnt(0) lgkmcnt(0)
	v_mul_f64 v[86:87], s[10:11], v[86:87]
	v_cvt_f32_f64_e32 v84, v[86:87]
	v_min_f32_e32 v84, v84, v85
	v_cvt_f64_f32_e32 v[84:85], v84
	flat_store_dwordx2 v[88:89], v[84:85]
	v_lshl_add_u64 v[84:85], v[130:131], 3, v[82:83]
	flat_load_dwordx2 v[84:85], v[84:85]
	s_waitcnt vmcnt(0) lgkmcnt(0)
	v_mul_f64 v[84:85], s[10:11], v[84:85]
	v_cvt_f32_f64_e32 v84, v[84:85]
.LBB107_151:
	v_add_f64 v[86:87], v[46:47], v[78:79]
	v_add_f64 v[88:89], v[44:45], v[76:77]
	v_cvt_f32_f64_e32 v85, v[88:89]
	v_cvt_f32_f64_e32 v86, v[86:87]
	v_min3_f32 v85, v85, v86, v169
	v_add_f64 v[86:87], v[42:43], v[78:79]
	v_add_f64 v[88:89], v[40:41], v[76:77]
	v_cvt_f32_f64_e32 v88, v[88:89]
	v_cvt_f32_f64_e32 v86, v[86:87]
	v_min3_f32 v90, v88, v86, v168
	v_add_f64 v[86:87], v[38:39], v[74:75]
	v_add_f64 v[88:89], v[36:37], v[72:73]
	v_cvt_f32_f64_e32 v88, v[88:89]
	v_cvt_f32_f64_e32 v86, v[86:87]
	v_min_f32_e32 v91, v88, v86
	v_add_f64 v[86:87], v[34:35], v[74:75]
	v_add_f64 v[88:89], v[32:33], v[72:73]
	v_cvt_f32_f64_e32 v88, v[88:89]
	v_cvt_f32_f64_e32 v86, v[86:87]
	v_min3_f32 v84, v84, v91, v85
	v_min3_f32 v88, v88, v86, v90
	v_cvt_f64_f32_e32 v[84:85], v84
	v_lshl_add_u64 v[86:87], v[130:131], 3, v[80:81]
	flat_store_dwordx2 v[86:87], v[84:85]
	s_mov_b64 s[2:3], -1
	v_max_f32_e32 v85, v88, v88
	s_mov_b64 vcc, s[8:9]
	s_cbranch_vccz .LBB107_153
; %bb.152:
	v_min_f32_e32 v84, 0, v85
	v_cvt_f64_f32_e32 v[86:87], v84
	v_lshl_add_u64 v[88:89], v[142:143], 3, v[80:81]
	flat_store_dwordx2 v[88:89], v[86:87]
	s_mov_b64 s[2:3], 0
.LBB107_153:
	;; [unrolled: 54-line block ×3, first 2 shown]
	s_andn2_b64 vcc, exec, s[2:3]
	v_mov_b32_e32 v84, 0
	s_cbranch_vccnz .LBB107_159
; %bb.158:
	v_lshl_add_u64 v[86:87], v[82:83], 0, v[150:151]
	flat_load_dwordx2 v[86:87], v[86:87]
	v_lshl_add_u64 v[88:89], v[80:81], 0, v[150:151]
	v_lshl_add_u64 v[82:83], v[134:135], 3, v[82:83]
	s_waitcnt vmcnt(0) lgkmcnt(0)
	v_mul_f64 v[86:87], s[10:11], v[86:87]
	v_cvt_f32_f64_e32 v84, v[86:87]
	v_min_f32_e32 v84, v84, v85
	v_cvt_f64_f32_e32 v[84:85], v84
	flat_store_dwordx2 v[88:89], v[84:85]
	flat_load_dwordx2 v[82:83], v[82:83]
	s_waitcnt vmcnt(0) lgkmcnt(0)
	v_mul_f64 v[82:83], s[10:11], v[82:83]
	v_cvt_f32_f64_e32 v84, v[82:83]
.LBB107_159:
	v_add_f64 v[78:79], v[2:3], v[78:79]
	v_add_f64 v[76:77], v[0:1], v[76:77]
	v_add_f64 v[70:71], v[70:71], v[6:7]
	v_add_f64 v[68:69], v[68:69], v[4:5]
	v_cvt_f32_f64_e32 v76, v[76:77]
	v_cvt_f32_f64_e32 v77, v[78:79]
	;; [unrolled: 1-line block ×4, first 2 shown]
	v_min3_f32 v76, v76, v77, v165
	v_min3_f32 v77, v68, v69, v164
	v_add_f64 v[68:69], v[10:11], v[74:75]
	v_add_f64 v[70:71], v[8:9], v[72:73]
	v_cvt_f32_f64_e32 v70, v[70:71]
	v_cvt_f32_f64_e32 v68, v[68:69]
	v_add_f64 v[66:67], v[66:67], v[14:15]
	v_add_f64 v[64:65], v[64:65], v[12:13]
	v_min_f32_e32 v68, v70, v68
	v_cvt_f32_f64_e32 v64, v[64:65]
	v_cvt_f32_f64_e32 v65, v[66:67]
	v_min3_f32 v69, v64, v65, v77
	v_min3_f32 v64, v84, v68, v76
	v_cvt_f64_f32_e32 v[64:65], v64
	v_lshl_add_u64 v[66:67], v[134:135], 3, v[80:81]
	flat_store_dwordx2 v[66:67], v[64:65]
	v_add_u32_e32 v66, 56, v159
	v_mad_i64_i32 v[64:65], s[2:3], v66, s5, 0
	v_lshl_add_u64 v[64:65], v[64:65], 3, s[0:1]
	v_mad_i64_i32 v[66:67], s[0:1], v66, s4, 0
	s_mov_b64 s[0:1], -1
	v_max_f32_e32 v69, v69, v69
	s_mov_b64 vcc, s[8:9]
	s_cbranch_vccz .LBB107_161
; %bb.160:
	v_min_f32_e32 v68, 0, v69
	v_cvt_f64_f32_e32 v[70:71], v68
	v_lshl_add_u64 v[72:73], v[136:137], 3, v[64:65]
	flat_store_dwordx2 v[72:73], v[70:71]
	s_mov_b64 s[0:1], 0
.LBB107_161:
	v_lshl_add_u64 v[66:67], v[66:67], 3, s[14:15]
	s_andn2_b64 vcc, exec, s[0:1]
	v_mov_b32_e32 v68, 0
	s_cbranch_vccnz .LBB107_163
; %bb.162:
	v_lshl_add_u64 v[70:71], v[66:67], 0, v[140:141]
	flat_load_dwordx2 v[70:71], v[70:71]
	v_lshl_add_u64 v[72:73], v[64:65], 0, v[140:141]
	s_waitcnt vmcnt(0) lgkmcnt(0)
	v_mul_f64 v[70:71], s[10:11], v[70:71]
	v_cvt_f32_f64_e32 v68, v[70:71]
	v_min_f32_e32 v68, v68, v69
	v_cvt_f64_f32_e32 v[68:69], v68
	flat_store_dwordx2 v[72:73], v[68:69]
	v_lshl_add_u64 v[68:69], v[128:129], 3, v[66:67]
	flat_load_dwordx2 v[68:69], v[68:69]
	s_waitcnt vmcnt(0) lgkmcnt(0)
	v_mul_f64 v[68:69], s[10:11], v[68:69]
	v_cvt_f32_f64_e32 v68, v[68:69]
.LBB107_163:
	v_add_f64 v[62:63], v[62:63], v[6:7]
	v_add_f64 v[60:61], v[60:61], v[4:5]
	v_add_f64 v[58:59], v[58:59], v[6:7]
	v_add_f64 v[56:57], v[56:57], v[4:5]
	v_add_f64 v[54:55], v[54:55], v[14:15]
	v_add_f64 v[52:53], v[52:53], v[12:13]
	v_cvt_f32_f64_e32 v60, v[60:61]
	v_cvt_f32_f64_e32 v61, v[62:63]
	v_cvt_f32_f64_e32 v56, v[56:57]
	v_cvt_f32_f64_e32 v57, v[58:59]
	v_cvt_f32_f64_e32 v52, v[52:53]
	v_cvt_f32_f64_e32 v53, v[54:55]
	v_add_f64 v[50:51], v[50:51], v[14:15]
	v_add_f64 v[48:49], v[48:49], v[12:13]
	v_min3_f32 v60, v60, v61, v163
	v_min3_f32 v56, v56, v57, v162
	v_min_f32_e32 v52, v52, v53
	v_cvt_f32_f64_e32 v48, v[48:49]
	v_cvt_f32_f64_e32 v49, v[50:51]
	v_min3_f32 v53, v48, v49, v56
	v_min3_f32 v48, v68, v52, v60
	v_cvt_f64_f32_e32 v[48:49], v48
	v_lshl_add_u64 v[50:51], v[128:129], 3, v[64:65]
	flat_store_dwordx2 v[50:51], v[48:49]
	s_mov_b64 s[0:1], -1
	v_max_f32_e32 v49, v53, v53
	s_mov_b64 vcc, s[8:9]
	s_cbranch_vccz .LBB107_165
; %bb.164:
	v_min_f32_e32 v48, 0, v49
	v_cvt_f64_f32_e32 v[50:51], v48
	v_lshl_add_u64 v[52:53], v[138:139], 3, v[64:65]
	flat_store_dwordx2 v[52:53], v[50:51]
	s_mov_b64 s[0:1], 0
.LBB107_165:
	s_andn2_b64 vcc, exec, s[0:1]
	v_mov_b32_e32 v48, 0
	s_cbranch_vccnz .LBB107_167
; %bb.166:
	v_lshl_add_u64 v[50:51], v[66:67], 0, v[144:145]
	flat_load_dwordx2 v[50:51], v[50:51]
	v_lshl_add_u64 v[52:53], v[64:65], 0, v[144:145]
	s_waitcnt vmcnt(0) lgkmcnt(0)
	v_mul_f64 v[50:51], s[10:11], v[50:51]
	v_cvt_f32_f64_e32 v48, v[50:51]
	v_min_f32_e32 v48, v48, v49
	v_cvt_f64_f32_e32 v[48:49], v48
	flat_store_dwordx2 v[52:53], v[48:49]
	v_lshl_add_u64 v[48:49], v[130:131], 3, v[66:67]
	flat_load_dwordx2 v[48:49], v[48:49]
	s_waitcnt vmcnt(0) lgkmcnt(0)
	v_mul_f64 v[48:49], s[10:11], v[48:49]
	v_cvt_f32_f64_e32 v48, v[48:49]
.LBB107_167:
	v_add_f64 v[46:47], v[46:47], v[6:7]
	v_add_f64 v[44:45], v[44:45], v[4:5]
	v_add_f64 v[42:43], v[42:43], v[6:7]
	v_add_f64 v[40:41], v[40:41], v[4:5]
	v_add_f64 v[38:39], v[38:39], v[14:15]
	v_add_f64 v[36:37], v[36:37], v[12:13]
	v_cvt_f32_f64_e32 v44, v[44:45]
	v_cvt_f32_f64_e32 v45, v[46:47]
	v_cvt_f32_f64_e32 v40, v[40:41]
	v_cvt_f32_f64_e32 v41, v[42:43]
	v_cvt_f32_f64_e32 v36, v[36:37]
	v_cvt_f32_f64_e32 v37, v[38:39]
	v_add_f64 v[34:35], v[34:35], v[14:15]
	v_add_f64 v[32:33], v[32:33], v[12:13]
	v_min3_f32 v44, v44, v45, v161
	v_min3_f32 v40, v40, v41, v160
	v_min_f32_e32 v36, v36, v37
	v_cvt_f32_f64_e32 v32, v[32:33]
	v_cvt_f32_f64_e32 v33, v[34:35]
	v_min3_f32 v37, v32, v33, v40
	v_min3_f32 v32, v48, v36, v44
	v_cvt_f64_f32_e32 v[32:33], v32
	v_lshl_add_u64 v[34:35], v[130:131], 3, v[64:65]
	flat_store_dwordx2 v[34:35], v[32:33]
	s_mov_b64 s[0:1], -1
	v_max_f32_e32 v33, v37, v37
	s_mov_b64 vcc, s[8:9]
	s_cbranch_vccz .LBB107_169
; %bb.168:
	v_min_f32_e32 v32, 0, v33
	v_cvt_f64_f32_e32 v[34:35], v32
	v_lshl_add_u64 v[36:37], v[142:143], 3, v[64:65]
	flat_store_dwordx2 v[36:37], v[34:35]
	s_mov_b64 s[0:1], 0
.LBB107_169:
	;; [unrolled: 54-line block ×3, first 2 shown]
	s_andn2_b64 vcc, exec, s[0:1]
	v_mov_b32_e32 v16, 0
	s_cbranch_vccnz .LBB107_175
; %bb.174:
	v_lshl_add_u64 v[18:19], v[66:67], 0, v[150:151]
	flat_load_dwordx2 v[18:19], v[18:19]
	v_lshl_add_u64 v[20:21], v[64:65], 0, v[150:151]
	s_waitcnt vmcnt(0) lgkmcnt(0)
	v_mul_f64 v[18:19], s[10:11], v[18:19]
	v_cvt_f32_f64_e32 v16, v[18:19]
	v_min_f32_e32 v16, v16, v17
	v_cvt_f64_f32_e32 v[16:17], v16
	flat_store_dwordx2 v[20:21], v[16:17]
	v_lshl_add_u64 v[16:17], v[134:135], 3, v[66:67]
	flat_load_dwordx2 v[16:17], v[16:17]
	s_waitcnt vmcnt(0) lgkmcnt(0)
	v_mul_f64 v[16:17], s[10:11], v[16:17]
	v_cvt_f32_f64_e32 v16, v[16:17]
.LBB107_175:
	v_add_f64 v[10:11], v[10:11], v[14:15]
	v_add_f64 v[8:9], v[8:9], v[12:13]
	;; [unrolled: 1-line block ×4, first 2 shown]
	v_cvt_f32_f64_e32 v8, v[8:9]
	v_cvt_f32_f64_e32 v9, v[10:11]
	;; [unrolled: 1-line block ×4, first 2 shown]
	v_min_f32_e32 v8, v8, v9
	v_min3_f32 v0, v0, v1, v156
	v_min3_f32 v0, v16, v8, v0
	v_cvt_f64_f32_e32 v[0:1], v0
	v_lshl_add_u64 v[2:3], v[134:135], 3, v[64:65]
	flat_store_dwordx2 v[2:3], v[0:1]
	s_endpgm
	.section	.rodata,"a",@progbits
	.p2align	6, 0x0
	.amdhsa_kernel _ZN12_GLOBAL__N_120geam_min_plus_kernelId15HIP_vector_typeIdLj2EEdLi32ELi8ELi256ELi64ELi4ELi64ELi4ELi4ELi64ELc78ELc78ELb0ELb0ELb1EdKPKdKPdEEviiiT16_PT17_ilSA_ilS8_SA_ilPT18_ili26rocblas_geam_ex_operation_
		.amdhsa_group_segment_fixed_size 20480
		.amdhsa_private_segment_fixed_size 0
		.amdhsa_kernarg_size 136
		.amdhsa_user_sgpr_count 2
		.amdhsa_user_sgpr_dispatch_ptr 0
		.amdhsa_user_sgpr_queue_ptr 0
		.amdhsa_user_sgpr_kernarg_segment_ptr 1
		.amdhsa_user_sgpr_dispatch_id 0
		.amdhsa_user_sgpr_kernarg_preload_length 0
		.amdhsa_user_sgpr_kernarg_preload_offset 0
		.amdhsa_user_sgpr_private_segment_size 0
		.amdhsa_uses_dynamic_stack 0
		.amdhsa_enable_private_segment 0
		.amdhsa_system_sgpr_workgroup_id_x 1
		.amdhsa_system_sgpr_workgroup_id_y 0
		.amdhsa_system_sgpr_workgroup_id_z 1
		.amdhsa_system_sgpr_workgroup_info 0
		.amdhsa_system_vgpr_workitem_id 1
		.amdhsa_next_free_vgpr 230
		.amdhsa_next_free_sgpr 31
		.amdhsa_accum_offset 232
		.amdhsa_reserve_vcc 1
		.amdhsa_float_round_mode_32 0
		.amdhsa_float_round_mode_16_64 0
		.amdhsa_float_denorm_mode_32 3
		.amdhsa_float_denorm_mode_16_64 3
		.amdhsa_dx10_clamp 1
		.amdhsa_ieee_mode 1
		.amdhsa_fp16_overflow 0
		.amdhsa_tg_split 0
		.amdhsa_exception_fp_ieee_invalid_op 0
		.amdhsa_exception_fp_denorm_src 0
		.amdhsa_exception_fp_ieee_div_zero 0
		.amdhsa_exception_fp_ieee_overflow 0
		.amdhsa_exception_fp_ieee_underflow 0
		.amdhsa_exception_fp_ieee_inexact 0
		.amdhsa_exception_int_div_zero 0
	.end_amdhsa_kernel
	.section	.text._ZN12_GLOBAL__N_120geam_min_plus_kernelId15HIP_vector_typeIdLj2EEdLi32ELi8ELi256ELi64ELi4ELi64ELi4ELi4ELi64ELc78ELc78ELb0ELb0ELb1EdKPKdKPdEEviiiT16_PT17_ilSA_ilS8_SA_ilPT18_ili26rocblas_geam_ex_operation_,"axG",@progbits,_ZN12_GLOBAL__N_120geam_min_plus_kernelId15HIP_vector_typeIdLj2EEdLi32ELi8ELi256ELi64ELi4ELi64ELi4ELi4ELi64ELc78ELc78ELb0ELb0ELb1EdKPKdKPdEEviiiT16_PT17_ilSA_ilS8_SA_ilPT18_ili26rocblas_geam_ex_operation_,comdat
.Lfunc_end107:
	.size	_ZN12_GLOBAL__N_120geam_min_plus_kernelId15HIP_vector_typeIdLj2EEdLi32ELi8ELi256ELi64ELi4ELi64ELi4ELi4ELi64ELc78ELc78ELb0ELb0ELb1EdKPKdKPdEEviiiT16_PT17_ilSA_ilS8_SA_ilPT18_ili26rocblas_geam_ex_operation_, .Lfunc_end107-_ZN12_GLOBAL__N_120geam_min_plus_kernelId15HIP_vector_typeIdLj2EEdLi32ELi8ELi256ELi64ELi4ELi64ELi4ELi4ELi64ELc78ELc78ELb0ELb0ELb1EdKPKdKPdEEviiiT16_PT17_ilSA_ilS8_SA_ilPT18_ili26rocblas_geam_ex_operation_
                                        ; -- End function
	.set _ZN12_GLOBAL__N_120geam_min_plus_kernelId15HIP_vector_typeIdLj2EEdLi32ELi8ELi256ELi64ELi4ELi64ELi4ELi4ELi64ELc78ELc78ELb0ELb0ELb1EdKPKdKPdEEviiiT16_PT17_ilSA_ilS8_SA_ilPT18_ili26rocblas_geam_ex_operation_.num_vgpr, 230
	.set _ZN12_GLOBAL__N_120geam_min_plus_kernelId15HIP_vector_typeIdLj2EEdLi32ELi8ELi256ELi64ELi4ELi64ELi4ELi4ELi64ELc78ELc78ELb0ELb0ELb1EdKPKdKPdEEviiiT16_PT17_ilSA_ilS8_SA_ilPT18_ili26rocblas_geam_ex_operation_.num_agpr, 0
	.set _ZN12_GLOBAL__N_120geam_min_plus_kernelId15HIP_vector_typeIdLj2EEdLi32ELi8ELi256ELi64ELi4ELi64ELi4ELi4ELi64ELc78ELc78ELb0ELb0ELb1EdKPKdKPdEEviiiT16_PT17_ilSA_ilS8_SA_ilPT18_ili26rocblas_geam_ex_operation_.numbered_sgpr, 31
	.set _ZN12_GLOBAL__N_120geam_min_plus_kernelId15HIP_vector_typeIdLj2EEdLi32ELi8ELi256ELi64ELi4ELi64ELi4ELi4ELi64ELc78ELc78ELb0ELb0ELb1EdKPKdKPdEEviiiT16_PT17_ilSA_ilS8_SA_ilPT18_ili26rocblas_geam_ex_operation_.num_named_barrier, 0
	.set _ZN12_GLOBAL__N_120geam_min_plus_kernelId15HIP_vector_typeIdLj2EEdLi32ELi8ELi256ELi64ELi4ELi64ELi4ELi4ELi64ELc78ELc78ELb0ELb0ELb1EdKPKdKPdEEviiiT16_PT17_ilSA_ilS8_SA_ilPT18_ili26rocblas_geam_ex_operation_.private_seg_size, 0
	.set _ZN12_GLOBAL__N_120geam_min_plus_kernelId15HIP_vector_typeIdLj2EEdLi32ELi8ELi256ELi64ELi4ELi64ELi4ELi4ELi64ELc78ELc78ELb0ELb0ELb1EdKPKdKPdEEviiiT16_PT17_ilSA_ilS8_SA_ilPT18_ili26rocblas_geam_ex_operation_.uses_vcc, 1
	.set _ZN12_GLOBAL__N_120geam_min_plus_kernelId15HIP_vector_typeIdLj2EEdLi32ELi8ELi256ELi64ELi4ELi64ELi4ELi4ELi64ELc78ELc78ELb0ELb0ELb1EdKPKdKPdEEviiiT16_PT17_ilSA_ilS8_SA_ilPT18_ili26rocblas_geam_ex_operation_.uses_flat_scratch, 0
	.set _ZN12_GLOBAL__N_120geam_min_plus_kernelId15HIP_vector_typeIdLj2EEdLi32ELi8ELi256ELi64ELi4ELi64ELi4ELi4ELi64ELc78ELc78ELb0ELb0ELb1EdKPKdKPdEEviiiT16_PT17_ilSA_ilS8_SA_ilPT18_ili26rocblas_geam_ex_operation_.has_dyn_sized_stack, 0
	.set _ZN12_GLOBAL__N_120geam_min_plus_kernelId15HIP_vector_typeIdLj2EEdLi32ELi8ELi256ELi64ELi4ELi64ELi4ELi4ELi64ELc78ELc78ELb0ELb0ELb1EdKPKdKPdEEviiiT16_PT17_ilSA_ilS8_SA_ilPT18_ili26rocblas_geam_ex_operation_.has_recursion, 0
	.set _ZN12_GLOBAL__N_120geam_min_plus_kernelId15HIP_vector_typeIdLj2EEdLi32ELi8ELi256ELi64ELi4ELi64ELi4ELi4ELi64ELc78ELc78ELb0ELb0ELb1EdKPKdKPdEEviiiT16_PT17_ilSA_ilS8_SA_ilPT18_ili26rocblas_geam_ex_operation_.has_indirect_call, 0
	.section	.AMDGPU.csdata,"",@progbits
; Kernel info:
; codeLenInByte = 25216
; TotalNumSgprs: 37
; NumVgprs: 230
; NumAgprs: 0
; TotalNumVgprs: 230
; ScratchSize: 0
; MemoryBound: 1
; FloatMode: 240
; IeeeMode: 1
; LDSByteSize: 20480 bytes/workgroup (compile time only)
; SGPRBlocks: 4
; VGPRBlocks: 28
; NumSGPRsForWavesPerEU: 37
; NumVGPRsForWavesPerEU: 230
; AccumOffset: 232
; Occupancy: 2
; WaveLimiterHint : 1
; COMPUTE_PGM_RSRC2:SCRATCH_EN: 0
; COMPUTE_PGM_RSRC2:USER_SGPR: 2
; COMPUTE_PGM_RSRC2:TRAP_HANDLER: 0
; COMPUTE_PGM_RSRC2:TGID_X_EN: 1
; COMPUTE_PGM_RSRC2:TGID_Y_EN: 0
; COMPUTE_PGM_RSRC2:TGID_Z_EN: 1
; COMPUTE_PGM_RSRC2:TIDIG_COMP_CNT: 1
; COMPUTE_PGM_RSRC3_GFX90A:ACCUM_OFFSET: 57
; COMPUTE_PGM_RSRC3_GFX90A:TG_SPLIT: 0
	.section	.text._ZN12_GLOBAL__N_120geam_min_plus_kernelId15HIP_vector_typeIdLj2EEdLi32ELi8ELi256ELi64ELi4ELi64ELi4ELi4ELi64ELc78ELc78ELb0ELb1ELb1EPKdKS4_KPdEEviiiT16_PT17_ilSA_ilS8_SA_ilPT18_ili26rocblas_geam_ex_operation_,"axG",@progbits,_ZN12_GLOBAL__N_120geam_min_plus_kernelId15HIP_vector_typeIdLj2EEdLi32ELi8ELi256ELi64ELi4ELi64ELi4ELi4ELi64ELc78ELc78ELb0ELb1ELb1EPKdKS4_KPdEEviiiT16_PT17_ilSA_ilS8_SA_ilPT18_ili26rocblas_geam_ex_operation_,comdat
	.globl	_ZN12_GLOBAL__N_120geam_min_plus_kernelId15HIP_vector_typeIdLj2EEdLi32ELi8ELi256ELi64ELi4ELi64ELi4ELi4ELi64ELc78ELc78ELb0ELb1ELb1EPKdKS4_KPdEEviiiT16_PT17_ilSA_ilS8_SA_ilPT18_ili26rocblas_geam_ex_operation_ ; -- Begin function _ZN12_GLOBAL__N_120geam_min_plus_kernelId15HIP_vector_typeIdLj2EEdLi32ELi8ELi256ELi64ELi4ELi64ELi4ELi4ELi64ELc78ELc78ELb0ELb1ELb1EPKdKS4_KPdEEviiiT16_PT17_ilSA_ilS8_SA_ilPT18_ili26rocblas_geam_ex_operation_
	.p2align	8
	.type	_ZN12_GLOBAL__N_120geam_min_plus_kernelId15HIP_vector_typeIdLj2EEdLi32ELi8ELi256ELi64ELi4ELi64ELi4ELi4ELi64ELc78ELc78ELb0ELb1ELb1EPKdKS4_KPdEEviiiT16_PT17_ilSA_ilS8_SA_ilPT18_ili26rocblas_geam_ex_operation_,@function
_ZN12_GLOBAL__N_120geam_min_plus_kernelId15HIP_vector_typeIdLj2EEdLi32ELi8ELi256ELi64ELi4ELi64ELi4ELi4ELi64ELc78ELc78ELb0ELb1ELb1EPKdKS4_KPdEEviiiT16_PT17_ilSA_ilS8_SA_ilPT18_ili26rocblas_geam_ex_operation_: ; @_ZN12_GLOBAL__N_120geam_min_plus_kernelId15HIP_vector_typeIdLj2EEdLi32ELi8ELi256ELi64ELi4ELi64ELi4ELi4ELi64ELc78ELc78ELb0ELb1ELb1EPKdKS4_KPdEEviiiT16_PT17_ilSA_ilS8_SA_ilPT18_ili26rocblas_geam_ex_operation_
; %bb.0:
	s_load_dwordx4 s[12:15], s[0:1], 0x10
	s_load_dwordx4 s[8:11], s[0:1], 0x28
	;; [unrolled: 1-line block ×3, first 2 shown]
	s_mov_b32 s16, s3
	s_mov_b32 s17, 0
	s_lshl_b64 s[28:29], s[16:17], 3
	s_waitcnt lgkmcnt(0)
	s_add_u32 s18, s12, s28
	s_addc_u32 s19, s13, s29
	s_load_dwordx2 s[16:17], s[18:19], 0x0
	s_load_dwordx2 s[12:13], s[0:1], 0x50
	s_add_u32 s6, s6, s28
	s_addc_u32 s7, s7, s29
	s_mov_b64 s[34:35], 0
	s_waitcnt lgkmcnt(0)
	v_cmp_eq_f64_e64 s[18:19], s[16:17], 0
	v_cmp_neq_f64_e64 s[20:21], s[16:17], 0
	s_and_b64 vcc, exec, s[18:19]
	s_mov_b64 s[18:19], 0
	s_cbranch_vccnz .LBB108_2
; %bb.1:
	s_add_u32 s14, s14, s28
	s_addc_u32 s15, s15, s29
	s_load_dwordx2 s[14:15], s[14:15], 0x0
	s_lshl_b64 s[8:9], s[8:9], 3
	s_waitcnt lgkmcnt(0)
	s_add_u32 s18, s14, s8
	s_addc_u32 s19, s15, s9
.LBB108_2:
	s_load_dwordx2 s[24:25], s[6:7], 0x0
	s_andn2_b64 vcc, exec, s[20:21]
	s_cbranch_vccnz .LBB108_4
; %bb.3:
	s_add_u32 s6, s10, s28
	s_addc_u32 s7, s11, s29
	s_load_dwordx2 s[6:7], s[6:7], 0x0
	s_lshl_b64 s[4:5], s[4:5], 3
	s_waitcnt lgkmcnt(0)
	s_add_u32 s34, s6, s4
	s_addc_u32 s35, s7, s5
.LBB108_4:
	s_load_dwordx4 s[4:7], s[0:1], 0x60
	s_waitcnt lgkmcnt(0)
	v_cmp_eq_f64_e64 s[8:9], s[24:25], 0
	s_mov_b64 s[26:27], 0
	v_cmp_neq_f64_e64 s[14:15], s[24:25], 0
	s_and_b64 vcc, exec, s[8:9]
	s_cbranch_vccnz .LBB108_6
; %bb.5:
	s_add_u32 s8, s12, s28
	s_addc_u32 s9, s13, s29
	s_load_dwordx2 s[8:9], s[8:9], 0x0
	s_lshl_b64 s[4:5], s[4:5], 3
	s_waitcnt lgkmcnt(0)
	s_add_u32 s26, s8, s4
	s_addc_u32 s27, s9, s5
.LBB108_6:
	s_load_dwordx4 s[20:23], s[0:1], 0x0
	s_add_u32 s30, s6, s28
	s_addc_u32 s31, s7, s29
	v_and_b32_e32 v142, 0x3ff, v0
	v_bfe_u32 v143, v0, 10, 10
	s_waitcnt lgkmcnt(0)
	s_add_i32 s3, s20, -1
	s_ashr_i32 s4, s3, 31
	s_lshr_b32 s4, s4, 24
	s_add_i32 s3, s3, s4
	s_ashr_i32 s3, s3, 8
	s_add_i32 s4, s3, 1
	v_cvt_f32_u32_e32 v1, s4
	s_not_b32 s3, s3
	s_load_dword s23, s[0:1], 0x20
	v_lshl_add_u32 v10, v143, 5, v142
	v_rcp_iflag_f32_e32 v1, v1
	v_lshrrev_b32_e32 v144, 6, v10
	v_and_b32_e32 v12, 63, v10
	v_cmp_le_i32_e32 vcc, s22, v144
	v_mul_f32_e32 v0, 0x4f7ffffe, v1
	v_cvt_u32_f32_e32 v0, v0
	v_cmp_eq_f64_e64 s[28:29], s[16:17], 0
	v_mov_b32_e32 v2, 0x7fefffff
	v_readfirstlane_b32 s5, v0
	s_mul_i32 s3, s3, s5
	s_mul_hi_u32 s3, s5, s3
	s_add_i32 s5, s5, s3
	s_mul_hi_u32 s3, s2, s5
	s_mul_i32 s5, s3, s4
	s_sub_i32 s5, s2, s5
	s_add_i32 s6, s3, 1
	s_sub_i32 s7, s5, s4
	s_cmp_ge_u32 s5, s4
	s_cselect_b32 s3, s6, s3
	s_cselect_b32 s5, s7, s5
	s_add_i32 s6, s3, 1
	s_cmp_ge_u32 s5, s4
	s_cselect_b32 s12, s6, s3
	s_mul_i32 s3, s12, s4
	s_add_i32 s37, s22, -1
	s_sub_i32 s2, s2, s3
	s_lshl_b32 s33, s2, 8
	v_min_i32_e32 v0, s37, v144
	v_or_b32_e32 v128, s33, v12
	s_waitcnt lgkmcnt(0)
	v_mad_i64_i32 v[0:1], s[2:3], s23, v0, 0
	v_cmp_le_i32_e64 s[2:3], s20, v128
	s_or_b64 s[4:5], s[2:3], vcc
	v_lshl_add_u64 v[8:9], v[0:1], 3, s[18:19]
	v_cndmask_b32_e64 v1, 0, v2, s[4:5]
	s_nor_b64 s[6:7], s[28:29], s[4:5]
	v_cndmask_b32_e64 v0, 0, -1, s[4:5]
	v_ashrrev_i32_e32 v129, 31, v128
	s_and_saveexec_b64 s[4:5], s[6:7]
	s_cbranch_execz .LBB108_8
; %bb.7:
	v_lshl_add_u64 v[0:1], v[128:129], 3, v[8:9]
	flat_load_dwordx2 v[0:1], v[0:1]
	s_waitcnt vmcnt(0) lgkmcnt(0)
	v_mul_f64 v[0:1], s[16:17], v[0:1]
.LBB108_8:
	s_or_b64 exec, exec, s[4:5]
	v_or_b32_e32 v3, 64, v128
	v_cmp_le_i32_e64 s[4:5], s20, v3
	s_or_b64 s[6:7], s[4:5], vcc
	v_cndmask_b32_e64 v3, 0, v2, s[6:7]
	s_nor_b64 s[8:9], s[28:29], s[6:7]
	v_cndmask_b32_e64 v2, 0, -1, s[6:7]
	s_and_saveexec_b64 s[6:7], s[8:9]
	s_cbranch_execz .LBB108_10
; %bb.9:
	v_lshl_add_u64 v[2:3], v[128:129], 3, v[8:9]
	flat_load_dwordx2 v[2:3], v[2:3] offset:512
	s_waitcnt vmcnt(0) lgkmcnt(0)
	v_mul_f64 v[2:3], s[16:17], v[2:3]
.LBB108_10:
	s_or_b64 exec, exec, s[6:7]
	v_or_b32_e32 v4, 0x80, v128
	v_cmp_le_i32_e64 s[6:7], s20, v4
	v_mov_b32_e32 v6, 0x7fefffff
	s_or_b64 s[8:9], s[6:7], vcc
	v_cndmask_b32_e64 v5, 0, v6, s[8:9]
	s_nor_b64 s[10:11], s[28:29], s[8:9]
	v_cndmask_b32_e64 v4, 0, -1, s[8:9]
	s_and_saveexec_b64 s[8:9], s[10:11]
	s_cbranch_execz .LBB108_12
; %bb.11:
	v_lshl_add_u64 v[4:5], v[128:129], 3, v[8:9]
	flat_load_dwordx2 v[4:5], v[4:5] offset:1024
	s_waitcnt vmcnt(0) lgkmcnt(0)
	v_mul_f64 v[4:5], s[16:17], v[4:5]
.LBB108_12:
	s_or_b64 exec, exec, s[8:9]
	v_or_b32_e32 v7, 0xc0, v128
	v_cmp_le_i32_e64 s[8:9], s20, v7
	s_or_b64 vcc, s[8:9], vcc
	v_cndmask_b32_e32 v7, 0, v6, vcc
	s_nor_b64 s[38:39], s[28:29], vcc
	v_cndmask_b32_e64 v6, 0, -1, vcc
	s_and_saveexec_b64 s[10:11], s[38:39]
	s_cbranch_execz .LBB108_14
; %bb.13:
	v_lshl_add_u64 v[6:7], v[128:129], 3, v[8:9]
	flat_load_dwordx2 v[6:7], v[6:7] offset:1536
	s_waitcnt vmcnt(0) lgkmcnt(0)
	v_mul_f64 v[6:7], s[16:17], v[6:7]
.LBB108_14:
	s_or_b64 exec, exec, s[10:11]
	s_load_dword s39, s[0:1], 0x38
	v_lshrrev_b32_e32 v13, 2, v10
	s_lshl_b32 s36, s12, 6
	v_and_b32_e32 v147, 3, v142
	v_add_u32_e32 v101, s36, v13
	v_cmp_le_i32_e32 vcc, s22, v147
	v_cmp_le_i32_e64 s[10:11], s21, v101
	v_mov_b32_e32 v14, 0x7fefffff
	s_or_b64 vcc, vcc, s[10:11]
	v_cndmask_b32_e32 v9, 0, v14, vcc
	s_nor_b64 s[40:41], s[28:29], vcc
	v_cndmask_b32_e64 v8, 0, -1, vcc
	s_and_saveexec_b64 s[12:13], s[40:41]
	s_cbranch_execz .LBB108_16
; %bb.15:
	s_waitcnt lgkmcnt(0)
	v_mad_i64_i32 v[8:9], s[40:41], v101, s39, 0
	v_min_u32_e32 v10, s37, v147
	v_lshl_add_u64 v[8:9], v[8:9], 3, s[34:35]
	v_lshlrev_b32_e32 v10, 3, v10
	v_mov_b32_e32 v11, 0
	v_lshl_add_u64 v[8:9], v[8:9], 0, v[10:11]
	flat_load_dwordx2 v[8:9], v[8:9]
	s_waitcnt vmcnt(0) lgkmcnt(0)
	v_mul_f64 v[8:9], s[16:17], v[8:9]
.LBB108_16:
	s_or_b64 exec, exec, s[12:13]
	v_add_u32_e32 v10, 4, v144
	v_cmp_le_i32_e32 vcc, s22, v10
	v_min_i32_e32 v10, s37, v10
	v_mad_i64_i32 v[10:11], s[12:13], s23, v10, 0
	s_or_b64 s[12:13], s[2:3], vcc
	v_lshl_add_u64 v[10:11], v[10:11], 3, s[18:19]
	v_cndmask_b32_e64 v105, 0, v14, s[12:13]
	s_nor_b64 s[40:41], s[28:29], s[12:13]
	v_cndmask_b32_e64 v104, 0, -1, s[12:13]
	s_and_saveexec_b64 s[12:13], s[40:41]
	s_cbranch_execz .LBB108_18
; %bb.17:
	v_lshl_add_u64 v[14:15], v[128:129], 3, v[10:11]
	flat_load_dwordx2 v[14:15], v[14:15]
	s_waitcnt vmcnt(0) lgkmcnt(0)
	v_mul_f64 v[104:105], s[16:17], v[14:15]
.LBB108_18:
	s_or_b64 exec, exec, s[12:13]
	v_mov_b32_e32 v14, 0x7fefffff
	s_or_b64 s[12:13], s[4:5], vcc
	v_cndmask_b32_e64 v107, 0, v14, s[12:13]
	s_nor_b64 s[40:41], s[28:29], s[12:13]
	v_cndmask_b32_e64 v106, 0, -1, s[12:13]
	s_and_saveexec_b64 s[12:13], s[40:41]
	s_cbranch_execz .LBB108_20
; %bb.19:
	v_lshl_add_u64 v[16:17], v[128:129], 3, v[10:11]
	flat_load_dwordx2 v[16:17], v[16:17] offset:512
	s_waitcnt vmcnt(0) lgkmcnt(0)
	v_mul_f64 v[106:107], s[16:17], v[16:17]
.LBB108_20:
	s_or_b64 exec, exec, s[12:13]
	s_or_b64 s[12:13], s[6:7], vcc
	v_cndmask_b32_e64 v109, 0, v14, s[12:13]
	s_nor_b64 s[40:41], s[28:29], s[12:13]
	v_cndmask_b32_e64 v108, 0, -1, s[12:13]
	s_and_saveexec_b64 s[12:13], s[40:41]
	s_cbranch_execz .LBB108_22
; %bb.21:
	v_lshl_add_u64 v[14:15], v[128:129], 3, v[10:11]
	flat_load_dwordx2 v[14:15], v[14:15] offset:1024
	s_waitcnt vmcnt(0) lgkmcnt(0)
	v_mul_f64 v[108:109], s[16:17], v[14:15]
.LBB108_22:
	s_or_b64 exec, exec, s[12:13]
	v_mov_b32_e32 v14, 0x7fefffff
	s_or_b64 vcc, s[8:9], vcc
	v_cndmask_b32_e32 v111, 0, v14, vcc
	s_nor_b64 s[40:41], s[28:29], vcc
	v_cndmask_b32_e64 v110, 0, -1, vcc
	s_and_saveexec_b64 s[12:13], s[40:41]
	s_cbranch_execz .LBB108_24
; %bb.23:
	v_lshl_add_u64 v[10:11], v[128:129], 3, v[10:11]
	flat_load_dwordx2 v[10:11], v[10:11] offset:1536
	s_waitcnt vmcnt(0) lgkmcnt(0)
	v_mul_f64 v[110:111], s[16:17], v[10:11]
.LBB108_24:
	s_or_b64 exec, exec, s[12:13]
	v_or_b32_e32 v10, 4, v147
	v_cmp_le_i32_e32 vcc, s22, v10
	s_or_b64 vcc, vcc, s[10:11]
	s_nor_b64 s[40:41], s[28:29], vcc
	v_cndmask_b32_e32 v103, 0, v14, vcc
	v_cndmask_b32_e64 v102, 0, -1, vcc
	s_and_saveexec_b64 s[12:13], s[40:41]
	s_cbranch_execz .LBB108_26
; %bb.25:
	s_waitcnt lgkmcnt(0)
	v_mad_i64_i32 v[14:15], s[40:41], v101, s39, 0
	v_min_u32_e32 v10, s37, v10
	v_lshl_add_u64 v[14:15], v[14:15], 3, s[34:35]
	v_lshlrev_b32_e32 v10, 3, v10
	v_mov_b32_e32 v11, 0
	v_lshl_add_u64 v[10:11], v[14:15], 0, v[10:11]
	flat_load_dwordx2 v[10:11], v[10:11]
	s_waitcnt vmcnt(0) lgkmcnt(0)
	v_mul_f64 v[102:103], s[16:17], v[10:11]
.LBB108_26:
	s_or_b64 exec, exec, s[12:13]
	v_lshlrev_b32_e32 v10, 5, v12
	v_lshlrev_b32_e32 v100, 3, v147
	v_lshl_add_u32 v163, v144, 3, v10
	v_lshl_or_b32 v112, v13, 5, v100
	v_lshlrev_b32_e32 v146, 5, v142
	s_load_dwordx2 s[30:31], s[30:31], 0x0
	ds_write2st64_b64 v163, v[0:1], v[2:3] offset1:4
	ds_write2st64_b64 v163, v[4:5], v[6:7] offset0:8 offset1:12
	ds_write_b64 v112, v[8:9] offset:16384
	s_waitcnt lgkmcnt(0)
	s_barrier
	v_lshlrev_b32_e32 v145, 5, v143
	ds_read_b128 v[32:35], v146 offset:1024
	ds_read_b128 v[28:31], v146 offset:2048
	ds_read_b128 v[24:27], v146 offset:3072
	ds_read_b128 v[20:23], v146 offset:4096
	ds_read_b128 v[16:19], v146 offset:5120
	ds_read_b128 v[12:15], v146 offset:6144
	ds_read_b128 v[8:11], v146 offset:7168
	ds_read_b128 v[92:95], v145 offset:16640
	ds_read_b128 v[88:91], v145 offset:16896
	ds_read_b128 v[84:87], v145 offset:17152
	ds_read_b128 v[52:55], v145 offset:17408
	ds_read_b128 v[48:51], v145 offset:17664
	ds_read_b128 v[40:43], v146
	ds_read_b128 v[96:99], v145 offset:16384
	ds_read_b128 v[44:47], v145 offset:17920
	;; [unrolled: 1-line block ×5, first 2 shown]
	s_waitcnt lgkmcnt(5)
	v_add_f64 v[114:115], v[42:43], v[94:95]
	v_add_f64 v[116:117], v[40:41], v[92:93]
	s_mov_b32 s12, 0x7f800000
	v_cvt_f32_f64_e32 v116, v[116:117]
	v_cvt_f32_f64_e32 v114, v[114:115]
	v_min3_f32 v178, v116, v114, s12
	v_add_f64 v[114:115], v[34:35], v[94:95]
	v_add_f64 v[116:117], v[32:33], v[92:93]
	v_cvt_f32_f64_e32 v116, v[116:117]
	v_cvt_f32_f64_e32 v114, v[114:115]
	v_min3_f32 v179, v116, v114, s12
	v_add_f64 v[114:115], v[30:31], v[94:95]
	v_add_f64 v[116:117], v[28:29], v[92:93]
	;; [unrolled: 5-line block ×34, first 2 shown]
	v_cvt_f32_f64_e32 v116, v[116:117]
	v_cvt_f32_f64_e32 v114, v[114:115]
	v_min3_f32 v120, v116, v114, s12
	s_waitcnt lgkmcnt(3)
	v_add_f64 v[114:115], v[42:43], v[46:47]
	v_add_f64 v[116:117], v[40:41], v[44:45]
	v_cvt_f32_f64_e32 v116, v[116:117]
	v_cvt_f32_f64_e32 v114, v[114:115]
	v_min3_f32 v126, v116, v114, s12
	v_add_f64 v[114:115], v[34:35], v[46:47]
	v_add_f64 v[116:117], v[32:33], v[44:45]
	v_cvt_f32_f64_e32 v116, v[116:117]
	v_cvt_f32_f64_e32 v114, v[114:115]
	v_min3_f32 v123, v116, v114, s12
	;; [unrolled: 5-line block ×3, first 2 shown]
	v_add_f64 v[114:115], v[26:27], v[46:47]
	v_add_f64 v[116:117], v[24:25], v[44:45]
	v_cvt_f32_f64_e32 v116, v[116:117]
	v_cvt_f32_f64_e32 v114, v[114:115]
	v_add_f64 v[56:57], v[42:43], v[98:99]
	v_add_f64 v[58:59], v[40:41], v[96:97]
	v_min3_f32 v119, v116, v114, s12
	v_add_f64 v[114:115], v[22:23], v[46:47]
	v_add_f64 v[116:117], v[20:21], v[44:45]
	v_cvt_f32_f64_e32 v58, v[58:59]
	v_cvt_f32_f64_e32 v56, v[56:57]
	;; [unrolled: 1-line block ×4, first 2 shown]
	v_min3_f32 v113, v58, v56, s12
	ds_read_b128 v[56:59], v146 offset:1040
	v_add_f64 v[60:61], v[34:35], v[98:99]
	v_add_f64 v[62:63], v[32:33], v[96:97]
	v_min3_f32 v117, v116, v114, s12
	v_add_f64 v[114:115], v[18:19], v[46:47]
	v_add_f64 v[170:171], v[16:17], v[44:45]
	v_cvt_f32_f64_e32 v62, v[62:63]
	v_cvt_f32_f64_e32 v60, v[60:61]
	v_cvt_f32_f64_e32 v116, v[170:171]
	v_cvt_f32_f64_e32 v114, v[114:115]
	v_min3_f32 v169, v62, v60, s12
	ds_read_b128 v[60:63], v146 offset:2064
	v_add_f64 v[64:65], v[30:31], v[98:99]
	v_add_f64 v[66:67], v[28:29], v[96:97]
	;; [unrolled: 1-line block ×22, first 2 shown]
	v_min3_f32 v116, v116, v114, s12
	v_add_f64 v[114:115], v[14:15], v[46:47]
	v_add_f64 v[170:171], v[12:13], v[44:45]
	;; [unrolled: 1-line block ×4, first 2 shown]
	s_waitcnt lgkmcnt(4)
	v_add_f64 v[14:15], v[14:15], v[38:39]
	v_add_f64 v[12:13], v[12:13], v[36:37]
	;; [unrolled: 1-line block ×4, first 2 shown]
	v_cvt_f32_f64_e32 v66, v[66:67]
	v_cvt_f32_f64_e32 v64, v[64:65]
	;; [unrolled: 1-line block ×6, first 2 shown]
	s_waitcnt lgkmcnt(2)
	v_add_f64 v[10:11], v[2:3], v[6:7]
	v_add_f64 v[14:15], v[0:1], v[4:5]
	v_min3_f32 v172, v66, v64, s12
	ds_read_b128 v[64:67], v146 offset:3088
	v_cvt_f32_f64_e32 v170, v[170:171]
	v_cvt_f32_f64_e32 v114, v[114:115]
	;; [unrolled: 1-line block ×4, first 2 shown]
	v_min3_f32 v8, v8, v9, s12
	v_cvt_f32_f64_e32 v9, v[14:15]
	v_cvt_f32_f64_e32 v10, v[10:11]
	;; [unrolled: 1-line block ×4, first 2 shown]
	v_min3_f32 v115, v170, v114, s12
	v_min3_f32 v114, v44, v45, s12
	ds_read_b128 v[44:47], v145 offset:18192
	v_min3_f32 v219, v9, v10, v113
	s_waitcnt lgkmcnt(3)
	v_add_f64 v[10:11], v[58:59], v[6:7]
	v_add_f64 v[14:15], v[56:57], v[4:5]
	v_min3_f32 v173, v70, v68, s12
	ds_read_b128 v[68:71], v146 offset:4112
	v_cvt_f32_f64_e32 v9, v[14:15]
	v_cvt_f32_f64_e32 v10, v[10:11]
	;; [unrolled: 1-line block ×4, first 2 shown]
	v_min3_f32 v218, v9, v10, v169
	s_waitcnt lgkmcnt(3)
	v_add_f64 v[10:11], v[62:63], v[6:7]
	v_add_f64 v[14:15], v[60:61], v[4:5]
	v_min3_f32 v174, v74, v72, s12
	ds_read_b128 v[72:75], v146 offset:5136
	v_cvt_f32_f64_e32 v9, v[14:15]
	v_cvt_f32_f64_e32 v10, v[10:11]
	;; [unrolled: 1-line block ×6, first 2 shown]
	v_min3_f32 v217, v9, v10, v172
	s_waitcnt lgkmcnt(3)
	v_add_f64 v[10:11], v[66:67], v[6:7]
	v_add_f64 v[14:15], v[64:65], v[4:5]
	v_min3_f32 v175, v78, v76, s12
	ds_read_b128 v[76:79], v146 offset:6160
	v_min3_f32 v176, v82, v80, s12
	ds_read_b128 v[80:83], v146 offset:7184
	v_cvt_f32_f64_e32 v9, v[14:15]
	v_cvt_f32_f64_e32 v10, v[10:11]
	;; [unrolled: 1-line block ×4, first 2 shown]
	v_min3_f32 v216, v9, v10, v173
	s_waitcnt lgkmcnt(3)
	v_add_f64 v[10:11], v[70:71], v[6:7]
	v_add_f64 v[14:15], v[68:69], v[4:5]
	v_min3_f32 v177, v96, v97, s12
	ds_read_b128 v[96:99], v145 offset:16656
	v_cvt_f32_f64_e32 v9, v[14:15]
	v_cvt_f32_f64_e32 v10, v[10:11]
	v_min3_f32 v215, v9, v10, v174
	s_waitcnt lgkmcnt(3)
	v_add_f64 v[10:11], v[74:75], v[6:7]
	v_add_f64 v[14:15], v[72:73], v[4:5]
	v_cvt_f32_f64_e32 v9, v[14:15]
	v_cvt_f32_f64_e32 v10, v[10:11]
	v_min3_f32 v207, v9, v10, v175
	s_waitcnt lgkmcnt(2)
	v_add_f64 v[10:11], v[78:79], v[6:7]
	v_add_f64 v[14:15], v[76:77], v[4:5]
	s_waitcnt lgkmcnt(1)
	v_add_f64 v[6:7], v[82:83], v[6:7]
	v_add_f64 v[4:5], v[80:81], v[4:5]
	v_cvt_f32_f64_e32 v92, v[92:93]
	v_cvt_f32_f64_e32 v93, v[94:95]
	;; [unrolled: 1-line block ×4, first 2 shown]
	v_min3_f32 v157, v92, v93, s12
	ds_read_b128 v[92:95], v145 offset:16912
	v_min3_f32 v205, v4, v5, v177
	s_waitcnt lgkmcnt(1)
	v_add_f64 v[4:5], v[2:3], v[98:99]
	v_add_f64 v[6:7], v[0:1], v[96:97]
	v_cvt_f32_f64_e32 v6, v[6:7]
	v_cvt_f32_f64_e32 v4, v[4:5]
	v_min3_f32 v204, v6, v4, v178
	v_add_f64 v[4:5], v[58:59], v[98:99]
	v_add_f64 v[6:7], v[56:57], v[96:97]
	v_cvt_f32_f64_e32 v6, v[6:7]
	v_cvt_f32_f64_e32 v4, v[4:5]
	v_min3_f32 v203, v6, v4, v179
	;; [unrolled: 5-line block ×8, first 2 shown]
	s_waitcnt lgkmcnt(0)
	v_add_f64 v[4:5], v[2:3], v[94:95]
	v_add_f64 v[6:7], v[0:1], v[92:93]
	v_cvt_f32_f64_e32 v6, v[6:7]
	v_cvt_f32_f64_e32 v4, v[4:5]
	v_min3_f32 v196, v6, v4, v166
	v_add_f64 v[4:5], v[58:59], v[94:95]
	v_add_f64 v[6:7], v[56:57], v[92:93]
	v_cvt_f32_f64_e32 v6, v[6:7]
	v_cvt_f32_f64_e32 v4, v[4:5]
	v_min3_f32 v195, v6, v4, v164
	;; [unrolled: 5-line block ×4, first 2 shown]
	v_add_f64 v[4:5], v[70:71], v[94:95]
	v_add_f64 v[6:7], v[68:69], v[92:93]
	v_cvt_f32_f64_e32 v6, v[6:7]
	v_cvt_f32_f64_e32 v4, v[4:5]
	;; [unrolled: 1-line block ×4, first 2 shown]
	v_min3_f32 v192, v6, v4, v156
	v_add_f64 v[4:5], v[74:75], v[94:95]
	v_add_f64 v[6:7], v[72:73], v[92:93]
	v_min3_f32 v149, v88, v89, s12
	ds_read_b128 v[88:91], v145 offset:17168
	v_cvt_f32_f64_e32 v6, v[6:7]
	v_cvt_f32_f64_e32 v4, v[4:5]
	v_min3_f32 v191, v6, v4, v154
	v_add_f64 v[4:5], v[78:79], v[94:95]
	v_add_f64 v[6:7], v[76:77], v[92:93]
	v_cvt_f32_f64_e32 v6, v[6:7]
	v_cvt_f32_f64_e32 v4, v[4:5]
	v_min3_f32 v190, v6, v4, v152
	v_add_f64 v[4:5], v[82:83], v[94:95]
	v_add_f64 v[6:7], v[80:81], v[92:93]
	v_cvt_f32_f64_e32 v84, v[84:85]
	v_cvt_f32_f64_e32 v85, v[86:87]
	;; [unrolled: 1-line block ×4, first 2 shown]
	v_min3_f32 v135, v84, v85, s12
	ds_read_b128 v[84:87], v145 offset:17424
	v_min3_f32 v189, v6, v4, v149
	s_waitcnt lgkmcnt(1)
	v_add_f64 v[4:5], v[2:3], v[90:91]
	v_add_f64 v[6:7], v[0:1], v[88:89]
	v_cvt_f32_f64_e32 v6, v[6:7]
	v_cvt_f32_f64_e32 v4, v[4:5]
	v_min3_f32 v188, v6, v4, v158
	v_add_f64 v[4:5], v[58:59], v[90:91]
	v_add_f64 v[6:7], v[56:57], v[88:89]
	v_cvt_f32_f64_e32 v6, v[6:7]
	v_cvt_f32_f64_e32 v4, v[4:5]
	v_min3_f32 v187, v6, v4, v155
	;; [unrolled: 5-line block ×8, first 2 shown]
	s_waitcnt lgkmcnt(0)
	v_add_f64 v[4:5], v[2:3], v[86:87]
	v_add_f64 v[6:7], v[0:1], v[84:85]
	v_cvt_f32_f64_e32 v6, v[6:7]
	v_cvt_f32_f64_e32 v4, v[4:5]
	v_min3_f32 v180, v6, v4, v150
	v_add_f64 v[4:5], v[58:59], v[86:87]
	v_add_f64 v[6:7], v[56:57], v[84:85]
	v_cvt_f32_f64_e32 v6, v[6:7]
	v_cvt_f32_f64_e32 v4, v[4:5]
	v_min3_f32 v179, v6, v4, v141
	;; [unrolled: 5-line block ×4, first 2 shown]
	v_add_f64 v[4:5], v[70:71], v[86:87]
	v_add_f64 v[6:7], v[68:69], v[84:85]
	v_cvt_f32_f64_e32 v9, v[14:15]
	v_cvt_f32_f64_e32 v10, v[10:11]
	;; [unrolled: 1-line block ×6, first 2 shown]
	v_min3_f32 v206, v9, v10, v176
	v_min3_f32 v176, v6, v4, v134
	v_add_f64 v[4:5], v[74:75], v[86:87]
	v_add_f64 v[6:7], v[72:73], v[84:85]
	v_min3_f32 v125, v52, v53, s12
	ds_read_b128 v[52:55], v145 offset:17680
	v_cvt_f32_f64_e32 v6, v[6:7]
	v_cvt_f32_f64_e32 v4, v[4:5]
	v_min3_f32 v175, v6, v4, v132
	v_add_f64 v[4:5], v[78:79], v[86:87]
	v_add_f64 v[6:7], v[76:77], v[84:85]
	v_cvt_f32_f64_e32 v6, v[6:7]
	v_cvt_f32_f64_e32 v4, v[4:5]
	v_min3_f32 v174, v6, v4, v130
	v_add_f64 v[4:5], v[82:83], v[86:87]
	v_add_f64 v[6:7], v[80:81], v[84:85]
	v_cvt_f32_f64_e32 v48, v[48:49]
	v_cvt_f32_f64_e32 v49, v[50:51]
	;; [unrolled: 1-line block ×4, first 2 shown]
	v_min3_f32 v118, v48, v49, s12
	ds_read_b128 v[48:51], v145 offset:17936
	v_min3_f32 v173, v6, v4, v125
	s_waitcnt lgkmcnt(1)
	v_add_f64 v[4:5], v[2:3], v[54:55]
	v_add_f64 v[6:7], v[0:1], v[52:53]
	v_cvt_f32_f64_e32 v6, v[6:7]
	v_cvt_f32_f64_e32 v4, v[4:5]
	v_min3_f32 v172, v6, v4, v136
	v_add_f64 v[4:5], v[58:59], v[54:55]
	v_add_f64 v[6:7], v[56:57], v[52:53]
	v_cvt_f32_f64_e32 v6, v[6:7]
	v_cvt_f32_f64_e32 v4, v[4:5]
	v_min3_f32 v171, v6, v4, v133
	;; [unrolled: 5-line block ×7, first 2 shown]
	v_add_f64 v[4:5], v[82:83], v[54:55]
	v_add_f64 v[6:7], v[80:81], v[52:53]
	;; [unrolled: 1-line block ×4, first 2 shown]
	v_cvt_f32_f64_e32 v6, v[6:7]
	v_cvt_f32_f64_e32 v4, v[4:5]
	;; [unrolled: 1-line block ×4, first 2 shown]
	v_min3_f32 v165, v6, v4, v118
	s_waitcnt lgkmcnt(0)
	v_add_f64 v[4:5], v[2:3], v[50:51]
	v_add_f64 v[6:7], v[0:1], v[48:49]
	;; [unrolled: 1-line block ×4, first 2 shown]
	v_min3_f32 v40, v40, v41, s12
	v_add_f64 v[34:35], v[34:35], v[38:39]
	v_add_f64 v[32:33], v[32:33], v[36:37]
	v_cvt_f32_f64_e32 v6, v[6:7]
	v_cvt_f32_f64_e32 v4, v[4:5]
	v_cvt_f32_f64_e32 v0, v[0:1]
	v_cvt_f32_f64_e32 v1, v[2:3]
	v_cvt_f32_f64_e32 v32, v[32:33]
	v_cvt_f32_f64_e32 v33, v[34:35]
	v_min3_f32 v164, v6, v4, v126
	v_add_f64 v[4:5], v[58:59], v[50:51]
	v_add_f64 v[6:7], v[56:57], v[48:49]
	v_min3_f32 v155, v0, v1, v40
	v_add_f64 v[0:1], v[58:59], v[46:47]
	v_add_f64 v[2:3], v[56:57], v[44:45]
	v_min3_f32 v32, v32, v33, s12
	v_add_f64 v[30:31], v[30:31], v[38:39]
	v_add_f64 v[28:29], v[28:29], v[36:37]
	v_cvt_f32_f64_e32 v6, v[6:7]
	v_cvt_f32_f64_e32 v4, v[4:5]
	v_cvt_f32_f64_e32 v2, v[2:3]
	v_cvt_f32_f64_e32 v0, v[0:1]
	v_cvt_f32_f64_e32 v28, v[28:29]
	v_cvt_f32_f64_e32 v29, v[30:31]
	v_min3_f32 v162, v6, v4, v123
	v_add_f64 v[4:5], v[62:63], v[50:51]
	v_add_f64 v[6:7], v[60:61], v[48:49]
	v_min3_f32 v154, v2, v0, v32
	v_add_f64 v[0:1], v[62:63], v[46:47]
	v_add_f64 v[2:3], v[60:61], v[44:45]
	;; [unrolled: 15-line block ×5, first 2 shown]
	v_min3_f32 v16, v16, v17, s12
	v_cvt_f32_f64_e32 v6, v[6:7]
	v_cvt_f32_f64_e32 v4, v[4:5]
	;; [unrolled: 1-line block ×4, first 2 shown]
	v_min3_f32 v158, v6, v4, v116
	v_add_f64 v[4:5], v[78:79], v[50:51]
	v_add_f64 v[6:7], v[76:77], v[48:49]
	v_min3_f32 v150, v2, v0, v16
	v_add_f64 v[0:1], v[78:79], v[46:47]
	v_add_f64 v[2:3], v[76:77], v[44:45]
	v_min3_f32 v12, v12, v13, s12
	v_cvt_f32_f64_e32 v6, v[6:7]
	v_cvt_f32_f64_e32 v4, v[4:5]
	;; [unrolled: 1-line block ×4, first 2 shown]
	v_min3_f32 v157, v6, v4, v115
	v_add_f64 v[4:5], v[82:83], v[50:51]
	v_add_f64 v[6:7], v[80:81], v[48:49]
	v_min3_f32 v149, v2, v0, v12
	v_add_f64 v[0:1], v[82:83], v[46:47]
	v_add_f64 v[2:3], v[80:81], v[44:45]
	v_cvt_f32_f64_e32 v6, v[6:7]
	v_cvt_f32_f64_e32 v4, v[4:5]
	;; [unrolled: 1-line block ×4, first 2 shown]
	v_min3_f32 v156, v6, v4, v114
	v_min3_f32 v148, v2, v0, v8
	s_cmp_lt_i32 s22, 9
	ds_write2st64_b64 v163, v[104:105], v[106:107] offset0:16 offset1:20
	ds_write2st64_b64 v163, v[108:109], v[110:111] offset0:24 offset1:28
	ds_write_b64 v112, v[102:103] offset:18432
	s_waitcnt lgkmcnt(0)
	s_barrier
	s_cbranch_scc1 .LBB108_49
; %bb.27:
	v_mov_b32_e32 v0, 0x2000
	v_lshl_add_u32 v212, v142, 5, v0
	v_mov_b32_e32 v0, 0x4800
	v_lshl_add_u32 v213, v143, 5, v0
	v_mad_i64_i32 v[0:1], s[12:13], s39, v101, 0
	v_mov_b32_e32 v101, 0
	v_lshl_add_u64 v[0:1], v[0:1], 3, v[100:101]
	v_lshl_add_u64 v[0:1], s[34:35], 0, v[0:1]
	s_mov_b64 s[12:13], 0x60
	v_add_u32_e32 v208, 0x4000, v112
	v_add_u32_e32 v209, 0x4000, v145
	;; [unrolled: 1-line block ×4, first 2 shown]
	s_add_i32 s38, s22, -8
	v_lshl_add_u64 v[130:131], v[0:1], 0, s[12:13]
	s_mov_b32 s34, 0
	v_mov_b32_e32 v214, 0x7fefffff
	s_branch .LBB108_29
.LBB108_28:                             ;   in Loop: Header=BB108_29 Depth=1
	s_or_b64 exec, exec, s[12:13]
	v_add_f64 v[220:221], v[98:99], v[126:127]
	v_add_f64 v[222:223], v[96:97], v[124:125]
	v_cvt_f32_f64_e32 v222, v[222:223]
	v_cvt_f32_f64_e32 v220, v[220:221]
	v_min3_f32 v224, v222, v220, v219
	v_add_f64 v[220:221], v[94:95], v[126:127]
	v_add_f64 v[222:223], v[92:93], v[124:125]
	v_cvt_f32_f64_e32 v219, v[222:223]
	v_cvt_f32_f64_e32 v220, v[220:221]
	v_min3_f32 v222, v219, v220, v218
	;; [unrolled: 5-line block ×6, first 2 shown]
	v_add_f64 v[216:217], v[70:71], v[126:127]
	v_add_f64 v[218:219], v[68:69], v[124:125]
	;; [unrolled: 1-line block ×4, first 2 shown]
	v_cvt_f32_f64_e32 v124, v[124:125]
	v_cvt_f32_f64_e32 v125, v[126:127]
	v_min3_f32 v205, v124, v125, v205
	v_add_f64 v[124:125], v[98:99], v[122:123]
	v_add_f64 v[126:127], v[96:97], v[120:121]
	v_cvt_f32_f64_e32 v126, v[126:127]
	v_cvt_f32_f64_e32 v124, v[124:125]
	v_min3_f32 v204, v126, v124, v204
	v_add_f64 v[124:125], v[94:95], v[122:123]
	v_add_f64 v[126:127], v[92:93], v[120:121]
	;; [unrolled: 5-line block ×7, first 2 shown]
	v_add_f64 v[122:123], v[66:67], v[122:123]
	v_add_f64 v[120:121], v[64:65], v[120:121]
	v_cvt_f32_f64_e32 v120, v[120:121]
	v_cvt_f32_f64_e32 v121, v[122:123]
	;; [unrolled: 1-line block ×3, first 2 shown]
	v_min3_f32 v125, v120, v121, v197
	v_add_f64 v[120:121], v[98:99], v[118:119]
	v_add_f64 v[122:123], v[96:97], v[116:117]
	v_cvt_f32_f64_e32 v126, v[126:127]
	v_cvt_f32_f64_e32 v122, v[122:123]
	v_cvt_f32_f64_e32 v120, v[120:121]
	v_min3_f32 v124, v126, v124, v198
	v_min3_f32 v126, v122, v120, v196
	v_add_f64 v[120:121], v[94:95], v[118:119]
	v_add_f64 v[122:123], v[92:93], v[116:117]
	v_cvt_f32_f64_e32 v122, v[122:123]
	v_cvt_f32_f64_e32 v120, v[120:121]
	v_min3_f32 v127, v122, v120, v195
	v_add_f64 v[120:121], v[90:91], v[118:119]
	v_add_f64 v[122:123], v[88:89], v[116:117]
	v_cvt_f32_f64_e32 v122, v[122:123]
	v_cvt_f32_f64_e32 v120, v[120:121]
	;; [unrolled: 5-line block ×5, first 2 shown]
	v_min3_f32 v191, v122, v120, v191
	v_add_f64 v[120:121], v[70:71], v[118:119]
	v_add_f64 v[122:123], v[68:69], v[116:117]
	;; [unrolled: 1-line block ×4, first 2 shown]
	v_cvt_f32_f64_e32 v116, v[116:117]
	v_cvt_f32_f64_e32 v117, v[118:119]
	;; [unrolled: 1-line block ×3, first 2 shown]
	v_min3_f32 v121, v116, v117, v189
	v_add_f64 v[116:117], v[98:99], v[114:115]
	v_add_f64 v[118:119], v[96:97], v[112:113]
	v_cvt_f32_f64_e32 v122, v[122:123]
	v_cvt_f32_f64_e32 v118, v[118:119]
	;; [unrolled: 1-line block ×3, first 2 shown]
	v_min3_f32 v120, v122, v120, v190
	v_min3_f32 v122, v118, v116, v188
	v_add_f64 v[116:117], v[94:95], v[114:115]
	v_add_f64 v[118:119], v[92:93], v[112:113]
	v_cvt_f32_f64_e32 v118, v[118:119]
	v_cvt_f32_f64_e32 v116, v[116:117]
	v_min3_f32 v123, v118, v116, v187
	v_add_f64 v[116:117], v[90:91], v[114:115]
	v_add_f64 v[118:119], v[88:89], v[112:113]
	v_cvt_f32_f64_e32 v118, v[118:119]
	v_cvt_f32_f64_e32 v116, v[116:117]
	v_min3_f32 v186, v118, v116, v186
	v_add_f64 v[116:117], v[82:83], v[114:115]
	v_add_f64 v[118:119], v[80:81], v[112:113]
	v_cvt_f32_f64_e32 v118, v[118:119]
	v_cvt_f32_f64_e32 v116, v[116:117]
	v_min3_f32 v185, v118, v116, v185
	v_add_f64 v[116:117], v[78:79], v[114:115]
	v_add_f64 v[118:119], v[76:77], v[112:113]
	v_cvt_f32_f64_e32 v118, v[118:119]
	v_cvt_f32_f64_e32 v116, v[116:117]
	v_min3_f32 v184, v118, v116, v184
	v_add_f64 v[116:117], v[74:75], v[114:115]
	v_add_f64 v[118:119], v[72:73], v[112:113]
	v_cvt_f32_f64_e32 v118, v[118:119]
	v_cvt_f32_f64_e32 v116, v[116:117]
	v_min3_f32 v183, v118, v116, v183
	v_add_f64 v[116:117], v[70:71], v[114:115]
	v_add_f64 v[118:119], v[68:69], v[112:113]
	v_add_f64 v[114:115], v[66:67], v[114:115]
	v_add_f64 v[112:113], v[64:65], v[112:113]
	v_cvt_f32_f64_e32 v112, v[112:113]
	v_cvt_f32_f64_e32 v113, v[114:115]
	v_min3_f32 v181, v112, v113, v181
	v_add_f64 v[112:113], v[98:99], v[110:111]
	v_add_f64 v[114:115], v[96:97], v[108:109]
	v_cvt_f32_f64_e32 v114, v[114:115]
	v_cvt_f32_f64_e32 v112, v[112:113]
	v_min3_f32 v180, v114, v112, v180
	v_add_f64 v[112:113], v[94:95], v[110:111]
	v_add_f64 v[114:115], v[92:93], v[108:109]
	v_cvt_f32_f64_e32 v114, v[114:115]
	v_cvt_f32_f64_e32 v112, v[112:113]
	v_min3_f32 v179, v114, v112, v179
	v_add_f64 v[112:113], v[90:91], v[110:111]
	v_add_f64 v[114:115], v[88:89], v[108:109]
	v_cvt_f32_f64_e32 v114, v[114:115]
	v_cvt_f32_f64_e32 v112, v[112:113]
	v_min3_f32 v178, v114, v112, v178
	v_add_f64 v[112:113], v[82:83], v[110:111]
	v_add_f64 v[114:115], v[80:81], v[108:109]
	v_cvt_f32_f64_e32 v114, v[114:115]
	v_cvt_f32_f64_e32 v112, v[112:113]
	v_min3_f32 v177, v114, v112, v177
	v_add_f64 v[112:113], v[78:79], v[110:111]
	v_add_f64 v[114:115], v[76:77], v[108:109]
	v_cvt_f32_f64_e32 v114, v[114:115]
	v_cvt_f32_f64_e32 v112, v[112:113]
	v_min3_f32 v176, v114, v112, v176
	v_add_f64 v[112:113], v[74:75], v[110:111]
	v_add_f64 v[114:115], v[72:73], v[108:109]
	v_cvt_f32_f64_e32 v114, v[114:115]
	v_cvt_f32_f64_e32 v112, v[112:113]
	v_min3_f32 v175, v114, v112, v175
	v_add_f64 v[112:113], v[70:71], v[110:111]
	v_add_f64 v[114:115], v[68:69], v[108:109]
	v_add_f64 v[110:111], v[66:67], v[110:111]
	v_add_f64 v[108:109], v[64:65], v[108:109]
	v_cvt_f32_f64_e32 v108, v[108:109]
	v_cvt_f32_f64_e32 v109, v[110:111]
	v_min3_f32 v173, v108, v109, v173
	v_add_f64 v[108:109], v[98:99], v[106:107]
	v_add_f64 v[110:111], v[96:97], v[104:105]
	v_cvt_f32_f64_e32 v110, v[110:111]
	v_cvt_f32_f64_e32 v108, v[108:109]
	;; [unrolled: 37-line block ×3, first 2 shown]
	v_min3_f32 v164, v106, v104, v164
	v_add_f64 v[104:105], v[94:95], v[102:103]
	v_add_f64 v[106:107], v[92:93], v[100:101]
	v_cvt_f32_f64_e32 v106, v[106:107]
	v_cvt_f32_f64_e32 v104, v[104:105]
	v_min3_f32 v162, v106, v104, v162
	v_add_f64 v[104:105], v[90:91], v[102:103]
	v_add_f64 v[106:107], v[88:89], v[100:101]
	v_cvt_f32_f64_e32 v106, v[106:107]
	v_cvt_f32_f64_e32 v104, v[104:105]
	;; [unrolled: 5-line block ×5, first 2 shown]
	v_min3_f32 v190, v106, v104, v158
	v_add_f64 v[104:105], v[70:71], v[102:103]
	v_add_f64 v[106:107], v[68:69], v[100:101]
	;; [unrolled: 1-line block ×8, first 2 shown]
	v_cvt_f32_f64_e32 v76, v[76:77]
	v_cvt_f32_f64_e32 v77, v[78:79]
	;; [unrolled: 1-line block ×4, first 2 shown]
	v_min3_f32 v76, v76, v77, v151
	v_min3_f32 v77, v64, v65, v148
	v_add_f64 v[64:65], v[34:35], v[62:63]
	v_add_f64 v[66:67], v[32:33], v[60:61]
	v_cvt_f32_f64_e32 v66, v[66:67]
	v_cvt_f32_f64_e32 v64, v[64:65]
	v_add_f64 v[70:71], v[70:71], v[86:87]
	v_add_f64 v[68:69], v[68:69], v[84:85]
	v_min3_f32 v197, v66, v64, v224
	v_add_f64 v[64:65], v[30:31], v[62:63]
	v_add_f64 v[66:67], v[28:29], v[60:61]
	v_add_f64 v[74:75], v[74:75], v[86:87]
	v_add_f64 v[72:73], v[72:73], v[84:85]
	v_cvt_f32_f64_e32 v68, v[68:69]
	v_cvt_f32_f64_e32 v69, v[70:71]
	;; [unrolled: 1-line block ×6, first 2 shown]
	v_min3_f32 v75, v68, v69, v149
	v_min3_f32 v64, v66, v64, v222
	v_add_f64 v[66:67], v[26:27], v[62:63]
	v_add_f64 v[68:69], v[24:25], v[60:61]
	v_cvt_f32_f64_e32 v65, v[68:69]
	v_cvt_f32_f64_e32 v66, v[66:67]
	v_min3_f32 v65, v65, v66, v223
	v_add_f64 v[66:67], v[18:19], v[62:63]
	v_add_f64 v[68:69], v[16:17], v[60:61]
	v_cvt_f32_f64_e32 v68, v[68:69]
	v_cvt_f32_f64_e32 v66, v[66:67]
	v_min3_f32 v66, v68, v66, v220
	v_add_f64 v[68:69], v[14:15], v[62:63]
	v_add_f64 v[70:71], v[12:13], v[60:61]
	v_cvt_f32_f64_e32 v67, v[70:71]
	v_cvt_f32_f64_e32 v68, v[68:69]
	v_min3_f32 v67, v67, v68, v215
	v_add_f64 v[68:69], v[10:11], v[62:63]
	v_add_f64 v[70:71], v[8:9], v[60:61]
	v_cvt_f32_f64_e32 v70, v[70:71]
	v_cvt_f32_f64_e32 v68, v[68:69]
	v_min3_f32 v74, v72, v73, v150
	v_min3_f32 v68, v70, v68, v207
	v_add_f64 v[70:71], v[6:7], v[62:63]
	v_add_f64 v[72:73], v[4:5], v[60:61]
	v_add_f64 v[62:63], v[2:3], v[62:63]
	v_add_f64 v[60:61], v[0:1], v[60:61]
	v_cvt_f32_f64_e32 v100, v[100:101]
	v_cvt_f32_f64_e32 v101, v[102:103]
	v_cvt_f32_f64_e32 v60, v[60:61]
	v_cvt_f32_f64_e32 v61, v[62:63]
	v_min3_f32 v196, v100, v101, v156
	v_min3_f32 v100, v60, v61, v205
	v_add_f64 v[60:61], v[34:35], v[58:59]
	v_add_f64 v[62:63], v[32:33], v[56:57]
	v_cvt_f32_f64_e32 v62, v[62:63]
	v_cvt_f32_f64_e32 v60, v[60:61]
	v_min3_f32 v101, v62, v60, v204
	v_add_f64 v[60:61], v[30:31], v[58:59]
	v_add_f64 v[62:63], v[28:29], v[56:57]
	v_cvt_f32_f64_e32 v62, v[62:63]
	v_cvt_f32_f64_e32 v60, v[60:61]
	v_min3_f32 v102, v62, v60, v203
	v_add_f64 v[60:61], v[26:27], v[58:59]
	v_add_f64 v[62:63], v[24:25], v[56:57]
	v_cvt_f32_f64_e32 v62, v[62:63]
	v_cvt_f32_f64_e32 v60, v[60:61]
	v_min3_f32 v103, v62, v60, v202
	v_add_f64 v[60:61], v[18:19], v[58:59]
	v_add_f64 v[62:63], v[16:17], v[56:57]
	v_cvt_f32_f64_e32 v106, v[106:107]
	v_cvt_f32_f64_e32 v104, v[104:105]
	v_cvt_f32_f64_e32 v62, v[62:63]
	v_cvt_f32_f64_e32 v60, v[60:61]
	v_min3_f32 v195, v106, v104, v157
	v_min3_f32 v104, v62, v60, v201
	v_add_f64 v[60:61], v[14:15], v[58:59]
	v_add_f64 v[62:63], v[12:13], v[56:57]
	v_cvt_f32_f64_e32 v62, v[62:63]
	v_cvt_f32_f64_e32 v60, v[60:61]
	v_min3_f32 v105, v62, v60, v200
	v_add_f64 v[60:61], v[10:11], v[58:59]
	v_add_f64 v[62:63], v[8:9], v[56:57]
	v_cvt_f32_f64_e32 v62, v[62:63]
	v_cvt_f32_f64_e32 v60, v[60:61]
	v_min3_f32 v106, v62, v60, v199
	v_add_f64 v[60:61], v[6:7], v[58:59]
	v_add_f64 v[62:63], v[4:5], v[56:57]
	v_add_f64 v[58:59], v[2:3], v[58:59]
	v_add_f64 v[56:57], v[0:1], v[56:57]
	v_cvt_f32_f64_e32 v110, v[110:111]
	v_cvt_f32_f64_e32 v108, v[108:109]
	v_cvt_f32_f64_e32 v56, v[56:57]
	v_cvt_f32_f64_e32 v57, v[58:59]
	v_min3_f32 v166, v110, v108, v166
	v_min3_f32 v108, v56, v57, v125
	v_add_f64 v[56:57], v[34:35], v[54:55]
	v_add_f64 v[58:59], v[32:33], v[52:53]
	v_cvt_f32_f64_e32 v58, v[58:59]
	v_cvt_f32_f64_e32 v56, v[56:57]
	v_min3_f32 v109, v58, v56, v126
	v_add_f64 v[56:57], v[30:31], v[54:55]
	v_add_f64 v[58:59], v[28:29], v[52:53]
	v_cvt_f32_f64_e32 v58, v[58:59]
	v_cvt_f32_f64_e32 v56, v[56:57]
	v_min3_f32 v110, v58, v56, v127
	v_add_f64 v[56:57], v[26:27], v[54:55]
	v_add_f64 v[58:59], v[24:25], v[52:53]
	v_cvt_f32_f64_e32 v58, v[58:59]
	v_cvt_f32_f64_e32 v56, v[56:57]
	v_min3_f32 v111, v58, v56, v194
	v_add_f64 v[56:57], v[18:19], v[54:55]
	v_add_f64 v[58:59], v[16:17], v[52:53]
	v_cvt_f32_f64_e32 v114, v[114:115]
	v_cvt_f32_f64_e32 v112, v[112:113]
	v_cvt_f32_f64_e32 v58, v[58:59]
	v_cvt_f32_f64_e32 v56, v[56:57]
	v_min3_f32 v174, v114, v112, v174
	v_min3_f32 v112, v58, v56, v193
	v_add_f64 v[56:57], v[14:15], v[54:55]
	v_add_f64 v[58:59], v[12:13], v[52:53]
	v_cvt_f32_f64_e32 v58, v[58:59]
	v_cvt_f32_f64_e32 v56, v[56:57]
	v_min3_f32 v113, v58, v56, v192
	v_add_f64 v[56:57], v[10:11], v[54:55]
	v_add_f64 v[58:59], v[8:9], v[52:53]
	v_cvt_f32_f64_e32 v58, v[58:59]
	v_cvt_f32_f64_e32 v56, v[56:57]
	;; [unrolled: 43-line block ×3, first 2 shown]
	v_min3_f32 v122, v54, v52, v183
	v_add_f64 v[52:53], v[6:7], v[50:51]
	v_add_f64 v[54:55], v[4:5], v[48:49]
	;; [unrolled: 1-line block ×4, first 2 shown]
	v_cvt_f32_f64_e32 v62, v[62:63]
	v_cvt_f32_f64_e32 v60, v[60:61]
	;; [unrolled: 1-line block ×4, first 2 shown]
	v_min3_f32 v107, v62, v60, v124
	v_min3_f32 v124, v48, v49, v181
	v_add_f64 v[48:49], v[34:35], v[46:47]
	v_add_f64 v[50:51], v[32:33], v[44:45]
	v_cvt_f32_f64_e32 v50, v[50:51]
	v_cvt_f32_f64_e32 v48, v[48:49]
	v_min3_f32 v125, v50, v48, v180
	v_add_f64 v[48:49], v[30:31], v[46:47]
	v_add_f64 v[50:51], v[28:29], v[44:45]
	v_cvt_f32_f64_e32 v50, v[50:51]
	v_cvt_f32_f64_e32 v48, v[48:49]
	;; [unrolled: 5-line block ×6, first 2 shown]
	v_add_f64 v[82:83], v[82:83], v[86:87]
	v_add_f64 v[80:81], v[80:81], v[84:85]
	v_min3_f32 v150, v50, v48, v175
	v_add_f64 v[48:49], v[6:7], v[46:47]
	v_add_f64 v[50:51], v[4:5], v[44:45]
	;; [unrolled: 1-line block ×4, first 2 shown]
	v_cvt_f32_f64_e32 v80, v[80:81]
	v_cvt_f32_f64_e32 v81, v[82:83]
	v_cvt_f32_f64_e32 v44, v[44:45]
	v_cvt_f32_f64_e32 v45, v[46:47]
	v_add_f64 v[90:91], v[90:91], v[86:87]
	v_add_f64 v[88:89], v[88:89], v[84:85]
	v_min3_f32 v80, v80, v81, v152
	v_min3_f32 v152, v44, v45, v173
	v_add_f64 v[44:45], v[34:35], v[42:43]
	v_add_f64 v[46:47], v[32:33], v[40:41]
	v_cvt_f32_f64_e32 v88, v[88:89]
	v_cvt_f32_f64_e32 v89, v[90:91]
	v_cvt_f32_f64_e32 v46, v[46:47]
	v_cvt_f32_f64_e32 v44, v[44:45]
	v_add_f64 v[94:95], v[94:95], v[86:87]
	v_add_f64 v[92:93], v[92:93], v[84:85]
	v_min3_f32 v88, v88, v89, v153
	v_min3_f32 v153, v46, v44, v172
	v_add_f64 v[44:45], v[30:31], v[42:43]
	v_add_f64 v[46:47], v[28:29], v[40:41]
	;; [unrolled: 10-line block ×3, first 2 shown]
	v_cvt_f32_f64_e32 v96, v[96:97]
	v_cvt_f32_f64_e32 v97, v[98:99]
	;; [unrolled: 1-line block ×4, first 2 shown]
	v_min3_f32 v96, v96, v97, v155
	v_min3_f32 v155, v46, v44, v170
	v_add_f64 v[44:45], v[18:19], v[42:43]
	v_add_f64 v[46:47], v[16:17], v[40:41]
	v_cvt_f32_f64_e32 v46, v[46:47]
	v_cvt_f32_f64_e32 v44, v[44:45]
	v_min3_f32 v156, v46, v44, v169
	v_add_f64 v[44:45], v[14:15], v[42:43]
	v_add_f64 v[46:47], v[12:13], v[40:41]
	v_cvt_f32_f64_e32 v46, v[46:47]
	v_cvt_f32_f64_e32 v44, v[44:45]
	v_min3_f32 v157, v46, v44, v168
	v_add_f64 v[44:45], v[10:11], v[42:43]
	v_add_f64 v[46:47], v[8:9], v[40:41]
	v_cvt_f32_f64_e32 v46, v[46:47]
	v_cvt_f32_f64_e32 v44, v[44:45]
	v_min3_f32 v158, v46, v44, v167
	v_add_f64 v[44:45], v[6:7], v[42:43]
	v_add_f64 v[46:47], v[4:5], v[40:41]
	;; [unrolled: 1-line block ×4, first 2 shown]
	v_cvt_f32_f64_e32 v40, v[40:41]
	v_cvt_f32_f64_e32 v41, v[42:43]
	v_min3_f32 v160, v40, v41, v165
	v_add_f64 v[40:41], v[34:35], v[38:39]
	v_add_f64 v[42:43], v[32:33], v[36:37]
	v_cvt_f32_f64_e32 v42, v[42:43]
	v_cvt_f32_f64_e32 v40, v[40:41]
	v_min3_f32 v161, v42, v40, v164
	v_add_f64 v[40:41], v[30:31], v[38:39]
	v_add_f64 v[42:43], v[28:29], v[36:37]
	;; [unrolled: 5-line block ×5, first 2 shown]
	v_cvt_f32_f64_e32 v46, v[46:47]
	v_cvt_f32_f64_e32 v44, v[44:45]
	;; [unrolled: 1-line block ×4, first 2 shown]
	v_min3_f32 v159, v46, v44, v166
	v_min3_f32 v166, v42, v40, v189
	v_add_f64 v[40:41], v[10:11], v[38:39]
	v_add_f64 v[42:43], v[8:9], v[36:37]
	v_cvt_f32_f64_e32 v42, v[42:43]
	v_cvt_f32_f64_e32 v40, v[40:41]
	v_min3_f32 v167, v42, v40, v190
	v_add_f64 v[40:41], v[6:7], v[38:39]
	v_add_f64 v[42:43], v[4:5], v[36:37]
	;; [unrolled: 1-line block ×20, first 2 shown]
	v_cvt_f32_f64_e32 v54, v[54:55]
	v_cvt_f32_f64_e32 v52, v[52:53]
	;; [unrolled: 1-line block ×23, first 2 shown]
	v_min3_f32 v123, v54, v52, v182
	v_min3_f32 v151, v50, v48, v174
	;; [unrolled: 1-line block ×11, first 2 shown]
	ds_read_b128 v[36:39], v146 offset:1024
	ds_read_b128 v[32:35], v146 offset:2048
	;; [unrolled: 1-line block ×12, first 2 shown]
	ds_read_b128 v[96:99], v209
	ds_read_b128 v[48:51], v146
	ds_read_b128 v[72:75], v209 offset:1536
	ds_read_b128 v[24:27], v209 offset:1792
	;; [unrolled: 1-line block ×4, first 2 shown]
	s_waitcnt lgkmcnt(5)
	v_add_f64 v[44:45], v[38:39], v[98:99]
	v_add_f64 v[46:47], v[36:37], v[96:97]
	;; [unrolled: 1-line block ×8, first 2 shown]
	v_cvt_f32_f64_e32 v218, v[218:219]
	v_cvt_f32_f64_e32 v216, v[216:217]
	;; [unrolled: 1-line block ×10, first 2 shown]
	v_min3_f32 v206, v218, v216, v206
	v_cvt_f32_f64_e32 v70, v[70:71]
	v_cvt_f32_f64_e32 v42, v[42:43]
	;; [unrolled: 1-line block ×3, first 2 shown]
	v_min3_f32 v179, v46, v44, v64
	v_min3_f32 v184, v54, v52, v65
	;; [unrolled: 1-line block ×4, first 2 shown]
	v_add_f64 v[64:65], v[18:19], v[98:99]
	v_add_f64 v[66:67], v[16:17], v[96:97]
	v_min3_f32 v69, v69, v70, v206
	v_min3_f32 v168, v42, v40, v195
	s_waitcnt lgkmcnt(4)
	v_add_f64 v[40:41], v[50:51], v[98:99]
	v_add_f64 v[42:43], v[48:49], v[96:97]
	v_cvt_f32_f64_e32 v66, v[66:67]
	v_cvt_f32_f64_e32 v64, v[64:65]
	v_add_f64 v[70:71], v[14:15], v[98:99]
	v_add_f64 v[180:181], v[12:13], v[96:97]
	;; [unrolled: 1-line block ×4, first 2 shown]
	v_min3_f32 v187, v66, v64, v68
	v_cvt_f32_f64_e32 v68, v[180:181]
	v_cvt_f32_f64_e32 v96, v[96:97]
	;; [unrolled: 1-line block ×3, first 2 shown]
	v_add_f64 v[180:181], v[50:51], v[94:95]
	v_add_f64 v[182:183], v[48:49], v[92:93]
	v_min3_f32 v189, v96, v97, v100
	v_cvt_f32_f64_e32 v100, v[182:183]
	v_cvt_f32_f64_e32 v180, v[180:181]
	v_min3_f32 v182, v100, v180, v101
	v_add_f64 v[100:101], v[38:39], v[94:95]
	v_add_f64 v[180:181], v[36:37], v[92:93]
	v_cvt_f32_f64_e32 v180, v[180:181]
	v_cvt_f32_f64_e32 v100, v[100:101]
	v_min3_f32 v183, v180, v100, v102
	v_add_f64 v[100:101], v[34:35], v[94:95]
	v_add_f64 v[180:181], v[32:33], v[92:93]
	;; [unrolled: 5-line block ×34, first 2 shown]
	v_cvt_f32_f64_e32 v102, v[102:103]
	v_cvt_f32_f64_e32 v100, v[100:101]
	v_min3_f32 v159, v102, v100, v159
	s_waitcnt lgkmcnt(3)
	v_add_f64 v[100:101], v[50:51], v[74:75]
	v_add_f64 v[102:103], v[48:49], v[72:73]
	v_cvt_f32_f64_e32 v102, v[102:103]
	v_cvt_f32_f64_e32 v100, v[100:101]
	v_min3_f32 v161, v102, v100, v161
	v_add_f64 v[100:101], v[38:39], v[74:75]
	v_add_f64 v[102:103], v[36:37], v[72:73]
	v_cvt_f32_f64_e32 v102, v[102:103]
	v_cvt_f32_f64_e32 v100, v[100:101]
	v_min3_f32 v162, v102, v100, v162
	;; [unrolled: 5-line block ×4, first 2 shown]
	v_add_f64 v[100:101], v[22:23], v[74:75]
	v_add_f64 v[102:103], v[20:21], v[72:73]
	v_cvt_f32_f64_e32 v102, v[102:103]
	v_cvt_f32_f64_e32 v100, v[100:101]
	;; [unrolled: 1-line block ×4, first 2 shown]
	v_min3_f32 v222, v102, v100, v166
	v_add_f64 v[100:101], v[18:19], v[74:75]
	v_add_f64 v[102:103], v[16:17], v[72:73]
	v_min3_f32 v178, v42, v40, v197
	ds_read_b128 v[40:43], v146 offset:1040
	ds_read_b128 v[44:47], v146 offset:2064
	v_cvt_f32_f64_e32 v102, v[102:103]
	v_cvt_f32_f64_e32 v100, v[100:101]
	v_add_f64 v[94:95], v[10:11], v[94:95]
	v_add_f64 v[92:93], v[8:9], v[92:93]
	;; [unrolled: 1-line block ×10, first 2 shown]
	v_min3_f32 v223, v102, v100, v167
	v_add_f64 v[100:101], v[14:15], v[74:75]
	v_add_f64 v[102:103], v[12:13], v[72:73]
	;; [unrolled: 1-line block ×4, first 2 shown]
	s_waitcnt lgkmcnt(4)
	v_add_f64 v[14:15], v[14:15], v[26:27]
	v_add_f64 v[12:13], v[12:13], v[24:25]
	;; [unrolled: 1-line block ×4, first 2 shown]
	v_cvt_f32_f64_e32 v12, v[12:13]
	v_cvt_f32_f64_e32 v13, v[14:15]
	;; [unrolled: 1-line block ×4, first 2 shown]
	v_min3_f32 v12, v12, v13, v176
	v_min3_f32 v13, v8, v9, v177
	s_waitcnt lgkmcnt(2)
	v_add_f64 v[8:9], v[2:3], v[6:7]
	v_add_f64 v[10:11], v[0:1], v[4:5]
	ds_read_b128 v[52:55], v146 offset:3088
	ds_read_b128 v[56:59], v146 offset:4112
	v_cvt_f32_f64_e32 v10, v[10:11]
	v_cvt_f32_f64_e32 v8, v[8:9]
	v_min3_f32 v219, v10, v8, v178
	s_waitcnt lgkmcnt(3)
	v_add_f64 v[8:9], v[42:43], v[6:7]
	v_add_f64 v[10:11], v[40:41], v[4:5]
	v_cvt_f32_f64_e32 v10, v[10:11]
	v_cvt_f32_f64_e32 v8, v[8:9]
	v_min3_f32 v218, v10, v8, v179
	s_waitcnt lgkmcnt(2)
	v_add_f64 v[8:9], v[46:47], v[6:7]
	v_add_f64 v[10:11], v[44:45], v[4:5]
	ds_read_b128 v[60:63], v146 offset:5136
	ds_read_b128 v[64:67], v146 offset:6160
	v_cvt_f32_f64_e32 v10, v[10:11]
	v_cvt_f32_f64_e32 v8, v[8:9]
	;; [unrolled: 1-line block ×3, first 2 shown]
	v_min3_f32 v217, v10, v8, v184
	s_waitcnt lgkmcnt(3)
	v_add_f64 v[8:9], v[54:55], v[6:7]
	v_add_f64 v[10:11], v[52:53], v[4:5]
	v_min3_f32 v188, v68, v70, v69
	ds_read_b128 v[68:71], v146 offset:7184
	ds_read_b128 v[96:99], v209 offset:272
	v_cvt_f32_f64_e32 v10, v[10:11]
	v_cvt_f32_f64_e32 v8, v[8:9]
	v_min3_f32 v216, v10, v8, v185
	s_waitcnt lgkmcnt(4)
	v_add_f64 v[8:9], v[58:59], v[6:7]
	v_add_f64 v[10:11], v[56:57], v[4:5]
	v_cvt_f32_f64_e32 v10, v[10:11]
	v_cvt_f32_f64_e32 v8, v[8:9]
	v_min3_f32 v215, v10, v8, v186
	s_waitcnt lgkmcnt(3)
	v_add_f64 v[8:9], v[62:63], v[6:7]
	v_add_f64 v[10:11], v[60:61], v[4:5]
	;; [unrolled: 6-line block ×3, first 2 shown]
	s_waitcnt lgkmcnt(1)
	v_add_f64 v[6:7], v[70:71], v[6:7]
	v_add_f64 v[4:5], v[68:69], v[4:5]
	v_cvt_f32_f64_e32 v4, v[4:5]
	v_cvt_f32_f64_e32 v5, v[6:7]
	v_min3_f32 v205, v4, v5, v189
	s_waitcnt lgkmcnt(0)
	v_add_f64 v[4:5], v[2:3], v[98:99]
	v_add_f64 v[6:7], v[0:1], v[96:97]
	v_cvt_f32_f64_e32 v6, v[6:7]
	v_cvt_f32_f64_e32 v4, v[4:5]
	v_min3_f32 v204, v6, v4, v182
	v_add_f64 v[4:5], v[42:43], v[98:99]
	v_add_f64 v[6:7], v[40:41], v[96:97]
	v_cvt_f32_f64_e32 v6, v[6:7]
	v_cvt_f32_f64_e32 v4, v[4:5]
	v_min3_f32 v203, v6, v4, v183
	;; [unrolled: 5-line block ×4, first 2 shown]
	v_add_f64 v[4:5], v[58:59], v[98:99]
	v_add_f64 v[6:7], v[56:57], v[96:97]
	v_cvt_f32_f64_e32 v6, v[6:7]
	v_cvt_f32_f64_e32 v4, v[4:5]
	;; [unrolled: 1-line block ×4, first 2 shown]
	v_min3_f32 v200, v6, v4, v105
	v_add_f64 v[4:5], v[62:63], v[98:99]
	v_add_f64 v[6:7], v[60:61], v[96:97]
	v_min3_f32 v108, v92, v93, v108
	ds_read_b128 v[92:95], v209 offset:528
	v_cvt_f32_f64_e32 v6, v[6:7]
	v_cvt_f32_f64_e32 v4, v[4:5]
	v_min3_f32 v199, v6, v4, v106
	v_add_f64 v[4:5], v[66:67], v[98:99]
	v_add_f64 v[6:7], v[64:65], v[96:97]
	v_cvt_f32_f64_e32 v6, v[6:7]
	v_cvt_f32_f64_e32 v4, v[4:5]
	v_min3_f32 v198, v6, v4, v107
	v_add_f64 v[4:5], v[70:71], v[98:99]
	v_add_f64 v[6:7], v[68:69], v[96:97]
	v_cvt_f32_f64_e32 v88, v[88:89]
	v_cvt_f32_f64_e32 v89, v[90:91]
	v_cvt_f32_f64_e32 v6, v[6:7]
	v_cvt_f32_f64_e32 v4, v[4:5]
	v_min3_f32 v116, v88, v89, v116
	ds_read_b128 v[88:91], v209 offset:784
	v_min3_f32 v197, v6, v4, v108
	s_waitcnt lgkmcnt(1)
	v_add_f64 v[4:5], v[2:3], v[94:95]
	v_add_f64 v[6:7], v[0:1], v[92:93]
	v_cvt_f32_f64_e32 v6, v[6:7]
	v_cvt_f32_f64_e32 v4, v[4:5]
	v_min3_f32 v196, v6, v4, v109
	v_add_f64 v[4:5], v[42:43], v[94:95]
	v_add_f64 v[6:7], v[40:41], v[92:93]
	v_cvt_f32_f64_e32 v6, v[6:7]
	v_cvt_f32_f64_e32 v4, v[4:5]
	v_min3_f32 v195, v6, v4, v110
	;; [unrolled: 5-line block ×8, first 2 shown]
	s_waitcnt lgkmcnt(0)
	v_add_f64 v[4:5], v[2:3], v[90:91]
	v_add_f64 v[6:7], v[0:1], v[88:89]
	v_cvt_f32_f64_e32 v10, v[10:11]
	v_cvt_f32_f64_e32 v8, v[8:9]
	;; [unrolled: 1-line block ×4, first 2 shown]
	v_min3_f32 v206, v10, v8, v188
	v_min3_f32 v188, v6, v4, v117
	v_add_f64 v[4:5], v[42:43], v[90:91]
	v_add_f64 v[6:7], v[40:41], v[88:89]
	v_cvt_f32_f64_e32 v6, v[6:7]
	v_cvt_f32_f64_e32 v4, v[4:5]
	v_min3_f32 v187, v6, v4, v118
	v_add_f64 v[4:5], v[46:47], v[90:91]
	v_add_f64 v[6:7], v[44:45], v[88:89]
	v_cvt_f32_f64_e32 v6, v[6:7]
	v_cvt_f32_f64_e32 v4, v[4:5]
	v_min3_f32 v186, v6, v4, v119
	v_add_f64 v[4:5], v[54:55], v[90:91]
	v_add_f64 v[6:7], v[52:53], v[88:89]
	v_cvt_f32_f64_e32 v6, v[6:7]
	v_cvt_f32_f64_e32 v4, v[4:5]
	v_min3_f32 v185, v6, v4, v120
	v_add_f64 v[4:5], v[58:59], v[90:91]
	v_add_f64 v[6:7], v[56:57], v[88:89]
	v_cvt_f32_f64_e32 v6, v[6:7]
	v_cvt_f32_f64_e32 v4, v[4:5]
	v_cvt_f32_f64_e32 v84, v[84:85]
	v_cvt_f32_f64_e32 v85, v[86:87]
	v_min3_f32 v184, v6, v4, v121
	v_add_f64 v[4:5], v[62:63], v[90:91]
	v_add_f64 v[6:7], v[60:61], v[88:89]
	v_min3_f32 v124, v84, v85, v124
	ds_read_b128 v[84:87], v209 offset:1040
	v_cvt_f32_f64_e32 v6, v[6:7]
	v_cvt_f32_f64_e32 v4, v[4:5]
	v_min3_f32 v183, v6, v4, v122
	v_add_f64 v[4:5], v[66:67], v[90:91]
	v_add_f64 v[6:7], v[64:65], v[88:89]
	v_cvt_f32_f64_e32 v6, v[6:7]
	v_cvt_f32_f64_e32 v4, v[4:5]
	v_min3_f32 v182, v6, v4, v123
	v_add_f64 v[4:5], v[70:71], v[90:91]
	v_add_f64 v[6:7], v[68:69], v[88:89]
	v_cvt_f32_f64_e32 v80, v[80:81]
	v_cvt_f32_f64_e32 v81, v[82:83]
	;; [unrolled: 1-line block ×4, first 2 shown]
	v_min3_f32 v152, v80, v81, v152
	ds_read_b128 v[80:83], v209 offset:1296
	v_min3_f32 v181, v6, v4, v124
	s_waitcnt lgkmcnt(1)
	v_add_f64 v[4:5], v[2:3], v[86:87]
	v_add_f64 v[6:7], v[0:1], v[84:85]
	v_cvt_f32_f64_e32 v6, v[6:7]
	v_cvt_f32_f64_e32 v4, v[4:5]
	v_min3_f32 v180, v6, v4, v125
	v_add_f64 v[4:5], v[42:43], v[86:87]
	v_add_f64 v[6:7], v[40:41], v[84:85]
	v_cvt_f32_f64_e32 v6, v[6:7]
	v_cvt_f32_f64_e32 v4, v[4:5]
	v_min3_f32 v179, v6, v4, v126
	v_add_f64 v[4:5], v[46:47], v[86:87]
	v_add_f64 v[6:7], v[44:45], v[84:85]
	v_cvt_f32_f64_e32 v6, v[6:7]
	v_cvt_f32_f64_e32 v4, v[4:5]
	v_min3_f32 v178, v6, v4, v127
	v_add_f64 v[4:5], v[54:55], v[86:87]
	v_add_f64 v[6:7], v[52:53], v[84:85]
	v_cvt_f32_f64_e32 v6, v[6:7]
	v_cvt_f32_f64_e32 v4, v[4:5]
	v_min3_f32 v177, v6, v4, v148
	v_add_f64 v[4:5], v[58:59], v[86:87]
	v_add_f64 v[6:7], v[56:57], v[84:85]
	v_cvt_f32_f64_e32 v6, v[6:7]
	v_cvt_f32_f64_e32 v4, v[4:5]
	v_add_f64 v[18:19], v[18:19], v[26:27]
	v_add_f64 v[16:17], v[16:17], v[24:25]
	v_min3_f32 v176, v6, v4, v149
	v_add_f64 v[4:5], v[62:63], v[86:87]
	v_add_f64 v[6:7], v[60:61], v[84:85]
	v_cvt_f32_f64_e32 v16, v[16:17]
	v_cvt_f32_f64_e32 v17, v[18:19]
	v_cvt_f32_f64_e32 v6, v[6:7]
	v_cvt_f32_f64_e32 v4, v[4:5]
	v_add_f64 v[22:23], v[22:23], v[26:27]
	v_add_f64 v[20:21], v[20:21], v[24:25]
	v_min3_f32 v16, v16, v17, v175
	v_min3_f32 v175, v6, v4, v150
	v_add_f64 v[4:5], v[66:67], v[86:87]
	v_add_f64 v[6:7], v[64:65], v[84:85]
	v_cvt_f32_f64_e32 v20, v[20:21]
	v_cvt_f32_f64_e32 v21, v[22:23]
	v_cvt_f32_f64_e32 v6, v[6:7]
	v_cvt_f32_f64_e32 v4, v[4:5]
	v_add_f64 v[30:31], v[30:31], v[26:27]
	v_add_f64 v[28:29], v[28:29], v[24:25]
	v_min3_f32 v20, v20, v21, v174
	;; [unrolled: 10-line block ×3, first 2 shown]
	v_min3_f32 v173, v6, v4, v152
	s_waitcnt lgkmcnt(0)
	v_add_f64 v[4:5], v[2:3], v[82:83]
	v_add_f64 v[6:7], v[0:1], v[80:81]
	v_cvt_f32_f64_e32 v32, v[32:33]
	v_cvt_f32_f64_e32 v33, v[34:35]
	;; [unrolled: 1-line block ×4, first 2 shown]
	v_add_f64 v[38:39], v[38:39], v[26:27]
	v_add_f64 v[36:37], v[36:37], v[24:25]
	v_min3_f32 v32, v32, v33, v172
	v_min3_f32 v172, v6, v4, v153
	v_add_f64 v[4:5], v[42:43], v[82:83]
	v_add_f64 v[6:7], v[40:41], v[80:81]
	v_cvt_f32_f64_e32 v36, v[36:37]
	v_cvt_f32_f64_e32 v37, v[38:39]
	v_cvt_f32_f64_e32 v6, v[6:7]
	v_cvt_f32_f64_e32 v4, v[4:5]
	v_add_f64 v[50:51], v[50:51], v[26:27]
	v_add_f64 v[48:49], v[48:49], v[24:25]
	v_min3_f32 v36, v36, v37, v171
	v_min3_f32 v171, v6, v4, v154
	v_add_f64 v[4:5], v[46:47], v[82:83]
	v_add_f64 v[6:7], v[44:45], v[80:81]
	v_cvt_f32_f64_e32 v48, v[48:49]
	v_cvt_f32_f64_e32 v49, v[50:51]
	;; [unrolled: 1-line block ×4, first 2 shown]
	v_min3_f32 v48, v48, v49, v170
	v_min3_f32 v170, v6, v4, v155
	v_add_f64 v[4:5], v[54:55], v[82:83]
	v_add_f64 v[6:7], v[52:53], v[80:81]
	v_cvt_f32_f64_e32 v72, v[72:73]
	v_cvt_f32_f64_e32 v73, v[74:75]
	;; [unrolled: 1-line block ×5, first 2 shown]
	v_min3_f32 v101, v72, v73, v169
	v_min3_f32 v169, v6, v4, v156
	v_add_f64 v[4:5], v[58:59], v[82:83]
	v_add_f64 v[6:7], v[56:57], v[80:81]
	v_cvt_f32_f64_e32 v102, v[102:103]
	v_cvt_f32_f64_e32 v6, v[6:7]
	;; [unrolled: 1-line block ×5, first 2 shown]
	v_min3_f32 v100, v102, v100, v168
	v_min3_f32 v168, v6, v4, v157
	v_add_f64 v[4:5], v[62:63], v[82:83]
	v_add_f64 v[6:7], v[60:61], v[80:81]
	v_min3_f32 v160, v76, v77, v160
	ds_read_b128 v[76:79], v209 offset:1552
	ds_read_b128 v[72:75], v209 offset:1808
	v_cvt_f32_f64_e32 v6, v[6:7]
	v_cvt_f32_f64_e32 v4, v[4:5]
	v_min3_f32 v167, v6, v4, v158
	v_add_f64 v[4:5], v[66:67], v[82:83]
	v_add_f64 v[6:7], v[64:65], v[80:81]
	v_cvt_f32_f64_e32 v6, v[6:7]
	v_cvt_f32_f64_e32 v4, v[4:5]
	v_min3_f32 v166, v6, v4, v159
	v_add_f64 v[4:5], v[70:71], v[82:83]
	v_add_f64 v[6:7], v[68:69], v[80:81]
	v_cvt_f32_f64_e32 v6, v[6:7]
	v_cvt_f32_f64_e32 v4, v[4:5]
	v_min3_f32 v165, v6, v4, v160
	s_waitcnt lgkmcnt(1)
	v_add_f64 v[4:5], v[2:3], v[78:79]
	v_add_f64 v[6:7], v[0:1], v[76:77]
	s_waitcnt lgkmcnt(0)
	v_add_f64 v[2:3], v[2:3], v[74:75]
	v_add_f64 v[0:1], v[0:1], v[72:73]
	v_cvt_f32_f64_e32 v6, v[6:7]
	v_cvt_f32_f64_e32 v4, v[4:5]
	v_cvt_f32_f64_e32 v0, v[0:1]
	v_cvt_f32_f64_e32 v1, v[2:3]
	v_min3_f32 v164, v6, v4, v161
	v_add_f64 v[4:5], v[42:43], v[78:79]
	v_add_f64 v[6:7], v[40:41], v[76:77]
	v_min3_f32 v155, v0, v1, v48
	v_add_f64 v[0:1], v[42:43], v[74:75]
	v_add_f64 v[2:3], v[40:41], v[72:73]
	v_cvt_f32_f64_e32 v6, v[6:7]
	v_cvt_f32_f64_e32 v4, v[4:5]
	v_cvt_f32_f64_e32 v2, v[2:3]
	v_cvt_f32_f64_e32 v0, v[0:1]
	v_min3_f32 v162, v6, v4, v162
	v_add_f64 v[4:5], v[46:47], v[78:79]
	v_add_f64 v[6:7], v[44:45], v[76:77]
	v_min3_f32 v154, v2, v0, v36
	v_add_f64 v[0:1], v[46:47], v[74:75]
	v_add_f64 v[2:3], v[44:45], v[72:73]
	v_cvt_f32_f64_e32 v6, v[6:7]
	v_cvt_f32_f64_e32 v4, v[4:5]
	v_cvt_f32_f64_e32 v2, v[2:3]
	v_cvt_f32_f64_e32 v0, v[0:1]
	v_min3_f32 v161, v6, v4, v220
	v_add_f64 v[4:5], v[54:55], v[78:79]
	v_add_f64 v[6:7], v[52:53], v[76:77]
	v_min3_f32 v153, v2, v0, v32
	v_add_f64 v[0:1], v[54:55], v[74:75]
	v_add_f64 v[2:3], v[52:53], v[72:73]
	v_cvt_f32_f64_e32 v6, v[6:7]
	v_cvt_f32_f64_e32 v4, v[4:5]
	v_cvt_f32_f64_e32 v2, v[2:3]
	v_cvt_f32_f64_e32 v0, v[0:1]
	v_min3_f32 v160, v6, v4, v221
	v_add_f64 v[4:5], v[58:59], v[78:79]
	v_add_f64 v[6:7], v[56:57], v[76:77]
	v_min3_f32 v152, v2, v0, v28
	v_add_f64 v[0:1], v[58:59], v[74:75]
	v_add_f64 v[2:3], v[56:57], v[72:73]
	v_cvt_f32_f64_e32 v6, v[6:7]
	v_cvt_f32_f64_e32 v4, v[4:5]
	v_cvt_f32_f64_e32 v2, v[2:3]
	v_cvt_f32_f64_e32 v0, v[0:1]
	v_min3_f32 v159, v6, v4, v222
	v_add_f64 v[4:5], v[62:63], v[78:79]
	v_add_f64 v[6:7], v[60:61], v[76:77]
	v_min3_f32 v151, v2, v0, v20
	v_add_f64 v[0:1], v[62:63], v[74:75]
	v_add_f64 v[2:3], v[60:61], v[72:73]
	v_cvt_f32_f64_e32 v6, v[6:7]
	v_cvt_f32_f64_e32 v4, v[4:5]
	v_cvt_f32_f64_e32 v2, v[2:3]
	v_cvt_f32_f64_e32 v0, v[0:1]
	v_min3_f32 v158, v6, v4, v223
	v_add_f64 v[4:5], v[66:67], v[78:79]
	v_add_f64 v[6:7], v[64:65], v[76:77]
	v_min3_f32 v150, v2, v0, v16
	v_add_f64 v[0:1], v[66:67], v[74:75]
	v_add_f64 v[2:3], v[64:65], v[72:73]
	v_cvt_f32_f64_e32 v6, v[6:7]
	v_cvt_f32_f64_e32 v4, v[4:5]
	v_cvt_f32_f64_e32 v2, v[2:3]
	v_cvt_f32_f64_e32 v0, v[0:1]
	v_min3_f32 v157, v6, v4, v100
	v_add_f64 v[4:5], v[70:71], v[78:79]
	v_add_f64 v[6:7], v[68:69], v[76:77]
	v_min3_f32 v149, v2, v0, v12
	v_add_f64 v[0:1], v[70:71], v[74:75]
	v_add_f64 v[2:3], v[68:69], v[72:73]
	v_cvt_f32_f64_e32 v6, v[6:7]
	v_cvt_f32_f64_e32 v4, v[4:5]
	;; [unrolled: 1-line block ×4, first 2 shown]
	s_add_i32 s34, s34, 8
	v_min3_f32 v156, v6, v4, v101
	v_min3_f32 v148, v2, v0, v13
	s_cmp_ge_i32 s34, s38
	v_lshl_add_u64 v[130:131], v[130:131], 0, 64
	ds_write2st64_b64 v210, v[132:133], v[134:135] offset1:4
	ds_write2st64_b64 v210, v[136:137], v[138:139] offset0:8 offset1:12
	ds_write_b64 v211, v[140:141]
	s_waitcnt lgkmcnt(0)
	s_barrier
	s_cbranch_scc1 .LBB108_49
.LBB108_29:                             ; =>This Inner Loop Header: Depth=1
	v_add_u32_e32 v220, s34, v144
	v_add_u32_e32 v0, 8, v220
	v_cmp_le_i32_e32 vcc, s22, v0
	v_min_i32_e32 v0, s37, v0
	v_mad_i64_i32 v[0:1], s[12:13], v0, s23, 0
	v_lshl_add_u64 v[0:1], v[0:1], 3, s[18:19]
	s_or_b64 s[12:13], s[2:3], vcc
	v_cndmask_b32_e64 v133, 0, v214, s[12:13]
	s_nor_b64 s[40:41], s[28:29], s[12:13]
	v_cndmask_b32_e64 v132, 0, -1, s[12:13]
	v_lshl_add_u64 v[0:1], v[128:129], 3, v[0:1]
	s_and_saveexec_b64 s[12:13], s[40:41]
	s_cbranch_execz .LBB108_31
; %bb.30:                               ;   in Loop: Header=BB108_29 Depth=1
	flat_load_dwordx2 v[2:3], v[0:1]
	s_waitcnt vmcnt(0) lgkmcnt(0)
	v_mul_f64 v[132:133], s[16:17], v[2:3]
.LBB108_31:                             ;   in Loop: Header=BB108_29 Depth=1
	s_or_b64 exec, exec, s[12:13]
	s_or_b64 s[12:13], s[4:5], vcc
	v_cndmask_b32_e64 v135, 0, v214, s[12:13]
	s_nor_b64 s[40:41], s[28:29], s[12:13]
	v_cndmask_b32_e64 v134, 0, -1, s[12:13]
	s_and_saveexec_b64 s[12:13], s[40:41]
	s_cbranch_execz .LBB108_33
; %bb.32:                               ;   in Loop: Header=BB108_29 Depth=1
	flat_load_dwordx2 v[2:3], v[0:1] offset:512
	s_waitcnt vmcnt(0) lgkmcnt(0)
	v_mul_f64 v[134:135], s[16:17], v[2:3]
.LBB108_33:                             ;   in Loop: Header=BB108_29 Depth=1
	s_or_b64 exec, exec, s[12:13]
	s_or_b64 s[12:13], s[6:7], vcc
	v_cndmask_b32_e64 v137, 0, v214, s[12:13]
	s_nor_b64 s[40:41], s[28:29], s[12:13]
	v_cndmask_b32_e64 v136, 0, -1, s[12:13]
	s_and_saveexec_b64 s[12:13], s[40:41]
	s_cbranch_execz .LBB108_35
; %bb.34:                               ;   in Loop: Header=BB108_29 Depth=1
	flat_load_dwordx2 v[2:3], v[0:1] offset:1024
	s_waitcnt vmcnt(0) lgkmcnt(0)
	v_mul_f64 v[136:137], s[16:17], v[2:3]
.LBB108_35:                             ;   in Loop: Header=BB108_29 Depth=1
	s_or_b64 exec, exec, s[12:13]
	s_or_b64 vcc, s[8:9], vcc
	v_cndmask_b32_e32 v139, 0, v214, vcc
	s_nor_b64 s[40:41], s[28:29], vcc
	v_cndmask_b32_e64 v138, 0, -1, vcc
	s_and_saveexec_b64 s[12:13], s[40:41]
	s_cbranch_execz .LBB108_37
; %bb.36:                               ;   in Loop: Header=BB108_29 Depth=1
	flat_load_dwordx2 v[0:1], v[0:1] offset:1536
	s_waitcnt vmcnt(0) lgkmcnt(0)
	v_mul_f64 v[138:139], s[16:17], v[0:1]
.LBB108_37:                             ;   in Loop: Header=BB108_29 Depth=1
	s_or_b64 exec, exec, s[12:13]
	v_add_u32_e32 v221, s34, v147
	v_add_u32_e32 v0, 8, v221
	v_cmp_le_i32_e32 vcc, s22, v0
	s_or_b64 vcc, vcc, s[10:11]
	s_nor_b64 s[40:41], s[28:29], vcc
	v_cndmask_b32_e32 v141, 0, v214, vcc
	v_cndmask_b32_e64 v140, 0, -1, vcc
	s_and_saveexec_b64 s[12:13], s[40:41]
	s_cbranch_execz .LBB108_39
; %bb.38:                               ;   in Loop: Header=BB108_29 Depth=1
	v_add_co_u32_e32 v0, vcc, 0xffffffe0, v130
	s_nop 1
	v_addc_co_u32_e32 v1, vcc, -1, v131, vcc
	flat_load_dwordx2 v[0:1], v[0:1]
	s_waitcnt vmcnt(0) lgkmcnt(0)
	v_mul_f64 v[140:141], s[16:17], v[0:1]
.LBB108_39:                             ;   in Loop: Header=BB108_29 Depth=1
	s_or_b64 exec, exec, s[12:13]
	ds_read_b128 v[124:127], v213
	ds_read_b128 v[60:63], v213 offset:16
	ds_read_b128 v[96:99], v212
	ds_read_b128 v[32:35], v212 offset:16
	ds_read_b128 v[92:95], v212 offset:1024
	;; [unrolled: 1-line block ×29, first 2 shown]
	ds_write2st64_b64 v163, v[132:133], v[134:135] offset1:4
	ds_write2st64_b64 v163, v[136:137], v[138:139] offset0:8 offset1:12
	ds_write_b64 v208, v[140:141]
	v_add_u32_e32 v132, 12, v220
	v_cmp_le_i32_e32 vcc, s22, v132
	v_min_i32_e32 v132, s37, v132
	v_mad_i64_i32 v[132:133], s[12:13], v132, s23, 0
	v_lshl_add_u64 v[134:135], v[132:133], 3, s[18:19]
	s_or_b64 s[12:13], s[2:3], vcc
	v_cndmask_b32_e64 v133, 0, v214, s[12:13]
	s_nor_b64 s[40:41], s[28:29], s[12:13]
	v_cndmask_b32_e64 v132, 0, -1, s[12:13]
	v_lshl_add_u64 v[140:141], v[128:129], 3, v[134:135]
	s_waitcnt lgkmcnt(0)
	s_barrier
	s_and_saveexec_b64 s[12:13], s[40:41]
	s_cbranch_execz .LBB108_41
; %bb.40:                               ;   in Loop: Header=BB108_29 Depth=1
	flat_load_dwordx2 v[132:133], v[140:141]
	s_waitcnt vmcnt(0) lgkmcnt(0)
	v_mul_f64 v[132:133], s[16:17], v[132:133]
.LBB108_41:                             ;   in Loop: Header=BB108_29 Depth=1
	s_or_b64 exec, exec, s[12:13]
	s_or_b64 s[12:13], s[4:5], vcc
	v_cndmask_b32_e64 v135, 0, v214, s[12:13]
	s_nor_b64 s[40:41], s[28:29], s[12:13]
	v_cndmask_b32_e64 v134, 0, -1, s[12:13]
	s_and_saveexec_b64 s[12:13], s[40:41]
	s_cbranch_execz .LBB108_43
; %bb.42:                               ;   in Loop: Header=BB108_29 Depth=1
	flat_load_dwordx2 v[134:135], v[140:141] offset:512
	s_waitcnt vmcnt(0) lgkmcnt(0)
	v_mul_f64 v[134:135], s[16:17], v[134:135]
.LBB108_43:                             ;   in Loop: Header=BB108_29 Depth=1
	s_or_b64 exec, exec, s[12:13]
	s_or_b64 s[12:13], s[6:7], vcc
	v_cndmask_b32_e64 v137, 0, v214, s[12:13]
	s_nor_b64 s[40:41], s[28:29], s[12:13]
	v_cndmask_b32_e64 v136, 0, -1, s[12:13]
	s_and_saveexec_b64 s[12:13], s[40:41]
	s_cbranch_execz .LBB108_45
; %bb.44:                               ;   in Loop: Header=BB108_29 Depth=1
	flat_load_dwordx2 v[136:137], v[140:141] offset:1024
	s_waitcnt vmcnt(0) lgkmcnt(0)
	v_mul_f64 v[136:137], s[16:17], v[136:137]
.LBB108_45:                             ;   in Loop: Header=BB108_29 Depth=1
	s_or_b64 exec, exec, s[12:13]
	s_or_b64 vcc, s[8:9], vcc
	v_cndmask_b32_e32 v139, 0, v214, vcc
	s_nor_b64 s[40:41], s[28:29], vcc
	v_cndmask_b32_e64 v138, 0, -1, vcc
	s_and_saveexec_b64 s[12:13], s[40:41]
	s_cbranch_execz .LBB108_47
; %bb.46:                               ;   in Loop: Header=BB108_29 Depth=1
	flat_load_dwordx2 v[138:139], v[140:141] offset:1536
	s_waitcnt vmcnt(0) lgkmcnt(0)
	v_mul_f64 v[138:139], s[16:17], v[138:139]
.LBB108_47:                             ;   in Loop: Header=BB108_29 Depth=1
	s_or_b64 exec, exec, s[12:13]
	v_add_u32_e32 v140, 12, v221
	v_cmp_le_i32_e32 vcc, s22, v140
	s_or_b64 vcc, vcc, s[10:11]
	s_nor_b64 s[40:41], s[28:29], vcc
	v_cndmask_b32_e32 v141, 0, v214, vcc
	v_cndmask_b32_e64 v140, 0, -1, vcc
	s_and_saveexec_b64 s[12:13], s[40:41]
	s_cbranch_execz .LBB108_28
; %bb.48:                               ;   in Loop: Header=BB108_29 Depth=1
	flat_load_dwordx2 v[140:141], v[130:131]
	s_waitcnt vmcnt(0) lgkmcnt(0)
	v_mul_f64 v[140:141], s[16:17], v[140:141]
	s_branch .LBB108_28
.LBB108_49:
	s_load_dwordx2 s[2:3], s[0:1], 0x78
	s_load_dword s35, s[0:1], 0x58
	s_load_dword s34, s[0:1], 0x70
	ds_read_b128 v[68:71], v146 offset:8192
	ds_read_b128 v[64:67], v146 offset:8208
	;; [unrolled: 1-line block ×32, first 2 shown]
	s_waitcnt lgkmcnt(0)
	s_lshl_b64 s[0:1], s[2:3], 3
	s_add_u32 s22, s30, s0
	v_add_u32_e32 v163, s36, v143
	s_addc_u32 s23, s31, s1
	v_mad_i64_i32 v[130:131], s[0:1], v163, s35, 0
	v_add_u32_e32 v128, s33, v142
	v_lshl_add_u64 v[146:147], v[130:131], 3, s[26:27]
	v_mad_i64_i32 v[130:131], s[0:1], v163, s34, 0
	v_cmp_gt_i32_e64 s[2:3], s20, v128
	v_cmp_gt_i32_e64 s[18:19], s21, v163
	v_lshl_add_u64 v[144:145], v[130:131], 3, s[22:23]
	v_cndmask_b32_e64 v130, 0, 1, s[14:15]
	v_ashrrev_i32_e32 v129, 31, v128
	s_and_b64 s[6:7], s[2:3], s[18:19]
	v_cmp_ne_u32_e64 s[0:1], 1, v130
	s_and_saveexec_b64 s[4:5], s[6:7]
	s_cbranch_execz .LBB108_54
; %bb.50:
	s_and_b64 vcc, exec, s[0:1]
	s_cbranch_vccnz .LBB108_52
; %bb.51:
	v_lshl_add_u64 v[130:131], v[128:129], 3, v[146:147]
	flat_load_dwordx2 v[130:131], v[130:131]
	s_waitcnt vmcnt(0) lgkmcnt(0)
	v_mul_f64 v[130:131], s[24:25], v[130:131]
	v_cvt_f32_f64_e32 v130, v[130:131]
	s_branch .LBB108_53
.LBB108_52:
	v_mov_b32_e32 v130, 0
.LBB108_53:
	v_add_f64 v[132:133], v[70:71], v[126:127]
	v_add_f64 v[134:135], v[68:69], v[124:125]
	v_cvt_f32_f64_e32 v131, v[134:135]
	v_cvt_f32_f64_e32 v132, v[132:133]
	v_min3_f32 v131, v131, v132, v219
	v_add_f64 v[132:133], v[66:67], v[122:123]
	v_add_f64 v[134:135], v[64:65], v[120:121]
	v_cvt_f32_f64_e32 v134, v[134:135]
	v_cvt_f32_f64_e32 v132, v[132:133]
	v_min_f32_e32 v132, v134, v132
	v_min3_f32 v130, v130, v132, v131
	v_cvt_f64_f32_e32 v[130:131], v130
	v_lshl_add_u64 v[132:133], v[128:129], 3, v[144:145]
	flat_store_dwordx2 v[132:133], v[130:131]
.LBB108_54:
	s_or_b64 exec, exec, s[4:5]
	v_add_u32_e32 v130, 32, v128
	v_cmp_gt_i32_e64 s[4:5], s20, v130
	v_ashrrev_i32_e32 v131, 31, v130
	s_and_b64 s[8:9], s[4:5], s[18:19]
	s_and_saveexec_b64 s[6:7], s[8:9]
	s_cbranch_execz .LBB108_59
; %bb.55:
	s_and_b64 vcc, exec, s[0:1]
	s_cbranch_vccnz .LBB108_57
; %bb.56:
	v_lshl_add_u64 v[132:133], v[130:131], 3, v[146:147]
	flat_load_dwordx2 v[132:133], v[132:133]
	s_waitcnt vmcnt(0) lgkmcnt(0)
	v_mul_f64 v[132:133], s[24:25], v[132:133]
	v_cvt_f32_f64_e32 v132, v[132:133]
	s_branch .LBB108_58
.LBB108_57:
	v_mov_b32_e32 v132, 0
.LBB108_58:
	v_add_f64 v[134:135], v[62:63], v[126:127]
	v_add_f64 v[136:137], v[60:61], v[124:125]
	v_cvt_f32_f64_e32 v133, v[136:137]
	v_cvt_f32_f64_e32 v134, v[134:135]
	v_min3_f32 v133, v133, v134, v218
	v_add_f64 v[134:135], v[58:59], v[122:123]
	v_add_f64 v[136:137], v[56:57], v[120:121]
	v_cvt_f32_f64_e32 v136, v[136:137]
	v_cvt_f32_f64_e32 v134, v[134:135]
	v_min_f32_e32 v134, v136, v134
	v_min3_f32 v132, v132, v134, v133
	v_cvt_f64_f32_e32 v[132:133], v132
	v_lshl_add_u64 v[134:135], v[130:131], 3, v[144:145]
	flat_store_dwordx2 v[134:135], v[132:133]
.LBB108_59:
	s_or_b64 exec, exec, s[6:7]
	v_add_u32_e32 v132, 64, v128
	v_cmp_gt_i32_e64 s[6:7], s20, v132
	v_ashrrev_i32_e32 v133, 31, v132
	s_and_b64 s[10:11], s[6:7], s[18:19]
	;; [unrolled: 35-line block ×7, first 2 shown]
	s_and_saveexec_b64 s[18:19], s[28:29]
	s_cbranch_execz .LBB108_89
; %bb.85:
	s_and_b64 vcc, exec, s[0:1]
	s_cbranch_vccnz .LBB108_87
; %bb.86:
	v_lshl_add_u64 v[146:147], v[142:143], 3, v[146:147]
	flat_load_dwordx2 v[146:147], v[146:147]
	s_waitcnt vmcnt(0) lgkmcnt(0)
	v_mul_f64 v[146:147], s[24:25], v[146:147]
	v_cvt_f32_f64_e32 v146, v[146:147]
	s_branch .LBB108_88
.LBB108_87:
	v_mov_b32_e32 v146, 0
.LBB108_88:
	v_add_f64 v[126:127], v[6:7], v[126:127]
	v_add_f64 v[124:125], v[4:5], v[124:125]
	;; [unrolled: 1-line block ×4, first 2 shown]
	v_cvt_f32_f64_e32 v124, v[124:125]
	v_cvt_f32_f64_e32 v125, v[126:127]
	;; [unrolled: 1-line block ×4, first 2 shown]
	v_min3_f32 v124, v124, v125, v205
	v_min_f32_e32 v120, v120, v121
	v_min3_f32 v120, v146, v120, v124
	v_cvt_f64_f32_e32 v[120:121], v120
	v_lshl_add_u64 v[122:123], v[142:143], 3, v[144:145]
	flat_store_dwordx2 v[122:123], v[120:121]
.LBB108_89:
	s_or_b64 exec, exec, s[18:19]
	v_add_u32_e32 v124, 8, v163
	v_mad_i64_i32 v[120:121], s[28:29], v124, s35, 0
	v_cmp_gt_i32_e64 s[18:19], s21, v124
	v_lshl_add_u64 v[122:123], v[120:121], 3, s[26:27]
	v_mad_i64_i32 v[120:121], s[28:29], v124, s34, 0
	v_lshl_add_u64 v[120:121], v[120:121], 3, s[22:23]
	s_and_b64 s[30:31], s[2:3], s[18:19]
	s_and_saveexec_b64 s[28:29], s[30:31]
	s_cbranch_execnz .LBB108_97
; %bb.90:
	s_or_b64 exec, exec, s[28:29]
	s_and_b64 s[30:31], s[4:5], s[18:19]
	s_and_saveexec_b64 s[28:29], s[30:31]
	s_cbranch_execnz .LBB108_101
.LBB108_91:
	s_or_b64 exec, exec, s[28:29]
	s_and_b64 s[30:31], s[6:7], s[18:19]
	s_and_saveexec_b64 s[28:29], s[30:31]
	s_cbranch_execnz .LBB108_105
.LBB108_92:
	s_or_b64 exec, exec, s[28:29]
	s_and_b64 s[30:31], s[8:9], s[18:19]
	s_and_saveexec_b64 s[28:29], s[30:31]
	s_cbranch_execnz .LBB108_109
.LBB108_93:
	s_or_b64 exec, exec, s[28:29]
	s_and_b64 s[30:31], s[10:11], s[18:19]
	s_and_saveexec_b64 s[28:29], s[30:31]
	s_cbranch_execnz .LBB108_113
.LBB108_94:
	s_or_b64 exec, exec, s[28:29]
	s_and_b64 s[30:31], s[12:13], s[18:19]
	s_and_saveexec_b64 s[28:29], s[30:31]
	s_cbranch_execnz .LBB108_117
.LBB108_95:
	s_or_b64 exec, exec, s[28:29]
	s_and_b64 s[30:31], s[14:15], s[18:19]
	s_and_saveexec_b64 s[28:29], s[30:31]
	s_cbranch_execnz .LBB108_121
.LBB108_96:
	s_or_b64 exec, exec, s[28:29]
	s_and_b64 s[28:29], s[16:17], s[18:19]
	s_and_saveexec_b64 s[18:19], s[28:29]
	s_cbranch_execnz .LBB108_125
	s_branch .LBB108_129
.LBB108_97:
	s_and_b64 vcc, exec, s[0:1]
	s_cbranch_vccnz .LBB108_99
; %bb.98:
	v_lshl_add_u64 v[124:125], v[128:129], 3, v[122:123]
	flat_load_dwordx2 v[124:125], v[124:125]
	s_waitcnt vmcnt(0) lgkmcnt(0)
	v_mul_f64 v[124:125], s[24:25], v[124:125]
	v_cvt_f32_f64_e32 v124, v[124:125]
	s_branch .LBB108_100
.LBB108_99:
	v_mov_b32_e32 v124, 0
.LBB108_100:
	v_add_f64 v[126:127], v[70:71], v[118:119]
	v_add_f64 v[144:145], v[68:69], v[116:117]
	v_cvt_f32_f64_e32 v125, v[144:145]
	v_cvt_f32_f64_e32 v126, v[126:127]
	v_min3_f32 v125, v125, v126, v204
	v_add_f64 v[126:127], v[66:67], v[114:115]
	v_add_f64 v[144:145], v[64:65], v[112:113]
	v_cvt_f32_f64_e32 v144, v[144:145]
	v_cvt_f32_f64_e32 v126, v[126:127]
	v_min_f32_e32 v126, v144, v126
	v_min3_f32 v124, v124, v126, v125
	v_cvt_f64_f32_e32 v[124:125], v124
	v_lshl_add_u64 v[126:127], v[128:129], 3, v[120:121]
	flat_store_dwordx2 v[126:127], v[124:125]
	s_or_b64 exec, exec, s[28:29]
	s_and_b64 s[30:31], s[4:5], s[18:19]
	s_and_saveexec_b64 s[28:29], s[30:31]
	s_cbranch_execz .LBB108_91
.LBB108_101:
	s_and_b64 vcc, exec, s[0:1]
	s_cbranch_vccnz .LBB108_103
; %bb.102:
	v_lshl_add_u64 v[124:125], v[130:131], 3, v[122:123]
	flat_load_dwordx2 v[124:125], v[124:125]
	s_waitcnt vmcnt(0) lgkmcnt(0)
	v_mul_f64 v[124:125], s[24:25], v[124:125]
	v_cvt_f32_f64_e32 v124, v[124:125]
	s_branch .LBB108_104
.LBB108_103:
	v_mov_b32_e32 v124, 0
.LBB108_104:
	v_add_f64 v[126:127], v[62:63], v[118:119]
	v_add_f64 v[144:145], v[60:61], v[116:117]
	v_cvt_f32_f64_e32 v125, v[144:145]
	v_cvt_f32_f64_e32 v126, v[126:127]
	v_min3_f32 v125, v125, v126, v203
	v_add_f64 v[126:127], v[58:59], v[114:115]
	v_add_f64 v[144:145], v[56:57], v[112:113]
	v_cvt_f32_f64_e32 v144, v[144:145]
	v_cvt_f32_f64_e32 v126, v[126:127]
	v_min_f32_e32 v126, v144, v126
	v_min3_f32 v124, v124, v126, v125
	v_cvt_f64_f32_e32 v[124:125], v124
	v_lshl_add_u64 v[126:127], v[130:131], 3, v[120:121]
	flat_store_dwordx2 v[126:127], v[124:125]
	s_or_b64 exec, exec, s[28:29]
	s_and_b64 s[30:31], s[6:7], s[18:19]
	s_and_saveexec_b64 s[28:29], s[30:31]
	s_cbranch_execz .LBB108_92
.LBB108_105:
	s_and_b64 vcc, exec, s[0:1]
	s_cbranch_vccnz .LBB108_107
; %bb.106:
	v_lshl_add_u64 v[124:125], v[132:133], 3, v[122:123]
	flat_load_dwordx2 v[124:125], v[124:125]
	s_waitcnt vmcnt(0) lgkmcnt(0)
	v_mul_f64 v[124:125], s[24:25], v[124:125]
	v_cvt_f32_f64_e32 v124, v[124:125]
	s_branch .LBB108_108
.LBB108_107:
	v_mov_b32_e32 v124, 0
.LBB108_108:
	v_add_f64 v[126:127], v[54:55], v[118:119]
	v_add_f64 v[144:145], v[52:53], v[116:117]
	v_cvt_f32_f64_e32 v125, v[144:145]
	v_cvt_f32_f64_e32 v126, v[126:127]
	v_min3_f32 v125, v125, v126, v202
	v_add_f64 v[126:127], v[50:51], v[114:115]
	v_add_f64 v[144:145], v[48:49], v[112:113]
	v_cvt_f32_f64_e32 v144, v[144:145]
	v_cvt_f32_f64_e32 v126, v[126:127]
	v_min_f32_e32 v126, v144, v126
	v_min3_f32 v124, v124, v126, v125
	v_cvt_f64_f32_e32 v[124:125], v124
	v_lshl_add_u64 v[126:127], v[132:133], 3, v[120:121]
	flat_store_dwordx2 v[126:127], v[124:125]
	s_or_b64 exec, exec, s[28:29]
	s_and_b64 s[30:31], s[8:9], s[18:19]
	s_and_saveexec_b64 s[28:29], s[30:31]
	s_cbranch_execz .LBB108_93
.LBB108_109:
	s_and_b64 vcc, exec, s[0:1]
	s_cbranch_vccnz .LBB108_111
; %bb.110:
	v_lshl_add_u64 v[124:125], v[134:135], 3, v[122:123]
	flat_load_dwordx2 v[124:125], v[124:125]
	s_waitcnt vmcnt(0) lgkmcnt(0)
	v_mul_f64 v[124:125], s[24:25], v[124:125]
	v_cvt_f32_f64_e32 v124, v[124:125]
	s_branch .LBB108_112
.LBB108_111:
	v_mov_b32_e32 v124, 0
.LBB108_112:
	v_add_f64 v[126:127], v[46:47], v[118:119]
	v_add_f64 v[144:145], v[44:45], v[116:117]
	v_cvt_f32_f64_e32 v125, v[144:145]
	v_cvt_f32_f64_e32 v126, v[126:127]
	v_min3_f32 v125, v125, v126, v201
	v_add_f64 v[126:127], v[42:43], v[114:115]
	v_add_f64 v[144:145], v[40:41], v[112:113]
	v_cvt_f32_f64_e32 v144, v[144:145]
	v_cvt_f32_f64_e32 v126, v[126:127]
	v_min_f32_e32 v126, v144, v126
	v_min3_f32 v124, v124, v126, v125
	v_cvt_f64_f32_e32 v[124:125], v124
	v_lshl_add_u64 v[126:127], v[134:135], 3, v[120:121]
	flat_store_dwordx2 v[126:127], v[124:125]
	s_or_b64 exec, exec, s[28:29]
	s_and_b64 s[30:31], s[10:11], s[18:19]
	s_and_saveexec_b64 s[28:29], s[30:31]
	s_cbranch_execz .LBB108_94
.LBB108_113:
	s_and_b64 vcc, exec, s[0:1]
	s_cbranch_vccnz .LBB108_115
; %bb.114:
	v_lshl_add_u64 v[124:125], v[136:137], 3, v[122:123]
	flat_load_dwordx2 v[124:125], v[124:125]
	s_waitcnt vmcnt(0) lgkmcnt(0)
	v_mul_f64 v[124:125], s[24:25], v[124:125]
	v_cvt_f32_f64_e32 v124, v[124:125]
	s_branch .LBB108_116
.LBB108_115:
	v_mov_b32_e32 v124, 0
.LBB108_116:
	v_add_f64 v[126:127], v[38:39], v[118:119]
	v_add_f64 v[144:145], v[36:37], v[116:117]
	v_cvt_f32_f64_e32 v125, v[144:145]
	v_cvt_f32_f64_e32 v126, v[126:127]
	v_min3_f32 v125, v125, v126, v200
	v_add_f64 v[126:127], v[34:35], v[114:115]
	v_add_f64 v[144:145], v[32:33], v[112:113]
	v_cvt_f32_f64_e32 v144, v[144:145]
	v_cvt_f32_f64_e32 v126, v[126:127]
	v_min_f32_e32 v126, v144, v126
	v_min3_f32 v124, v124, v126, v125
	v_cvt_f64_f32_e32 v[124:125], v124
	v_lshl_add_u64 v[126:127], v[136:137], 3, v[120:121]
	flat_store_dwordx2 v[126:127], v[124:125]
	s_or_b64 exec, exec, s[28:29]
	s_and_b64 s[30:31], s[12:13], s[18:19]
	s_and_saveexec_b64 s[28:29], s[30:31]
	s_cbranch_execz .LBB108_95
.LBB108_117:
	s_and_b64 vcc, exec, s[0:1]
	s_cbranch_vccnz .LBB108_119
; %bb.118:
	v_lshl_add_u64 v[124:125], v[138:139], 3, v[122:123]
	flat_load_dwordx2 v[124:125], v[124:125]
	s_waitcnt vmcnt(0) lgkmcnt(0)
	v_mul_f64 v[124:125], s[24:25], v[124:125]
	v_cvt_f32_f64_e32 v124, v[124:125]
	s_branch .LBB108_120
.LBB108_119:
	v_mov_b32_e32 v124, 0
.LBB108_120:
	v_add_f64 v[126:127], v[30:31], v[118:119]
	v_add_f64 v[144:145], v[28:29], v[116:117]
	v_cvt_f32_f64_e32 v125, v[144:145]
	v_cvt_f32_f64_e32 v126, v[126:127]
	v_min3_f32 v125, v125, v126, v199
	v_add_f64 v[126:127], v[26:27], v[114:115]
	v_add_f64 v[144:145], v[24:25], v[112:113]
	v_cvt_f32_f64_e32 v144, v[144:145]
	v_cvt_f32_f64_e32 v126, v[126:127]
	v_min_f32_e32 v126, v144, v126
	v_min3_f32 v124, v124, v126, v125
	v_cvt_f64_f32_e32 v[124:125], v124
	v_lshl_add_u64 v[126:127], v[138:139], 3, v[120:121]
	flat_store_dwordx2 v[126:127], v[124:125]
	s_or_b64 exec, exec, s[28:29]
	s_and_b64 s[30:31], s[14:15], s[18:19]
	s_and_saveexec_b64 s[28:29], s[30:31]
	s_cbranch_execz .LBB108_96
.LBB108_121:
	s_and_b64 vcc, exec, s[0:1]
	s_cbranch_vccnz .LBB108_123
; %bb.122:
	v_lshl_add_u64 v[124:125], v[140:141], 3, v[122:123]
	flat_load_dwordx2 v[124:125], v[124:125]
	s_waitcnt vmcnt(0) lgkmcnt(0)
	v_mul_f64 v[124:125], s[24:25], v[124:125]
	v_cvt_f32_f64_e32 v124, v[124:125]
	s_branch .LBB108_124
.LBB108_123:
	v_mov_b32_e32 v124, 0
.LBB108_124:
	v_add_f64 v[126:127], v[22:23], v[118:119]
	v_add_f64 v[144:145], v[20:21], v[116:117]
	v_cvt_f32_f64_e32 v125, v[144:145]
	v_cvt_f32_f64_e32 v126, v[126:127]
	v_min3_f32 v125, v125, v126, v198
	v_add_f64 v[126:127], v[18:19], v[114:115]
	v_add_f64 v[144:145], v[16:17], v[112:113]
	v_cvt_f32_f64_e32 v144, v[144:145]
	v_cvt_f32_f64_e32 v126, v[126:127]
	v_min_f32_e32 v126, v144, v126
	v_min3_f32 v124, v124, v126, v125
	v_cvt_f64_f32_e32 v[124:125], v124
	v_lshl_add_u64 v[126:127], v[140:141], 3, v[120:121]
	flat_store_dwordx2 v[126:127], v[124:125]
	s_or_b64 exec, exec, s[28:29]
	s_and_b64 s[28:29], s[16:17], s[18:19]
	s_and_saveexec_b64 s[18:19], s[28:29]
	s_cbranch_execz .LBB108_129
.LBB108_125:
	s_and_b64 vcc, exec, s[0:1]
	s_cbranch_vccnz .LBB108_127
; %bb.126:
	v_lshl_add_u64 v[122:123], v[142:143], 3, v[122:123]
	flat_load_dwordx2 v[122:123], v[122:123]
	s_waitcnt vmcnt(0) lgkmcnt(0)
	v_mul_f64 v[122:123], s[24:25], v[122:123]
	v_cvt_f32_f64_e32 v122, v[122:123]
	s_branch .LBB108_128
.LBB108_127:
	v_mov_b32_e32 v122, 0
.LBB108_128:
	v_add_f64 v[118:119], v[6:7], v[118:119]
	v_add_f64 v[116:117], v[4:5], v[116:117]
	;; [unrolled: 1-line block ×4, first 2 shown]
	v_cvt_f32_f64_e32 v116, v[116:117]
	v_cvt_f32_f64_e32 v117, v[118:119]
	;; [unrolled: 1-line block ×4, first 2 shown]
	v_min3_f32 v116, v116, v117, v197
	v_min_f32_e32 v112, v112, v113
	v_min3_f32 v112, v122, v112, v116
	v_cvt_f64_f32_e32 v[112:113], v112
	v_lshl_add_u64 v[114:115], v[142:143], 3, v[120:121]
	flat_store_dwordx2 v[114:115], v[112:113]
.LBB108_129:
	s_or_b64 exec, exec, s[18:19]
	v_add_u32_e32 v116, 16, v163
	v_mad_i64_i32 v[112:113], s[28:29], v116, s35, 0
	v_cmp_gt_i32_e64 s[18:19], s21, v116
	v_lshl_add_u64 v[114:115], v[112:113], 3, s[26:27]
	v_mad_i64_i32 v[112:113], s[28:29], v116, s34, 0
	v_lshl_add_u64 v[112:113], v[112:113], 3, s[22:23]
	s_and_b64 s[30:31], s[2:3], s[18:19]
	s_and_saveexec_b64 s[28:29], s[30:31]
	s_cbranch_execnz .LBB108_137
; %bb.130:
	s_or_b64 exec, exec, s[28:29]
	s_and_b64 s[30:31], s[4:5], s[18:19]
	s_and_saveexec_b64 s[28:29], s[30:31]
	s_cbranch_execnz .LBB108_141
.LBB108_131:
	s_or_b64 exec, exec, s[28:29]
	s_and_b64 s[30:31], s[6:7], s[18:19]
	s_and_saveexec_b64 s[28:29], s[30:31]
	s_cbranch_execnz .LBB108_145
.LBB108_132:
	s_or_b64 exec, exec, s[28:29]
	s_and_b64 s[30:31], s[8:9], s[18:19]
	s_and_saveexec_b64 s[28:29], s[30:31]
	s_cbranch_execnz .LBB108_149
.LBB108_133:
	s_or_b64 exec, exec, s[28:29]
	s_and_b64 s[30:31], s[10:11], s[18:19]
	s_and_saveexec_b64 s[28:29], s[30:31]
	s_cbranch_execnz .LBB108_153
.LBB108_134:
	s_or_b64 exec, exec, s[28:29]
	s_and_b64 s[30:31], s[12:13], s[18:19]
	s_and_saveexec_b64 s[28:29], s[30:31]
	s_cbranch_execnz .LBB108_157
.LBB108_135:
	s_or_b64 exec, exec, s[28:29]
	s_and_b64 s[30:31], s[14:15], s[18:19]
	s_and_saveexec_b64 s[28:29], s[30:31]
	s_cbranch_execnz .LBB108_161
.LBB108_136:
	s_or_b64 exec, exec, s[28:29]
	s_and_b64 s[28:29], s[16:17], s[18:19]
	s_and_saveexec_b64 s[18:19], s[28:29]
	s_cbranch_execnz .LBB108_165
	s_branch .LBB108_169
.LBB108_137:
	s_and_b64 vcc, exec, s[0:1]
	s_cbranch_vccnz .LBB108_139
; %bb.138:
	v_lshl_add_u64 v[116:117], v[128:129], 3, v[114:115]
	flat_load_dwordx2 v[116:117], v[116:117]
	s_waitcnt vmcnt(0) lgkmcnt(0)
	v_mul_f64 v[116:117], s[24:25], v[116:117]
	v_cvt_f32_f64_e32 v116, v[116:117]
	s_branch .LBB108_140
.LBB108_139:
	v_mov_b32_e32 v116, 0
.LBB108_140:
	v_add_f64 v[118:119], v[70:71], v[110:111]
	v_add_f64 v[120:121], v[68:69], v[108:109]
	v_cvt_f32_f64_e32 v117, v[120:121]
	v_cvt_f32_f64_e32 v118, v[118:119]
	v_min3_f32 v117, v117, v118, v196
	v_add_f64 v[118:119], v[66:67], v[106:107]
	v_add_f64 v[120:121], v[64:65], v[104:105]
	v_cvt_f32_f64_e32 v120, v[120:121]
	v_cvt_f32_f64_e32 v118, v[118:119]
	v_min_f32_e32 v118, v120, v118
	v_min3_f32 v116, v116, v118, v117
	v_cvt_f64_f32_e32 v[116:117], v116
	v_lshl_add_u64 v[118:119], v[128:129], 3, v[112:113]
	flat_store_dwordx2 v[118:119], v[116:117]
	s_or_b64 exec, exec, s[28:29]
	s_and_b64 s[30:31], s[4:5], s[18:19]
	s_and_saveexec_b64 s[28:29], s[30:31]
	s_cbranch_execz .LBB108_131
.LBB108_141:
	s_and_b64 vcc, exec, s[0:1]
	s_cbranch_vccnz .LBB108_143
; %bb.142:
	v_lshl_add_u64 v[116:117], v[130:131], 3, v[114:115]
	flat_load_dwordx2 v[116:117], v[116:117]
	s_waitcnt vmcnt(0) lgkmcnt(0)
	v_mul_f64 v[116:117], s[24:25], v[116:117]
	v_cvt_f32_f64_e32 v116, v[116:117]
	s_branch .LBB108_144
.LBB108_143:
	v_mov_b32_e32 v116, 0
.LBB108_144:
	v_add_f64 v[118:119], v[62:63], v[110:111]
	v_add_f64 v[120:121], v[60:61], v[108:109]
	v_cvt_f32_f64_e32 v117, v[120:121]
	v_cvt_f32_f64_e32 v118, v[118:119]
	v_min3_f32 v117, v117, v118, v195
	v_add_f64 v[118:119], v[58:59], v[106:107]
	v_add_f64 v[120:121], v[56:57], v[104:105]
	v_cvt_f32_f64_e32 v120, v[120:121]
	v_cvt_f32_f64_e32 v118, v[118:119]
	v_min_f32_e32 v118, v120, v118
	v_min3_f32 v116, v116, v118, v117
	v_cvt_f64_f32_e32 v[116:117], v116
	v_lshl_add_u64 v[118:119], v[130:131], 3, v[112:113]
	flat_store_dwordx2 v[118:119], v[116:117]
	s_or_b64 exec, exec, s[28:29]
	s_and_b64 s[30:31], s[6:7], s[18:19]
	s_and_saveexec_b64 s[28:29], s[30:31]
	s_cbranch_execz .LBB108_132
.LBB108_145:
	s_and_b64 vcc, exec, s[0:1]
	s_cbranch_vccnz .LBB108_147
; %bb.146:
	v_lshl_add_u64 v[116:117], v[132:133], 3, v[114:115]
	flat_load_dwordx2 v[116:117], v[116:117]
	s_waitcnt vmcnt(0) lgkmcnt(0)
	v_mul_f64 v[116:117], s[24:25], v[116:117]
	v_cvt_f32_f64_e32 v116, v[116:117]
	s_branch .LBB108_148
.LBB108_147:
	v_mov_b32_e32 v116, 0
.LBB108_148:
	v_add_f64 v[118:119], v[54:55], v[110:111]
	v_add_f64 v[120:121], v[52:53], v[108:109]
	v_cvt_f32_f64_e32 v117, v[120:121]
	v_cvt_f32_f64_e32 v118, v[118:119]
	v_min3_f32 v117, v117, v118, v194
	v_add_f64 v[118:119], v[50:51], v[106:107]
	v_add_f64 v[120:121], v[48:49], v[104:105]
	v_cvt_f32_f64_e32 v120, v[120:121]
	v_cvt_f32_f64_e32 v118, v[118:119]
	v_min_f32_e32 v118, v120, v118
	v_min3_f32 v116, v116, v118, v117
	v_cvt_f64_f32_e32 v[116:117], v116
	v_lshl_add_u64 v[118:119], v[132:133], 3, v[112:113]
	flat_store_dwordx2 v[118:119], v[116:117]
	s_or_b64 exec, exec, s[28:29]
	s_and_b64 s[30:31], s[8:9], s[18:19]
	s_and_saveexec_b64 s[28:29], s[30:31]
	s_cbranch_execz .LBB108_133
.LBB108_149:
	s_and_b64 vcc, exec, s[0:1]
	s_cbranch_vccnz .LBB108_151
; %bb.150:
	v_lshl_add_u64 v[116:117], v[134:135], 3, v[114:115]
	flat_load_dwordx2 v[116:117], v[116:117]
	s_waitcnt vmcnt(0) lgkmcnt(0)
	v_mul_f64 v[116:117], s[24:25], v[116:117]
	v_cvt_f32_f64_e32 v116, v[116:117]
	s_branch .LBB108_152
.LBB108_151:
	v_mov_b32_e32 v116, 0
.LBB108_152:
	v_add_f64 v[118:119], v[46:47], v[110:111]
	v_add_f64 v[120:121], v[44:45], v[108:109]
	v_cvt_f32_f64_e32 v117, v[120:121]
	v_cvt_f32_f64_e32 v118, v[118:119]
	v_min3_f32 v117, v117, v118, v193
	v_add_f64 v[118:119], v[42:43], v[106:107]
	v_add_f64 v[120:121], v[40:41], v[104:105]
	v_cvt_f32_f64_e32 v120, v[120:121]
	v_cvt_f32_f64_e32 v118, v[118:119]
	v_min_f32_e32 v118, v120, v118
	v_min3_f32 v116, v116, v118, v117
	v_cvt_f64_f32_e32 v[116:117], v116
	v_lshl_add_u64 v[118:119], v[134:135], 3, v[112:113]
	flat_store_dwordx2 v[118:119], v[116:117]
	s_or_b64 exec, exec, s[28:29]
	s_and_b64 s[30:31], s[10:11], s[18:19]
	s_and_saveexec_b64 s[28:29], s[30:31]
	s_cbranch_execz .LBB108_134
.LBB108_153:
	s_and_b64 vcc, exec, s[0:1]
	s_cbranch_vccnz .LBB108_155
; %bb.154:
	v_lshl_add_u64 v[116:117], v[136:137], 3, v[114:115]
	flat_load_dwordx2 v[116:117], v[116:117]
	s_waitcnt vmcnt(0) lgkmcnt(0)
	v_mul_f64 v[116:117], s[24:25], v[116:117]
	v_cvt_f32_f64_e32 v116, v[116:117]
	s_branch .LBB108_156
.LBB108_155:
	v_mov_b32_e32 v116, 0
.LBB108_156:
	v_add_f64 v[118:119], v[38:39], v[110:111]
	v_add_f64 v[120:121], v[36:37], v[108:109]
	v_cvt_f32_f64_e32 v117, v[120:121]
	v_cvt_f32_f64_e32 v118, v[118:119]
	v_min3_f32 v117, v117, v118, v192
	v_add_f64 v[118:119], v[34:35], v[106:107]
	v_add_f64 v[120:121], v[32:33], v[104:105]
	v_cvt_f32_f64_e32 v120, v[120:121]
	v_cvt_f32_f64_e32 v118, v[118:119]
	v_min_f32_e32 v118, v120, v118
	v_min3_f32 v116, v116, v118, v117
	v_cvt_f64_f32_e32 v[116:117], v116
	v_lshl_add_u64 v[118:119], v[136:137], 3, v[112:113]
	flat_store_dwordx2 v[118:119], v[116:117]
	s_or_b64 exec, exec, s[28:29]
	s_and_b64 s[30:31], s[12:13], s[18:19]
	s_and_saveexec_b64 s[28:29], s[30:31]
	s_cbranch_execz .LBB108_135
.LBB108_157:
	s_and_b64 vcc, exec, s[0:1]
	s_cbranch_vccnz .LBB108_159
; %bb.158:
	v_lshl_add_u64 v[116:117], v[138:139], 3, v[114:115]
	flat_load_dwordx2 v[116:117], v[116:117]
	s_waitcnt vmcnt(0) lgkmcnt(0)
	v_mul_f64 v[116:117], s[24:25], v[116:117]
	v_cvt_f32_f64_e32 v116, v[116:117]
	s_branch .LBB108_160
.LBB108_159:
	v_mov_b32_e32 v116, 0
.LBB108_160:
	v_add_f64 v[118:119], v[30:31], v[110:111]
	v_add_f64 v[120:121], v[28:29], v[108:109]
	v_cvt_f32_f64_e32 v117, v[120:121]
	v_cvt_f32_f64_e32 v118, v[118:119]
	v_min3_f32 v117, v117, v118, v191
	v_add_f64 v[118:119], v[26:27], v[106:107]
	v_add_f64 v[120:121], v[24:25], v[104:105]
	v_cvt_f32_f64_e32 v120, v[120:121]
	v_cvt_f32_f64_e32 v118, v[118:119]
	v_min_f32_e32 v118, v120, v118
	v_min3_f32 v116, v116, v118, v117
	v_cvt_f64_f32_e32 v[116:117], v116
	v_lshl_add_u64 v[118:119], v[138:139], 3, v[112:113]
	flat_store_dwordx2 v[118:119], v[116:117]
	s_or_b64 exec, exec, s[28:29]
	s_and_b64 s[30:31], s[14:15], s[18:19]
	s_and_saveexec_b64 s[28:29], s[30:31]
	s_cbranch_execz .LBB108_136
.LBB108_161:
	s_and_b64 vcc, exec, s[0:1]
	s_cbranch_vccnz .LBB108_163
; %bb.162:
	v_lshl_add_u64 v[116:117], v[140:141], 3, v[114:115]
	flat_load_dwordx2 v[116:117], v[116:117]
	s_waitcnt vmcnt(0) lgkmcnt(0)
	v_mul_f64 v[116:117], s[24:25], v[116:117]
	v_cvt_f32_f64_e32 v116, v[116:117]
	s_branch .LBB108_164
.LBB108_163:
	v_mov_b32_e32 v116, 0
.LBB108_164:
	v_add_f64 v[118:119], v[22:23], v[110:111]
	v_add_f64 v[120:121], v[20:21], v[108:109]
	v_cvt_f32_f64_e32 v117, v[120:121]
	v_cvt_f32_f64_e32 v118, v[118:119]
	v_min3_f32 v117, v117, v118, v190
	v_add_f64 v[118:119], v[18:19], v[106:107]
	v_add_f64 v[120:121], v[16:17], v[104:105]
	v_cvt_f32_f64_e32 v120, v[120:121]
	v_cvt_f32_f64_e32 v118, v[118:119]
	v_min_f32_e32 v118, v120, v118
	v_min3_f32 v116, v116, v118, v117
	v_cvt_f64_f32_e32 v[116:117], v116
	v_lshl_add_u64 v[118:119], v[140:141], 3, v[112:113]
	flat_store_dwordx2 v[118:119], v[116:117]
	s_or_b64 exec, exec, s[28:29]
	s_and_b64 s[28:29], s[16:17], s[18:19]
	s_and_saveexec_b64 s[18:19], s[28:29]
	s_cbranch_execz .LBB108_169
.LBB108_165:
	s_and_b64 vcc, exec, s[0:1]
	s_cbranch_vccnz .LBB108_167
; %bb.166:
	v_lshl_add_u64 v[114:115], v[142:143], 3, v[114:115]
	flat_load_dwordx2 v[114:115], v[114:115]
	s_waitcnt vmcnt(0) lgkmcnt(0)
	v_mul_f64 v[114:115], s[24:25], v[114:115]
	v_cvt_f32_f64_e32 v114, v[114:115]
	s_branch .LBB108_168
.LBB108_167:
	v_mov_b32_e32 v114, 0
.LBB108_168:
	v_add_f64 v[110:111], v[6:7], v[110:111]
	v_add_f64 v[108:109], v[4:5], v[108:109]
	;; [unrolled: 1-line block ×4, first 2 shown]
	v_cvt_f32_f64_e32 v108, v[108:109]
	v_cvt_f32_f64_e32 v109, v[110:111]
	v_cvt_f32_f64_e32 v104, v[104:105]
	v_cvt_f32_f64_e32 v105, v[106:107]
	v_min3_f32 v108, v108, v109, v189
	v_min_f32_e32 v104, v104, v105
	v_min3_f32 v104, v114, v104, v108
	v_cvt_f64_f32_e32 v[104:105], v104
	v_lshl_add_u64 v[106:107], v[142:143], 3, v[112:113]
	flat_store_dwordx2 v[106:107], v[104:105]
.LBB108_169:
	s_or_b64 exec, exec, s[18:19]
	v_add_u32_e32 v108, 24, v163
	v_mad_i64_i32 v[104:105], s[28:29], v108, s35, 0
	v_cmp_gt_i32_e64 s[18:19], s21, v108
	v_lshl_add_u64 v[106:107], v[104:105], 3, s[26:27]
	v_mad_i64_i32 v[104:105], s[28:29], v108, s34, 0
	v_lshl_add_u64 v[104:105], v[104:105], 3, s[22:23]
	s_and_b64 s[30:31], s[2:3], s[18:19]
	s_and_saveexec_b64 s[28:29], s[30:31]
	s_cbranch_execnz .LBB108_177
; %bb.170:
	s_or_b64 exec, exec, s[28:29]
	s_and_b64 s[30:31], s[4:5], s[18:19]
	s_and_saveexec_b64 s[28:29], s[30:31]
	s_cbranch_execnz .LBB108_181
.LBB108_171:
	s_or_b64 exec, exec, s[28:29]
	s_and_b64 s[30:31], s[6:7], s[18:19]
	s_and_saveexec_b64 s[28:29], s[30:31]
	s_cbranch_execnz .LBB108_185
.LBB108_172:
	s_or_b64 exec, exec, s[28:29]
	s_and_b64 s[30:31], s[8:9], s[18:19]
	s_and_saveexec_b64 s[28:29], s[30:31]
	s_cbranch_execnz .LBB108_189
.LBB108_173:
	s_or_b64 exec, exec, s[28:29]
	s_and_b64 s[30:31], s[10:11], s[18:19]
	s_and_saveexec_b64 s[28:29], s[30:31]
	s_cbranch_execnz .LBB108_193
.LBB108_174:
	s_or_b64 exec, exec, s[28:29]
	s_and_b64 s[30:31], s[12:13], s[18:19]
	s_and_saveexec_b64 s[28:29], s[30:31]
	s_cbranch_execnz .LBB108_197
.LBB108_175:
	s_or_b64 exec, exec, s[28:29]
	s_and_b64 s[30:31], s[14:15], s[18:19]
	s_and_saveexec_b64 s[28:29], s[30:31]
	s_cbranch_execnz .LBB108_201
.LBB108_176:
	s_or_b64 exec, exec, s[28:29]
	s_and_b64 s[28:29], s[16:17], s[18:19]
	s_and_saveexec_b64 s[18:19], s[28:29]
	s_cbranch_execnz .LBB108_205
	s_branch .LBB108_209
.LBB108_177:
	s_and_b64 vcc, exec, s[0:1]
	s_cbranch_vccnz .LBB108_179
; %bb.178:
	v_lshl_add_u64 v[108:109], v[128:129], 3, v[106:107]
	flat_load_dwordx2 v[108:109], v[108:109]
	s_waitcnt vmcnt(0) lgkmcnt(0)
	v_mul_f64 v[108:109], s[24:25], v[108:109]
	v_cvt_f32_f64_e32 v108, v[108:109]
	s_branch .LBB108_180
.LBB108_179:
	v_mov_b32_e32 v108, 0
.LBB108_180:
	v_add_f64 v[110:111], v[70:71], v[102:103]
	v_add_f64 v[112:113], v[68:69], v[100:101]
	v_cvt_f32_f64_e32 v109, v[112:113]
	v_cvt_f32_f64_e32 v110, v[110:111]
	v_min3_f32 v109, v109, v110, v188
	v_add_f64 v[110:111], v[66:67], v[98:99]
	v_add_f64 v[112:113], v[64:65], v[96:97]
	v_cvt_f32_f64_e32 v112, v[112:113]
	v_cvt_f32_f64_e32 v110, v[110:111]
	v_min_f32_e32 v110, v112, v110
	v_min3_f32 v108, v108, v110, v109
	v_cvt_f64_f32_e32 v[108:109], v108
	v_lshl_add_u64 v[110:111], v[128:129], 3, v[104:105]
	flat_store_dwordx2 v[110:111], v[108:109]
	s_or_b64 exec, exec, s[28:29]
	s_and_b64 s[30:31], s[4:5], s[18:19]
	s_and_saveexec_b64 s[28:29], s[30:31]
	s_cbranch_execz .LBB108_171
.LBB108_181:
	s_and_b64 vcc, exec, s[0:1]
	s_cbranch_vccnz .LBB108_183
; %bb.182:
	v_lshl_add_u64 v[108:109], v[130:131], 3, v[106:107]
	flat_load_dwordx2 v[108:109], v[108:109]
	s_waitcnt vmcnt(0) lgkmcnt(0)
	v_mul_f64 v[108:109], s[24:25], v[108:109]
	v_cvt_f32_f64_e32 v108, v[108:109]
	s_branch .LBB108_184
.LBB108_183:
	v_mov_b32_e32 v108, 0
.LBB108_184:
	v_add_f64 v[110:111], v[62:63], v[102:103]
	v_add_f64 v[112:113], v[60:61], v[100:101]
	v_cvt_f32_f64_e32 v109, v[112:113]
	v_cvt_f32_f64_e32 v110, v[110:111]
	v_min3_f32 v109, v109, v110, v187
	v_add_f64 v[110:111], v[58:59], v[98:99]
	v_add_f64 v[112:113], v[56:57], v[96:97]
	v_cvt_f32_f64_e32 v112, v[112:113]
	v_cvt_f32_f64_e32 v110, v[110:111]
	v_min_f32_e32 v110, v112, v110
	v_min3_f32 v108, v108, v110, v109
	v_cvt_f64_f32_e32 v[108:109], v108
	v_lshl_add_u64 v[110:111], v[130:131], 3, v[104:105]
	flat_store_dwordx2 v[110:111], v[108:109]
	s_or_b64 exec, exec, s[28:29]
	s_and_b64 s[30:31], s[6:7], s[18:19]
	s_and_saveexec_b64 s[28:29], s[30:31]
	s_cbranch_execz .LBB108_172
.LBB108_185:
	s_and_b64 vcc, exec, s[0:1]
	s_cbranch_vccnz .LBB108_187
; %bb.186:
	v_lshl_add_u64 v[108:109], v[132:133], 3, v[106:107]
	flat_load_dwordx2 v[108:109], v[108:109]
	s_waitcnt vmcnt(0) lgkmcnt(0)
	v_mul_f64 v[108:109], s[24:25], v[108:109]
	v_cvt_f32_f64_e32 v108, v[108:109]
	s_branch .LBB108_188
.LBB108_187:
	v_mov_b32_e32 v108, 0
.LBB108_188:
	v_add_f64 v[110:111], v[54:55], v[102:103]
	v_add_f64 v[112:113], v[52:53], v[100:101]
	v_cvt_f32_f64_e32 v109, v[112:113]
	v_cvt_f32_f64_e32 v110, v[110:111]
	v_min3_f32 v109, v109, v110, v186
	v_add_f64 v[110:111], v[50:51], v[98:99]
	v_add_f64 v[112:113], v[48:49], v[96:97]
	v_cvt_f32_f64_e32 v112, v[112:113]
	v_cvt_f32_f64_e32 v110, v[110:111]
	v_min_f32_e32 v110, v112, v110
	v_min3_f32 v108, v108, v110, v109
	v_cvt_f64_f32_e32 v[108:109], v108
	v_lshl_add_u64 v[110:111], v[132:133], 3, v[104:105]
	flat_store_dwordx2 v[110:111], v[108:109]
	s_or_b64 exec, exec, s[28:29]
	s_and_b64 s[30:31], s[8:9], s[18:19]
	s_and_saveexec_b64 s[28:29], s[30:31]
	s_cbranch_execz .LBB108_173
.LBB108_189:
	s_and_b64 vcc, exec, s[0:1]
	s_cbranch_vccnz .LBB108_191
; %bb.190:
	v_lshl_add_u64 v[108:109], v[134:135], 3, v[106:107]
	flat_load_dwordx2 v[108:109], v[108:109]
	s_waitcnt vmcnt(0) lgkmcnt(0)
	v_mul_f64 v[108:109], s[24:25], v[108:109]
	v_cvt_f32_f64_e32 v108, v[108:109]
	s_branch .LBB108_192
.LBB108_191:
	v_mov_b32_e32 v108, 0
.LBB108_192:
	v_add_f64 v[110:111], v[46:47], v[102:103]
	v_add_f64 v[112:113], v[44:45], v[100:101]
	v_cvt_f32_f64_e32 v109, v[112:113]
	v_cvt_f32_f64_e32 v110, v[110:111]
	v_min3_f32 v109, v109, v110, v185
	v_add_f64 v[110:111], v[42:43], v[98:99]
	v_add_f64 v[112:113], v[40:41], v[96:97]
	v_cvt_f32_f64_e32 v112, v[112:113]
	v_cvt_f32_f64_e32 v110, v[110:111]
	v_min_f32_e32 v110, v112, v110
	v_min3_f32 v108, v108, v110, v109
	v_cvt_f64_f32_e32 v[108:109], v108
	v_lshl_add_u64 v[110:111], v[134:135], 3, v[104:105]
	flat_store_dwordx2 v[110:111], v[108:109]
	s_or_b64 exec, exec, s[28:29]
	s_and_b64 s[30:31], s[10:11], s[18:19]
	s_and_saveexec_b64 s[28:29], s[30:31]
	s_cbranch_execz .LBB108_174
.LBB108_193:
	s_and_b64 vcc, exec, s[0:1]
	s_cbranch_vccnz .LBB108_195
; %bb.194:
	v_lshl_add_u64 v[108:109], v[136:137], 3, v[106:107]
	flat_load_dwordx2 v[108:109], v[108:109]
	s_waitcnt vmcnt(0) lgkmcnt(0)
	v_mul_f64 v[108:109], s[24:25], v[108:109]
	v_cvt_f32_f64_e32 v108, v[108:109]
	s_branch .LBB108_196
.LBB108_195:
	v_mov_b32_e32 v108, 0
.LBB108_196:
	v_add_f64 v[110:111], v[38:39], v[102:103]
	v_add_f64 v[112:113], v[36:37], v[100:101]
	v_cvt_f32_f64_e32 v109, v[112:113]
	v_cvt_f32_f64_e32 v110, v[110:111]
	v_min3_f32 v109, v109, v110, v184
	v_add_f64 v[110:111], v[34:35], v[98:99]
	v_add_f64 v[112:113], v[32:33], v[96:97]
	v_cvt_f32_f64_e32 v112, v[112:113]
	v_cvt_f32_f64_e32 v110, v[110:111]
	v_min_f32_e32 v110, v112, v110
	v_min3_f32 v108, v108, v110, v109
	v_cvt_f64_f32_e32 v[108:109], v108
	v_lshl_add_u64 v[110:111], v[136:137], 3, v[104:105]
	flat_store_dwordx2 v[110:111], v[108:109]
	s_or_b64 exec, exec, s[28:29]
	s_and_b64 s[30:31], s[12:13], s[18:19]
	s_and_saveexec_b64 s[28:29], s[30:31]
	s_cbranch_execz .LBB108_175
.LBB108_197:
	s_and_b64 vcc, exec, s[0:1]
	s_cbranch_vccnz .LBB108_199
; %bb.198:
	v_lshl_add_u64 v[108:109], v[138:139], 3, v[106:107]
	flat_load_dwordx2 v[108:109], v[108:109]
	s_waitcnt vmcnt(0) lgkmcnt(0)
	v_mul_f64 v[108:109], s[24:25], v[108:109]
	v_cvt_f32_f64_e32 v108, v[108:109]
	s_branch .LBB108_200
.LBB108_199:
	v_mov_b32_e32 v108, 0
.LBB108_200:
	v_add_f64 v[110:111], v[30:31], v[102:103]
	v_add_f64 v[112:113], v[28:29], v[100:101]
	v_cvt_f32_f64_e32 v109, v[112:113]
	v_cvt_f32_f64_e32 v110, v[110:111]
	v_min3_f32 v109, v109, v110, v183
	v_add_f64 v[110:111], v[26:27], v[98:99]
	v_add_f64 v[112:113], v[24:25], v[96:97]
	v_cvt_f32_f64_e32 v112, v[112:113]
	v_cvt_f32_f64_e32 v110, v[110:111]
	v_min_f32_e32 v110, v112, v110
	v_min3_f32 v108, v108, v110, v109
	v_cvt_f64_f32_e32 v[108:109], v108
	v_lshl_add_u64 v[110:111], v[138:139], 3, v[104:105]
	flat_store_dwordx2 v[110:111], v[108:109]
	s_or_b64 exec, exec, s[28:29]
	s_and_b64 s[30:31], s[14:15], s[18:19]
	s_and_saveexec_b64 s[28:29], s[30:31]
	s_cbranch_execz .LBB108_176
.LBB108_201:
	s_and_b64 vcc, exec, s[0:1]
	s_cbranch_vccnz .LBB108_203
; %bb.202:
	v_lshl_add_u64 v[108:109], v[140:141], 3, v[106:107]
	flat_load_dwordx2 v[108:109], v[108:109]
	s_waitcnt vmcnt(0) lgkmcnt(0)
	v_mul_f64 v[108:109], s[24:25], v[108:109]
	v_cvt_f32_f64_e32 v108, v[108:109]
	s_branch .LBB108_204
.LBB108_203:
	v_mov_b32_e32 v108, 0
.LBB108_204:
	v_add_f64 v[110:111], v[22:23], v[102:103]
	v_add_f64 v[112:113], v[20:21], v[100:101]
	v_cvt_f32_f64_e32 v109, v[112:113]
	v_cvt_f32_f64_e32 v110, v[110:111]
	v_min3_f32 v109, v109, v110, v182
	v_add_f64 v[110:111], v[18:19], v[98:99]
	v_add_f64 v[112:113], v[16:17], v[96:97]
	v_cvt_f32_f64_e32 v112, v[112:113]
	v_cvt_f32_f64_e32 v110, v[110:111]
	v_min_f32_e32 v110, v112, v110
	v_min3_f32 v108, v108, v110, v109
	v_cvt_f64_f32_e32 v[108:109], v108
	v_lshl_add_u64 v[110:111], v[140:141], 3, v[104:105]
	flat_store_dwordx2 v[110:111], v[108:109]
	s_or_b64 exec, exec, s[28:29]
	s_and_b64 s[28:29], s[16:17], s[18:19]
	s_and_saveexec_b64 s[18:19], s[28:29]
	s_cbranch_execz .LBB108_209
.LBB108_205:
	s_and_b64 vcc, exec, s[0:1]
	s_cbranch_vccnz .LBB108_207
; %bb.206:
	v_lshl_add_u64 v[106:107], v[142:143], 3, v[106:107]
	flat_load_dwordx2 v[106:107], v[106:107]
	s_waitcnt vmcnt(0) lgkmcnt(0)
	v_mul_f64 v[106:107], s[24:25], v[106:107]
	v_cvt_f32_f64_e32 v106, v[106:107]
	s_branch .LBB108_208
.LBB108_207:
	v_mov_b32_e32 v106, 0
.LBB108_208:
	v_add_f64 v[102:103], v[6:7], v[102:103]
	v_add_f64 v[100:101], v[4:5], v[100:101]
	v_add_f64 v[98:99], v[2:3], v[98:99]
	v_add_f64 v[96:97], v[0:1], v[96:97]
	v_cvt_f32_f64_e32 v100, v[100:101]
	v_cvt_f32_f64_e32 v101, v[102:103]
	;; [unrolled: 1-line block ×4, first 2 shown]
	v_min3_f32 v100, v100, v101, v181
	v_min_f32_e32 v96, v96, v97
	v_min3_f32 v96, v106, v96, v100
	v_cvt_f64_f32_e32 v[96:97], v96
	v_lshl_add_u64 v[98:99], v[142:143], 3, v[104:105]
	flat_store_dwordx2 v[98:99], v[96:97]
.LBB108_209:
	s_or_b64 exec, exec, s[18:19]
	v_add_u32_e32 v100, 32, v163
	v_mad_i64_i32 v[96:97], s[28:29], v100, s35, 0
	v_cmp_gt_i32_e64 s[18:19], s21, v100
	v_lshl_add_u64 v[98:99], v[96:97], 3, s[26:27]
	v_mad_i64_i32 v[96:97], s[28:29], v100, s34, 0
	v_lshl_add_u64 v[96:97], v[96:97], 3, s[22:23]
	s_and_b64 s[30:31], s[2:3], s[18:19]
	s_and_saveexec_b64 s[28:29], s[30:31]
	s_cbranch_execnz .LBB108_217
; %bb.210:
	s_or_b64 exec, exec, s[28:29]
	s_and_b64 s[30:31], s[4:5], s[18:19]
	s_and_saveexec_b64 s[28:29], s[30:31]
	s_cbranch_execnz .LBB108_221
.LBB108_211:
	s_or_b64 exec, exec, s[28:29]
	s_and_b64 s[30:31], s[6:7], s[18:19]
	s_and_saveexec_b64 s[28:29], s[30:31]
	s_cbranch_execnz .LBB108_225
.LBB108_212:
	s_or_b64 exec, exec, s[28:29]
	s_and_b64 s[30:31], s[8:9], s[18:19]
	s_and_saveexec_b64 s[28:29], s[30:31]
	s_cbranch_execnz .LBB108_229
.LBB108_213:
	s_or_b64 exec, exec, s[28:29]
	s_and_b64 s[30:31], s[10:11], s[18:19]
	s_and_saveexec_b64 s[28:29], s[30:31]
	s_cbranch_execnz .LBB108_233
.LBB108_214:
	s_or_b64 exec, exec, s[28:29]
	s_and_b64 s[30:31], s[12:13], s[18:19]
	s_and_saveexec_b64 s[28:29], s[30:31]
	s_cbranch_execnz .LBB108_237
.LBB108_215:
	s_or_b64 exec, exec, s[28:29]
	s_and_b64 s[30:31], s[14:15], s[18:19]
	s_and_saveexec_b64 s[28:29], s[30:31]
	s_cbranch_execnz .LBB108_241
.LBB108_216:
	s_or_b64 exec, exec, s[28:29]
	s_and_b64 s[28:29], s[16:17], s[18:19]
	s_and_saveexec_b64 s[18:19], s[28:29]
	s_cbranch_execnz .LBB108_245
	s_branch .LBB108_249
.LBB108_217:
	s_and_b64 vcc, exec, s[0:1]
	s_cbranch_vccnz .LBB108_219
; %bb.218:
	v_lshl_add_u64 v[100:101], v[128:129], 3, v[98:99]
	flat_load_dwordx2 v[100:101], v[100:101]
	s_waitcnt vmcnt(0) lgkmcnt(0)
	v_mul_f64 v[100:101], s[24:25], v[100:101]
	v_cvt_f32_f64_e32 v100, v[100:101]
	s_branch .LBB108_220
.LBB108_219:
	v_mov_b32_e32 v100, 0
.LBB108_220:
	v_add_f64 v[102:103], v[70:71], v[94:95]
	v_add_f64 v[104:105], v[68:69], v[92:93]
	v_cvt_f32_f64_e32 v101, v[104:105]
	v_cvt_f32_f64_e32 v102, v[102:103]
	v_min3_f32 v101, v101, v102, v180
	v_add_f64 v[102:103], v[66:67], v[90:91]
	v_add_f64 v[104:105], v[64:65], v[88:89]
	v_cvt_f32_f64_e32 v104, v[104:105]
	v_cvt_f32_f64_e32 v102, v[102:103]
	v_min_f32_e32 v102, v104, v102
	v_min3_f32 v100, v100, v102, v101
	v_cvt_f64_f32_e32 v[100:101], v100
	v_lshl_add_u64 v[102:103], v[128:129], 3, v[96:97]
	flat_store_dwordx2 v[102:103], v[100:101]
	s_or_b64 exec, exec, s[28:29]
	s_and_b64 s[30:31], s[4:5], s[18:19]
	s_and_saveexec_b64 s[28:29], s[30:31]
	s_cbranch_execz .LBB108_211
.LBB108_221:
	s_and_b64 vcc, exec, s[0:1]
	s_cbranch_vccnz .LBB108_223
; %bb.222:
	v_lshl_add_u64 v[100:101], v[130:131], 3, v[98:99]
	flat_load_dwordx2 v[100:101], v[100:101]
	s_waitcnt vmcnt(0) lgkmcnt(0)
	v_mul_f64 v[100:101], s[24:25], v[100:101]
	v_cvt_f32_f64_e32 v100, v[100:101]
	s_branch .LBB108_224
.LBB108_223:
	v_mov_b32_e32 v100, 0
.LBB108_224:
	v_add_f64 v[102:103], v[62:63], v[94:95]
	v_add_f64 v[104:105], v[60:61], v[92:93]
	v_cvt_f32_f64_e32 v101, v[104:105]
	v_cvt_f32_f64_e32 v102, v[102:103]
	v_min3_f32 v101, v101, v102, v179
	v_add_f64 v[102:103], v[58:59], v[90:91]
	v_add_f64 v[104:105], v[56:57], v[88:89]
	v_cvt_f32_f64_e32 v104, v[104:105]
	v_cvt_f32_f64_e32 v102, v[102:103]
	v_min_f32_e32 v102, v104, v102
	v_min3_f32 v100, v100, v102, v101
	v_cvt_f64_f32_e32 v[100:101], v100
	v_lshl_add_u64 v[102:103], v[130:131], 3, v[96:97]
	flat_store_dwordx2 v[102:103], v[100:101]
	s_or_b64 exec, exec, s[28:29]
	s_and_b64 s[30:31], s[6:7], s[18:19]
	s_and_saveexec_b64 s[28:29], s[30:31]
	s_cbranch_execz .LBB108_212
.LBB108_225:
	s_and_b64 vcc, exec, s[0:1]
	s_cbranch_vccnz .LBB108_227
; %bb.226:
	v_lshl_add_u64 v[100:101], v[132:133], 3, v[98:99]
	flat_load_dwordx2 v[100:101], v[100:101]
	s_waitcnt vmcnt(0) lgkmcnt(0)
	v_mul_f64 v[100:101], s[24:25], v[100:101]
	v_cvt_f32_f64_e32 v100, v[100:101]
	s_branch .LBB108_228
.LBB108_227:
	v_mov_b32_e32 v100, 0
.LBB108_228:
	v_add_f64 v[102:103], v[54:55], v[94:95]
	v_add_f64 v[104:105], v[52:53], v[92:93]
	v_cvt_f32_f64_e32 v101, v[104:105]
	v_cvt_f32_f64_e32 v102, v[102:103]
	v_min3_f32 v101, v101, v102, v178
	v_add_f64 v[102:103], v[50:51], v[90:91]
	v_add_f64 v[104:105], v[48:49], v[88:89]
	v_cvt_f32_f64_e32 v104, v[104:105]
	v_cvt_f32_f64_e32 v102, v[102:103]
	v_min_f32_e32 v102, v104, v102
	v_min3_f32 v100, v100, v102, v101
	v_cvt_f64_f32_e32 v[100:101], v100
	v_lshl_add_u64 v[102:103], v[132:133], 3, v[96:97]
	flat_store_dwordx2 v[102:103], v[100:101]
	s_or_b64 exec, exec, s[28:29]
	s_and_b64 s[30:31], s[8:9], s[18:19]
	s_and_saveexec_b64 s[28:29], s[30:31]
	s_cbranch_execz .LBB108_213
.LBB108_229:
	s_and_b64 vcc, exec, s[0:1]
	s_cbranch_vccnz .LBB108_231
; %bb.230:
	v_lshl_add_u64 v[100:101], v[134:135], 3, v[98:99]
	flat_load_dwordx2 v[100:101], v[100:101]
	s_waitcnt vmcnt(0) lgkmcnt(0)
	v_mul_f64 v[100:101], s[24:25], v[100:101]
	v_cvt_f32_f64_e32 v100, v[100:101]
	s_branch .LBB108_232
.LBB108_231:
	v_mov_b32_e32 v100, 0
.LBB108_232:
	v_add_f64 v[102:103], v[46:47], v[94:95]
	v_add_f64 v[104:105], v[44:45], v[92:93]
	v_cvt_f32_f64_e32 v101, v[104:105]
	v_cvt_f32_f64_e32 v102, v[102:103]
	v_min3_f32 v101, v101, v102, v177
	v_add_f64 v[102:103], v[42:43], v[90:91]
	v_add_f64 v[104:105], v[40:41], v[88:89]
	v_cvt_f32_f64_e32 v104, v[104:105]
	v_cvt_f32_f64_e32 v102, v[102:103]
	v_min_f32_e32 v102, v104, v102
	v_min3_f32 v100, v100, v102, v101
	v_cvt_f64_f32_e32 v[100:101], v100
	v_lshl_add_u64 v[102:103], v[134:135], 3, v[96:97]
	flat_store_dwordx2 v[102:103], v[100:101]
	s_or_b64 exec, exec, s[28:29]
	s_and_b64 s[30:31], s[10:11], s[18:19]
	s_and_saveexec_b64 s[28:29], s[30:31]
	s_cbranch_execz .LBB108_214
.LBB108_233:
	s_and_b64 vcc, exec, s[0:1]
	s_cbranch_vccnz .LBB108_235
; %bb.234:
	v_lshl_add_u64 v[100:101], v[136:137], 3, v[98:99]
	flat_load_dwordx2 v[100:101], v[100:101]
	s_waitcnt vmcnt(0) lgkmcnt(0)
	v_mul_f64 v[100:101], s[24:25], v[100:101]
	v_cvt_f32_f64_e32 v100, v[100:101]
	s_branch .LBB108_236
.LBB108_235:
	v_mov_b32_e32 v100, 0
.LBB108_236:
	v_add_f64 v[102:103], v[38:39], v[94:95]
	v_add_f64 v[104:105], v[36:37], v[92:93]
	v_cvt_f32_f64_e32 v101, v[104:105]
	v_cvt_f32_f64_e32 v102, v[102:103]
	v_min3_f32 v101, v101, v102, v176
	v_add_f64 v[102:103], v[34:35], v[90:91]
	v_add_f64 v[104:105], v[32:33], v[88:89]
	v_cvt_f32_f64_e32 v104, v[104:105]
	v_cvt_f32_f64_e32 v102, v[102:103]
	v_min_f32_e32 v102, v104, v102
	v_min3_f32 v100, v100, v102, v101
	v_cvt_f64_f32_e32 v[100:101], v100
	v_lshl_add_u64 v[102:103], v[136:137], 3, v[96:97]
	flat_store_dwordx2 v[102:103], v[100:101]
	s_or_b64 exec, exec, s[28:29]
	s_and_b64 s[30:31], s[12:13], s[18:19]
	s_and_saveexec_b64 s[28:29], s[30:31]
	s_cbranch_execz .LBB108_215
.LBB108_237:
	s_and_b64 vcc, exec, s[0:1]
	s_cbranch_vccnz .LBB108_239
; %bb.238:
	v_lshl_add_u64 v[100:101], v[138:139], 3, v[98:99]
	flat_load_dwordx2 v[100:101], v[100:101]
	s_waitcnt vmcnt(0) lgkmcnt(0)
	v_mul_f64 v[100:101], s[24:25], v[100:101]
	v_cvt_f32_f64_e32 v100, v[100:101]
	s_branch .LBB108_240
.LBB108_239:
	v_mov_b32_e32 v100, 0
.LBB108_240:
	v_add_f64 v[102:103], v[30:31], v[94:95]
	v_add_f64 v[104:105], v[28:29], v[92:93]
	v_cvt_f32_f64_e32 v101, v[104:105]
	v_cvt_f32_f64_e32 v102, v[102:103]
	v_min3_f32 v101, v101, v102, v175
	v_add_f64 v[102:103], v[26:27], v[90:91]
	v_add_f64 v[104:105], v[24:25], v[88:89]
	v_cvt_f32_f64_e32 v104, v[104:105]
	v_cvt_f32_f64_e32 v102, v[102:103]
	v_min_f32_e32 v102, v104, v102
	v_min3_f32 v100, v100, v102, v101
	v_cvt_f64_f32_e32 v[100:101], v100
	v_lshl_add_u64 v[102:103], v[138:139], 3, v[96:97]
	flat_store_dwordx2 v[102:103], v[100:101]
	s_or_b64 exec, exec, s[28:29]
	s_and_b64 s[30:31], s[14:15], s[18:19]
	s_and_saveexec_b64 s[28:29], s[30:31]
	s_cbranch_execz .LBB108_216
.LBB108_241:
	s_and_b64 vcc, exec, s[0:1]
	s_cbranch_vccnz .LBB108_243
; %bb.242:
	v_lshl_add_u64 v[100:101], v[140:141], 3, v[98:99]
	flat_load_dwordx2 v[100:101], v[100:101]
	s_waitcnt vmcnt(0) lgkmcnt(0)
	v_mul_f64 v[100:101], s[24:25], v[100:101]
	v_cvt_f32_f64_e32 v100, v[100:101]
	s_branch .LBB108_244
.LBB108_243:
	v_mov_b32_e32 v100, 0
.LBB108_244:
	v_add_f64 v[102:103], v[22:23], v[94:95]
	v_add_f64 v[104:105], v[20:21], v[92:93]
	v_cvt_f32_f64_e32 v101, v[104:105]
	v_cvt_f32_f64_e32 v102, v[102:103]
	v_min3_f32 v101, v101, v102, v174
	v_add_f64 v[102:103], v[18:19], v[90:91]
	v_add_f64 v[104:105], v[16:17], v[88:89]
	v_cvt_f32_f64_e32 v104, v[104:105]
	v_cvt_f32_f64_e32 v102, v[102:103]
	v_min_f32_e32 v102, v104, v102
	v_min3_f32 v100, v100, v102, v101
	v_cvt_f64_f32_e32 v[100:101], v100
	v_lshl_add_u64 v[102:103], v[140:141], 3, v[96:97]
	flat_store_dwordx2 v[102:103], v[100:101]
	s_or_b64 exec, exec, s[28:29]
	s_and_b64 s[28:29], s[16:17], s[18:19]
	s_and_saveexec_b64 s[18:19], s[28:29]
	s_cbranch_execz .LBB108_249
.LBB108_245:
	s_and_b64 vcc, exec, s[0:1]
	s_cbranch_vccnz .LBB108_247
; %bb.246:
	v_lshl_add_u64 v[98:99], v[142:143], 3, v[98:99]
	flat_load_dwordx2 v[98:99], v[98:99]
	s_waitcnt vmcnt(0) lgkmcnt(0)
	v_mul_f64 v[98:99], s[24:25], v[98:99]
	v_cvt_f32_f64_e32 v98, v[98:99]
	s_branch .LBB108_248
.LBB108_247:
	v_mov_b32_e32 v98, 0
.LBB108_248:
	v_add_f64 v[94:95], v[6:7], v[94:95]
	v_add_f64 v[92:93], v[4:5], v[92:93]
	;; [unrolled: 1-line block ×4, first 2 shown]
	v_cvt_f32_f64_e32 v92, v[92:93]
	v_cvt_f32_f64_e32 v93, v[94:95]
	;; [unrolled: 1-line block ×4, first 2 shown]
	v_min3_f32 v92, v92, v93, v173
	v_min_f32_e32 v88, v88, v89
	v_min3_f32 v88, v98, v88, v92
	v_cvt_f64_f32_e32 v[88:89], v88
	v_lshl_add_u64 v[90:91], v[142:143], 3, v[96:97]
	flat_store_dwordx2 v[90:91], v[88:89]
.LBB108_249:
	s_or_b64 exec, exec, s[18:19]
	v_add_u32_e32 v92, 40, v163
	v_mad_i64_i32 v[88:89], s[28:29], v92, s35, 0
	v_cmp_gt_i32_e64 s[18:19], s21, v92
	v_lshl_add_u64 v[90:91], v[88:89], 3, s[26:27]
	v_mad_i64_i32 v[88:89], s[28:29], v92, s34, 0
	v_lshl_add_u64 v[88:89], v[88:89], 3, s[22:23]
	s_and_b64 s[30:31], s[2:3], s[18:19]
	s_and_saveexec_b64 s[28:29], s[30:31]
	s_cbranch_execnz .LBB108_257
; %bb.250:
	s_or_b64 exec, exec, s[28:29]
	s_and_b64 s[30:31], s[4:5], s[18:19]
	s_and_saveexec_b64 s[28:29], s[30:31]
	s_cbranch_execnz .LBB108_261
.LBB108_251:
	s_or_b64 exec, exec, s[28:29]
	s_and_b64 s[30:31], s[6:7], s[18:19]
	s_and_saveexec_b64 s[28:29], s[30:31]
	s_cbranch_execnz .LBB108_265
.LBB108_252:
	s_or_b64 exec, exec, s[28:29]
	s_and_b64 s[30:31], s[8:9], s[18:19]
	s_and_saveexec_b64 s[28:29], s[30:31]
	s_cbranch_execnz .LBB108_269
.LBB108_253:
	s_or_b64 exec, exec, s[28:29]
	s_and_b64 s[30:31], s[10:11], s[18:19]
	s_and_saveexec_b64 s[28:29], s[30:31]
	s_cbranch_execnz .LBB108_273
.LBB108_254:
	s_or_b64 exec, exec, s[28:29]
	s_and_b64 s[30:31], s[12:13], s[18:19]
	s_and_saveexec_b64 s[28:29], s[30:31]
	s_cbranch_execnz .LBB108_277
.LBB108_255:
	s_or_b64 exec, exec, s[28:29]
	s_and_b64 s[30:31], s[14:15], s[18:19]
	s_and_saveexec_b64 s[28:29], s[30:31]
	s_cbranch_execnz .LBB108_281
.LBB108_256:
	s_or_b64 exec, exec, s[28:29]
	s_and_b64 s[28:29], s[16:17], s[18:19]
	s_and_saveexec_b64 s[18:19], s[28:29]
	s_cbranch_execnz .LBB108_285
	s_branch .LBB108_289
.LBB108_257:
	s_and_b64 vcc, exec, s[0:1]
	s_cbranch_vccnz .LBB108_259
; %bb.258:
	v_lshl_add_u64 v[92:93], v[128:129], 3, v[90:91]
	flat_load_dwordx2 v[92:93], v[92:93]
	s_waitcnt vmcnt(0) lgkmcnt(0)
	v_mul_f64 v[92:93], s[24:25], v[92:93]
	v_cvt_f32_f64_e32 v92, v[92:93]
	s_branch .LBB108_260
.LBB108_259:
	v_mov_b32_e32 v92, 0
.LBB108_260:
	v_add_f64 v[94:95], v[70:71], v[86:87]
	v_add_f64 v[96:97], v[68:69], v[84:85]
	v_cvt_f32_f64_e32 v93, v[96:97]
	v_cvt_f32_f64_e32 v94, v[94:95]
	v_min3_f32 v93, v93, v94, v172
	v_add_f64 v[94:95], v[66:67], v[82:83]
	v_add_f64 v[96:97], v[64:65], v[80:81]
	v_cvt_f32_f64_e32 v96, v[96:97]
	v_cvt_f32_f64_e32 v94, v[94:95]
	v_min_f32_e32 v94, v96, v94
	v_min3_f32 v92, v92, v94, v93
	v_cvt_f64_f32_e32 v[92:93], v92
	v_lshl_add_u64 v[94:95], v[128:129], 3, v[88:89]
	flat_store_dwordx2 v[94:95], v[92:93]
	s_or_b64 exec, exec, s[28:29]
	s_and_b64 s[30:31], s[4:5], s[18:19]
	s_and_saveexec_b64 s[28:29], s[30:31]
	s_cbranch_execz .LBB108_251
.LBB108_261:
	s_and_b64 vcc, exec, s[0:1]
	s_cbranch_vccnz .LBB108_263
; %bb.262:
	v_lshl_add_u64 v[92:93], v[130:131], 3, v[90:91]
	flat_load_dwordx2 v[92:93], v[92:93]
	s_waitcnt vmcnt(0) lgkmcnt(0)
	v_mul_f64 v[92:93], s[24:25], v[92:93]
	v_cvt_f32_f64_e32 v92, v[92:93]
	s_branch .LBB108_264
.LBB108_263:
	v_mov_b32_e32 v92, 0
.LBB108_264:
	v_add_f64 v[94:95], v[62:63], v[86:87]
	v_add_f64 v[96:97], v[60:61], v[84:85]
	v_cvt_f32_f64_e32 v93, v[96:97]
	v_cvt_f32_f64_e32 v94, v[94:95]
	v_min3_f32 v93, v93, v94, v171
	v_add_f64 v[94:95], v[58:59], v[82:83]
	v_add_f64 v[96:97], v[56:57], v[80:81]
	v_cvt_f32_f64_e32 v96, v[96:97]
	v_cvt_f32_f64_e32 v94, v[94:95]
	v_min_f32_e32 v94, v96, v94
	v_min3_f32 v92, v92, v94, v93
	v_cvt_f64_f32_e32 v[92:93], v92
	v_lshl_add_u64 v[94:95], v[130:131], 3, v[88:89]
	flat_store_dwordx2 v[94:95], v[92:93]
	s_or_b64 exec, exec, s[28:29]
	s_and_b64 s[30:31], s[6:7], s[18:19]
	s_and_saveexec_b64 s[28:29], s[30:31]
	s_cbranch_execz .LBB108_252
.LBB108_265:
	s_and_b64 vcc, exec, s[0:1]
	s_cbranch_vccnz .LBB108_267
; %bb.266:
	v_lshl_add_u64 v[92:93], v[132:133], 3, v[90:91]
	flat_load_dwordx2 v[92:93], v[92:93]
	s_waitcnt vmcnt(0) lgkmcnt(0)
	v_mul_f64 v[92:93], s[24:25], v[92:93]
	v_cvt_f32_f64_e32 v92, v[92:93]
	s_branch .LBB108_268
.LBB108_267:
	v_mov_b32_e32 v92, 0
.LBB108_268:
	v_add_f64 v[94:95], v[54:55], v[86:87]
	v_add_f64 v[96:97], v[52:53], v[84:85]
	v_cvt_f32_f64_e32 v93, v[96:97]
	v_cvt_f32_f64_e32 v94, v[94:95]
	v_min3_f32 v93, v93, v94, v170
	v_add_f64 v[94:95], v[50:51], v[82:83]
	v_add_f64 v[96:97], v[48:49], v[80:81]
	v_cvt_f32_f64_e32 v96, v[96:97]
	v_cvt_f32_f64_e32 v94, v[94:95]
	v_min_f32_e32 v94, v96, v94
	v_min3_f32 v92, v92, v94, v93
	v_cvt_f64_f32_e32 v[92:93], v92
	v_lshl_add_u64 v[94:95], v[132:133], 3, v[88:89]
	flat_store_dwordx2 v[94:95], v[92:93]
	s_or_b64 exec, exec, s[28:29]
	s_and_b64 s[30:31], s[8:9], s[18:19]
	s_and_saveexec_b64 s[28:29], s[30:31]
	s_cbranch_execz .LBB108_253
.LBB108_269:
	s_and_b64 vcc, exec, s[0:1]
	s_cbranch_vccnz .LBB108_271
; %bb.270:
	v_lshl_add_u64 v[92:93], v[134:135], 3, v[90:91]
	flat_load_dwordx2 v[92:93], v[92:93]
	s_waitcnt vmcnt(0) lgkmcnt(0)
	v_mul_f64 v[92:93], s[24:25], v[92:93]
	v_cvt_f32_f64_e32 v92, v[92:93]
	s_branch .LBB108_272
.LBB108_271:
	v_mov_b32_e32 v92, 0
.LBB108_272:
	v_add_f64 v[94:95], v[46:47], v[86:87]
	v_add_f64 v[96:97], v[44:45], v[84:85]
	v_cvt_f32_f64_e32 v93, v[96:97]
	v_cvt_f32_f64_e32 v94, v[94:95]
	v_min3_f32 v93, v93, v94, v169
	v_add_f64 v[94:95], v[42:43], v[82:83]
	v_add_f64 v[96:97], v[40:41], v[80:81]
	v_cvt_f32_f64_e32 v96, v[96:97]
	v_cvt_f32_f64_e32 v94, v[94:95]
	v_min_f32_e32 v94, v96, v94
	v_min3_f32 v92, v92, v94, v93
	v_cvt_f64_f32_e32 v[92:93], v92
	v_lshl_add_u64 v[94:95], v[134:135], 3, v[88:89]
	flat_store_dwordx2 v[94:95], v[92:93]
	s_or_b64 exec, exec, s[28:29]
	s_and_b64 s[30:31], s[10:11], s[18:19]
	s_and_saveexec_b64 s[28:29], s[30:31]
	s_cbranch_execz .LBB108_254
.LBB108_273:
	s_and_b64 vcc, exec, s[0:1]
	s_cbranch_vccnz .LBB108_275
; %bb.274:
	v_lshl_add_u64 v[92:93], v[136:137], 3, v[90:91]
	flat_load_dwordx2 v[92:93], v[92:93]
	s_waitcnt vmcnt(0) lgkmcnt(0)
	v_mul_f64 v[92:93], s[24:25], v[92:93]
	v_cvt_f32_f64_e32 v92, v[92:93]
	s_branch .LBB108_276
.LBB108_275:
	v_mov_b32_e32 v92, 0
.LBB108_276:
	v_add_f64 v[94:95], v[38:39], v[86:87]
	v_add_f64 v[96:97], v[36:37], v[84:85]
	v_cvt_f32_f64_e32 v93, v[96:97]
	v_cvt_f32_f64_e32 v94, v[94:95]
	v_min3_f32 v93, v93, v94, v168
	v_add_f64 v[94:95], v[34:35], v[82:83]
	v_add_f64 v[96:97], v[32:33], v[80:81]
	v_cvt_f32_f64_e32 v96, v[96:97]
	v_cvt_f32_f64_e32 v94, v[94:95]
	v_min_f32_e32 v94, v96, v94
	v_min3_f32 v92, v92, v94, v93
	v_cvt_f64_f32_e32 v[92:93], v92
	v_lshl_add_u64 v[94:95], v[136:137], 3, v[88:89]
	flat_store_dwordx2 v[94:95], v[92:93]
	s_or_b64 exec, exec, s[28:29]
	s_and_b64 s[30:31], s[12:13], s[18:19]
	s_and_saveexec_b64 s[28:29], s[30:31]
	s_cbranch_execz .LBB108_255
.LBB108_277:
	s_and_b64 vcc, exec, s[0:1]
	s_cbranch_vccnz .LBB108_279
; %bb.278:
	v_lshl_add_u64 v[92:93], v[138:139], 3, v[90:91]
	flat_load_dwordx2 v[92:93], v[92:93]
	s_waitcnt vmcnt(0) lgkmcnt(0)
	v_mul_f64 v[92:93], s[24:25], v[92:93]
	v_cvt_f32_f64_e32 v92, v[92:93]
	s_branch .LBB108_280
.LBB108_279:
	v_mov_b32_e32 v92, 0
.LBB108_280:
	v_add_f64 v[94:95], v[30:31], v[86:87]
	v_add_f64 v[96:97], v[28:29], v[84:85]
	v_cvt_f32_f64_e32 v93, v[96:97]
	v_cvt_f32_f64_e32 v94, v[94:95]
	v_min3_f32 v93, v93, v94, v167
	v_add_f64 v[94:95], v[26:27], v[82:83]
	v_add_f64 v[96:97], v[24:25], v[80:81]
	v_cvt_f32_f64_e32 v96, v[96:97]
	v_cvt_f32_f64_e32 v94, v[94:95]
	v_min_f32_e32 v94, v96, v94
	v_min3_f32 v92, v92, v94, v93
	v_cvt_f64_f32_e32 v[92:93], v92
	v_lshl_add_u64 v[94:95], v[138:139], 3, v[88:89]
	flat_store_dwordx2 v[94:95], v[92:93]
	s_or_b64 exec, exec, s[28:29]
	s_and_b64 s[30:31], s[14:15], s[18:19]
	s_and_saveexec_b64 s[28:29], s[30:31]
	s_cbranch_execz .LBB108_256
.LBB108_281:
	s_and_b64 vcc, exec, s[0:1]
	s_cbranch_vccnz .LBB108_283
; %bb.282:
	v_lshl_add_u64 v[92:93], v[140:141], 3, v[90:91]
	flat_load_dwordx2 v[92:93], v[92:93]
	s_waitcnt vmcnt(0) lgkmcnt(0)
	v_mul_f64 v[92:93], s[24:25], v[92:93]
	v_cvt_f32_f64_e32 v92, v[92:93]
	s_branch .LBB108_284
.LBB108_283:
	v_mov_b32_e32 v92, 0
.LBB108_284:
	v_add_f64 v[94:95], v[22:23], v[86:87]
	v_add_f64 v[96:97], v[20:21], v[84:85]
	v_cvt_f32_f64_e32 v93, v[96:97]
	v_cvt_f32_f64_e32 v94, v[94:95]
	v_min3_f32 v93, v93, v94, v166
	v_add_f64 v[94:95], v[18:19], v[82:83]
	v_add_f64 v[96:97], v[16:17], v[80:81]
	v_cvt_f32_f64_e32 v96, v[96:97]
	v_cvt_f32_f64_e32 v94, v[94:95]
	v_min_f32_e32 v94, v96, v94
	v_min3_f32 v92, v92, v94, v93
	v_cvt_f64_f32_e32 v[92:93], v92
	v_lshl_add_u64 v[94:95], v[140:141], 3, v[88:89]
	flat_store_dwordx2 v[94:95], v[92:93]
	s_or_b64 exec, exec, s[28:29]
	s_and_b64 s[28:29], s[16:17], s[18:19]
	s_and_saveexec_b64 s[18:19], s[28:29]
	s_cbranch_execz .LBB108_289
.LBB108_285:
	s_and_b64 vcc, exec, s[0:1]
	s_cbranch_vccnz .LBB108_287
; %bb.286:
	v_lshl_add_u64 v[90:91], v[142:143], 3, v[90:91]
	flat_load_dwordx2 v[90:91], v[90:91]
	s_waitcnt vmcnt(0) lgkmcnt(0)
	v_mul_f64 v[90:91], s[24:25], v[90:91]
	v_cvt_f32_f64_e32 v90, v[90:91]
	s_branch .LBB108_288
.LBB108_287:
	v_mov_b32_e32 v90, 0
.LBB108_288:
	v_add_f64 v[86:87], v[6:7], v[86:87]
	v_add_f64 v[84:85], v[4:5], v[84:85]
	;; [unrolled: 1-line block ×4, first 2 shown]
	v_cvt_f32_f64_e32 v84, v[84:85]
	v_cvt_f32_f64_e32 v85, v[86:87]
	;; [unrolled: 1-line block ×4, first 2 shown]
	v_min3_f32 v84, v84, v85, v165
	v_min_f32_e32 v80, v80, v81
	v_min3_f32 v80, v90, v80, v84
	v_cvt_f64_f32_e32 v[80:81], v80
	v_lshl_add_u64 v[82:83], v[142:143], 3, v[88:89]
	flat_store_dwordx2 v[82:83], v[80:81]
.LBB108_289:
	s_or_b64 exec, exec, s[18:19]
	v_add_u32_e32 v84, 48, v163
	v_mad_i64_i32 v[80:81], s[28:29], v84, s35, 0
	v_cmp_gt_i32_e64 s[18:19], s21, v84
	v_lshl_add_u64 v[82:83], v[80:81], 3, s[26:27]
	v_mad_i64_i32 v[80:81], s[28:29], v84, s34, 0
	v_lshl_add_u64 v[80:81], v[80:81], 3, s[22:23]
	s_and_b64 s[30:31], s[2:3], s[18:19]
	s_and_saveexec_b64 s[28:29], s[30:31]
	s_cbranch_execnz .LBB108_297
; %bb.290:
	s_or_b64 exec, exec, s[28:29]
	s_and_b64 s[30:31], s[4:5], s[18:19]
	s_and_saveexec_b64 s[28:29], s[30:31]
	s_cbranch_execnz .LBB108_301
.LBB108_291:
	s_or_b64 exec, exec, s[28:29]
	s_and_b64 s[30:31], s[6:7], s[18:19]
	s_and_saveexec_b64 s[28:29], s[30:31]
	s_cbranch_execnz .LBB108_305
.LBB108_292:
	s_or_b64 exec, exec, s[28:29]
	s_and_b64 s[30:31], s[8:9], s[18:19]
	s_and_saveexec_b64 s[28:29], s[30:31]
	s_cbranch_execnz .LBB108_309
.LBB108_293:
	s_or_b64 exec, exec, s[28:29]
	s_and_b64 s[30:31], s[10:11], s[18:19]
	s_and_saveexec_b64 s[28:29], s[30:31]
	s_cbranch_execnz .LBB108_313
.LBB108_294:
	s_or_b64 exec, exec, s[28:29]
	s_and_b64 s[30:31], s[12:13], s[18:19]
	s_and_saveexec_b64 s[28:29], s[30:31]
	s_cbranch_execnz .LBB108_317
.LBB108_295:
	s_or_b64 exec, exec, s[28:29]
	s_and_b64 s[30:31], s[14:15], s[18:19]
	s_and_saveexec_b64 s[28:29], s[30:31]
	s_cbranch_execnz .LBB108_321
.LBB108_296:
	s_or_b64 exec, exec, s[28:29]
	s_and_b64 s[28:29], s[16:17], s[18:19]
	s_and_saveexec_b64 s[18:19], s[28:29]
	s_cbranch_execnz .LBB108_325
	s_branch .LBB108_329
.LBB108_297:
	s_and_b64 vcc, exec, s[0:1]
	s_cbranch_vccnz .LBB108_299
; %bb.298:
	v_lshl_add_u64 v[84:85], v[128:129], 3, v[82:83]
	flat_load_dwordx2 v[84:85], v[84:85]
	s_waitcnt vmcnt(0) lgkmcnt(0)
	v_mul_f64 v[84:85], s[24:25], v[84:85]
	v_cvt_f32_f64_e32 v84, v[84:85]
	s_branch .LBB108_300
.LBB108_299:
	v_mov_b32_e32 v84, 0
.LBB108_300:
	v_add_f64 v[86:87], v[70:71], v[78:79]
	v_add_f64 v[88:89], v[68:69], v[76:77]
	v_cvt_f32_f64_e32 v85, v[88:89]
	v_cvt_f32_f64_e32 v86, v[86:87]
	v_min3_f32 v85, v85, v86, v164
	v_add_f64 v[86:87], v[66:67], v[74:75]
	v_add_f64 v[88:89], v[64:65], v[72:73]
	v_cvt_f32_f64_e32 v88, v[88:89]
	v_cvt_f32_f64_e32 v86, v[86:87]
	v_min_f32_e32 v86, v88, v86
	v_min3_f32 v84, v84, v86, v85
	v_cvt_f64_f32_e32 v[84:85], v84
	v_lshl_add_u64 v[86:87], v[128:129], 3, v[80:81]
	flat_store_dwordx2 v[86:87], v[84:85]
	s_or_b64 exec, exec, s[28:29]
	s_and_b64 s[30:31], s[4:5], s[18:19]
	s_and_saveexec_b64 s[28:29], s[30:31]
	s_cbranch_execz .LBB108_291
.LBB108_301:
	s_and_b64 vcc, exec, s[0:1]
	s_cbranch_vccnz .LBB108_303
; %bb.302:
	v_lshl_add_u64 v[84:85], v[130:131], 3, v[82:83]
	flat_load_dwordx2 v[84:85], v[84:85]
	s_waitcnt vmcnt(0) lgkmcnt(0)
	v_mul_f64 v[84:85], s[24:25], v[84:85]
	v_cvt_f32_f64_e32 v84, v[84:85]
	s_branch .LBB108_304
.LBB108_303:
	v_mov_b32_e32 v84, 0
.LBB108_304:
	v_add_f64 v[86:87], v[62:63], v[78:79]
	v_add_f64 v[88:89], v[60:61], v[76:77]
	v_cvt_f32_f64_e32 v85, v[88:89]
	v_cvt_f32_f64_e32 v86, v[86:87]
	v_min3_f32 v85, v85, v86, v162
	v_add_f64 v[86:87], v[58:59], v[74:75]
	v_add_f64 v[88:89], v[56:57], v[72:73]
	v_cvt_f32_f64_e32 v88, v[88:89]
	v_cvt_f32_f64_e32 v86, v[86:87]
	v_min_f32_e32 v86, v88, v86
	v_min3_f32 v84, v84, v86, v85
	v_cvt_f64_f32_e32 v[84:85], v84
	v_lshl_add_u64 v[86:87], v[130:131], 3, v[80:81]
	flat_store_dwordx2 v[86:87], v[84:85]
	s_or_b64 exec, exec, s[28:29]
	s_and_b64 s[30:31], s[6:7], s[18:19]
	s_and_saveexec_b64 s[28:29], s[30:31]
	s_cbranch_execz .LBB108_292
.LBB108_305:
	s_and_b64 vcc, exec, s[0:1]
	s_cbranch_vccnz .LBB108_307
; %bb.306:
	v_lshl_add_u64 v[84:85], v[132:133], 3, v[82:83]
	flat_load_dwordx2 v[84:85], v[84:85]
	s_waitcnt vmcnt(0) lgkmcnt(0)
	v_mul_f64 v[84:85], s[24:25], v[84:85]
	v_cvt_f32_f64_e32 v84, v[84:85]
	s_branch .LBB108_308
.LBB108_307:
	v_mov_b32_e32 v84, 0
.LBB108_308:
	v_add_f64 v[86:87], v[54:55], v[78:79]
	v_add_f64 v[88:89], v[52:53], v[76:77]
	v_cvt_f32_f64_e32 v85, v[88:89]
	v_cvt_f32_f64_e32 v86, v[86:87]
	v_min3_f32 v85, v85, v86, v161
	v_add_f64 v[86:87], v[50:51], v[74:75]
	v_add_f64 v[88:89], v[48:49], v[72:73]
	v_cvt_f32_f64_e32 v88, v[88:89]
	v_cvt_f32_f64_e32 v86, v[86:87]
	v_min_f32_e32 v86, v88, v86
	v_min3_f32 v84, v84, v86, v85
	v_cvt_f64_f32_e32 v[84:85], v84
	v_lshl_add_u64 v[86:87], v[132:133], 3, v[80:81]
	flat_store_dwordx2 v[86:87], v[84:85]
	s_or_b64 exec, exec, s[28:29]
	s_and_b64 s[30:31], s[8:9], s[18:19]
	s_and_saveexec_b64 s[28:29], s[30:31]
	s_cbranch_execz .LBB108_293
.LBB108_309:
	s_and_b64 vcc, exec, s[0:1]
	s_cbranch_vccnz .LBB108_311
; %bb.310:
	v_lshl_add_u64 v[84:85], v[134:135], 3, v[82:83]
	flat_load_dwordx2 v[84:85], v[84:85]
	s_waitcnt vmcnt(0) lgkmcnt(0)
	v_mul_f64 v[84:85], s[24:25], v[84:85]
	v_cvt_f32_f64_e32 v84, v[84:85]
	s_branch .LBB108_312
.LBB108_311:
	v_mov_b32_e32 v84, 0
.LBB108_312:
	v_add_f64 v[86:87], v[46:47], v[78:79]
	v_add_f64 v[88:89], v[44:45], v[76:77]
	v_cvt_f32_f64_e32 v85, v[88:89]
	v_cvt_f32_f64_e32 v86, v[86:87]
	v_min3_f32 v85, v85, v86, v160
	v_add_f64 v[86:87], v[42:43], v[74:75]
	v_add_f64 v[88:89], v[40:41], v[72:73]
	v_cvt_f32_f64_e32 v88, v[88:89]
	v_cvt_f32_f64_e32 v86, v[86:87]
	v_min_f32_e32 v86, v88, v86
	v_min3_f32 v84, v84, v86, v85
	v_cvt_f64_f32_e32 v[84:85], v84
	v_lshl_add_u64 v[86:87], v[134:135], 3, v[80:81]
	flat_store_dwordx2 v[86:87], v[84:85]
	s_or_b64 exec, exec, s[28:29]
	s_and_b64 s[30:31], s[10:11], s[18:19]
	s_and_saveexec_b64 s[28:29], s[30:31]
	s_cbranch_execz .LBB108_294
.LBB108_313:
	s_and_b64 vcc, exec, s[0:1]
	s_cbranch_vccnz .LBB108_315
; %bb.314:
	v_lshl_add_u64 v[84:85], v[136:137], 3, v[82:83]
	flat_load_dwordx2 v[84:85], v[84:85]
	s_waitcnt vmcnt(0) lgkmcnt(0)
	v_mul_f64 v[84:85], s[24:25], v[84:85]
	v_cvt_f32_f64_e32 v84, v[84:85]
	s_branch .LBB108_316
.LBB108_315:
	v_mov_b32_e32 v84, 0
.LBB108_316:
	v_add_f64 v[86:87], v[38:39], v[78:79]
	v_add_f64 v[88:89], v[36:37], v[76:77]
	v_cvt_f32_f64_e32 v85, v[88:89]
	v_cvt_f32_f64_e32 v86, v[86:87]
	v_min3_f32 v85, v85, v86, v159
	v_add_f64 v[86:87], v[34:35], v[74:75]
	v_add_f64 v[88:89], v[32:33], v[72:73]
	v_cvt_f32_f64_e32 v88, v[88:89]
	v_cvt_f32_f64_e32 v86, v[86:87]
	v_min_f32_e32 v86, v88, v86
	v_min3_f32 v84, v84, v86, v85
	v_cvt_f64_f32_e32 v[84:85], v84
	v_lshl_add_u64 v[86:87], v[136:137], 3, v[80:81]
	flat_store_dwordx2 v[86:87], v[84:85]
	s_or_b64 exec, exec, s[28:29]
	s_and_b64 s[30:31], s[12:13], s[18:19]
	s_and_saveexec_b64 s[28:29], s[30:31]
	s_cbranch_execz .LBB108_295
.LBB108_317:
	s_and_b64 vcc, exec, s[0:1]
	s_cbranch_vccnz .LBB108_319
; %bb.318:
	v_lshl_add_u64 v[84:85], v[138:139], 3, v[82:83]
	flat_load_dwordx2 v[84:85], v[84:85]
	s_waitcnt vmcnt(0) lgkmcnt(0)
	v_mul_f64 v[84:85], s[24:25], v[84:85]
	v_cvt_f32_f64_e32 v84, v[84:85]
	s_branch .LBB108_320
.LBB108_319:
	v_mov_b32_e32 v84, 0
.LBB108_320:
	v_add_f64 v[86:87], v[30:31], v[78:79]
	v_add_f64 v[88:89], v[28:29], v[76:77]
	v_cvt_f32_f64_e32 v85, v[88:89]
	v_cvt_f32_f64_e32 v86, v[86:87]
	v_min3_f32 v85, v85, v86, v158
	v_add_f64 v[86:87], v[26:27], v[74:75]
	v_add_f64 v[88:89], v[24:25], v[72:73]
	v_cvt_f32_f64_e32 v88, v[88:89]
	v_cvt_f32_f64_e32 v86, v[86:87]
	v_min_f32_e32 v86, v88, v86
	v_min3_f32 v84, v84, v86, v85
	v_cvt_f64_f32_e32 v[84:85], v84
	v_lshl_add_u64 v[86:87], v[138:139], 3, v[80:81]
	flat_store_dwordx2 v[86:87], v[84:85]
	s_or_b64 exec, exec, s[28:29]
	s_and_b64 s[30:31], s[14:15], s[18:19]
	s_and_saveexec_b64 s[28:29], s[30:31]
	s_cbranch_execz .LBB108_296
.LBB108_321:
	s_and_b64 vcc, exec, s[0:1]
	s_cbranch_vccnz .LBB108_323
; %bb.322:
	v_lshl_add_u64 v[84:85], v[140:141], 3, v[82:83]
	flat_load_dwordx2 v[84:85], v[84:85]
	s_waitcnt vmcnt(0) lgkmcnt(0)
	v_mul_f64 v[84:85], s[24:25], v[84:85]
	v_cvt_f32_f64_e32 v84, v[84:85]
	s_branch .LBB108_324
.LBB108_323:
	v_mov_b32_e32 v84, 0
.LBB108_324:
	v_add_f64 v[86:87], v[22:23], v[78:79]
	v_add_f64 v[88:89], v[20:21], v[76:77]
	v_cvt_f32_f64_e32 v85, v[88:89]
	v_cvt_f32_f64_e32 v86, v[86:87]
	v_min3_f32 v85, v85, v86, v157
	v_add_f64 v[86:87], v[18:19], v[74:75]
	v_add_f64 v[88:89], v[16:17], v[72:73]
	v_cvt_f32_f64_e32 v88, v[88:89]
	v_cvt_f32_f64_e32 v86, v[86:87]
	v_min_f32_e32 v86, v88, v86
	v_min3_f32 v84, v84, v86, v85
	v_cvt_f64_f32_e32 v[84:85], v84
	v_lshl_add_u64 v[86:87], v[140:141], 3, v[80:81]
	flat_store_dwordx2 v[86:87], v[84:85]
	s_or_b64 exec, exec, s[28:29]
	s_and_b64 s[28:29], s[16:17], s[18:19]
	s_and_saveexec_b64 s[18:19], s[28:29]
	s_cbranch_execz .LBB108_329
.LBB108_325:
	s_and_b64 vcc, exec, s[0:1]
	s_cbranch_vccnz .LBB108_327
; %bb.326:
	v_lshl_add_u64 v[82:83], v[142:143], 3, v[82:83]
	flat_load_dwordx2 v[82:83], v[82:83]
	s_waitcnt vmcnt(0) lgkmcnt(0)
	v_mul_f64 v[82:83], s[24:25], v[82:83]
	v_cvt_f32_f64_e32 v82, v[82:83]
	s_branch .LBB108_328
.LBB108_327:
	v_mov_b32_e32 v82, 0
.LBB108_328:
	v_add_f64 v[78:79], v[6:7], v[78:79]
	v_add_f64 v[76:77], v[4:5], v[76:77]
	;; [unrolled: 1-line block ×4, first 2 shown]
	v_cvt_f32_f64_e32 v76, v[76:77]
	v_cvt_f32_f64_e32 v77, v[78:79]
	;; [unrolled: 1-line block ×4, first 2 shown]
	v_min3_f32 v76, v76, v77, v156
	v_min_f32_e32 v72, v72, v73
	v_min3_f32 v72, v82, v72, v76
	v_cvt_f64_f32_e32 v[72:73], v72
	v_lshl_add_u64 v[74:75], v[142:143], 3, v[80:81]
	flat_store_dwordx2 v[74:75], v[72:73]
.LBB108_329:
	s_or_b64 exec, exec, s[18:19]
	v_add_u32_e32 v76, 56, v163
	v_cmp_gt_i32_e64 s[18:19], s21, v76
	v_mad_i64_i32 v[72:73], s[20:21], v76, s35, 0
	v_lshl_add_u64 v[74:75], v[72:73], 3, s[26:27]
	v_mad_i64_i32 v[72:73], s[20:21], v76, s34, 0
	v_lshl_add_u64 v[72:73], v[72:73], 3, s[22:23]
	s_and_b64 s[20:21], s[2:3], s[18:19]
	s_and_saveexec_b64 s[2:3], s[20:21]
	s_cbranch_execnz .LBB108_338
; %bb.330:
	s_or_b64 exec, exec, s[2:3]
	s_and_b64 s[4:5], s[4:5], s[18:19]
	s_and_saveexec_b64 s[2:3], s[4:5]
	s_cbranch_execnz .LBB108_342
.LBB108_331:
	s_or_b64 exec, exec, s[2:3]
	s_and_b64 s[4:5], s[6:7], s[18:19]
	s_and_saveexec_b64 s[2:3], s[4:5]
	s_cbranch_execnz .LBB108_346
.LBB108_332:
	s_or_b64 exec, exec, s[2:3]
	s_and_b64 s[4:5], s[8:9], s[18:19]
	s_and_saveexec_b64 s[2:3], s[4:5]
	s_cbranch_execnz .LBB108_350
.LBB108_333:
	s_or_b64 exec, exec, s[2:3]
	s_and_b64 s[4:5], s[10:11], s[18:19]
	s_and_saveexec_b64 s[2:3], s[4:5]
	s_cbranch_execnz .LBB108_354
.LBB108_334:
	s_or_b64 exec, exec, s[2:3]
	s_and_b64 s[4:5], s[12:13], s[18:19]
	s_and_saveexec_b64 s[2:3], s[4:5]
	s_cbranch_execnz .LBB108_358
.LBB108_335:
	s_or_b64 exec, exec, s[2:3]
	s_and_b64 s[4:5], s[14:15], s[18:19]
	s_and_saveexec_b64 s[2:3], s[4:5]
	s_cbranch_execnz .LBB108_362
.LBB108_336:
	s_or_b64 exec, exec, s[2:3]
	s_and_b64 s[2:3], s[16:17], s[18:19]
	s_and_saveexec_b64 s[4:5], s[2:3]
	s_cbranch_execnz .LBB108_366
.LBB108_337:
	s_endpgm
.LBB108_338:
	s_and_b64 vcc, exec, s[0:1]
	s_cbranch_vccnz .LBB108_340
; %bb.339:
	v_lshl_add_u64 v[76:77], v[128:129], 3, v[74:75]
	flat_load_dwordx2 v[76:77], v[76:77]
	s_waitcnt vmcnt(0) lgkmcnt(0)
	v_mul_f64 v[76:77], s[24:25], v[76:77]
	v_cvt_f32_f64_e32 v76, v[76:77]
	s_branch .LBB108_341
.LBB108_340:
	v_mov_b32_e32 v76, 0
.LBB108_341:
	v_add_f64 v[70:71], v[70:71], v[14:15]
	v_add_f64 v[68:69], v[68:69], v[12:13]
	v_add_f64 v[66:67], v[66:67], v[10:11]
	v_add_f64 v[64:65], v[64:65], v[8:9]
	v_cvt_f32_f64_e32 v68, v[68:69]
	v_cvt_f32_f64_e32 v69, v[70:71]
	;; [unrolled: 1-line block ×4, first 2 shown]
	v_min3_f32 v68, v68, v69, v155
	v_min_f32_e32 v64, v64, v65
	v_min3_f32 v64, v76, v64, v68
	v_cvt_f64_f32_e32 v[64:65], v64
	v_lshl_add_u64 v[66:67], v[128:129], 3, v[72:73]
	flat_store_dwordx2 v[66:67], v[64:65]
	s_or_b64 exec, exec, s[2:3]
	s_and_b64 s[4:5], s[4:5], s[18:19]
	s_and_saveexec_b64 s[2:3], s[4:5]
	s_cbranch_execz .LBB108_331
.LBB108_342:
	s_and_b64 vcc, exec, s[0:1]
	s_cbranch_vccnz .LBB108_344
; %bb.343:
	v_lshl_add_u64 v[64:65], v[130:131], 3, v[74:75]
	flat_load_dwordx2 v[64:65], v[64:65]
	s_waitcnt vmcnt(0) lgkmcnt(0)
	v_mul_f64 v[64:65], s[24:25], v[64:65]
	v_cvt_f32_f64_e32 v64, v[64:65]
	s_branch .LBB108_345
.LBB108_344:
	v_mov_b32_e32 v64, 0
.LBB108_345:
	v_add_f64 v[62:63], v[62:63], v[14:15]
	v_add_f64 v[60:61], v[60:61], v[12:13]
	v_add_f64 v[58:59], v[58:59], v[10:11]
	v_add_f64 v[56:57], v[56:57], v[8:9]
	v_cvt_f32_f64_e32 v60, v[60:61]
	v_cvt_f32_f64_e32 v61, v[62:63]
	v_cvt_f32_f64_e32 v56, v[56:57]
	v_cvt_f32_f64_e32 v57, v[58:59]
	v_min3_f32 v60, v60, v61, v154
	v_min_f32_e32 v56, v56, v57
	v_min3_f32 v56, v64, v56, v60
	v_cvt_f64_f32_e32 v[56:57], v56
	v_lshl_add_u64 v[58:59], v[130:131], 3, v[72:73]
	flat_store_dwordx2 v[58:59], v[56:57]
	s_or_b64 exec, exec, s[2:3]
	s_and_b64 s[4:5], s[6:7], s[18:19]
	s_and_saveexec_b64 s[2:3], s[4:5]
	s_cbranch_execz .LBB108_332
.LBB108_346:
	s_and_b64 vcc, exec, s[0:1]
	s_cbranch_vccnz .LBB108_348
; %bb.347:
	v_lshl_add_u64 v[56:57], v[132:133], 3, v[74:75]
	flat_load_dwordx2 v[56:57], v[56:57]
	s_waitcnt vmcnt(0) lgkmcnt(0)
	v_mul_f64 v[56:57], s[24:25], v[56:57]
	v_cvt_f32_f64_e32 v56, v[56:57]
	s_branch .LBB108_349
.LBB108_348:
	v_mov_b32_e32 v56, 0
.LBB108_349:
	v_add_f64 v[54:55], v[54:55], v[14:15]
	v_add_f64 v[52:53], v[52:53], v[12:13]
	;; [unrolled: 1-line block ×4, first 2 shown]
	v_cvt_f32_f64_e32 v52, v[52:53]
	v_cvt_f32_f64_e32 v53, v[54:55]
	;; [unrolled: 1-line block ×4, first 2 shown]
	v_min3_f32 v52, v52, v53, v153
	v_min_f32_e32 v48, v48, v49
	v_min3_f32 v48, v56, v48, v52
	v_cvt_f64_f32_e32 v[48:49], v48
	v_lshl_add_u64 v[50:51], v[132:133], 3, v[72:73]
	flat_store_dwordx2 v[50:51], v[48:49]
	s_or_b64 exec, exec, s[2:3]
	s_and_b64 s[4:5], s[8:9], s[18:19]
	s_and_saveexec_b64 s[2:3], s[4:5]
	s_cbranch_execz .LBB108_333
.LBB108_350:
	s_and_b64 vcc, exec, s[0:1]
	s_cbranch_vccnz .LBB108_352
; %bb.351:
	v_lshl_add_u64 v[48:49], v[134:135], 3, v[74:75]
	flat_load_dwordx2 v[48:49], v[48:49]
	s_waitcnt vmcnt(0) lgkmcnt(0)
	v_mul_f64 v[48:49], s[24:25], v[48:49]
	v_cvt_f32_f64_e32 v48, v[48:49]
	s_branch .LBB108_353
.LBB108_352:
	v_mov_b32_e32 v48, 0
.LBB108_353:
	v_add_f64 v[46:47], v[46:47], v[14:15]
	v_add_f64 v[44:45], v[44:45], v[12:13]
	;; [unrolled: 1-line block ×4, first 2 shown]
	v_cvt_f32_f64_e32 v44, v[44:45]
	v_cvt_f32_f64_e32 v45, v[46:47]
	;; [unrolled: 1-line block ×4, first 2 shown]
	v_min3_f32 v44, v44, v45, v152
	v_min_f32_e32 v40, v40, v41
	v_min3_f32 v40, v48, v40, v44
	v_cvt_f64_f32_e32 v[40:41], v40
	v_lshl_add_u64 v[42:43], v[134:135], 3, v[72:73]
	flat_store_dwordx2 v[42:43], v[40:41]
	s_or_b64 exec, exec, s[2:3]
	s_and_b64 s[4:5], s[10:11], s[18:19]
	s_and_saveexec_b64 s[2:3], s[4:5]
	s_cbranch_execz .LBB108_334
.LBB108_354:
	s_and_b64 vcc, exec, s[0:1]
	s_cbranch_vccnz .LBB108_356
; %bb.355:
	v_lshl_add_u64 v[40:41], v[136:137], 3, v[74:75]
	flat_load_dwordx2 v[40:41], v[40:41]
	s_waitcnt vmcnt(0) lgkmcnt(0)
	v_mul_f64 v[40:41], s[24:25], v[40:41]
	v_cvt_f32_f64_e32 v40, v[40:41]
	s_branch .LBB108_357
.LBB108_356:
	v_mov_b32_e32 v40, 0
.LBB108_357:
	v_add_f64 v[38:39], v[38:39], v[14:15]
	v_add_f64 v[36:37], v[36:37], v[12:13]
	;; [unrolled: 1-line block ×4, first 2 shown]
	v_cvt_f32_f64_e32 v36, v[36:37]
	v_cvt_f32_f64_e32 v37, v[38:39]
	;; [unrolled: 1-line block ×4, first 2 shown]
	v_min3_f32 v36, v36, v37, v151
	v_min_f32_e32 v32, v32, v33
	v_min3_f32 v32, v40, v32, v36
	v_cvt_f64_f32_e32 v[32:33], v32
	v_lshl_add_u64 v[34:35], v[136:137], 3, v[72:73]
	flat_store_dwordx2 v[34:35], v[32:33]
	s_or_b64 exec, exec, s[2:3]
	s_and_b64 s[4:5], s[12:13], s[18:19]
	s_and_saveexec_b64 s[2:3], s[4:5]
	s_cbranch_execz .LBB108_335
.LBB108_358:
	s_and_b64 vcc, exec, s[0:1]
	s_cbranch_vccnz .LBB108_360
; %bb.359:
	v_lshl_add_u64 v[32:33], v[138:139], 3, v[74:75]
	flat_load_dwordx2 v[32:33], v[32:33]
	s_waitcnt vmcnt(0) lgkmcnt(0)
	v_mul_f64 v[32:33], s[24:25], v[32:33]
	v_cvt_f32_f64_e32 v32, v[32:33]
	s_branch .LBB108_361
.LBB108_360:
	v_mov_b32_e32 v32, 0
.LBB108_361:
	v_add_f64 v[30:31], v[30:31], v[14:15]
	v_add_f64 v[28:29], v[28:29], v[12:13]
	;; [unrolled: 1-line block ×4, first 2 shown]
	v_cvt_f32_f64_e32 v28, v[28:29]
	v_cvt_f32_f64_e32 v29, v[30:31]
	;; [unrolled: 1-line block ×4, first 2 shown]
	v_min3_f32 v28, v28, v29, v150
	v_min_f32_e32 v24, v24, v25
	v_min3_f32 v24, v32, v24, v28
	v_cvt_f64_f32_e32 v[24:25], v24
	v_lshl_add_u64 v[26:27], v[138:139], 3, v[72:73]
	flat_store_dwordx2 v[26:27], v[24:25]
	s_or_b64 exec, exec, s[2:3]
	s_and_b64 s[4:5], s[14:15], s[18:19]
	s_and_saveexec_b64 s[2:3], s[4:5]
	s_cbranch_execz .LBB108_336
.LBB108_362:
	s_and_b64 vcc, exec, s[0:1]
	s_cbranch_vccnz .LBB108_364
; %bb.363:
	v_lshl_add_u64 v[24:25], v[140:141], 3, v[74:75]
	flat_load_dwordx2 v[24:25], v[24:25]
	s_waitcnt vmcnt(0) lgkmcnt(0)
	v_mul_f64 v[24:25], s[24:25], v[24:25]
	v_cvt_f32_f64_e32 v24, v[24:25]
	s_branch .LBB108_365
.LBB108_364:
	v_mov_b32_e32 v24, 0
.LBB108_365:
	v_add_f64 v[22:23], v[22:23], v[14:15]
	v_add_f64 v[20:21], v[20:21], v[12:13]
	;; [unrolled: 1-line block ×4, first 2 shown]
	v_cvt_f32_f64_e32 v20, v[20:21]
	v_cvt_f32_f64_e32 v21, v[22:23]
	;; [unrolled: 1-line block ×4, first 2 shown]
	v_min3_f32 v20, v20, v21, v149
	v_min_f32_e32 v16, v16, v17
	v_min3_f32 v16, v24, v16, v20
	v_cvt_f64_f32_e32 v[16:17], v16
	v_lshl_add_u64 v[18:19], v[140:141], 3, v[72:73]
	flat_store_dwordx2 v[18:19], v[16:17]
	s_or_b64 exec, exec, s[2:3]
	s_and_b64 s[2:3], s[16:17], s[18:19]
	s_and_saveexec_b64 s[4:5], s[2:3]
	s_cbranch_execz .LBB108_337
.LBB108_366:
	s_and_b64 vcc, exec, s[0:1]
	s_cbranch_vccnz .LBB108_368
; %bb.367:
	v_lshl_add_u64 v[16:17], v[142:143], 3, v[74:75]
	flat_load_dwordx2 v[16:17], v[16:17]
	s_waitcnt vmcnt(0) lgkmcnt(0)
	v_mul_f64 v[16:17], s[24:25], v[16:17]
	v_cvt_f32_f64_e32 v16, v[16:17]
	s_branch .LBB108_369
.LBB108_368:
	v_mov_b32_e32 v16, 0
.LBB108_369:
	v_add_f64 v[6:7], v[6:7], v[14:15]
	v_add_f64 v[4:5], v[4:5], v[12:13]
	;; [unrolled: 1-line block ×4, first 2 shown]
	v_cvt_f32_f64_e32 v4, v[4:5]
	v_cvt_f32_f64_e32 v5, v[6:7]
	;; [unrolled: 1-line block ×4, first 2 shown]
	v_min3_f32 v4, v4, v5, v148
	v_min_f32_e32 v0, v0, v1
	v_min3_f32 v0, v16, v0, v4
	v_cvt_f64_f32_e32 v[0:1], v0
	v_lshl_add_u64 v[2:3], v[142:143], 3, v[72:73]
	flat_store_dwordx2 v[2:3], v[0:1]
	s_endpgm
	.section	.rodata,"a",@progbits
	.p2align	6, 0x0
	.amdhsa_kernel _ZN12_GLOBAL__N_120geam_min_plus_kernelId15HIP_vector_typeIdLj2EEdLi32ELi8ELi256ELi64ELi4ELi64ELi4ELi4ELi64ELc78ELc78ELb0ELb1ELb1EPKdKS4_KPdEEviiiT16_PT17_ilSA_ilS8_SA_ilPT18_ili26rocblas_geam_ex_operation_
		.amdhsa_group_segment_fixed_size 20480
		.amdhsa_private_segment_fixed_size 0
		.amdhsa_kernarg_size 136
		.amdhsa_user_sgpr_count 2
		.amdhsa_user_sgpr_dispatch_ptr 0
		.amdhsa_user_sgpr_queue_ptr 0
		.amdhsa_user_sgpr_kernarg_segment_ptr 1
		.amdhsa_user_sgpr_dispatch_id 0
		.amdhsa_user_sgpr_kernarg_preload_length 0
		.amdhsa_user_sgpr_kernarg_preload_offset 0
		.amdhsa_user_sgpr_private_segment_size 0
		.amdhsa_uses_dynamic_stack 0
		.amdhsa_enable_private_segment 0
		.amdhsa_system_sgpr_workgroup_id_x 1
		.amdhsa_system_sgpr_workgroup_id_y 0
		.amdhsa_system_sgpr_workgroup_id_z 1
		.amdhsa_system_sgpr_workgroup_info 0
		.amdhsa_system_vgpr_workitem_id 1
		.amdhsa_next_free_vgpr 225
		.amdhsa_next_free_sgpr 42
		.amdhsa_accum_offset 228
		.amdhsa_reserve_vcc 1
		.amdhsa_float_round_mode_32 0
		.amdhsa_float_round_mode_16_64 0
		.amdhsa_float_denorm_mode_32 3
		.amdhsa_float_denorm_mode_16_64 3
		.amdhsa_dx10_clamp 1
		.amdhsa_ieee_mode 1
		.amdhsa_fp16_overflow 0
		.amdhsa_tg_split 0
		.amdhsa_exception_fp_ieee_invalid_op 0
		.amdhsa_exception_fp_denorm_src 0
		.amdhsa_exception_fp_ieee_div_zero 0
		.amdhsa_exception_fp_ieee_overflow 0
		.amdhsa_exception_fp_ieee_underflow 0
		.amdhsa_exception_fp_ieee_inexact 0
		.amdhsa_exception_int_div_zero 0
	.end_amdhsa_kernel
	.section	.text._ZN12_GLOBAL__N_120geam_min_plus_kernelId15HIP_vector_typeIdLj2EEdLi32ELi8ELi256ELi64ELi4ELi64ELi4ELi4ELi64ELc78ELc78ELb0ELb1ELb1EPKdKS4_KPdEEviiiT16_PT17_ilSA_ilS8_SA_ilPT18_ili26rocblas_geam_ex_operation_,"axG",@progbits,_ZN12_GLOBAL__N_120geam_min_plus_kernelId15HIP_vector_typeIdLj2EEdLi32ELi8ELi256ELi64ELi4ELi64ELi4ELi4ELi64ELc78ELc78ELb0ELb1ELb1EPKdKS4_KPdEEviiiT16_PT17_ilSA_ilS8_SA_ilPT18_ili26rocblas_geam_ex_operation_,comdat
.Lfunc_end108:
	.size	_ZN12_GLOBAL__N_120geam_min_plus_kernelId15HIP_vector_typeIdLj2EEdLi32ELi8ELi256ELi64ELi4ELi64ELi4ELi4ELi64ELc78ELc78ELb0ELb1ELb1EPKdKS4_KPdEEviiiT16_PT17_ilSA_ilS8_SA_ilPT18_ili26rocblas_geam_ex_operation_, .Lfunc_end108-_ZN12_GLOBAL__N_120geam_min_plus_kernelId15HIP_vector_typeIdLj2EEdLi32ELi8ELi256ELi64ELi4ELi64ELi4ELi4ELi64ELc78ELc78ELb0ELb1ELb1EPKdKS4_KPdEEviiiT16_PT17_ilSA_ilS8_SA_ilPT18_ili26rocblas_geam_ex_operation_
                                        ; -- End function
	.set _ZN12_GLOBAL__N_120geam_min_plus_kernelId15HIP_vector_typeIdLj2EEdLi32ELi8ELi256ELi64ELi4ELi64ELi4ELi4ELi64ELc78ELc78ELb0ELb1ELb1EPKdKS4_KPdEEviiiT16_PT17_ilSA_ilS8_SA_ilPT18_ili26rocblas_geam_ex_operation_.num_vgpr, 225
	.set _ZN12_GLOBAL__N_120geam_min_plus_kernelId15HIP_vector_typeIdLj2EEdLi32ELi8ELi256ELi64ELi4ELi64ELi4ELi4ELi64ELc78ELc78ELb0ELb1ELb1EPKdKS4_KPdEEviiiT16_PT17_ilSA_ilS8_SA_ilPT18_ili26rocblas_geam_ex_operation_.num_agpr, 0
	.set _ZN12_GLOBAL__N_120geam_min_plus_kernelId15HIP_vector_typeIdLj2EEdLi32ELi8ELi256ELi64ELi4ELi64ELi4ELi4ELi64ELc78ELc78ELb0ELb1ELb1EPKdKS4_KPdEEviiiT16_PT17_ilSA_ilS8_SA_ilPT18_ili26rocblas_geam_ex_operation_.numbered_sgpr, 42
	.set _ZN12_GLOBAL__N_120geam_min_plus_kernelId15HIP_vector_typeIdLj2EEdLi32ELi8ELi256ELi64ELi4ELi64ELi4ELi4ELi64ELc78ELc78ELb0ELb1ELb1EPKdKS4_KPdEEviiiT16_PT17_ilSA_ilS8_SA_ilPT18_ili26rocblas_geam_ex_operation_.num_named_barrier, 0
	.set _ZN12_GLOBAL__N_120geam_min_plus_kernelId15HIP_vector_typeIdLj2EEdLi32ELi8ELi256ELi64ELi4ELi64ELi4ELi4ELi64ELc78ELc78ELb0ELb1ELb1EPKdKS4_KPdEEviiiT16_PT17_ilSA_ilS8_SA_ilPT18_ili26rocblas_geam_ex_operation_.private_seg_size, 0
	.set _ZN12_GLOBAL__N_120geam_min_plus_kernelId15HIP_vector_typeIdLj2EEdLi32ELi8ELi256ELi64ELi4ELi64ELi4ELi4ELi64ELc78ELc78ELb0ELb1ELb1EPKdKS4_KPdEEviiiT16_PT17_ilSA_ilS8_SA_ilPT18_ili26rocblas_geam_ex_operation_.uses_vcc, 1
	.set _ZN12_GLOBAL__N_120geam_min_plus_kernelId15HIP_vector_typeIdLj2EEdLi32ELi8ELi256ELi64ELi4ELi64ELi4ELi4ELi64ELc78ELc78ELb0ELb1ELb1EPKdKS4_KPdEEviiiT16_PT17_ilSA_ilS8_SA_ilPT18_ili26rocblas_geam_ex_operation_.uses_flat_scratch, 0
	.set _ZN12_GLOBAL__N_120geam_min_plus_kernelId15HIP_vector_typeIdLj2EEdLi32ELi8ELi256ELi64ELi4ELi64ELi4ELi4ELi64ELc78ELc78ELb0ELb1ELb1EPKdKS4_KPdEEviiiT16_PT17_ilSA_ilS8_SA_ilPT18_ili26rocblas_geam_ex_operation_.has_dyn_sized_stack, 0
	.set _ZN12_GLOBAL__N_120geam_min_plus_kernelId15HIP_vector_typeIdLj2EEdLi32ELi8ELi256ELi64ELi4ELi64ELi4ELi4ELi64ELc78ELc78ELb0ELb1ELb1EPKdKS4_KPdEEviiiT16_PT17_ilSA_ilS8_SA_ilPT18_ili26rocblas_geam_ex_operation_.has_recursion, 0
	.set _ZN12_GLOBAL__N_120geam_min_plus_kernelId15HIP_vector_typeIdLj2EEdLi32ELi8ELi256ELi64ELi4ELi64ELi4ELi4ELi64ELc78ELc78ELb0ELb1ELb1EPKdKS4_KPdEEviiiT16_PT17_ilSA_ilS8_SA_ilPT18_ili26rocblas_geam_ex_operation_.has_indirect_call, 0
	.section	.AMDGPU.csdata,"",@progbits
; Kernel info:
; codeLenInByte = 26884
; TotalNumSgprs: 48
; NumVgprs: 225
; NumAgprs: 0
; TotalNumVgprs: 225
; ScratchSize: 0
; MemoryBound: 1
; FloatMode: 240
; IeeeMode: 1
; LDSByteSize: 20480 bytes/workgroup (compile time only)
; SGPRBlocks: 5
; VGPRBlocks: 28
; NumSGPRsForWavesPerEU: 48
; NumVGPRsForWavesPerEU: 225
; AccumOffset: 228
; Occupancy: 2
; WaveLimiterHint : 1
; COMPUTE_PGM_RSRC2:SCRATCH_EN: 0
; COMPUTE_PGM_RSRC2:USER_SGPR: 2
; COMPUTE_PGM_RSRC2:TRAP_HANDLER: 0
; COMPUTE_PGM_RSRC2:TGID_X_EN: 1
; COMPUTE_PGM_RSRC2:TGID_Y_EN: 0
; COMPUTE_PGM_RSRC2:TGID_Z_EN: 1
; COMPUTE_PGM_RSRC2:TIDIG_COMP_CNT: 1
; COMPUTE_PGM_RSRC3_GFX90A:ACCUM_OFFSET: 56
; COMPUTE_PGM_RSRC3_GFX90A:TG_SPLIT: 0
	.section	.text._ZN12_GLOBAL__N_120geam_min_plus_kernelId15HIP_vector_typeIdLj2EEdLi32ELi8ELi256ELi64ELi4ELi64ELi4ELi4ELi64ELc78ELc78ELb1ELb1ELb1EdKPKdKPdEEviiiT16_PT17_ilSA_ilS8_SA_ilPT18_ili26rocblas_geam_ex_operation_,"axG",@progbits,_ZN12_GLOBAL__N_120geam_min_plus_kernelId15HIP_vector_typeIdLj2EEdLi32ELi8ELi256ELi64ELi4ELi64ELi4ELi4ELi64ELc78ELc78ELb1ELb1ELb1EdKPKdKPdEEviiiT16_PT17_ilSA_ilS8_SA_ilPT18_ili26rocblas_geam_ex_operation_,comdat
	.globl	_ZN12_GLOBAL__N_120geam_min_plus_kernelId15HIP_vector_typeIdLj2EEdLi32ELi8ELi256ELi64ELi4ELi64ELi4ELi4ELi64ELc78ELc78ELb1ELb1ELb1EdKPKdKPdEEviiiT16_PT17_ilSA_ilS8_SA_ilPT18_ili26rocblas_geam_ex_operation_ ; -- Begin function _ZN12_GLOBAL__N_120geam_min_plus_kernelId15HIP_vector_typeIdLj2EEdLi32ELi8ELi256ELi64ELi4ELi64ELi4ELi4ELi64ELc78ELc78ELb1ELb1ELb1EdKPKdKPdEEviiiT16_PT17_ilSA_ilS8_SA_ilPT18_ili26rocblas_geam_ex_operation_
	.p2align	8
	.type	_ZN12_GLOBAL__N_120geam_min_plus_kernelId15HIP_vector_typeIdLj2EEdLi32ELi8ELi256ELi64ELi4ELi64ELi4ELi4ELi64ELc78ELc78ELb1ELb1ELb1EdKPKdKPdEEviiiT16_PT17_ilSA_ilS8_SA_ilPT18_ili26rocblas_geam_ex_operation_,@function
_ZN12_GLOBAL__N_120geam_min_plus_kernelId15HIP_vector_typeIdLj2EEdLi32ELi8ELi256ELi64ELi4ELi64ELi4ELi4ELi64ELc78ELc78ELb1ELb1ELb1EdKPKdKPdEEviiiT16_PT17_ilSA_ilS8_SA_ilPT18_ili26rocblas_geam_ex_operation_: ; @_ZN12_GLOBAL__N_120geam_min_plus_kernelId15HIP_vector_typeIdLj2EEdLi32ELi8ELi256ELi64ELi4ELi64ELi4ELi4ELi64ELc78ELc78ELb1ELb1ELb1EdKPKdKPdEEviiiT16_PT17_ilSA_ilS8_SA_ilPT18_ili26rocblas_geam_ex_operation_
; %bb.0:
	s_load_dwordx4 s[8:11], s[0:1], 0x10
	s_load_dwordx4 s[4:7], s[0:1], 0x28
	s_mov_b32 s12, s3
	s_mov_b64 s[16:17], 0
	s_waitcnt lgkmcnt(0)
	v_cmp_eq_f64_e64 s[14:15], s[8:9], 0
	s_and_b64 vcc, exec, s[14:15]
	s_cbranch_vccnz .LBB109_2
; %bb.1:
	s_mov_b32 s13, 0
	s_lshl_b64 s[8:9], s[12:13], 3
	s_add_u32 s8, s10, s8
	s_addc_u32 s9, s11, s9
	s_load_dwordx2 s[8:9], s[8:9], 0x0
	s_lshl_b64 s[4:5], s[4:5], 3
	s_waitcnt lgkmcnt(0)
	s_add_u32 s16, s8, s4
	s_addc_u32 s17, s9, s5
.LBB109_2:
	s_load_dwordx4 s[20:23], s[0:1], 0x40
	s_load_dwordx2 s[8:9], s[0:1], 0x50
	s_andn2_b64 vcc, exec, s[14:15]
	s_mov_b32 s13, 0
	s_cbranch_vccnz .LBB109_4
; %bb.3:
	s_mov_b64 s[28:29], 0
	s_mov_b64 s[18:19], 0
	s_cbranch_execz .LBB109_5
	s_branch .LBB109_6
.LBB109_4:
	s_mov_b64 s[28:29], 0
	s_mov_b64 s[18:19], 0
.LBB109_5:
	s_lshl_b64 s[4:5], s[12:13], 3
	s_add_u32 s4, s6, s4
	s_addc_u32 s5, s7, s5
	s_load_dwordx2 s[4:5], s[4:5], 0x0
	s_waitcnt lgkmcnt(0)
	s_lshl_b64 s[6:7], s[20:21], 3
	s_add_u32 s18, s4, s6
	s_addc_u32 s19, s5, s7
.LBB109_6:
	s_load_dwordx4 s[4:7], s[0:1], 0x60
	s_waitcnt lgkmcnt(0)
	v_cmp_eq_f64_e64 s[10:11], s[22:23], 0
	v_cmp_neq_f64_e64 s[14:15], s[22:23], 0
	s_and_b64 vcc, exec, s[10:11]
	s_cbranch_vccnz .LBB109_8
; %bb.7:
	s_lshl_b64 s[10:11], s[12:13], 3
	s_add_u32 s8, s8, s10
	s_addc_u32 s9, s9, s11
	s_load_dwordx2 s[8:9], s[8:9], 0x0
	s_lshl_b64 s[4:5], s[4:5], 3
	s_waitcnt lgkmcnt(0)
	s_add_u32 s28, s8, s4
	s_addc_u32 s29, s9, s5
.LBB109_8:
	s_load_dwordx4 s[24:27], s[0:1], 0x0
	s_load_dword s20, s[0:1], 0x20
	s_lshl_b64 s[4:5], s[12:13], 3
	s_add_u32 s30, s6, s4
	s_addc_u32 s31, s7, s5
	s_waitcnt lgkmcnt(0)
	s_add_i32 s3, s24, -1
	s_ashr_i32 s4, s3, 31
	s_lshr_b32 s4, s4, 24
	s_add_i32 s3, s3, s4
	s_ashr_i32 s3, s3, 8
	s_add_i32 s4, s3, 1
	v_cvt_f32_u32_e32 v1, s4
	v_and_b32_e32 v152, 0x3ff, v0
	v_bfe_u32 v153, v0, 10, 10
	s_not_b32 s3, s3
	v_rcp_iflag_f32_e32 v1, v1
	v_lshl_add_u32 v11, v153, 5, v152
	v_and_b32_e32 v10, 63, v11
	v_lshrrev_b32_e32 v160, 6, v11
	v_mul_f32_e32 v0, 0x4f7ffffe, v1
	v_cvt_u32_f32_e32 v0, v0
	v_cmp_le_i32_e32 vcc, s26, v160
	v_readfirstlane_b32 s5, v0
	s_mul_i32 s3, s3, s5
	s_mul_hi_u32 s3, s5, s3
	s_add_i32 s5, s5, s3
	s_mul_hi_u32 s3, s2, s5
	s_mul_i32 s5, s3, s4
	s_sub_i32 s5, s2, s5
	s_add_i32 s6, s3, 1
	s_sub_i32 s7, s5, s4
	s_cmp_ge_u32 s5, s4
	s_cselect_b32 s3, s6, s3
	s_cselect_b32 s5, s7, s5
	s_add_i32 s6, s3, 1
	s_cmp_ge_u32 s5, s4
	s_cselect_b32 s12, s6, s3
	s_mul_i32 s3, s12, s4
	s_sub_i32 s2, s2, s3
	s_lshl_b32 s27, s2, 8
	v_or_b32_e32 v100, s27, v10
	v_mad_i64_i32 v[0:1], s[2:3], s20, v160, 0
	v_lshl_add_u64 v[8:9], v[0:1], 3, s[16:17]
	v_cmp_le_i32_e64 s[2:3], s24, v100
	v_mov_b32_e32 v0, -1
	v_mov_b32_e32 v1, 0x7fefffff
	s_nor_b64 s[6:7], s[2:3], vcc
	v_ashrrev_i32_e32 v101, 31, v100
	v_mov_b64_e32 v[2:3], v[0:1]
	s_and_saveexec_b64 s[4:5], s[6:7]
	s_cbranch_execz .LBB109_10
; %bb.9:
	v_lshl_add_u64 v[2:3], v[100:101], 3, v[8:9]
	flat_load_dwordx2 v[2:3], v[2:3]
.LBB109_10:
	s_or_b64 exec, exec, s[4:5]
	v_or_b32_e32 v4, 64, v100
	v_cmp_le_i32_e64 s[4:5], s24, v4
	s_nor_b64 s[8:9], s[4:5], vcc
	s_and_saveexec_b64 s[6:7], s[8:9]
	s_cbranch_execz .LBB109_12
; %bb.11:
	v_lshl_add_u64 v[0:1], v[100:101], 3, v[8:9]
	flat_load_dwordx2 v[0:1], v[0:1] offset:512
.LBB109_12:
	s_or_b64 exec, exec, s[6:7]
	v_or_b32_e32 v4, 0x80, v100
	v_cmp_le_i32_e64 s[6:7], s24, v4
	v_mov_b32_e32 v4, -1
	v_mov_b32_e32 v5, 0x7fefffff
	s_ashr_i32 s21, s20, 31
	s_nor_b64 s[10:11], s[6:7], vcc
	v_mov_b64_e32 v[6:7], v[4:5]
	s_and_saveexec_b64 s[8:9], s[10:11]
	s_cbranch_execz .LBB109_14
; %bb.13:
	v_lshl_add_u64 v[6:7], v[100:101], 3, v[8:9]
	flat_load_dwordx2 v[6:7], v[6:7] offset:1024
.LBB109_14:
	s_or_b64 exec, exec, s[8:9]
	v_or_b32_e32 v12, 0xc0, v100
	v_cmp_le_i32_e64 s[8:9], s24, v12
	s_nor_b64 s[34:35], s[8:9], vcc
	s_and_saveexec_b64 s[10:11], s[34:35]
	s_cbranch_execz .LBB109_16
; %bb.15:
	v_lshl_add_u64 v[4:5], v[100:101], 3, v[8:9]
	flat_load_dwordx2 v[4:5], v[4:5] offset:1536
.LBB109_16:
	s_or_b64 exec, exec, s[10:11]
	s_load_dword s34, s[0:1], 0x38
	v_lshrrev_b32_e32 v11, 2, v11
	s_lshl_b32 s33, s12, 6
	v_and_b32_e32 v165, 3, v152
	v_add_u32_e32 v114, s33, v11
	v_cmp_gt_i32_e64 s[10:11], s26, v165
	v_cmp_gt_i32_e64 s[12:13], s25, v114
	v_mov_b32_e32 v106, -1
	v_mov_b32_e32 v107, 0x7fefffff
	v_cmp_le_i32_e32 vcc, s25, v114
	s_and_b64 s[12:13], s[10:11], s[12:13]
	v_lshlrev_b32_e32 v102, 3, v165
	v_mov_b64_e32 v[12:13], v[106:107]
	s_and_saveexec_b64 s[10:11], s[12:13]
	s_cbranch_execz .LBB109_18
; %bb.17:
	s_waitcnt lgkmcnt(0)
	v_mad_i64_i32 v[8:9], s[12:13], v114, s34, 0
	v_lshl_add_u64 v[8:9], v[8:9], 3, s[18:19]
	v_mov_b32_e32 v103, 0
	v_lshl_add_u64 v[8:9], v[8:9], 0, v[102:103]
	flat_load_dwordx2 v[12:13], v[8:9]
.LBB109_18:
	s_or_b64 exec, exec, s[10:11]
	v_add_u32_e32 v8, 4, v160
	v_cmp_le_i32_e64 s[10:11], s26, v8
	v_mad_i64_i32 v[8:9], s[12:13], s20, v8, 0
	v_lshl_add_u64 v[8:9], v[8:9], 3, s[16:17]
	s_nor_b64 s[36:37], s[2:3], s[10:11]
	s_and_saveexec_b64 s[12:13], s[36:37]
	s_cbranch_execz .LBB109_20
; %bb.19:
	v_lshl_add_u64 v[14:15], v[100:101], 3, v[8:9]
	flat_load_dwordx2 v[106:107], v[14:15]
.LBB109_20:
	s_or_b64 exec, exec, s[12:13]
	v_mov_b32_e32 v108, -1
	v_mov_b32_e32 v109, 0x7fefffff
	s_nor_b64 s[36:37], s[4:5], s[10:11]
	v_mov_b64_e32 v[110:111], v[108:109]
	s_and_saveexec_b64 s[12:13], s[36:37]
	s_cbranch_execz .LBB109_22
; %bb.21:
	v_lshl_add_u64 v[14:15], v[100:101], 3, v[8:9]
	flat_load_dwordx2 v[110:111], v[14:15] offset:512
.LBB109_22:
	s_or_b64 exec, exec, s[12:13]
	s_nor_b64 s[36:37], s[6:7], s[10:11]
	s_and_saveexec_b64 s[12:13], s[36:37]
	s_cbranch_execz .LBB109_24
; %bb.23:
	v_lshl_add_u64 v[14:15], v[100:101], 3, v[8:9]
	flat_load_dwordx2 v[108:109], v[14:15] offset:1024
.LBB109_24:
	s_or_b64 exec, exec, s[12:13]
	v_mov_b32_e32 v104, -1
	v_mov_b32_e32 v105, 0x7fefffff
	s_nor_b64 s[12:13], s[8:9], s[10:11]
	v_mov_b64_e32 v[112:113], v[104:105]
	s_and_saveexec_b64 s[10:11], s[12:13]
	s_cbranch_execz .LBB109_26
; %bb.25:
	v_lshl_add_u64 v[8:9], v[100:101], 3, v[8:9]
	flat_load_dwordx2 v[112:113], v[8:9] offset:1536
.LBB109_26:
	s_or_b64 exec, exec, s[10:11]
	v_or_b32_e32 v8, 4, v165
	v_cmp_gt_i32_e64 s[10:11], s26, v8
	s_xor_b64 s[12:13], vcc, -1
	s_and_b64 s[36:37], s[10:11], s[12:13]
	s_and_saveexec_b64 s[10:11], s[36:37]
	s_cbranch_execz .LBB109_28
; %bb.27:
	s_waitcnt lgkmcnt(0)
	v_mad_i64_i32 v[8:9], s[36:37], v114, s34, 0
	v_lshl_add_u64 v[8:9], v[8:9], 3, s[18:19]
	v_mov_b32_e32 v103, 0
	v_lshl_add_u64 v[8:9], v[8:9], 0, v[102:103]
	flat_load_dwordx2 v[104:105], v[8:9] offset:32
.LBB109_28:
	s_or_b64 exec, exec, s[10:11]
	v_lshlrev_b32_e32 v8, 5, v10
	v_lshl_add_u32 v169, v160, 3, v8
	v_lshl_or_b32 v103, v11, 5, v102
	v_lshlrev_b32_e32 v162, 5, v152
	s_load_dwordx2 s[10:11], s[30:31], 0x0
	s_waitcnt vmcnt(0) lgkmcnt(0)
	ds_write2st64_b64 v169, v[2:3], v[0:1] offset1:4
	ds_write2st64_b64 v169, v[6:7], v[4:5] offset0:8 offset1:12
	ds_write_b64 v103, v[12:13] offset:16384
	s_waitcnt lgkmcnt(0)
	s_barrier
	v_lshlrev_b32_e32 v161, 5, v153
	ds_read_b128 v[32:35], v162 offset:1024
	ds_read_b128 v[28:31], v162 offset:2048
	;; [unrolled: 1-line block ×12, first 2 shown]
	ds_read_b128 v[40:43], v162
	ds_read_b128 v[96:99], v161 offset:16384
	ds_read_b128 v[44:47], v161 offset:17920
	;; [unrolled: 1-line block ×5, first 2 shown]
	s_waitcnt lgkmcnt(5)
	v_add_f64 v[116:117], v[42:43], v[94:95]
	v_add_f64 v[118:119], v[40:41], v[92:93]
	s_mov_b32 s30, 0x7f800000
	v_cvt_f32_f64_e32 v118, v[118:119]
	v_cvt_f32_f64_e32 v116, v[116:117]
	v_min3_f32 v178, v118, v116, s30
	v_add_f64 v[116:117], v[34:35], v[94:95]
	v_add_f64 v[118:119], v[32:33], v[92:93]
	v_cvt_f32_f64_e32 v118, v[118:119]
	v_cvt_f32_f64_e32 v116, v[116:117]
	v_min3_f32 v179, v118, v116, s30
	v_add_f64 v[116:117], v[30:31], v[94:95]
	v_add_f64 v[118:119], v[28:29], v[92:93]
	;; [unrolled: 5-line block ×34, first 2 shown]
	v_cvt_f32_f64_e32 v118, v[118:119]
	v_cvt_f32_f64_e32 v116, v[116:117]
	v_min3_f32 v122, v118, v116, s30
	s_waitcnt lgkmcnt(3)
	v_add_f64 v[116:117], v[42:43], v[46:47]
	v_add_f64 v[118:119], v[40:41], v[44:45]
	v_cvt_f32_f64_e32 v118, v[118:119]
	v_cvt_f32_f64_e32 v116, v[116:117]
	v_min3_f32 v128, v118, v116, s30
	v_add_f64 v[116:117], v[34:35], v[46:47]
	v_add_f64 v[118:119], v[32:33], v[44:45]
	v_cvt_f32_f64_e32 v118, v[118:119]
	v_cvt_f32_f64_e32 v116, v[116:117]
	v_min3_f32 v125, v118, v116, s30
	;; [unrolled: 5-line block ×3, first 2 shown]
	v_add_f64 v[116:117], v[26:27], v[46:47]
	v_add_f64 v[118:119], v[24:25], v[44:45]
	v_cvt_f32_f64_e32 v118, v[118:119]
	v_cvt_f32_f64_e32 v116, v[116:117]
	v_add_f64 v[56:57], v[42:43], v[98:99]
	v_add_f64 v[58:59], v[40:41], v[96:97]
	v_min3_f32 v121, v118, v116, s30
	v_add_f64 v[116:117], v[22:23], v[46:47]
	v_add_f64 v[118:119], v[20:21], v[44:45]
	v_cvt_f32_f64_e32 v58, v[58:59]
	v_cvt_f32_f64_e32 v56, v[56:57]
	;; [unrolled: 1-line block ×4, first 2 shown]
	v_min3_f32 v115, v58, v56, s30
	ds_read_b128 v[56:59], v162 offset:1040
	v_add_f64 v[60:61], v[34:35], v[98:99]
	v_add_f64 v[62:63], v[32:33], v[96:97]
	v_min3_f32 v119, v118, v116, s30
	v_add_f64 v[116:117], v[18:19], v[46:47]
	v_add_f64 v[170:171], v[16:17], v[44:45]
	v_cvt_f32_f64_e32 v62, v[62:63]
	v_cvt_f32_f64_e32 v60, v[60:61]
	;; [unrolled: 1-line block ×4, first 2 shown]
	v_min3_f32 v168, v62, v60, s30
	ds_read_b128 v[60:63], v162 offset:2064
	v_add_f64 v[64:65], v[30:31], v[98:99]
	v_add_f64 v[66:67], v[28:29], v[96:97]
	v_add_f64 v[68:69], v[26:27], v[98:99]
	v_add_f64 v[70:71], v[24:25], v[96:97]
	v_add_f64 v[72:73], v[22:23], v[98:99]
	v_add_f64 v[74:75], v[20:21], v[96:97]
	v_add_f64 v[76:77], v[18:19], v[98:99]
	v_add_f64 v[78:79], v[16:17], v[96:97]
	v_add_f64 v[80:81], v[14:15], v[98:99]
	v_add_f64 v[82:83], v[12:13], v[96:97]
	v_add_f64 v[98:99], v[10:11], v[98:99]
	v_add_f64 v[96:97], v[8:9], v[96:97]
	v_add_f64 v[94:95], v[10:11], v[94:95]
	v_add_f64 v[92:93], v[8:9], v[92:93]
	v_add_f64 v[90:91], v[10:11], v[90:91]
	v_add_f64 v[88:89], v[8:9], v[88:89]
	v_add_f64 v[86:87], v[10:11], v[86:87]
	v_add_f64 v[84:85], v[8:9], v[84:85]
	v_add_f64 v[54:55], v[10:11], v[54:55]
	v_add_f64 v[52:53], v[8:9], v[52:53]
	v_add_f64 v[50:51], v[10:11], v[50:51]
	v_add_f64 v[48:49], v[8:9], v[48:49]
	v_min3_f32 v118, v118, v116, s30
	v_add_f64 v[116:117], v[14:15], v[46:47]
	v_add_f64 v[170:171], v[12:13], v[44:45]
	;; [unrolled: 1-line block ×4, first 2 shown]
	s_waitcnt lgkmcnt(4)
	v_add_f64 v[14:15], v[14:15], v[38:39]
	v_add_f64 v[12:13], v[12:13], v[36:37]
	;; [unrolled: 1-line block ×4, first 2 shown]
	v_cvt_f32_f64_e32 v66, v[66:67]
	v_cvt_f32_f64_e32 v64, v[64:65]
	;; [unrolled: 1-line block ×6, first 2 shown]
	s_waitcnt lgkmcnt(2)
	v_add_f64 v[10:11], v[2:3], v[6:7]
	v_add_f64 v[14:15], v[0:1], v[4:5]
	v_min3_f32 v172, v66, v64, s30
	ds_read_b128 v[64:67], v162 offset:3088
	v_cvt_f32_f64_e32 v170, v[170:171]
	v_cvt_f32_f64_e32 v116, v[116:117]
	;; [unrolled: 1-line block ×4, first 2 shown]
	v_min3_f32 v8, v8, v9, s30
	v_cvt_f32_f64_e32 v9, v[14:15]
	v_cvt_f32_f64_e32 v10, v[10:11]
	;; [unrolled: 1-line block ×4, first 2 shown]
	v_min3_f32 v117, v170, v116, s30
	v_min3_f32 v116, v44, v45, s30
	ds_read_b128 v[44:47], v161 offset:18192
	v_min3_f32 v224, v9, v10, v115
	s_waitcnt lgkmcnt(3)
	v_add_f64 v[10:11], v[58:59], v[6:7]
	v_add_f64 v[14:15], v[56:57], v[4:5]
	v_min3_f32 v173, v70, v68, s30
	ds_read_b128 v[68:71], v162 offset:4112
	v_cvt_f32_f64_e32 v9, v[14:15]
	v_cvt_f32_f64_e32 v10, v[10:11]
	;; [unrolled: 1-line block ×4, first 2 shown]
	v_min3_f32 v223, v9, v10, v168
	s_waitcnt lgkmcnt(3)
	v_add_f64 v[10:11], v[62:63], v[6:7]
	v_add_f64 v[14:15], v[60:61], v[4:5]
	v_min3_f32 v174, v74, v72, s30
	ds_read_b128 v[72:75], v162 offset:5136
	v_cvt_f32_f64_e32 v9, v[14:15]
	v_cvt_f32_f64_e32 v10, v[10:11]
	;; [unrolled: 1-line block ×6, first 2 shown]
	v_min3_f32 v222, v9, v10, v172
	s_waitcnt lgkmcnt(3)
	v_add_f64 v[10:11], v[66:67], v[6:7]
	v_add_f64 v[14:15], v[64:65], v[4:5]
	v_min3_f32 v175, v78, v76, s30
	ds_read_b128 v[76:79], v162 offset:6160
	v_min3_f32 v176, v82, v80, s30
	ds_read_b128 v[80:83], v162 offset:7184
	v_cvt_f32_f64_e32 v9, v[14:15]
	v_cvt_f32_f64_e32 v10, v[10:11]
	;; [unrolled: 1-line block ×4, first 2 shown]
	v_min3_f32 v221, v9, v10, v173
	s_waitcnt lgkmcnt(3)
	v_add_f64 v[10:11], v[70:71], v[6:7]
	v_add_f64 v[14:15], v[68:69], v[4:5]
	v_min3_f32 v177, v96, v97, s30
	ds_read_b128 v[96:99], v161 offset:16656
	v_cvt_f32_f64_e32 v9, v[14:15]
	v_cvt_f32_f64_e32 v10, v[10:11]
	v_min3_f32 v220, v9, v10, v174
	s_waitcnt lgkmcnt(3)
	v_add_f64 v[10:11], v[74:75], v[6:7]
	v_add_f64 v[14:15], v[72:73], v[4:5]
	v_cvt_f32_f64_e32 v9, v[14:15]
	v_cvt_f32_f64_e32 v10, v[10:11]
	v_min3_f32 v213, v9, v10, v175
	s_waitcnt lgkmcnt(2)
	v_add_f64 v[10:11], v[78:79], v[6:7]
	v_add_f64 v[14:15], v[76:77], v[4:5]
	s_waitcnt lgkmcnt(1)
	v_add_f64 v[6:7], v[82:83], v[6:7]
	v_add_f64 v[4:5], v[80:81], v[4:5]
	v_cvt_f32_f64_e32 v92, v[92:93]
	v_cvt_f32_f64_e32 v93, v[94:95]
	;; [unrolled: 1-line block ×4, first 2 shown]
	v_min3_f32 v151, v92, v93, s30
	ds_read_b128 v[92:95], v161 offset:16912
	v_min3_f32 v211, v4, v5, v177
	s_waitcnt lgkmcnt(1)
	v_add_f64 v[4:5], v[2:3], v[98:99]
	v_add_f64 v[6:7], v[0:1], v[96:97]
	v_cvt_f32_f64_e32 v6, v[6:7]
	v_cvt_f32_f64_e32 v4, v[4:5]
	v_min3_f32 v210, v6, v4, v178
	v_add_f64 v[4:5], v[58:59], v[98:99]
	v_add_f64 v[6:7], v[56:57], v[96:97]
	v_cvt_f32_f64_e32 v6, v[6:7]
	v_cvt_f32_f64_e32 v4, v[4:5]
	v_min3_f32 v209, v6, v4, v179
	;; [unrolled: 5-line block ×8, first 2 shown]
	s_waitcnt lgkmcnt(0)
	v_add_f64 v[4:5], v[2:3], v[94:95]
	v_add_f64 v[6:7], v[0:1], v[92:93]
	v_cvt_f32_f64_e32 v6, v[6:7]
	v_cvt_f32_f64_e32 v4, v[4:5]
	v_min3_f32 v202, v6, v4, v164
	v_add_f64 v[4:5], v[58:59], v[94:95]
	v_add_f64 v[6:7], v[56:57], v[92:93]
	v_cvt_f32_f64_e32 v6, v[6:7]
	v_cvt_f32_f64_e32 v4, v[4:5]
	v_min3_f32 v201, v6, v4, v159
	;; [unrolled: 5-line block ×4, first 2 shown]
	v_add_f64 v[4:5], v[70:71], v[94:95]
	v_add_f64 v[6:7], v[68:69], v[92:93]
	v_cvt_f32_f64_e32 v6, v[6:7]
	v_cvt_f32_f64_e32 v4, v[4:5]
	;; [unrolled: 1-line block ×4, first 2 shown]
	v_min3_f32 v198, v6, v4, v150
	v_add_f64 v[4:5], v[74:75], v[94:95]
	v_add_f64 v[6:7], v[72:73], v[92:93]
	v_min3_f32 v143, v88, v89, s30
	ds_read_b128 v[88:91], v161 offset:17168
	v_cvt_f32_f64_e32 v6, v[6:7]
	v_cvt_f32_f64_e32 v4, v[4:5]
	v_min3_f32 v197, v6, v4, v148
	v_add_f64 v[4:5], v[78:79], v[94:95]
	v_add_f64 v[6:7], v[76:77], v[92:93]
	v_cvt_f32_f64_e32 v6, v[6:7]
	v_cvt_f32_f64_e32 v4, v[4:5]
	v_min3_f32 v196, v6, v4, v146
	v_add_f64 v[4:5], v[82:83], v[94:95]
	v_add_f64 v[6:7], v[80:81], v[92:93]
	v_cvt_f32_f64_e32 v84, v[84:85]
	v_cvt_f32_f64_e32 v85, v[86:87]
	;; [unrolled: 1-line block ×4, first 2 shown]
	v_min3_f32 v135, v84, v85, s30
	ds_read_b128 v[84:87], v161 offset:17424
	v_min3_f32 v195, v6, v4, v143
	s_waitcnt lgkmcnt(1)
	v_add_f64 v[4:5], v[2:3], v[90:91]
	v_add_f64 v[6:7], v[0:1], v[88:89]
	v_cvt_f32_f64_e32 v6, v[6:7]
	v_cvt_f32_f64_e32 v4, v[4:5]
	v_min3_f32 v194, v6, v4, v154
	v_add_f64 v[4:5], v[58:59], v[90:91]
	v_add_f64 v[6:7], v[56:57], v[88:89]
	v_cvt_f32_f64_e32 v6, v[6:7]
	v_cvt_f32_f64_e32 v4, v[4:5]
	v_min3_f32 v193, v6, v4, v149
	;; [unrolled: 5-line block ×8, first 2 shown]
	s_waitcnt lgkmcnt(0)
	v_add_f64 v[4:5], v[2:3], v[86:87]
	v_add_f64 v[6:7], v[0:1], v[84:85]
	v_cvt_f32_f64_e32 v6, v[6:7]
	v_cvt_f32_f64_e32 v4, v[4:5]
	v_min3_f32 v186, v6, v4, v144
	v_add_f64 v[4:5], v[58:59], v[86:87]
	v_add_f64 v[6:7], v[56:57], v[84:85]
	v_cvt_f32_f64_e32 v6, v[6:7]
	v_cvt_f32_f64_e32 v4, v[4:5]
	v_min3_f32 v185, v6, v4, v141
	;; [unrolled: 5-line block ×4, first 2 shown]
	v_add_f64 v[4:5], v[70:71], v[86:87]
	v_add_f64 v[6:7], v[68:69], v[84:85]
	v_cvt_f32_f64_e32 v6, v[6:7]
	v_cvt_f32_f64_e32 v4, v[4:5]
	;; [unrolled: 1-line block ×4, first 2 shown]
	v_min3_f32 v182, v6, v4, v134
	v_add_f64 v[4:5], v[74:75], v[86:87]
	v_add_f64 v[6:7], v[72:73], v[84:85]
	v_min3_f32 v127, v52, v53, s30
	ds_read_b128 v[52:55], v161 offset:17680
	v_cvt_f32_f64_e32 v6, v[6:7]
	v_cvt_f32_f64_e32 v4, v[4:5]
	v_min3_f32 v181, v6, v4, v132
	v_add_f64 v[4:5], v[78:79], v[86:87]
	v_add_f64 v[6:7], v[76:77], v[84:85]
	v_cvt_f32_f64_e32 v6, v[6:7]
	v_cvt_f32_f64_e32 v4, v[4:5]
	v_min3_f32 v180, v6, v4, v130
	v_add_f64 v[4:5], v[82:83], v[86:87]
	v_add_f64 v[6:7], v[80:81], v[84:85]
	v_cvt_f32_f64_e32 v48, v[48:49]
	v_cvt_f32_f64_e32 v49, v[50:51]
	;; [unrolled: 1-line block ×4, first 2 shown]
	v_min3_f32 v120, v48, v49, s30
	ds_read_b128 v[48:51], v161 offset:17936
	v_min3_f32 v179, v6, v4, v127
	s_waitcnt lgkmcnt(1)
	v_add_f64 v[4:5], v[2:3], v[54:55]
	v_add_f64 v[6:7], v[0:1], v[52:53]
	v_cvt_f32_f64_e32 v6, v[6:7]
	v_cvt_f32_f64_e32 v4, v[4:5]
	v_min3_f32 v178, v6, v4, v136
	v_add_f64 v[4:5], v[58:59], v[54:55]
	v_add_f64 v[6:7], v[56:57], v[52:53]
	v_cvt_f32_f64_e32 v6, v[6:7]
	v_cvt_f32_f64_e32 v4, v[4:5]
	v_min3_f32 v177, v6, v4, v133
	v_add_f64 v[4:5], v[62:63], v[54:55]
	v_add_f64 v[6:7], v[60:61], v[52:53]
	v_cvt_f32_f64_e32 v9, v[14:15]
	v_cvt_f32_f64_e32 v10, v[10:11]
	;; [unrolled: 1-line block ×4, first 2 shown]
	v_min3_f32 v212, v9, v10, v176
	v_min3_f32 v176, v6, v4, v131
	v_add_f64 v[4:5], v[66:67], v[54:55]
	v_add_f64 v[6:7], v[64:65], v[52:53]
	v_cvt_f32_f64_e32 v6, v[6:7]
	v_cvt_f32_f64_e32 v4, v[4:5]
	v_min3_f32 v175, v6, v4, v129
	v_add_f64 v[4:5], v[70:71], v[54:55]
	v_add_f64 v[6:7], v[68:69], v[52:53]
	v_cvt_f32_f64_e32 v6, v[6:7]
	v_cvt_f32_f64_e32 v4, v[4:5]
	v_min3_f32 v174, v6, v4, v126
	v_add_f64 v[4:5], v[74:75], v[54:55]
	v_add_f64 v[6:7], v[72:73], v[52:53]
	v_cvt_f32_f64_e32 v6, v[6:7]
	v_cvt_f32_f64_e32 v4, v[4:5]
	v_min3_f32 v173, v6, v4, v124
	v_add_f64 v[4:5], v[78:79], v[54:55]
	v_add_f64 v[6:7], v[76:77], v[52:53]
	v_cvt_f32_f64_e32 v6, v[6:7]
	v_cvt_f32_f64_e32 v4, v[4:5]
	v_min3_f32 v172, v6, v4, v122
	v_add_f64 v[4:5], v[82:83], v[54:55]
	v_add_f64 v[6:7], v[80:81], v[52:53]
	;; [unrolled: 1-line block ×4, first 2 shown]
	v_cvt_f32_f64_e32 v6, v[6:7]
	v_cvt_f32_f64_e32 v4, v[4:5]
	;; [unrolled: 1-line block ×4, first 2 shown]
	v_min3_f32 v171, v6, v4, v120
	s_waitcnt lgkmcnt(0)
	v_add_f64 v[4:5], v[2:3], v[50:51]
	v_add_f64 v[6:7], v[0:1], v[48:49]
	;; [unrolled: 1-line block ×4, first 2 shown]
	v_min3_f32 v40, v40, v41, s30
	v_add_f64 v[34:35], v[34:35], v[38:39]
	v_add_f64 v[32:33], v[32:33], v[36:37]
	v_cvt_f32_f64_e32 v6, v[6:7]
	v_cvt_f32_f64_e32 v4, v[4:5]
	v_cvt_f32_f64_e32 v0, v[0:1]
	v_cvt_f32_f64_e32 v1, v[2:3]
	v_cvt_f32_f64_e32 v32, v[32:33]
	v_cvt_f32_f64_e32 v33, v[34:35]
	v_min3_f32 v170, v6, v4, v128
	v_add_f64 v[4:5], v[58:59], v[50:51]
	v_add_f64 v[6:7], v[56:57], v[48:49]
	v_min3_f32 v157, v0, v1, v40
	v_add_f64 v[0:1], v[58:59], v[46:47]
	v_add_f64 v[2:3], v[56:57], v[44:45]
	v_min3_f32 v32, v32, v33, s30
	v_add_f64 v[30:31], v[30:31], v[38:39]
	v_add_f64 v[28:29], v[28:29], v[36:37]
	v_cvt_f32_f64_e32 v6, v[6:7]
	v_cvt_f32_f64_e32 v4, v[4:5]
	v_cvt_f32_f64_e32 v2, v[2:3]
	v_cvt_f32_f64_e32 v0, v[0:1]
	v_cvt_f32_f64_e32 v28, v[28:29]
	v_cvt_f32_f64_e32 v29, v[30:31]
	v_min3_f32 v168, v6, v4, v125
	v_add_f64 v[4:5], v[62:63], v[50:51]
	v_add_f64 v[6:7], v[60:61], v[48:49]
	v_min3_f32 v156, v2, v0, v32
	v_add_f64 v[0:1], v[62:63], v[46:47]
	v_add_f64 v[2:3], v[60:61], v[44:45]
	;; [unrolled: 15-line block ×5, first 2 shown]
	v_min3_f32 v16, v16, v17, s30
	v_cvt_f32_f64_e32 v6, v[6:7]
	v_cvt_f32_f64_e32 v4, v[4:5]
	;; [unrolled: 1-line block ×4, first 2 shown]
	v_min3_f32 v163, v6, v4, v118
	v_add_f64 v[4:5], v[78:79], v[50:51]
	v_add_f64 v[6:7], v[76:77], v[48:49]
	v_min3_f32 v150, v2, v0, v16
	v_add_f64 v[0:1], v[78:79], v[46:47]
	v_add_f64 v[2:3], v[76:77], v[44:45]
	v_min3_f32 v12, v12, v13, s30
	v_cvt_f32_f64_e32 v6, v[6:7]
	v_cvt_f32_f64_e32 v4, v[4:5]
	;; [unrolled: 1-line block ×4, first 2 shown]
	v_min3_f32 v159, v6, v4, v117
	v_add_f64 v[4:5], v[82:83], v[50:51]
	v_add_f64 v[6:7], v[80:81], v[48:49]
	v_min3_f32 v149, v2, v0, v12
	v_add_f64 v[0:1], v[82:83], v[46:47]
	v_add_f64 v[2:3], v[80:81], v[44:45]
	v_cvt_f32_f64_e32 v6, v[6:7]
	v_cvt_f32_f64_e32 v4, v[4:5]
	;; [unrolled: 1-line block ×4, first 2 shown]
	v_min3_f32 v158, v6, v4, v116
	v_min3_f32 v148, v2, v0, v8
	s_cmp_lt_i32 s26, 9
	ds_write2st64_b64 v169, v[106:107], v[110:111] offset0:16 offset1:20
	ds_write2st64_b64 v169, v[108:109], v[112:113] offset0:24 offset1:28
	ds_write_b64 v103, v[104:105] offset:18432
	s_waitcnt lgkmcnt(0)
	s_barrier
	s_cbranch_scc1 .LBB109_51
; %bb.29:
	v_mov_b32_e32 v0, 0x2000
	v_add_u32_e32 v214, 0x4000, v103
	v_add_u32_e32 v217, 0x4800, v103
	v_lshl_add_u32 v218, v152, 5, v0
	v_mad_i64_i32 v[0:1], s[34:35], s34, v114, 0
	v_mov_b32_e32 v103, 0
	v_lshl_add_u64 v[0:1], v[0:1], 3, v[102:103]
	v_lshl_add_u64 v[0:1], s[18:19], 0, v[0:1]
	s_mov_b64 s[18:19], 0x60
	v_lshl_add_u64 v[128:129], v[0:1], 0, s[18:19]
	v_add_u32_e32 v0, v161, v152
	v_lshrrev_b32_e32 v2, 6, v0
	v_add_u32_e32 v0, 8, v2
	v_mad_i64_i32 v[0:1], s[18:19], v0, s20, 0
	v_lshlrev_b64 v[130:131], 3, v[0:1]
	v_add_u32_e32 v0, 12, v2
	v_mad_i64_i32 v[0:1], s[18:19], v0, s20, 0
	v_add_u32_e32 v215, 0x4000, v161
	v_add_u32_e32 v216, 0x2000, v169
	s_add_i32 s30, s26, -8
	v_add_u32_e32 v219, 0x4800, v161
	v_lshl_add_u64 v[132:133], v[100:101], 3, s[16:17]
	s_lshl_b64 s[16:17], s[20:21], 6
	v_lshlrev_b64 v[134:135], 3, v[0:1]
	s_mov_b32 s20, 0
	v_mov_b32_e32 v136, -1
	v_mov_b32_e32 v137, 0x7fefffff
	s_branch .LBB109_31
.LBB109_30:                             ;   in Loop: Header=BB109_31 Depth=1
	s_or_b64 exec, exec, s[18:19]
	v_add_f64 v[146:147], v[98:99], v[126:127]
	v_add_f64 v[228:229], v[96:97], v[124:125]
	v_cvt_f32_f64_e32 v225, v[228:229]
	v_cvt_f32_f64_e32 v146, v[146:147]
	v_min3_f32 v228, v225, v146, v224
	v_add_f64 v[146:147], v[94:95], v[126:127]
	v_add_f64 v[224:225], v[92:93], v[124:125]
	v_cvt_f32_f64_e32 v224, v[224:225]
	v_cvt_f32_f64_e32 v146, v[146:147]
	v_min3_f32 v229, v224, v146, v223
	;; [unrolled: 5-line block ×6, first 2 shown]
	v_add_f64 v[146:147], v[70:71], v[126:127]
	v_add_f64 v[220:221], v[68:69], v[124:125]
	;; [unrolled: 1-line block ×4, first 2 shown]
	v_cvt_f32_f64_e32 v124, v[124:125]
	v_cvt_f32_f64_e32 v125, v[126:127]
	;; [unrolled: 1-line block ×3, first 2 shown]
	v_min3_f32 v147, v124, v125, v211
	v_add_f64 v[124:125], v[98:99], v[122:123]
	v_add_f64 v[126:127], v[96:97], v[120:121]
	v_cvt_f32_f64_e32 v126, v[126:127]
	v_cvt_f32_f64_e32 v124, v[124:125]
	v_min3_f32 v210, v126, v124, v210
	v_add_f64 v[124:125], v[94:95], v[122:123]
	v_add_f64 v[126:127], v[92:93], v[120:121]
	v_cvt_f32_f64_e32 v126, v[126:127]
	v_cvt_f32_f64_e32 v124, v[124:125]
	;; [unrolled: 5-line block ×6, first 2 shown]
	v_min3_f32 v205, v126, v124, v205
	v_add_f64 v[124:125], v[70:71], v[122:123]
	v_add_f64 v[126:127], v[68:69], v[120:121]
	;; [unrolled: 1-line block ×4, first 2 shown]
	v_cvt_f32_f64_e32 v120, v[120:121]
	v_cvt_f32_f64_e32 v121, v[122:123]
	;; [unrolled: 1-line block ×3, first 2 shown]
	v_min3_f32 v125, v120, v121, v203
	v_add_f64 v[120:121], v[98:99], v[118:119]
	v_add_f64 v[122:123], v[96:97], v[116:117]
	v_cvt_f32_f64_e32 v126, v[126:127]
	v_cvt_f32_f64_e32 v122, v[122:123]
	;; [unrolled: 1-line block ×3, first 2 shown]
	v_min3_f32 v124, v126, v124, v204
	v_min3_f32 v126, v122, v120, v202
	v_add_f64 v[120:121], v[94:95], v[118:119]
	v_add_f64 v[122:123], v[92:93], v[116:117]
	v_cvt_f32_f64_e32 v122, v[122:123]
	v_cvt_f32_f64_e32 v120, v[120:121]
	v_min3_f32 v127, v122, v120, v201
	v_add_f64 v[120:121], v[90:91], v[118:119]
	v_add_f64 v[122:123], v[88:89], v[116:117]
	v_cvt_f32_f64_e32 v122, v[122:123]
	v_cvt_f32_f64_e32 v120, v[120:121]
	v_min3_f32 v200, v122, v120, v200
	v_add_f64 v[120:121], v[82:83], v[118:119]
	v_add_f64 v[122:123], v[80:81], v[116:117]
	v_cvt_f32_f64_e32 v122, v[122:123]
	v_cvt_f32_f64_e32 v120, v[120:121]
	v_min3_f32 v199, v122, v120, v199
	v_add_f64 v[120:121], v[78:79], v[118:119]
	v_add_f64 v[122:123], v[76:77], v[116:117]
	v_cvt_f32_f64_e32 v122, v[122:123]
	v_cvt_f32_f64_e32 v120, v[120:121]
	v_min3_f32 v198, v122, v120, v198
	v_add_f64 v[120:121], v[74:75], v[118:119]
	v_add_f64 v[122:123], v[72:73], v[116:117]
	v_cvt_f32_f64_e32 v122, v[122:123]
	v_cvt_f32_f64_e32 v120, v[120:121]
	v_min3_f32 v197, v122, v120, v197
	v_add_f64 v[120:121], v[70:71], v[118:119]
	v_add_f64 v[122:123], v[68:69], v[116:117]
	;; [unrolled: 1-line block ×4, first 2 shown]
	v_cvt_f32_f64_e32 v116, v[116:117]
	v_cvt_f32_f64_e32 v117, v[118:119]
	;; [unrolled: 1-line block ×3, first 2 shown]
	v_min3_f32 v121, v116, v117, v195
	v_add_f64 v[116:117], v[98:99], v[114:115]
	v_add_f64 v[118:119], v[96:97], v[112:113]
	v_cvt_f32_f64_e32 v122, v[122:123]
	v_cvt_f32_f64_e32 v118, v[118:119]
	;; [unrolled: 1-line block ×3, first 2 shown]
	v_min3_f32 v120, v122, v120, v196
	v_min3_f32 v122, v118, v116, v194
	v_add_f64 v[116:117], v[94:95], v[114:115]
	v_add_f64 v[118:119], v[92:93], v[112:113]
	v_cvt_f32_f64_e32 v118, v[118:119]
	v_cvt_f32_f64_e32 v116, v[116:117]
	v_min3_f32 v123, v118, v116, v193
	v_add_f64 v[116:117], v[90:91], v[114:115]
	v_add_f64 v[118:119], v[88:89], v[112:113]
	v_cvt_f32_f64_e32 v118, v[118:119]
	v_cvt_f32_f64_e32 v116, v[116:117]
	v_min3_f32 v192, v118, v116, v192
	v_add_f64 v[116:117], v[82:83], v[114:115]
	v_add_f64 v[118:119], v[80:81], v[112:113]
	v_cvt_f32_f64_e32 v118, v[118:119]
	v_cvt_f32_f64_e32 v116, v[116:117]
	v_min3_f32 v191, v118, v116, v191
	v_add_f64 v[116:117], v[78:79], v[114:115]
	v_add_f64 v[118:119], v[76:77], v[112:113]
	v_cvt_f32_f64_e32 v118, v[118:119]
	v_cvt_f32_f64_e32 v116, v[116:117]
	v_min3_f32 v190, v118, v116, v190
	v_add_f64 v[116:117], v[74:75], v[114:115]
	v_add_f64 v[118:119], v[72:73], v[112:113]
	v_cvt_f32_f64_e32 v118, v[118:119]
	v_cvt_f32_f64_e32 v116, v[116:117]
	v_min3_f32 v189, v118, v116, v189
	v_add_f64 v[116:117], v[70:71], v[114:115]
	v_add_f64 v[118:119], v[68:69], v[112:113]
	v_add_f64 v[114:115], v[66:67], v[114:115]
	v_add_f64 v[112:113], v[64:65], v[112:113]
	v_cvt_f32_f64_e32 v112, v[112:113]
	v_cvt_f32_f64_e32 v113, v[114:115]
	v_min3_f32 v187, v112, v113, v187
	v_add_f64 v[112:113], v[98:99], v[110:111]
	v_add_f64 v[114:115], v[96:97], v[108:109]
	v_cvt_f32_f64_e32 v114, v[114:115]
	v_cvt_f32_f64_e32 v112, v[112:113]
	v_min3_f32 v186, v114, v112, v186
	v_add_f64 v[112:113], v[94:95], v[110:111]
	v_add_f64 v[114:115], v[92:93], v[108:109]
	v_cvt_f32_f64_e32 v114, v[114:115]
	v_cvt_f32_f64_e32 v112, v[112:113]
	v_min3_f32 v185, v114, v112, v185
	v_add_f64 v[112:113], v[90:91], v[110:111]
	v_add_f64 v[114:115], v[88:89], v[108:109]
	v_cvt_f32_f64_e32 v114, v[114:115]
	v_cvt_f32_f64_e32 v112, v[112:113]
	v_min3_f32 v184, v114, v112, v184
	v_add_f64 v[112:113], v[82:83], v[110:111]
	v_add_f64 v[114:115], v[80:81], v[108:109]
	v_cvt_f32_f64_e32 v114, v[114:115]
	v_cvt_f32_f64_e32 v112, v[112:113]
	v_min3_f32 v183, v114, v112, v183
	v_add_f64 v[112:113], v[78:79], v[110:111]
	v_add_f64 v[114:115], v[76:77], v[108:109]
	v_cvt_f32_f64_e32 v114, v[114:115]
	v_cvt_f32_f64_e32 v112, v[112:113]
	v_min3_f32 v182, v114, v112, v182
	v_add_f64 v[112:113], v[74:75], v[110:111]
	v_add_f64 v[114:115], v[72:73], v[108:109]
	v_cvt_f32_f64_e32 v114, v[114:115]
	v_cvt_f32_f64_e32 v112, v[112:113]
	v_min3_f32 v181, v114, v112, v181
	v_add_f64 v[112:113], v[70:71], v[110:111]
	v_add_f64 v[114:115], v[68:69], v[108:109]
	v_add_f64 v[110:111], v[66:67], v[110:111]
	v_add_f64 v[108:109], v[64:65], v[108:109]
	v_cvt_f32_f64_e32 v108, v[108:109]
	v_cvt_f32_f64_e32 v109, v[110:111]
	v_min3_f32 v179, v108, v109, v179
	v_add_f64 v[108:109], v[98:99], v[106:107]
	v_add_f64 v[110:111], v[96:97], v[104:105]
	v_cvt_f32_f64_e32 v110, v[110:111]
	v_cvt_f32_f64_e32 v108, v[108:109]
	;; [unrolled: 37-line block ×3, first 2 shown]
	v_min3_f32 v170, v106, v104, v170
	v_add_f64 v[104:105], v[94:95], v[102:103]
	v_add_f64 v[106:107], v[92:93], v[100:101]
	v_cvt_f32_f64_e32 v106, v[106:107]
	v_cvt_f32_f64_e32 v104, v[104:105]
	v_min3_f32 v168, v106, v104, v168
	v_add_f64 v[104:105], v[90:91], v[102:103]
	v_add_f64 v[106:107], v[88:89], v[100:101]
	v_cvt_f32_f64_e32 v106, v[106:107]
	v_cvt_f32_f64_e32 v104, v[104:105]
	;; [unrolled: 5-line block ×5, first 2 shown]
	v_min3_f32 v195, v106, v104, v163
	v_add_f64 v[104:105], v[70:71], v[102:103]
	v_add_f64 v[106:107], v[68:69], v[100:101]
	;; [unrolled: 1-line block ×8, first 2 shown]
	v_cvt_f32_f64_e32 v76, v[76:77]
	v_cvt_f32_f64_e32 v77, v[78:79]
	;; [unrolled: 1-line block ×4, first 2 shown]
	v_min3_f32 v76, v76, v77, v151
	v_min3_f32 v77, v64, v65, v148
	v_add_f64 v[64:65], v[34:35], v[62:63]
	v_add_f64 v[66:67], v[32:33], v[60:61]
	v_cvt_f32_f64_e32 v66, v[66:67]
	v_cvt_f32_f64_e32 v64, v[64:65]
	v_add_f64 v[70:71], v[70:71], v[86:87]
	v_add_f64 v[68:69], v[68:69], v[84:85]
	v_min3_f32 v202, v66, v64, v228
	v_add_f64 v[64:65], v[30:31], v[62:63]
	v_add_f64 v[66:67], v[28:29], v[60:61]
	;; [unrolled: 1-line block ×4, first 2 shown]
	v_cvt_f32_f64_e32 v68, v[68:69]
	v_cvt_f32_f64_e32 v69, v[70:71]
	;; [unrolled: 1-line block ×6, first 2 shown]
	v_min3_f32 v75, v68, v69, v149
	v_min3_f32 v64, v66, v64, v229
	v_add_f64 v[66:67], v[26:27], v[62:63]
	v_add_f64 v[68:69], v[24:25], v[60:61]
	v_cvt_f32_f64_e32 v65, v[68:69]
	v_cvt_f32_f64_e32 v66, v[66:67]
	v_min3_f32 v65, v65, v66, v224
	v_add_f64 v[66:67], v[18:19], v[62:63]
	v_add_f64 v[68:69], v[16:17], v[60:61]
	v_cvt_f32_f64_e32 v68, v[68:69]
	v_cvt_f32_f64_e32 v66, v[66:67]
	;; [unrolled: 5-line block ×4, first 2 shown]
	v_min3_f32 v74, v72, v73, v150
	v_min3_f32 v68, v70, v68, v213
	v_add_f64 v[70:71], v[6:7], v[62:63]
	v_add_f64 v[72:73], v[4:5], v[60:61]
	v_add_f64 v[62:63], v[2:3], v[62:63]
	v_add_f64 v[60:61], v[0:1], v[60:61]
	v_cvt_f32_f64_e32 v100, v[100:101]
	v_cvt_f32_f64_e32 v101, v[102:103]
	v_cvt_f32_f64_e32 v60, v[60:61]
	v_cvt_f32_f64_e32 v61, v[62:63]
	v_min3_f32 v201, v100, v101, v158
	v_min3_f32 v100, v60, v61, v147
	v_add_f64 v[60:61], v[34:35], v[58:59]
	v_add_f64 v[62:63], v[32:33], v[56:57]
	v_cvt_f32_f64_e32 v62, v[62:63]
	v_cvt_f32_f64_e32 v60, v[60:61]
	v_min3_f32 v101, v62, v60, v210
	v_add_f64 v[60:61], v[30:31], v[58:59]
	v_add_f64 v[62:63], v[28:29], v[56:57]
	v_cvt_f32_f64_e32 v62, v[62:63]
	v_cvt_f32_f64_e32 v60, v[60:61]
	v_min3_f32 v102, v62, v60, v209
	v_add_f64 v[60:61], v[26:27], v[58:59]
	v_add_f64 v[62:63], v[24:25], v[56:57]
	v_cvt_f32_f64_e32 v62, v[62:63]
	v_cvt_f32_f64_e32 v60, v[60:61]
	v_min3_f32 v103, v62, v60, v208
	v_add_f64 v[60:61], v[18:19], v[58:59]
	v_add_f64 v[62:63], v[16:17], v[56:57]
	v_cvt_f32_f64_e32 v106, v[106:107]
	v_cvt_f32_f64_e32 v104, v[104:105]
	v_cvt_f32_f64_e32 v62, v[62:63]
	v_cvt_f32_f64_e32 v60, v[60:61]
	v_min3_f32 v196, v106, v104, v159
	v_min3_f32 v104, v62, v60, v207
	v_add_f64 v[60:61], v[14:15], v[58:59]
	v_add_f64 v[62:63], v[12:13], v[56:57]
	v_cvt_f32_f64_e32 v62, v[62:63]
	v_cvt_f32_f64_e32 v60, v[60:61]
	v_min3_f32 v105, v62, v60, v206
	v_add_f64 v[60:61], v[10:11], v[58:59]
	v_add_f64 v[62:63], v[8:9], v[56:57]
	v_cvt_f32_f64_e32 v62, v[62:63]
	v_cvt_f32_f64_e32 v60, v[60:61]
	v_min3_f32 v106, v62, v60, v205
	v_add_f64 v[60:61], v[6:7], v[58:59]
	v_add_f64 v[62:63], v[4:5], v[56:57]
	v_add_f64 v[58:59], v[2:3], v[58:59]
	v_add_f64 v[56:57], v[0:1], v[56:57]
	v_cvt_f32_f64_e32 v110, v[110:111]
	v_cvt_f32_f64_e32 v108, v[108:109]
	v_cvt_f32_f64_e32 v56, v[56:57]
	v_cvt_f32_f64_e32 v57, v[58:59]
	v_min3_f32 v172, v110, v108, v172
	v_min3_f32 v108, v56, v57, v125
	v_add_f64 v[56:57], v[34:35], v[54:55]
	v_add_f64 v[58:59], v[32:33], v[52:53]
	v_cvt_f32_f64_e32 v58, v[58:59]
	v_cvt_f32_f64_e32 v56, v[56:57]
	v_min3_f32 v109, v58, v56, v126
	v_add_f64 v[56:57], v[30:31], v[54:55]
	v_add_f64 v[58:59], v[28:29], v[52:53]
	v_cvt_f32_f64_e32 v58, v[58:59]
	v_cvt_f32_f64_e32 v56, v[56:57]
	v_min3_f32 v110, v58, v56, v127
	v_add_f64 v[56:57], v[26:27], v[54:55]
	v_add_f64 v[58:59], v[24:25], v[52:53]
	v_cvt_f32_f64_e32 v58, v[58:59]
	v_cvt_f32_f64_e32 v56, v[56:57]
	v_min3_f32 v111, v58, v56, v200
	v_add_f64 v[56:57], v[18:19], v[54:55]
	v_add_f64 v[58:59], v[16:17], v[52:53]
	v_cvt_f32_f64_e32 v114, v[114:115]
	v_cvt_f32_f64_e32 v112, v[112:113]
	v_cvt_f32_f64_e32 v58, v[58:59]
	v_cvt_f32_f64_e32 v56, v[56:57]
	v_min3_f32 v180, v114, v112, v180
	v_min3_f32 v112, v58, v56, v199
	v_add_f64 v[56:57], v[14:15], v[54:55]
	v_add_f64 v[58:59], v[12:13], v[52:53]
	v_cvt_f32_f64_e32 v58, v[58:59]
	v_cvt_f32_f64_e32 v56, v[56:57]
	v_min3_f32 v113, v58, v56, v198
	v_add_f64 v[56:57], v[10:11], v[54:55]
	v_add_f64 v[58:59], v[8:9], v[52:53]
	v_cvt_f32_f64_e32 v58, v[58:59]
	v_cvt_f32_f64_e32 v56, v[56:57]
	;; [unrolled: 43-line block ×3, first 2 shown]
	v_min3_f32 v122, v54, v52, v189
	v_add_f64 v[52:53], v[6:7], v[50:51]
	v_add_f64 v[54:55], v[4:5], v[48:49]
	;; [unrolled: 1-line block ×4, first 2 shown]
	v_cvt_f32_f64_e32 v62, v[62:63]
	v_cvt_f32_f64_e32 v60, v[60:61]
	;; [unrolled: 1-line block ×4, first 2 shown]
	v_min3_f32 v107, v62, v60, v124
	v_min3_f32 v124, v48, v49, v187
	v_add_f64 v[48:49], v[34:35], v[46:47]
	v_add_f64 v[50:51], v[32:33], v[44:45]
	v_cvt_f32_f64_e32 v50, v[50:51]
	v_cvt_f32_f64_e32 v48, v[48:49]
	v_min3_f32 v125, v50, v48, v186
	v_add_f64 v[48:49], v[30:31], v[46:47]
	v_add_f64 v[50:51], v[28:29], v[44:45]
	v_cvt_f32_f64_e32 v50, v[50:51]
	v_cvt_f32_f64_e32 v48, v[48:49]
	;; [unrolled: 5-line block ×3, first 2 shown]
	v_cvt_f32_f64_e32 v220, v[220:221]
	v_min3_f32 v127, v50, v48, v184
	v_add_f64 v[48:49], v[18:19], v[46:47]
	v_add_f64 v[50:51], v[16:17], v[44:45]
	v_min3_f32 v146, v220, v146, v212
	v_cvt_f32_f64_e32 v69, v[72:73]
	v_cvt_f32_f64_e32 v70, v[70:71]
	;; [unrolled: 1-line block ×4, first 2 shown]
	v_min3_f32 v69, v69, v70, v146
	v_min3_f32 v146, v50, v48, v183
	v_add_f64 v[48:49], v[14:15], v[46:47]
	v_add_f64 v[50:51], v[12:13], v[44:45]
	v_cvt_f32_f64_e32 v50, v[50:51]
	v_cvt_f32_f64_e32 v48, v[48:49]
	v_min3_f32 v147, v50, v48, v182
	v_add_f64 v[48:49], v[10:11], v[46:47]
	v_add_f64 v[50:51], v[8:9], v[44:45]
	v_cvt_f32_f64_e32 v50, v[50:51]
	v_cvt_f32_f64_e32 v48, v[48:49]
	v_min3_f32 v148, v50, v48, v181
	v_add_f64 v[48:49], v[6:7], v[46:47]
	v_add_f64 v[50:51], v[4:5], v[44:45]
	;; [unrolled: 1-line block ×4, first 2 shown]
	v_cvt_f32_f64_e32 v44, v[44:45]
	v_cvt_f32_f64_e32 v45, v[46:47]
	v_min3_f32 v150, v44, v45, v179
	v_add_f64 v[44:45], v[34:35], v[42:43]
	v_add_f64 v[46:47], v[32:33], v[40:41]
	v_cvt_f32_f64_e32 v46, v[46:47]
	v_cvt_f32_f64_e32 v44, v[44:45]
	v_add_f64 v[82:83], v[82:83], v[86:87]
	v_add_f64 v[80:81], v[80:81], v[84:85]
	v_min3_f32 v151, v46, v44, v178
	v_add_f64 v[44:45], v[30:31], v[42:43]
	v_add_f64 v[46:47], v[28:29], v[40:41]
	v_cvt_f32_f64_e32 v80, v[80:81]
	v_cvt_f32_f64_e32 v81, v[82:83]
	v_cvt_f32_f64_e32 v46, v[46:47]
	v_cvt_f32_f64_e32 v44, v[44:45]
	v_add_f64 v[90:91], v[90:91], v[86:87]
	v_add_f64 v[88:89], v[88:89], v[84:85]
	v_min3_f32 v80, v80, v81, v154
	v_min3_f32 v154, v46, v44, v177
	v_add_f64 v[44:45], v[26:27], v[42:43]
	v_add_f64 v[46:47], v[24:25], v[40:41]
	v_cvt_f32_f64_e32 v88, v[88:89]
	v_cvt_f32_f64_e32 v89, v[90:91]
	v_cvt_f32_f64_e32 v46, v[46:47]
	v_cvt_f32_f64_e32 v44, v[44:45]
	v_add_f64 v[94:95], v[94:95], v[86:87]
	v_add_f64 v[92:93], v[92:93], v[84:85]
	v_min3_f32 v88, v88, v89, v155
	;; [unrolled: 10-line block ×3, first 2 shown]
	v_min3_f32 v156, v46, v44, v175
	v_add_f64 v[44:45], v[14:15], v[42:43]
	v_add_f64 v[46:47], v[12:13], v[40:41]
	v_cvt_f32_f64_e32 v96, v[96:97]
	v_cvt_f32_f64_e32 v97, v[98:99]
	;; [unrolled: 1-line block ×4, first 2 shown]
	v_min3_f32 v96, v96, v97, v157
	v_min3_f32 v157, v46, v44, v174
	v_add_f64 v[44:45], v[10:11], v[42:43]
	v_add_f64 v[46:47], v[8:9], v[40:41]
	v_cvt_f32_f64_e32 v46, v[46:47]
	v_cvt_f32_f64_e32 v44, v[44:45]
	v_min3_f32 v158, v46, v44, v173
	v_add_f64 v[44:45], v[6:7], v[42:43]
	v_add_f64 v[46:47], v[4:5], v[40:41]
	;; [unrolled: 1-line block ×4, first 2 shown]
	v_cvt_f32_f64_e32 v40, v[40:41]
	v_cvt_f32_f64_e32 v41, v[42:43]
	v_min3_f32 v163, v40, v41, v171
	v_add_f64 v[40:41], v[34:35], v[38:39]
	v_add_f64 v[42:43], v[32:33], v[36:37]
	v_cvt_f32_f64_e32 v42, v[42:43]
	v_cvt_f32_f64_e32 v40, v[40:41]
	v_min3_f32 v164, v42, v40, v170
	v_add_f64 v[40:41], v[30:31], v[38:39]
	v_add_f64 v[42:43], v[28:29], v[36:37]
	;; [unrolled: 5-line block ×7, first 2 shown]
	v_add_f64 v[38:39], v[2:3], v[38:39]
	v_add_f64 v[36:37], v[0:1], v[36:37]
	;; [unrolled: 1-line block ×18, first 2 shown]
	v_cvt_f32_f64_e32 v54, v[54:55]
	v_cvt_f32_f64_e32 v52, v[52:53]
	;; [unrolled: 1-line block ×24, first 2 shown]
	v_min3_f32 v123, v54, v52, v188
	v_min3_f32 v149, v50, v48, v180
	;; [unrolled: 1-line block ×12, first 2 shown]
	ds_read_b128 v[36:39], v162 offset:1024
	ds_read_b128 v[32:35], v162 offset:2048
	;; [unrolled: 1-line block ×12, first 2 shown]
	ds_read_b128 v[96:99], v215
	ds_read_b128 v[48:51], v162
	ds_read_b128 v[72:75], v215 offset:1536
	ds_read_b128 v[24:27], v215 offset:1792
	;; [unrolled: 1-line block ×4, first 2 shown]
	s_waitcnt lgkmcnt(0)
	v_add_f64 v[44:45], v[38:39], v[98:99]
	v_add_f64 v[46:47], v[36:37], v[96:97]
	;; [unrolled: 1-line block ×8, first 2 shown]
	v_cvt_f32_f64_e32 v46, v[46:47]
	v_cvt_f32_f64_e32 v44, v[44:45]
	v_cvt_f32_f64_e32 v54, v[54:55]
	v_cvt_f32_f64_e32 v52, v[52:53]
	v_cvt_f32_f64_e32 v58, v[58:59]
	v_cvt_f32_f64_e32 v56, v[56:57]
	v_cvt_f32_f64_e32 v62, v[62:63]
	v_cvt_f32_f64_e32 v60, v[60:61]
	v_cvt_f32_f64_e32 v42, v[42:43]
	v_cvt_f32_f64_e32 v40, v[40:41]
	v_min3_f32 v183, v46, v44, v64
	v_min3_f32 v188, v54, v52, v65
	;; [unrolled: 1-line block ×4, first 2 shown]
	v_add_f64 v[64:65], v[18:19], v[98:99]
	v_add_f64 v[66:67], v[16:17], v[96:97]
	v_min3_f32 v172, v42, v40, v196
	v_add_f64 v[40:41], v[50:51], v[98:99]
	v_add_f64 v[42:43], v[48:49], v[96:97]
	v_cvt_f32_f64_e32 v66, v[66:67]
	v_cvt_f32_f64_e32 v64, v[64:65]
	v_add_f64 v[70:71], v[14:15], v[98:99]
	v_add_f64 v[184:185], v[12:13], v[96:97]
	;; [unrolled: 1-line block ×4, first 2 shown]
	v_min3_f32 v191, v66, v64, v68
	v_cvt_f32_f64_e32 v68, v[184:185]
	v_cvt_f32_f64_e32 v96, v[96:97]
	;; [unrolled: 1-line block ×3, first 2 shown]
	v_add_f64 v[184:185], v[50:51], v[94:95]
	v_add_f64 v[186:187], v[48:49], v[92:93]
	v_min3_f32 v193, v96, v97, v100
	v_cvt_f32_f64_e32 v100, v[186:187]
	v_cvt_f32_f64_e32 v184, v[184:185]
	v_min3_f32 v186, v100, v184, v101
	v_add_f64 v[100:101], v[38:39], v[94:95]
	v_add_f64 v[184:185], v[36:37], v[92:93]
	v_cvt_f32_f64_e32 v184, v[184:185]
	v_cvt_f32_f64_e32 v100, v[100:101]
	v_min3_f32 v187, v184, v100, v102
	v_add_f64 v[100:101], v[34:35], v[94:95]
	v_add_f64 v[184:185], v[32:33], v[92:93]
	;; [unrolled: 5-line block ×39, first 2 shown]
	v_cvt_f32_f64_e32 v102, v[102:103]
	v_cvt_f32_f64_e32 v100, v[100:101]
	v_cvt_f32_f64_e32 v42, v[42:43]
	v_cvt_f32_f64_e32 v40, v[40:41]
	v_min3_f32 v228, v102, v100, v170
	v_add_f64 v[100:101], v[18:19], v[74:75]
	v_add_f64 v[102:103], v[16:17], v[72:73]
	v_min3_f32 v182, v42, v40, v202
	ds_read_b128 v[40:43], v162 offset:1040
	ds_read_b128 v[44:47], v162 offset:2064
	v_cvt_f32_f64_e32 v102, v[102:103]
	v_cvt_f32_f64_e32 v100, v[100:101]
	v_add_f64 v[94:95], v[10:11], v[94:95]
	v_add_f64 v[92:93], v[8:9], v[92:93]
	;; [unrolled: 1-line block ×10, first 2 shown]
	v_min3_f32 v229, v102, v100, v171
	v_add_f64 v[100:101], v[14:15], v[74:75]
	v_add_f64 v[102:103], v[12:13], v[72:73]
	;; [unrolled: 1-line block ×8, first 2 shown]
	v_cvt_f32_f64_e32 v12, v[12:13]
	v_cvt_f32_f64_e32 v13, v[14:15]
	;; [unrolled: 1-line block ×4, first 2 shown]
	v_min3_f32 v12, v12, v13, v180
	v_min3_f32 v13, v8, v9, v181
	v_add_f64 v[8:9], v[2:3], v[6:7]
	v_add_f64 v[10:11], v[0:1], v[4:5]
	ds_read_b128 v[52:55], v162 offset:3088
	ds_read_b128 v[56:59], v162 offset:4112
	v_cvt_f32_f64_e32 v10, v[10:11]
	v_cvt_f32_f64_e32 v8, v[8:9]
	v_min3_f32 v224, v10, v8, v182
	s_waitcnt lgkmcnt(0)
	v_add_f64 v[8:9], v[42:43], v[6:7]
	v_add_f64 v[10:11], v[40:41], v[4:5]
	v_cvt_f32_f64_e32 v10, v[10:11]
	v_cvt_f32_f64_e32 v8, v[8:9]
	v_min3_f32 v223, v10, v8, v183
	v_add_f64 v[8:9], v[46:47], v[6:7]
	v_add_f64 v[10:11], v[44:45], v[4:5]
	ds_read_b128 v[60:63], v162 offset:5136
	ds_read_b128 v[64:67], v162 offset:6160
	v_cvt_f32_f64_e32 v10, v[10:11]
	v_cvt_f32_f64_e32 v8, v[8:9]
	;; [unrolled: 1-line block ×3, first 2 shown]
	v_min3_f32 v222, v10, v8, v188
	v_add_f64 v[8:9], v[54:55], v[6:7]
	v_add_f64 v[10:11], v[52:53], v[4:5]
	v_min3_f32 v192, v68, v70, v69
	ds_read_b128 v[68:71], v162 offset:7184
	ds_read_b128 v[96:99], v215 offset:272
	v_cvt_f32_f64_e32 v10, v[10:11]
	v_cvt_f32_f64_e32 v8, v[8:9]
	v_min3_f32 v221, v10, v8, v189
	v_add_f64 v[8:9], v[58:59], v[6:7]
	v_add_f64 v[10:11], v[56:57], v[4:5]
	v_cvt_f32_f64_e32 v10, v[10:11]
	v_cvt_f32_f64_e32 v8, v[8:9]
	v_min3_f32 v220, v10, v8, v190
	s_waitcnt lgkmcnt(0)
	v_add_f64 v[8:9], v[62:63], v[6:7]
	v_add_f64 v[10:11], v[60:61], v[4:5]
	v_cvt_f32_f64_e32 v10, v[10:11]
	v_cvt_f32_f64_e32 v8, v[8:9]
	v_min3_f32 v213, v10, v8, v191
	v_add_f64 v[8:9], v[66:67], v[6:7]
	v_add_f64 v[10:11], v[64:65], v[4:5]
	;; [unrolled: 1-line block ×4, first 2 shown]
	v_cvt_f32_f64_e32 v4, v[4:5]
	v_cvt_f32_f64_e32 v5, v[6:7]
	v_min3_f32 v211, v4, v5, v193
	v_add_f64 v[4:5], v[2:3], v[98:99]
	v_add_f64 v[6:7], v[0:1], v[96:97]
	v_cvt_f32_f64_e32 v6, v[6:7]
	v_cvt_f32_f64_e32 v4, v[4:5]
	v_min3_f32 v210, v6, v4, v186
	v_add_f64 v[4:5], v[42:43], v[98:99]
	v_add_f64 v[6:7], v[40:41], v[96:97]
	;; [unrolled: 5-line block ×5, first 2 shown]
	v_cvt_f32_f64_e32 v6, v[6:7]
	v_cvt_f32_f64_e32 v4, v[4:5]
	;; [unrolled: 1-line block ×4, first 2 shown]
	v_min3_f32 v206, v6, v4, v105
	v_add_f64 v[4:5], v[62:63], v[98:99]
	v_add_f64 v[6:7], v[60:61], v[96:97]
	v_min3_f32 v108, v92, v93, v108
	ds_read_b128 v[92:95], v215 offset:528
	v_cvt_f32_f64_e32 v6, v[6:7]
	v_cvt_f32_f64_e32 v4, v[4:5]
	v_min3_f32 v205, v6, v4, v106
	v_add_f64 v[4:5], v[66:67], v[98:99]
	v_add_f64 v[6:7], v[64:65], v[96:97]
	v_cvt_f32_f64_e32 v6, v[6:7]
	v_cvt_f32_f64_e32 v4, v[4:5]
	v_min3_f32 v204, v6, v4, v107
	v_add_f64 v[4:5], v[70:71], v[98:99]
	v_add_f64 v[6:7], v[68:69], v[96:97]
	v_cvt_f32_f64_e32 v88, v[88:89]
	v_cvt_f32_f64_e32 v89, v[90:91]
	v_cvt_f32_f64_e32 v6, v[6:7]
	v_cvt_f32_f64_e32 v4, v[4:5]
	v_min3_f32 v116, v88, v89, v116
	ds_read_b128 v[88:91], v215 offset:784
	v_min3_f32 v203, v6, v4, v108
	s_waitcnt lgkmcnt(0)
	v_add_f64 v[4:5], v[2:3], v[94:95]
	v_add_f64 v[6:7], v[0:1], v[92:93]
	v_cvt_f32_f64_e32 v6, v[6:7]
	v_cvt_f32_f64_e32 v4, v[4:5]
	v_min3_f32 v202, v6, v4, v109
	v_add_f64 v[4:5], v[42:43], v[94:95]
	v_add_f64 v[6:7], v[40:41], v[92:93]
	v_cvt_f32_f64_e32 v6, v[6:7]
	v_cvt_f32_f64_e32 v4, v[4:5]
	v_min3_f32 v201, v6, v4, v110
	;; [unrolled: 5-line block ×10, first 2 shown]
	v_add_f64 v[4:5], v[46:47], v[90:91]
	v_add_f64 v[6:7], v[44:45], v[88:89]
	v_cvt_f32_f64_e32 v10, v[10:11]
	v_cvt_f32_f64_e32 v8, v[8:9]
	;; [unrolled: 1-line block ×4, first 2 shown]
	v_min3_f32 v212, v10, v8, v192
	v_min3_f32 v192, v6, v4, v119
	v_add_f64 v[4:5], v[54:55], v[90:91]
	v_add_f64 v[6:7], v[52:53], v[88:89]
	v_cvt_f32_f64_e32 v6, v[6:7]
	v_cvt_f32_f64_e32 v4, v[4:5]
	v_min3_f32 v191, v6, v4, v120
	v_add_f64 v[4:5], v[58:59], v[90:91]
	v_add_f64 v[6:7], v[56:57], v[88:89]
	v_cvt_f32_f64_e32 v6, v[6:7]
	v_cvt_f32_f64_e32 v4, v[4:5]
	;; [unrolled: 1-line block ×4, first 2 shown]
	v_min3_f32 v190, v6, v4, v121
	v_add_f64 v[4:5], v[62:63], v[90:91]
	v_add_f64 v[6:7], v[60:61], v[88:89]
	v_min3_f32 v124, v84, v85, v124
	ds_read_b128 v[84:87], v215 offset:1040
	v_cvt_f32_f64_e32 v6, v[6:7]
	v_cvt_f32_f64_e32 v4, v[4:5]
	v_min3_f32 v189, v6, v4, v122
	v_add_f64 v[4:5], v[66:67], v[90:91]
	v_add_f64 v[6:7], v[64:65], v[88:89]
	v_cvt_f32_f64_e32 v6, v[6:7]
	v_cvt_f32_f64_e32 v4, v[4:5]
	v_min3_f32 v188, v6, v4, v123
	v_add_f64 v[4:5], v[70:71], v[90:91]
	v_add_f64 v[6:7], v[68:69], v[88:89]
	v_cvt_f32_f64_e32 v80, v[80:81]
	v_cvt_f32_f64_e32 v81, v[82:83]
	;; [unrolled: 1-line block ×4, first 2 shown]
	v_min3_f32 v150, v80, v81, v150
	ds_read_b128 v[80:83], v215 offset:1296
	v_min3_f32 v187, v6, v4, v124
	s_waitcnt lgkmcnt(0)
	v_add_f64 v[4:5], v[2:3], v[86:87]
	v_add_f64 v[6:7], v[0:1], v[84:85]
	v_cvt_f32_f64_e32 v6, v[6:7]
	v_cvt_f32_f64_e32 v4, v[4:5]
	v_min3_f32 v186, v6, v4, v125
	v_add_f64 v[4:5], v[42:43], v[86:87]
	v_add_f64 v[6:7], v[40:41], v[84:85]
	v_cvt_f32_f64_e32 v6, v[6:7]
	v_cvt_f32_f64_e32 v4, v[4:5]
	v_min3_f32 v185, v6, v4, v126
	;; [unrolled: 5-line block ×6, first 2 shown]
	v_add_f64 v[4:5], v[66:67], v[86:87]
	v_add_f64 v[6:7], v[64:65], v[84:85]
	v_cvt_f32_f64_e32 v6, v[6:7]
	v_cvt_f32_f64_e32 v4, v[4:5]
	v_add_f64 v[18:19], v[18:19], v[26:27]
	v_add_f64 v[16:17], v[16:17], v[24:25]
	v_min3_f32 v180, v6, v4, v149
	v_add_f64 v[4:5], v[70:71], v[86:87]
	v_add_f64 v[6:7], v[68:69], v[84:85]
	v_cvt_f32_f64_e32 v16, v[16:17]
	v_cvt_f32_f64_e32 v17, v[18:19]
	v_cvt_f32_f64_e32 v6, v[6:7]
	v_cvt_f32_f64_e32 v4, v[4:5]
	v_add_f64 v[22:23], v[22:23], v[26:27]
	v_add_f64 v[20:21], v[20:21], v[24:25]
	v_min3_f32 v16, v16, v17, v179
	v_min3_f32 v179, v6, v4, v150
	v_add_f64 v[4:5], v[2:3], v[82:83]
	v_add_f64 v[6:7], v[0:1], v[80:81]
	v_cvt_f32_f64_e32 v20, v[20:21]
	v_cvt_f32_f64_e32 v21, v[22:23]
	v_cvt_f32_f64_e32 v6, v[6:7]
	v_cvt_f32_f64_e32 v4, v[4:5]
	v_add_f64 v[30:31], v[30:31], v[26:27]
	v_add_f64 v[28:29], v[28:29], v[24:25]
	v_min3_f32 v20, v20, v21, v178
	;; [unrolled: 10-line block ×5, first 2 shown]
	v_min3_f32 v175, v6, v4, v156
	v_add_f64 v[4:5], v[58:59], v[82:83]
	v_add_f64 v[6:7], v[56:57], v[80:81]
	v_cvt_f32_f64_e32 v48, v[48:49]
	v_cvt_f32_f64_e32 v49, v[50:51]
	;; [unrolled: 1-line block ×8, first 2 shown]
	v_min3_f32 v48, v48, v49, v174
	v_min3_f32 v174, v6, v4, v157
	v_add_f64 v[4:5], v[62:63], v[82:83]
	v_add_f64 v[6:7], v[60:61], v[80:81]
	v_min3_f32 v163, v76, v77, v163
	ds_read_b128 v[76:79], v215 offset:1552
	v_cvt_f32_f64_e32 v100, v[100:101]
	v_min3_f32 v101, v72, v73, v173
	ds_read_b128 v[72:75], v215 offset:1808
	v_cvt_f32_f64_e32 v6, v[6:7]
	v_cvt_f32_f64_e32 v4, v[4:5]
	v_min3_f32 v173, v6, v4, v158
	v_add_f64 v[4:5], v[66:67], v[82:83]
	v_add_f64 v[6:7], v[64:65], v[80:81]
	v_cvt_f32_f64_e32 v102, v[102:103]
	v_cvt_f32_f64_e32 v6, v[6:7]
	;; [unrolled: 1-line block ×3, first 2 shown]
	v_min3_f32 v100, v102, v100, v172
	v_min3_f32 v172, v6, v4, v159
	v_add_f64 v[4:5], v[70:71], v[82:83]
	v_add_f64 v[6:7], v[68:69], v[80:81]
	v_cvt_f32_f64_e32 v6, v[6:7]
	v_cvt_f32_f64_e32 v4, v[4:5]
	v_min3_f32 v171, v6, v4, v163
	s_waitcnt lgkmcnt(0)
	v_add_f64 v[4:5], v[2:3], v[78:79]
	v_add_f64 v[6:7], v[0:1], v[76:77]
	;; [unrolled: 1-line block ×4, first 2 shown]
	v_cvt_f32_f64_e32 v6, v[6:7]
	v_cvt_f32_f64_e32 v4, v[4:5]
	v_cvt_f32_f64_e32 v0, v[0:1]
	v_cvt_f32_f64_e32 v1, v[2:3]
	v_min3_f32 v170, v6, v4, v164
	v_add_f64 v[4:5], v[42:43], v[78:79]
	v_add_f64 v[6:7], v[40:41], v[76:77]
	v_min3_f32 v157, v0, v1, v48
	v_add_f64 v[0:1], v[42:43], v[74:75]
	v_add_f64 v[2:3], v[40:41], v[72:73]
	v_cvt_f32_f64_e32 v6, v[6:7]
	v_cvt_f32_f64_e32 v4, v[4:5]
	v_cvt_f32_f64_e32 v2, v[2:3]
	v_cvt_f32_f64_e32 v0, v[0:1]
	v_min3_f32 v168, v6, v4, v166
	v_add_f64 v[4:5], v[46:47], v[78:79]
	v_add_f64 v[6:7], v[44:45], v[76:77]
	v_min3_f32 v156, v2, v0, v36
	v_add_f64 v[0:1], v[46:47], v[74:75]
	v_add_f64 v[2:3], v[44:45], v[72:73]
	;; [unrolled: 10-line block ×7, first 2 shown]
	v_cvt_f32_f64_e32 v6, v[6:7]
	v_cvt_f32_f64_e32 v4, v[4:5]
	v_cvt_f32_f64_e32 v2, v[2:3]
	v_cvt_f32_f64_e32 v0, v[0:1]
	s_add_i32 s20, s20, 8
	v_min3_f32 v158, v6, v4, v101
	v_min3_f32 v148, v2, v0, v13
	v_lshl_add_u64 v[128:129], v[128:129], 0, 64
	s_cmp_ge_i32 s20, s30
	v_lshl_add_u64 v[132:133], v[132:133], 0, s[16:17]
	s_waitcnt vmcnt(0)
	ds_write2st64_b64 v216, v[138:139], v[140:141] offset1:4
	ds_write2st64_b64 v216, v[142:143], v[144:145] offset0:8 offset1:12
	ds_write_b64 v217, v[226:227]
	s_waitcnt lgkmcnt(0)
	s_barrier
	s_cbranch_scc1 .LBB109_51
.LBB109_31:                             ; =>This Inner Loop Header: Depth=1
	v_add_u32_e32 v146, s20, v160
	v_add_u32_e32 v0, 8, v146
	v_cmp_le_i32_e32 vcc, s26, v0
	s_nor_b64 s[34:35], s[2:3], vcc
	v_lshl_add_u64 v[0:1], v[132:133], 0, v[130:131]
	v_mov_b64_e32 v[138:139], v[136:137]
	s_and_saveexec_b64 s[18:19], s[34:35]
	s_cbranch_execz .LBB109_33
; %bb.32:                               ;   in Loop: Header=BB109_31 Depth=1
	flat_load_dwordx2 v[138:139], v[0:1]
.LBB109_33:                             ;   in Loop: Header=BB109_31 Depth=1
	s_or_b64 exec, exec, s[18:19]
	s_nor_b64 s[34:35], s[4:5], vcc
	v_mov_b64_e32 v[140:141], v[136:137]
	s_and_saveexec_b64 s[18:19], s[34:35]
	s_cbranch_execz .LBB109_35
; %bb.34:                               ;   in Loop: Header=BB109_31 Depth=1
	flat_load_dwordx2 v[140:141], v[0:1] offset:512
.LBB109_35:                             ;   in Loop: Header=BB109_31 Depth=1
	s_or_b64 exec, exec, s[18:19]
	s_nor_b64 s[34:35], s[6:7], vcc
	v_mov_b64_e32 v[142:143], v[136:137]
	s_and_saveexec_b64 s[18:19], s[34:35]
	s_cbranch_execz .LBB109_37
; %bb.36:                               ;   in Loop: Header=BB109_31 Depth=1
	flat_load_dwordx2 v[142:143], v[0:1] offset:1024
.LBB109_37:                             ;   in Loop: Header=BB109_31 Depth=1
	;; [unrolled: 8-line block ×3, first 2 shown]
	s_or_b64 exec, exec, s[18:19]
	v_add_u32_e32 v225, s20, v165
	v_add_u32_e32 v0, 8, v225
	v_cmp_gt_i32_e32 vcc, s26, v0
	s_and_b64 s[34:35], vcc, s[12:13]
	v_mov_b64_e32 v[226:227], v[136:137]
	s_and_saveexec_b64 s[18:19], s[34:35]
	s_cbranch_execz .LBB109_41
; %bb.40:                               ;   in Loop: Header=BB109_31 Depth=1
	v_add_co_u32_e32 v0, vcc, 0xffffffe0, v128
	s_nop 1
	v_addc_co_u32_e32 v1, vcc, -1, v129, vcc
	flat_load_dwordx2 v[226:227], v[0:1]
.LBB109_41:                             ;   in Loop: Header=BB109_31 Depth=1
	s_or_b64 exec, exec, s[18:19]
	ds_read_b128 v[124:127], v219
	ds_read_b128 v[60:63], v219 offset:16
	ds_read_b128 v[96:99], v218
	ds_read_b128 v[32:35], v218 offset:16
	ds_read_b128 v[92:95], v218 offset:1024
	;; [unrolled: 1-line block ×29, first 2 shown]
	s_waitcnt vmcnt(0) lgkmcnt(0)
	ds_write2st64_b64 v169, v[138:139], v[140:141] offset1:4
	ds_write2st64_b64 v169, v[142:143], v[144:145] offset0:8 offset1:12
	ds_write_b64 v214, v[226:227]
	v_add_u32_e32 v138, 12, v146
	v_cmp_le_i32_e32 vcc, s26, v138
	s_nor_b64 s[34:35], s[2:3], vcc
	v_lshl_add_u64 v[146:147], v[132:133], 0, v[134:135]
	v_mov_b64_e32 v[138:139], v[136:137]
	s_waitcnt lgkmcnt(0)
	s_barrier
	s_and_saveexec_b64 s[18:19], s[34:35]
	s_cbranch_execz .LBB109_43
; %bb.42:                               ;   in Loop: Header=BB109_31 Depth=1
	flat_load_dwordx2 v[138:139], v[146:147]
.LBB109_43:                             ;   in Loop: Header=BB109_31 Depth=1
	s_or_b64 exec, exec, s[18:19]
	s_nor_b64 s[34:35], s[4:5], vcc
	v_mov_b64_e32 v[140:141], v[136:137]
	s_and_saveexec_b64 s[18:19], s[34:35]
	s_cbranch_execz .LBB109_45
; %bb.44:                               ;   in Loop: Header=BB109_31 Depth=1
	flat_load_dwordx2 v[140:141], v[146:147] offset:512
.LBB109_45:                             ;   in Loop: Header=BB109_31 Depth=1
	s_or_b64 exec, exec, s[18:19]
	s_nor_b64 s[34:35], s[6:7], vcc
	v_mov_b64_e32 v[142:143], v[136:137]
	s_and_saveexec_b64 s[18:19], s[34:35]
	s_cbranch_execz .LBB109_47
; %bb.46:                               ;   in Loop: Header=BB109_31 Depth=1
	flat_load_dwordx2 v[142:143], v[146:147] offset:1024
.LBB109_47:                             ;   in Loop: Header=BB109_31 Depth=1
	;; [unrolled: 8-line block ×3, first 2 shown]
	s_or_b64 exec, exec, s[18:19]
	v_add_u32_e32 v146, 12, v225
	v_cmp_gt_i32_e32 vcc, s26, v146
	s_and_b64 s[34:35], vcc, s[12:13]
	v_mov_b64_e32 v[226:227], v[136:137]
	s_and_saveexec_b64 s[18:19], s[34:35]
	s_cbranch_execz .LBB109_30
; %bb.50:                               ;   in Loop: Header=BB109_31 Depth=1
	flat_load_dwordx2 v[226:227], v[128:129]
	s_branch .LBB109_30
.LBB109_51:
	s_load_dwordx2 s[2:3], s[0:1], 0x78
	s_load_dword s31, s[0:1], 0x58
	s_load_dword s30, s[0:1], 0x70
	ds_read_b128 v[68:71], v162 offset:8192
	ds_read_b128 v[64:67], v162 offset:8208
	ds_read_b128 v[124:127], v161 offset:18432
	ds_read_b128 v[120:123], v161 offset:18448
	ds_read_b128 v[60:63], v162 offset:9216
	ds_read_b128 v[56:59], v162 offset:9232
	ds_read_b128 v[52:55], v162 offset:10240
	ds_read_b128 v[48:51], v162 offset:10256
	ds_read_b128 v[44:47], v162 offset:11264
	ds_read_b128 v[40:43], v162 offset:11280
	ds_read_b128 v[36:39], v162 offset:12288
	ds_read_b128 v[32:35], v162 offset:12304
	ds_read_b128 v[28:31], v162 offset:13312
	ds_read_b128 v[24:27], v162 offset:13328
	ds_read_b128 v[20:23], v162 offset:14336
	ds_read_b128 v[16:19], v162 offset:14352
	ds_read_b128 v[4:7], v162 offset:15360
	ds_read_b128 v[0:3], v162 offset:15376
	ds_read_b128 v[116:119], v161 offset:18688
	ds_read_b128 v[112:115], v161 offset:18704
	ds_read_b128 v[108:111], v161 offset:18944
	ds_read_b128 v[104:107], v161 offset:18960
	ds_read_b128 v[100:103], v161 offset:19200
	ds_read_b128 v[96:99], v161 offset:19216
	ds_read_b128 v[92:95], v161 offset:19456
	ds_read_b128 v[88:91], v161 offset:19472
	ds_read_b128 v[84:87], v161 offset:19712
	ds_read_b128 v[80:83], v161 offset:19728
	ds_read_b128 v[76:79], v161 offset:19968
	ds_read_b128 v[72:75], v161 offset:19984
	ds_read_b128 v[12:15], v161 offset:20224
	ds_read_b128 v[8:11], v161 offset:20240
	s_waitcnt lgkmcnt(0)
	s_lshl_b64 s[0:1], s[2:3], 3
	s_add_u32 s20, s10, s0
	v_add_u32_e32 v128, s27, v152
	v_add_u32_e32 v152, s33, v153
	s_addc_u32 s21, s11, s1
	v_mad_i64_i32 v[130:131], s[0:1], v152, s31, 0
	v_lshl_add_u64 v[146:147], v[130:131], 3, s[28:29]
	v_mad_i64_i32 v[130:131], s[0:1], v152, s30, 0
	v_cmp_gt_i32_e64 s[2:3], s24, v128
	v_cmp_gt_i32_e64 s[18:19], s25, v152
	v_lshl_add_u64 v[144:145], v[130:131], 3, s[20:21]
	v_cndmask_b32_e64 v130, 0, 1, s[14:15]
	v_ashrrev_i32_e32 v129, 31, v128
	s_and_b64 s[6:7], s[2:3], s[18:19]
	v_cmp_ne_u32_e64 s[0:1], 1, v130
	s_and_saveexec_b64 s[4:5], s[6:7]
	s_cbranch_execz .LBB109_56
; %bb.52:
	s_and_b64 vcc, exec, s[0:1]
	s_cbranch_vccnz .LBB109_54
; %bb.53:
	v_lshl_add_u64 v[130:131], v[128:129], 3, v[146:147]
	flat_load_dwordx2 v[130:131], v[130:131]
	s_waitcnt vmcnt(0) lgkmcnt(0)
	v_mul_f64 v[130:131], s[22:23], v[130:131]
	v_cvt_f32_f64_e32 v130, v[130:131]
	s_branch .LBB109_55
.LBB109_54:
	v_mov_b32_e32 v130, 0
.LBB109_55:
	v_add_f64 v[132:133], v[70:71], v[126:127]
	v_add_f64 v[134:135], v[68:69], v[124:125]
	v_cvt_f32_f64_e32 v131, v[134:135]
	v_cvt_f32_f64_e32 v132, v[132:133]
	v_min3_f32 v131, v131, v132, v224
	v_add_f64 v[132:133], v[66:67], v[122:123]
	v_add_f64 v[134:135], v[64:65], v[120:121]
	v_cvt_f32_f64_e32 v134, v[134:135]
	v_cvt_f32_f64_e32 v132, v[132:133]
	v_min_f32_e32 v132, v134, v132
	v_min3_f32 v130, v130, v132, v131
	v_cvt_f64_f32_e32 v[130:131], v130
	v_lshl_add_u64 v[132:133], v[128:129], 3, v[144:145]
	flat_store_dwordx2 v[132:133], v[130:131]
.LBB109_56:
	s_or_b64 exec, exec, s[4:5]
	v_add_u32_e32 v130, 32, v128
	v_cmp_gt_i32_e64 s[4:5], s24, v130
	v_ashrrev_i32_e32 v131, 31, v130
	s_and_b64 s[8:9], s[4:5], s[18:19]
	s_and_saveexec_b64 s[6:7], s[8:9]
	s_cbranch_execz .LBB109_61
; %bb.57:
	s_and_b64 vcc, exec, s[0:1]
	s_cbranch_vccnz .LBB109_59
; %bb.58:
	v_lshl_add_u64 v[132:133], v[130:131], 3, v[146:147]
	flat_load_dwordx2 v[132:133], v[132:133]
	s_waitcnt vmcnt(0) lgkmcnt(0)
	v_mul_f64 v[132:133], s[22:23], v[132:133]
	v_cvt_f32_f64_e32 v132, v[132:133]
	s_branch .LBB109_60
.LBB109_59:
	v_mov_b32_e32 v132, 0
.LBB109_60:
	v_add_f64 v[134:135], v[62:63], v[126:127]
	v_add_f64 v[136:137], v[60:61], v[124:125]
	v_cvt_f32_f64_e32 v133, v[136:137]
	v_cvt_f32_f64_e32 v134, v[134:135]
	v_min3_f32 v133, v133, v134, v223
	v_add_f64 v[134:135], v[58:59], v[122:123]
	v_add_f64 v[136:137], v[56:57], v[120:121]
	v_cvt_f32_f64_e32 v136, v[136:137]
	v_cvt_f32_f64_e32 v134, v[134:135]
	v_min_f32_e32 v134, v136, v134
	v_min3_f32 v132, v132, v134, v133
	v_cvt_f64_f32_e32 v[132:133], v132
	v_lshl_add_u64 v[134:135], v[130:131], 3, v[144:145]
	flat_store_dwordx2 v[134:135], v[132:133]
.LBB109_61:
	s_or_b64 exec, exec, s[6:7]
	v_add_u32_e32 v132, 64, v128
	v_cmp_gt_i32_e64 s[6:7], s24, v132
	v_ashrrev_i32_e32 v133, 31, v132
	s_and_b64 s[10:11], s[6:7], s[18:19]
	;; [unrolled: 35-line block ×7, first 2 shown]
	s_and_saveexec_b64 s[18:19], s[26:27]
	s_cbranch_execz .LBB109_91
; %bb.87:
	s_and_b64 vcc, exec, s[0:1]
	s_cbranch_vccnz .LBB109_89
; %bb.88:
	v_lshl_add_u64 v[146:147], v[142:143], 3, v[146:147]
	flat_load_dwordx2 v[146:147], v[146:147]
	s_waitcnt vmcnt(0) lgkmcnt(0)
	v_mul_f64 v[146:147], s[22:23], v[146:147]
	v_cvt_f32_f64_e32 v146, v[146:147]
	s_branch .LBB109_90
.LBB109_89:
	v_mov_b32_e32 v146, 0
.LBB109_90:
	v_add_f64 v[126:127], v[6:7], v[126:127]
	v_add_f64 v[124:125], v[4:5], v[124:125]
	;; [unrolled: 1-line block ×4, first 2 shown]
	v_cvt_f32_f64_e32 v124, v[124:125]
	v_cvt_f32_f64_e32 v125, v[126:127]
	;; [unrolled: 1-line block ×4, first 2 shown]
	v_min3_f32 v124, v124, v125, v211
	v_min_f32_e32 v120, v120, v121
	v_min3_f32 v120, v146, v120, v124
	v_cvt_f64_f32_e32 v[120:121], v120
	v_lshl_add_u64 v[122:123], v[142:143], 3, v[144:145]
	flat_store_dwordx2 v[122:123], v[120:121]
.LBB109_91:
	s_or_b64 exec, exec, s[18:19]
	v_add_u32_e32 v124, 8, v152
	v_mad_i64_i32 v[120:121], s[26:27], v124, s31, 0
	v_cmp_gt_i32_e64 s[18:19], s25, v124
	v_lshl_add_u64 v[122:123], v[120:121], 3, s[28:29]
	v_mad_i64_i32 v[120:121], s[26:27], v124, s30, 0
	v_lshl_add_u64 v[120:121], v[120:121], 3, s[20:21]
	s_and_b64 s[34:35], s[2:3], s[18:19]
	s_and_saveexec_b64 s[26:27], s[34:35]
	s_cbranch_execnz .LBB109_99
; %bb.92:
	s_or_b64 exec, exec, s[26:27]
	s_and_b64 s[34:35], s[4:5], s[18:19]
	s_and_saveexec_b64 s[26:27], s[34:35]
	s_cbranch_execnz .LBB109_103
.LBB109_93:
	s_or_b64 exec, exec, s[26:27]
	s_and_b64 s[34:35], s[6:7], s[18:19]
	s_and_saveexec_b64 s[26:27], s[34:35]
	s_cbranch_execnz .LBB109_107
.LBB109_94:
	s_or_b64 exec, exec, s[26:27]
	s_and_b64 s[34:35], s[8:9], s[18:19]
	s_and_saveexec_b64 s[26:27], s[34:35]
	s_cbranch_execnz .LBB109_111
.LBB109_95:
	s_or_b64 exec, exec, s[26:27]
	s_and_b64 s[34:35], s[10:11], s[18:19]
	s_and_saveexec_b64 s[26:27], s[34:35]
	s_cbranch_execnz .LBB109_115
.LBB109_96:
	s_or_b64 exec, exec, s[26:27]
	s_and_b64 s[34:35], s[12:13], s[18:19]
	s_and_saveexec_b64 s[26:27], s[34:35]
	s_cbranch_execnz .LBB109_119
.LBB109_97:
	s_or_b64 exec, exec, s[26:27]
	s_and_b64 s[34:35], s[14:15], s[18:19]
	s_and_saveexec_b64 s[26:27], s[34:35]
	s_cbranch_execnz .LBB109_123
.LBB109_98:
	s_or_b64 exec, exec, s[26:27]
	s_and_b64 s[26:27], s[16:17], s[18:19]
	s_and_saveexec_b64 s[18:19], s[26:27]
	s_cbranch_execnz .LBB109_127
	s_branch .LBB109_131
.LBB109_99:
	s_and_b64 vcc, exec, s[0:1]
	s_cbranch_vccnz .LBB109_101
; %bb.100:
	v_lshl_add_u64 v[124:125], v[128:129], 3, v[122:123]
	flat_load_dwordx2 v[124:125], v[124:125]
	s_waitcnt vmcnt(0) lgkmcnt(0)
	v_mul_f64 v[124:125], s[22:23], v[124:125]
	v_cvt_f32_f64_e32 v124, v[124:125]
	s_branch .LBB109_102
.LBB109_101:
	v_mov_b32_e32 v124, 0
.LBB109_102:
	v_add_f64 v[126:127], v[70:71], v[118:119]
	v_add_f64 v[144:145], v[68:69], v[116:117]
	v_cvt_f32_f64_e32 v125, v[144:145]
	v_cvt_f32_f64_e32 v126, v[126:127]
	v_min3_f32 v125, v125, v126, v210
	v_add_f64 v[126:127], v[66:67], v[114:115]
	v_add_f64 v[144:145], v[64:65], v[112:113]
	v_cvt_f32_f64_e32 v144, v[144:145]
	v_cvt_f32_f64_e32 v126, v[126:127]
	v_min_f32_e32 v126, v144, v126
	v_min3_f32 v124, v124, v126, v125
	v_cvt_f64_f32_e32 v[124:125], v124
	v_lshl_add_u64 v[126:127], v[128:129], 3, v[120:121]
	flat_store_dwordx2 v[126:127], v[124:125]
	s_or_b64 exec, exec, s[26:27]
	s_and_b64 s[34:35], s[4:5], s[18:19]
	s_and_saveexec_b64 s[26:27], s[34:35]
	s_cbranch_execz .LBB109_93
.LBB109_103:
	s_and_b64 vcc, exec, s[0:1]
	s_cbranch_vccnz .LBB109_105
; %bb.104:
	v_lshl_add_u64 v[124:125], v[130:131], 3, v[122:123]
	flat_load_dwordx2 v[124:125], v[124:125]
	s_waitcnt vmcnt(0) lgkmcnt(0)
	v_mul_f64 v[124:125], s[22:23], v[124:125]
	v_cvt_f32_f64_e32 v124, v[124:125]
	s_branch .LBB109_106
.LBB109_105:
	v_mov_b32_e32 v124, 0
.LBB109_106:
	v_add_f64 v[126:127], v[62:63], v[118:119]
	v_add_f64 v[144:145], v[60:61], v[116:117]
	v_cvt_f32_f64_e32 v125, v[144:145]
	v_cvt_f32_f64_e32 v126, v[126:127]
	v_min3_f32 v125, v125, v126, v209
	v_add_f64 v[126:127], v[58:59], v[114:115]
	v_add_f64 v[144:145], v[56:57], v[112:113]
	v_cvt_f32_f64_e32 v144, v[144:145]
	v_cvt_f32_f64_e32 v126, v[126:127]
	v_min_f32_e32 v126, v144, v126
	v_min3_f32 v124, v124, v126, v125
	v_cvt_f64_f32_e32 v[124:125], v124
	v_lshl_add_u64 v[126:127], v[130:131], 3, v[120:121]
	flat_store_dwordx2 v[126:127], v[124:125]
	s_or_b64 exec, exec, s[26:27]
	s_and_b64 s[34:35], s[6:7], s[18:19]
	s_and_saveexec_b64 s[26:27], s[34:35]
	s_cbranch_execz .LBB109_94
.LBB109_107:
	s_and_b64 vcc, exec, s[0:1]
	s_cbranch_vccnz .LBB109_109
; %bb.108:
	v_lshl_add_u64 v[124:125], v[132:133], 3, v[122:123]
	flat_load_dwordx2 v[124:125], v[124:125]
	s_waitcnt vmcnt(0) lgkmcnt(0)
	v_mul_f64 v[124:125], s[22:23], v[124:125]
	v_cvt_f32_f64_e32 v124, v[124:125]
	s_branch .LBB109_110
.LBB109_109:
	v_mov_b32_e32 v124, 0
.LBB109_110:
	v_add_f64 v[126:127], v[54:55], v[118:119]
	v_add_f64 v[144:145], v[52:53], v[116:117]
	v_cvt_f32_f64_e32 v125, v[144:145]
	v_cvt_f32_f64_e32 v126, v[126:127]
	v_min3_f32 v125, v125, v126, v208
	v_add_f64 v[126:127], v[50:51], v[114:115]
	v_add_f64 v[144:145], v[48:49], v[112:113]
	v_cvt_f32_f64_e32 v144, v[144:145]
	v_cvt_f32_f64_e32 v126, v[126:127]
	v_min_f32_e32 v126, v144, v126
	v_min3_f32 v124, v124, v126, v125
	v_cvt_f64_f32_e32 v[124:125], v124
	v_lshl_add_u64 v[126:127], v[132:133], 3, v[120:121]
	flat_store_dwordx2 v[126:127], v[124:125]
	s_or_b64 exec, exec, s[26:27]
	s_and_b64 s[34:35], s[8:9], s[18:19]
	s_and_saveexec_b64 s[26:27], s[34:35]
	s_cbranch_execz .LBB109_95
.LBB109_111:
	s_and_b64 vcc, exec, s[0:1]
	s_cbranch_vccnz .LBB109_113
; %bb.112:
	v_lshl_add_u64 v[124:125], v[134:135], 3, v[122:123]
	flat_load_dwordx2 v[124:125], v[124:125]
	s_waitcnt vmcnt(0) lgkmcnt(0)
	v_mul_f64 v[124:125], s[22:23], v[124:125]
	v_cvt_f32_f64_e32 v124, v[124:125]
	s_branch .LBB109_114
.LBB109_113:
	v_mov_b32_e32 v124, 0
.LBB109_114:
	v_add_f64 v[126:127], v[46:47], v[118:119]
	v_add_f64 v[144:145], v[44:45], v[116:117]
	v_cvt_f32_f64_e32 v125, v[144:145]
	v_cvt_f32_f64_e32 v126, v[126:127]
	v_min3_f32 v125, v125, v126, v207
	v_add_f64 v[126:127], v[42:43], v[114:115]
	v_add_f64 v[144:145], v[40:41], v[112:113]
	v_cvt_f32_f64_e32 v144, v[144:145]
	v_cvt_f32_f64_e32 v126, v[126:127]
	v_min_f32_e32 v126, v144, v126
	v_min3_f32 v124, v124, v126, v125
	v_cvt_f64_f32_e32 v[124:125], v124
	v_lshl_add_u64 v[126:127], v[134:135], 3, v[120:121]
	flat_store_dwordx2 v[126:127], v[124:125]
	s_or_b64 exec, exec, s[26:27]
	s_and_b64 s[34:35], s[10:11], s[18:19]
	s_and_saveexec_b64 s[26:27], s[34:35]
	s_cbranch_execz .LBB109_96
.LBB109_115:
	s_and_b64 vcc, exec, s[0:1]
	s_cbranch_vccnz .LBB109_117
; %bb.116:
	v_lshl_add_u64 v[124:125], v[136:137], 3, v[122:123]
	flat_load_dwordx2 v[124:125], v[124:125]
	s_waitcnt vmcnt(0) lgkmcnt(0)
	v_mul_f64 v[124:125], s[22:23], v[124:125]
	v_cvt_f32_f64_e32 v124, v[124:125]
	s_branch .LBB109_118
.LBB109_117:
	v_mov_b32_e32 v124, 0
.LBB109_118:
	v_add_f64 v[126:127], v[38:39], v[118:119]
	v_add_f64 v[144:145], v[36:37], v[116:117]
	v_cvt_f32_f64_e32 v125, v[144:145]
	v_cvt_f32_f64_e32 v126, v[126:127]
	v_min3_f32 v125, v125, v126, v206
	v_add_f64 v[126:127], v[34:35], v[114:115]
	v_add_f64 v[144:145], v[32:33], v[112:113]
	v_cvt_f32_f64_e32 v144, v[144:145]
	v_cvt_f32_f64_e32 v126, v[126:127]
	v_min_f32_e32 v126, v144, v126
	v_min3_f32 v124, v124, v126, v125
	v_cvt_f64_f32_e32 v[124:125], v124
	v_lshl_add_u64 v[126:127], v[136:137], 3, v[120:121]
	flat_store_dwordx2 v[126:127], v[124:125]
	s_or_b64 exec, exec, s[26:27]
	s_and_b64 s[34:35], s[12:13], s[18:19]
	s_and_saveexec_b64 s[26:27], s[34:35]
	s_cbranch_execz .LBB109_97
.LBB109_119:
	s_and_b64 vcc, exec, s[0:1]
	s_cbranch_vccnz .LBB109_121
; %bb.120:
	v_lshl_add_u64 v[124:125], v[138:139], 3, v[122:123]
	flat_load_dwordx2 v[124:125], v[124:125]
	s_waitcnt vmcnt(0) lgkmcnt(0)
	v_mul_f64 v[124:125], s[22:23], v[124:125]
	v_cvt_f32_f64_e32 v124, v[124:125]
	s_branch .LBB109_122
.LBB109_121:
	v_mov_b32_e32 v124, 0
.LBB109_122:
	v_add_f64 v[126:127], v[30:31], v[118:119]
	v_add_f64 v[144:145], v[28:29], v[116:117]
	v_cvt_f32_f64_e32 v125, v[144:145]
	v_cvt_f32_f64_e32 v126, v[126:127]
	v_min3_f32 v125, v125, v126, v205
	v_add_f64 v[126:127], v[26:27], v[114:115]
	v_add_f64 v[144:145], v[24:25], v[112:113]
	v_cvt_f32_f64_e32 v144, v[144:145]
	v_cvt_f32_f64_e32 v126, v[126:127]
	v_min_f32_e32 v126, v144, v126
	v_min3_f32 v124, v124, v126, v125
	v_cvt_f64_f32_e32 v[124:125], v124
	v_lshl_add_u64 v[126:127], v[138:139], 3, v[120:121]
	flat_store_dwordx2 v[126:127], v[124:125]
	s_or_b64 exec, exec, s[26:27]
	s_and_b64 s[34:35], s[14:15], s[18:19]
	s_and_saveexec_b64 s[26:27], s[34:35]
	s_cbranch_execz .LBB109_98
.LBB109_123:
	s_and_b64 vcc, exec, s[0:1]
	s_cbranch_vccnz .LBB109_125
; %bb.124:
	v_lshl_add_u64 v[124:125], v[140:141], 3, v[122:123]
	flat_load_dwordx2 v[124:125], v[124:125]
	s_waitcnt vmcnt(0) lgkmcnt(0)
	v_mul_f64 v[124:125], s[22:23], v[124:125]
	v_cvt_f32_f64_e32 v124, v[124:125]
	s_branch .LBB109_126
.LBB109_125:
	v_mov_b32_e32 v124, 0
.LBB109_126:
	v_add_f64 v[126:127], v[22:23], v[118:119]
	v_add_f64 v[144:145], v[20:21], v[116:117]
	v_cvt_f32_f64_e32 v125, v[144:145]
	v_cvt_f32_f64_e32 v126, v[126:127]
	v_min3_f32 v125, v125, v126, v204
	v_add_f64 v[126:127], v[18:19], v[114:115]
	v_add_f64 v[144:145], v[16:17], v[112:113]
	v_cvt_f32_f64_e32 v144, v[144:145]
	v_cvt_f32_f64_e32 v126, v[126:127]
	v_min_f32_e32 v126, v144, v126
	v_min3_f32 v124, v124, v126, v125
	v_cvt_f64_f32_e32 v[124:125], v124
	v_lshl_add_u64 v[126:127], v[140:141], 3, v[120:121]
	flat_store_dwordx2 v[126:127], v[124:125]
	s_or_b64 exec, exec, s[26:27]
	s_and_b64 s[26:27], s[16:17], s[18:19]
	s_and_saveexec_b64 s[18:19], s[26:27]
	s_cbranch_execz .LBB109_131
.LBB109_127:
	s_and_b64 vcc, exec, s[0:1]
	s_cbranch_vccnz .LBB109_129
; %bb.128:
	v_lshl_add_u64 v[122:123], v[142:143], 3, v[122:123]
	flat_load_dwordx2 v[122:123], v[122:123]
	s_waitcnt vmcnt(0) lgkmcnt(0)
	v_mul_f64 v[122:123], s[22:23], v[122:123]
	v_cvt_f32_f64_e32 v122, v[122:123]
	s_branch .LBB109_130
.LBB109_129:
	v_mov_b32_e32 v122, 0
.LBB109_130:
	v_add_f64 v[118:119], v[6:7], v[118:119]
	v_add_f64 v[116:117], v[4:5], v[116:117]
	;; [unrolled: 1-line block ×4, first 2 shown]
	v_cvt_f32_f64_e32 v116, v[116:117]
	v_cvt_f32_f64_e32 v117, v[118:119]
	;; [unrolled: 1-line block ×4, first 2 shown]
	v_min3_f32 v116, v116, v117, v203
	v_min_f32_e32 v112, v112, v113
	v_min3_f32 v112, v122, v112, v116
	v_cvt_f64_f32_e32 v[112:113], v112
	v_lshl_add_u64 v[114:115], v[142:143], 3, v[120:121]
	flat_store_dwordx2 v[114:115], v[112:113]
.LBB109_131:
	s_or_b64 exec, exec, s[18:19]
	v_add_u32_e32 v116, 16, v152
	v_mad_i64_i32 v[112:113], s[26:27], v116, s31, 0
	v_cmp_gt_i32_e64 s[18:19], s25, v116
	v_lshl_add_u64 v[114:115], v[112:113], 3, s[28:29]
	v_mad_i64_i32 v[112:113], s[26:27], v116, s30, 0
	v_lshl_add_u64 v[112:113], v[112:113], 3, s[20:21]
	s_and_b64 s[34:35], s[2:3], s[18:19]
	s_and_saveexec_b64 s[26:27], s[34:35]
	s_cbranch_execnz .LBB109_139
; %bb.132:
	s_or_b64 exec, exec, s[26:27]
	s_and_b64 s[34:35], s[4:5], s[18:19]
	s_and_saveexec_b64 s[26:27], s[34:35]
	s_cbranch_execnz .LBB109_143
.LBB109_133:
	s_or_b64 exec, exec, s[26:27]
	s_and_b64 s[34:35], s[6:7], s[18:19]
	s_and_saveexec_b64 s[26:27], s[34:35]
	s_cbranch_execnz .LBB109_147
.LBB109_134:
	s_or_b64 exec, exec, s[26:27]
	s_and_b64 s[34:35], s[8:9], s[18:19]
	s_and_saveexec_b64 s[26:27], s[34:35]
	s_cbranch_execnz .LBB109_151
.LBB109_135:
	s_or_b64 exec, exec, s[26:27]
	s_and_b64 s[34:35], s[10:11], s[18:19]
	s_and_saveexec_b64 s[26:27], s[34:35]
	s_cbranch_execnz .LBB109_155
.LBB109_136:
	s_or_b64 exec, exec, s[26:27]
	s_and_b64 s[34:35], s[12:13], s[18:19]
	s_and_saveexec_b64 s[26:27], s[34:35]
	s_cbranch_execnz .LBB109_159
.LBB109_137:
	s_or_b64 exec, exec, s[26:27]
	s_and_b64 s[34:35], s[14:15], s[18:19]
	s_and_saveexec_b64 s[26:27], s[34:35]
	s_cbranch_execnz .LBB109_163
.LBB109_138:
	s_or_b64 exec, exec, s[26:27]
	s_and_b64 s[26:27], s[16:17], s[18:19]
	s_and_saveexec_b64 s[18:19], s[26:27]
	s_cbranch_execnz .LBB109_167
	s_branch .LBB109_171
.LBB109_139:
	s_and_b64 vcc, exec, s[0:1]
	s_cbranch_vccnz .LBB109_141
; %bb.140:
	v_lshl_add_u64 v[116:117], v[128:129], 3, v[114:115]
	flat_load_dwordx2 v[116:117], v[116:117]
	s_waitcnt vmcnt(0) lgkmcnt(0)
	v_mul_f64 v[116:117], s[22:23], v[116:117]
	v_cvt_f32_f64_e32 v116, v[116:117]
	s_branch .LBB109_142
.LBB109_141:
	v_mov_b32_e32 v116, 0
.LBB109_142:
	v_add_f64 v[118:119], v[70:71], v[110:111]
	v_add_f64 v[120:121], v[68:69], v[108:109]
	v_cvt_f32_f64_e32 v117, v[120:121]
	v_cvt_f32_f64_e32 v118, v[118:119]
	v_min3_f32 v117, v117, v118, v202
	v_add_f64 v[118:119], v[66:67], v[106:107]
	v_add_f64 v[120:121], v[64:65], v[104:105]
	v_cvt_f32_f64_e32 v120, v[120:121]
	v_cvt_f32_f64_e32 v118, v[118:119]
	v_min_f32_e32 v118, v120, v118
	v_min3_f32 v116, v116, v118, v117
	v_cvt_f64_f32_e32 v[116:117], v116
	v_lshl_add_u64 v[118:119], v[128:129], 3, v[112:113]
	flat_store_dwordx2 v[118:119], v[116:117]
	s_or_b64 exec, exec, s[26:27]
	s_and_b64 s[34:35], s[4:5], s[18:19]
	s_and_saveexec_b64 s[26:27], s[34:35]
	s_cbranch_execz .LBB109_133
.LBB109_143:
	s_and_b64 vcc, exec, s[0:1]
	s_cbranch_vccnz .LBB109_145
; %bb.144:
	v_lshl_add_u64 v[116:117], v[130:131], 3, v[114:115]
	flat_load_dwordx2 v[116:117], v[116:117]
	s_waitcnt vmcnt(0) lgkmcnt(0)
	v_mul_f64 v[116:117], s[22:23], v[116:117]
	v_cvt_f32_f64_e32 v116, v[116:117]
	s_branch .LBB109_146
.LBB109_145:
	v_mov_b32_e32 v116, 0
.LBB109_146:
	v_add_f64 v[118:119], v[62:63], v[110:111]
	v_add_f64 v[120:121], v[60:61], v[108:109]
	v_cvt_f32_f64_e32 v117, v[120:121]
	v_cvt_f32_f64_e32 v118, v[118:119]
	v_min3_f32 v117, v117, v118, v201
	v_add_f64 v[118:119], v[58:59], v[106:107]
	v_add_f64 v[120:121], v[56:57], v[104:105]
	v_cvt_f32_f64_e32 v120, v[120:121]
	v_cvt_f32_f64_e32 v118, v[118:119]
	v_min_f32_e32 v118, v120, v118
	v_min3_f32 v116, v116, v118, v117
	v_cvt_f64_f32_e32 v[116:117], v116
	v_lshl_add_u64 v[118:119], v[130:131], 3, v[112:113]
	flat_store_dwordx2 v[118:119], v[116:117]
	s_or_b64 exec, exec, s[26:27]
	s_and_b64 s[34:35], s[6:7], s[18:19]
	s_and_saveexec_b64 s[26:27], s[34:35]
	s_cbranch_execz .LBB109_134
.LBB109_147:
	s_and_b64 vcc, exec, s[0:1]
	s_cbranch_vccnz .LBB109_149
; %bb.148:
	v_lshl_add_u64 v[116:117], v[132:133], 3, v[114:115]
	flat_load_dwordx2 v[116:117], v[116:117]
	s_waitcnt vmcnt(0) lgkmcnt(0)
	v_mul_f64 v[116:117], s[22:23], v[116:117]
	v_cvt_f32_f64_e32 v116, v[116:117]
	s_branch .LBB109_150
.LBB109_149:
	v_mov_b32_e32 v116, 0
.LBB109_150:
	v_add_f64 v[118:119], v[54:55], v[110:111]
	v_add_f64 v[120:121], v[52:53], v[108:109]
	v_cvt_f32_f64_e32 v117, v[120:121]
	v_cvt_f32_f64_e32 v118, v[118:119]
	v_min3_f32 v117, v117, v118, v200
	v_add_f64 v[118:119], v[50:51], v[106:107]
	v_add_f64 v[120:121], v[48:49], v[104:105]
	v_cvt_f32_f64_e32 v120, v[120:121]
	v_cvt_f32_f64_e32 v118, v[118:119]
	v_min_f32_e32 v118, v120, v118
	v_min3_f32 v116, v116, v118, v117
	v_cvt_f64_f32_e32 v[116:117], v116
	v_lshl_add_u64 v[118:119], v[132:133], 3, v[112:113]
	flat_store_dwordx2 v[118:119], v[116:117]
	s_or_b64 exec, exec, s[26:27]
	s_and_b64 s[34:35], s[8:9], s[18:19]
	s_and_saveexec_b64 s[26:27], s[34:35]
	s_cbranch_execz .LBB109_135
.LBB109_151:
	s_and_b64 vcc, exec, s[0:1]
	s_cbranch_vccnz .LBB109_153
; %bb.152:
	v_lshl_add_u64 v[116:117], v[134:135], 3, v[114:115]
	flat_load_dwordx2 v[116:117], v[116:117]
	s_waitcnt vmcnt(0) lgkmcnt(0)
	v_mul_f64 v[116:117], s[22:23], v[116:117]
	v_cvt_f32_f64_e32 v116, v[116:117]
	s_branch .LBB109_154
.LBB109_153:
	v_mov_b32_e32 v116, 0
.LBB109_154:
	v_add_f64 v[118:119], v[46:47], v[110:111]
	v_add_f64 v[120:121], v[44:45], v[108:109]
	v_cvt_f32_f64_e32 v117, v[120:121]
	v_cvt_f32_f64_e32 v118, v[118:119]
	v_min3_f32 v117, v117, v118, v199
	v_add_f64 v[118:119], v[42:43], v[106:107]
	v_add_f64 v[120:121], v[40:41], v[104:105]
	v_cvt_f32_f64_e32 v120, v[120:121]
	v_cvt_f32_f64_e32 v118, v[118:119]
	v_min_f32_e32 v118, v120, v118
	v_min3_f32 v116, v116, v118, v117
	v_cvt_f64_f32_e32 v[116:117], v116
	v_lshl_add_u64 v[118:119], v[134:135], 3, v[112:113]
	flat_store_dwordx2 v[118:119], v[116:117]
	s_or_b64 exec, exec, s[26:27]
	s_and_b64 s[34:35], s[10:11], s[18:19]
	s_and_saveexec_b64 s[26:27], s[34:35]
	s_cbranch_execz .LBB109_136
.LBB109_155:
	s_and_b64 vcc, exec, s[0:1]
	s_cbranch_vccnz .LBB109_157
; %bb.156:
	v_lshl_add_u64 v[116:117], v[136:137], 3, v[114:115]
	flat_load_dwordx2 v[116:117], v[116:117]
	s_waitcnt vmcnt(0) lgkmcnt(0)
	v_mul_f64 v[116:117], s[22:23], v[116:117]
	v_cvt_f32_f64_e32 v116, v[116:117]
	s_branch .LBB109_158
.LBB109_157:
	v_mov_b32_e32 v116, 0
.LBB109_158:
	v_add_f64 v[118:119], v[38:39], v[110:111]
	v_add_f64 v[120:121], v[36:37], v[108:109]
	v_cvt_f32_f64_e32 v117, v[120:121]
	v_cvt_f32_f64_e32 v118, v[118:119]
	v_min3_f32 v117, v117, v118, v198
	v_add_f64 v[118:119], v[34:35], v[106:107]
	v_add_f64 v[120:121], v[32:33], v[104:105]
	v_cvt_f32_f64_e32 v120, v[120:121]
	v_cvt_f32_f64_e32 v118, v[118:119]
	v_min_f32_e32 v118, v120, v118
	v_min3_f32 v116, v116, v118, v117
	v_cvt_f64_f32_e32 v[116:117], v116
	v_lshl_add_u64 v[118:119], v[136:137], 3, v[112:113]
	flat_store_dwordx2 v[118:119], v[116:117]
	s_or_b64 exec, exec, s[26:27]
	s_and_b64 s[34:35], s[12:13], s[18:19]
	s_and_saveexec_b64 s[26:27], s[34:35]
	s_cbranch_execz .LBB109_137
.LBB109_159:
	s_and_b64 vcc, exec, s[0:1]
	s_cbranch_vccnz .LBB109_161
; %bb.160:
	v_lshl_add_u64 v[116:117], v[138:139], 3, v[114:115]
	flat_load_dwordx2 v[116:117], v[116:117]
	s_waitcnt vmcnt(0) lgkmcnt(0)
	v_mul_f64 v[116:117], s[22:23], v[116:117]
	v_cvt_f32_f64_e32 v116, v[116:117]
	s_branch .LBB109_162
.LBB109_161:
	v_mov_b32_e32 v116, 0
.LBB109_162:
	v_add_f64 v[118:119], v[30:31], v[110:111]
	v_add_f64 v[120:121], v[28:29], v[108:109]
	v_cvt_f32_f64_e32 v117, v[120:121]
	v_cvt_f32_f64_e32 v118, v[118:119]
	v_min3_f32 v117, v117, v118, v197
	v_add_f64 v[118:119], v[26:27], v[106:107]
	v_add_f64 v[120:121], v[24:25], v[104:105]
	v_cvt_f32_f64_e32 v120, v[120:121]
	v_cvt_f32_f64_e32 v118, v[118:119]
	v_min_f32_e32 v118, v120, v118
	v_min3_f32 v116, v116, v118, v117
	v_cvt_f64_f32_e32 v[116:117], v116
	v_lshl_add_u64 v[118:119], v[138:139], 3, v[112:113]
	flat_store_dwordx2 v[118:119], v[116:117]
	s_or_b64 exec, exec, s[26:27]
	s_and_b64 s[34:35], s[14:15], s[18:19]
	s_and_saveexec_b64 s[26:27], s[34:35]
	s_cbranch_execz .LBB109_138
.LBB109_163:
	s_and_b64 vcc, exec, s[0:1]
	s_cbranch_vccnz .LBB109_165
; %bb.164:
	v_lshl_add_u64 v[116:117], v[140:141], 3, v[114:115]
	flat_load_dwordx2 v[116:117], v[116:117]
	s_waitcnt vmcnt(0) lgkmcnt(0)
	v_mul_f64 v[116:117], s[22:23], v[116:117]
	v_cvt_f32_f64_e32 v116, v[116:117]
	s_branch .LBB109_166
.LBB109_165:
	v_mov_b32_e32 v116, 0
.LBB109_166:
	v_add_f64 v[118:119], v[22:23], v[110:111]
	v_add_f64 v[120:121], v[20:21], v[108:109]
	v_cvt_f32_f64_e32 v117, v[120:121]
	v_cvt_f32_f64_e32 v118, v[118:119]
	v_min3_f32 v117, v117, v118, v196
	v_add_f64 v[118:119], v[18:19], v[106:107]
	v_add_f64 v[120:121], v[16:17], v[104:105]
	v_cvt_f32_f64_e32 v120, v[120:121]
	v_cvt_f32_f64_e32 v118, v[118:119]
	v_min_f32_e32 v118, v120, v118
	v_min3_f32 v116, v116, v118, v117
	v_cvt_f64_f32_e32 v[116:117], v116
	v_lshl_add_u64 v[118:119], v[140:141], 3, v[112:113]
	flat_store_dwordx2 v[118:119], v[116:117]
	s_or_b64 exec, exec, s[26:27]
	s_and_b64 s[26:27], s[16:17], s[18:19]
	s_and_saveexec_b64 s[18:19], s[26:27]
	s_cbranch_execz .LBB109_171
.LBB109_167:
	s_and_b64 vcc, exec, s[0:1]
	s_cbranch_vccnz .LBB109_169
; %bb.168:
	v_lshl_add_u64 v[114:115], v[142:143], 3, v[114:115]
	flat_load_dwordx2 v[114:115], v[114:115]
	s_waitcnt vmcnt(0) lgkmcnt(0)
	v_mul_f64 v[114:115], s[22:23], v[114:115]
	v_cvt_f32_f64_e32 v114, v[114:115]
	s_branch .LBB109_170
.LBB109_169:
	v_mov_b32_e32 v114, 0
.LBB109_170:
	v_add_f64 v[110:111], v[6:7], v[110:111]
	v_add_f64 v[108:109], v[4:5], v[108:109]
	;; [unrolled: 1-line block ×4, first 2 shown]
	v_cvt_f32_f64_e32 v108, v[108:109]
	v_cvt_f32_f64_e32 v109, v[110:111]
	;; [unrolled: 1-line block ×4, first 2 shown]
	v_min3_f32 v108, v108, v109, v195
	v_min_f32_e32 v104, v104, v105
	v_min3_f32 v104, v114, v104, v108
	v_cvt_f64_f32_e32 v[104:105], v104
	v_lshl_add_u64 v[106:107], v[142:143], 3, v[112:113]
	flat_store_dwordx2 v[106:107], v[104:105]
.LBB109_171:
	s_or_b64 exec, exec, s[18:19]
	v_add_u32_e32 v108, 24, v152
	v_mad_i64_i32 v[104:105], s[26:27], v108, s31, 0
	v_cmp_gt_i32_e64 s[18:19], s25, v108
	v_lshl_add_u64 v[106:107], v[104:105], 3, s[28:29]
	v_mad_i64_i32 v[104:105], s[26:27], v108, s30, 0
	v_lshl_add_u64 v[104:105], v[104:105], 3, s[20:21]
	s_and_b64 s[34:35], s[2:3], s[18:19]
	s_and_saveexec_b64 s[26:27], s[34:35]
	s_cbranch_execnz .LBB109_179
; %bb.172:
	s_or_b64 exec, exec, s[26:27]
	s_and_b64 s[34:35], s[4:5], s[18:19]
	s_and_saveexec_b64 s[26:27], s[34:35]
	s_cbranch_execnz .LBB109_183
.LBB109_173:
	s_or_b64 exec, exec, s[26:27]
	s_and_b64 s[34:35], s[6:7], s[18:19]
	s_and_saveexec_b64 s[26:27], s[34:35]
	s_cbranch_execnz .LBB109_187
.LBB109_174:
	s_or_b64 exec, exec, s[26:27]
	s_and_b64 s[34:35], s[8:9], s[18:19]
	s_and_saveexec_b64 s[26:27], s[34:35]
	s_cbranch_execnz .LBB109_191
.LBB109_175:
	s_or_b64 exec, exec, s[26:27]
	s_and_b64 s[34:35], s[10:11], s[18:19]
	s_and_saveexec_b64 s[26:27], s[34:35]
	s_cbranch_execnz .LBB109_195
.LBB109_176:
	s_or_b64 exec, exec, s[26:27]
	s_and_b64 s[34:35], s[12:13], s[18:19]
	s_and_saveexec_b64 s[26:27], s[34:35]
	s_cbranch_execnz .LBB109_199
.LBB109_177:
	s_or_b64 exec, exec, s[26:27]
	s_and_b64 s[34:35], s[14:15], s[18:19]
	s_and_saveexec_b64 s[26:27], s[34:35]
	s_cbranch_execnz .LBB109_203
.LBB109_178:
	s_or_b64 exec, exec, s[26:27]
	s_and_b64 s[26:27], s[16:17], s[18:19]
	s_and_saveexec_b64 s[18:19], s[26:27]
	s_cbranch_execnz .LBB109_207
	s_branch .LBB109_211
.LBB109_179:
	s_and_b64 vcc, exec, s[0:1]
	s_cbranch_vccnz .LBB109_181
; %bb.180:
	v_lshl_add_u64 v[108:109], v[128:129], 3, v[106:107]
	flat_load_dwordx2 v[108:109], v[108:109]
	s_waitcnt vmcnt(0) lgkmcnt(0)
	v_mul_f64 v[108:109], s[22:23], v[108:109]
	v_cvt_f32_f64_e32 v108, v[108:109]
	s_branch .LBB109_182
.LBB109_181:
	v_mov_b32_e32 v108, 0
.LBB109_182:
	v_add_f64 v[110:111], v[70:71], v[102:103]
	v_add_f64 v[112:113], v[68:69], v[100:101]
	v_cvt_f32_f64_e32 v109, v[112:113]
	v_cvt_f32_f64_e32 v110, v[110:111]
	v_min3_f32 v109, v109, v110, v194
	v_add_f64 v[110:111], v[66:67], v[98:99]
	v_add_f64 v[112:113], v[64:65], v[96:97]
	v_cvt_f32_f64_e32 v112, v[112:113]
	v_cvt_f32_f64_e32 v110, v[110:111]
	v_min_f32_e32 v110, v112, v110
	v_min3_f32 v108, v108, v110, v109
	v_cvt_f64_f32_e32 v[108:109], v108
	v_lshl_add_u64 v[110:111], v[128:129], 3, v[104:105]
	flat_store_dwordx2 v[110:111], v[108:109]
	s_or_b64 exec, exec, s[26:27]
	s_and_b64 s[34:35], s[4:5], s[18:19]
	s_and_saveexec_b64 s[26:27], s[34:35]
	s_cbranch_execz .LBB109_173
.LBB109_183:
	s_and_b64 vcc, exec, s[0:1]
	s_cbranch_vccnz .LBB109_185
; %bb.184:
	v_lshl_add_u64 v[108:109], v[130:131], 3, v[106:107]
	flat_load_dwordx2 v[108:109], v[108:109]
	s_waitcnt vmcnt(0) lgkmcnt(0)
	v_mul_f64 v[108:109], s[22:23], v[108:109]
	v_cvt_f32_f64_e32 v108, v[108:109]
	s_branch .LBB109_186
.LBB109_185:
	v_mov_b32_e32 v108, 0
.LBB109_186:
	v_add_f64 v[110:111], v[62:63], v[102:103]
	v_add_f64 v[112:113], v[60:61], v[100:101]
	v_cvt_f32_f64_e32 v109, v[112:113]
	v_cvt_f32_f64_e32 v110, v[110:111]
	v_min3_f32 v109, v109, v110, v193
	v_add_f64 v[110:111], v[58:59], v[98:99]
	v_add_f64 v[112:113], v[56:57], v[96:97]
	v_cvt_f32_f64_e32 v112, v[112:113]
	v_cvt_f32_f64_e32 v110, v[110:111]
	v_min_f32_e32 v110, v112, v110
	v_min3_f32 v108, v108, v110, v109
	v_cvt_f64_f32_e32 v[108:109], v108
	v_lshl_add_u64 v[110:111], v[130:131], 3, v[104:105]
	flat_store_dwordx2 v[110:111], v[108:109]
	s_or_b64 exec, exec, s[26:27]
	s_and_b64 s[34:35], s[6:7], s[18:19]
	s_and_saveexec_b64 s[26:27], s[34:35]
	s_cbranch_execz .LBB109_174
.LBB109_187:
	s_and_b64 vcc, exec, s[0:1]
	s_cbranch_vccnz .LBB109_189
; %bb.188:
	v_lshl_add_u64 v[108:109], v[132:133], 3, v[106:107]
	flat_load_dwordx2 v[108:109], v[108:109]
	s_waitcnt vmcnt(0) lgkmcnt(0)
	v_mul_f64 v[108:109], s[22:23], v[108:109]
	v_cvt_f32_f64_e32 v108, v[108:109]
	s_branch .LBB109_190
.LBB109_189:
	v_mov_b32_e32 v108, 0
.LBB109_190:
	v_add_f64 v[110:111], v[54:55], v[102:103]
	v_add_f64 v[112:113], v[52:53], v[100:101]
	v_cvt_f32_f64_e32 v109, v[112:113]
	v_cvt_f32_f64_e32 v110, v[110:111]
	v_min3_f32 v109, v109, v110, v192
	v_add_f64 v[110:111], v[50:51], v[98:99]
	v_add_f64 v[112:113], v[48:49], v[96:97]
	v_cvt_f32_f64_e32 v112, v[112:113]
	v_cvt_f32_f64_e32 v110, v[110:111]
	v_min_f32_e32 v110, v112, v110
	v_min3_f32 v108, v108, v110, v109
	v_cvt_f64_f32_e32 v[108:109], v108
	v_lshl_add_u64 v[110:111], v[132:133], 3, v[104:105]
	flat_store_dwordx2 v[110:111], v[108:109]
	s_or_b64 exec, exec, s[26:27]
	s_and_b64 s[34:35], s[8:9], s[18:19]
	s_and_saveexec_b64 s[26:27], s[34:35]
	s_cbranch_execz .LBB109_175
.LBB109_191:
	s_and_b64 vcc, exec, s[0:1]
	s_cbranch_vccnz .LBB109_193
; %bb.192:
	v_lshl_add_u64 v[108:109], v[134:135], 3, v[106:107]
	flat_load_dwordx2 v[108:109], v[108:109]
	s_waitcnt vmcnt(0) lgkmcnt(0)
	v_mul_f64 v[108:109], s[22:23], v[108:109]
	v_cvt_f32_f64_e32 v108, v[108:109]
	s_branch .LBB109_194
.LBB109_193:
	v_mov_b32_e32 v108, 0
.LBB109_194:
	v_add_f64 v[110:111], v[46:47], v[102:103]
	v_add_f64 v[112:113], v[44:45], v[100:101]
	v_cvt_f32_f64_e32 v109, v[112:113]
	v_cvt_f32_f64_e32 v110, v[110:111]
	v_min3_f32 v109, v109, v110, v191
	v_add_f64 v[110:111], v[42:43], v[98:99]
	v_add_f64 v[112:113], v[40:41], v[96:97]
	v_cvt_f32_f64_e32 v112, v[112:113]
	v_cvt_f32_f64_e32 v110, v[110:111]
	v_min_f32_e32 v110, v112, v110
	v_min3_f32 v108, v108, v110, v109
	v_cvt_f64_f32_e32 v[108:109], v108
	v_lshl_add_u64 v[110:111], v[134:135], 3, v[104:105]
	flat_store_dwordx2 v[110:111], v[108:109]
	s_or_b64 exec, exec, s[26:27]
	s_and_b64 s[34:35], s[10:11], s[18:19]
	s_and_saveexec_b64 s[26:27], s[34:35]
	s_cbranch_execz .LBB109_176
.LBB109_195:
	s_and_b64 vcc, exec, s[0:1]
	s_cbranch_vccnz .LBB109_197
; %bb.196:
	v_lshl_add_u64 v[108:109], v[136:137], 3, v[106:107]
	flat_load_dwordx2 v[108:109], v[108:109]
	s_waitcnt vmcnt(0) lgkmcnt(0)
	v_mul_f64 v[108:109], s[22:23], v[108:109]
	v_cvt_f32_f64_e32 v108, v[108:109]
	s_branch .LBB109_198
.LBB109_197:
	v_mov_b32_e32 v108, 0
.LBB109_198:
	v_add_f64 v[110:111], v[38:39], v[102:103]
	v_add_f64 v[112:113], v[36:37], v[100:101]
	v_cvt_f32_f64_e32 v109, v[112:113]
	v_cvt_f32_f64_e32 v110, v[110:111]
	v_min3_f32 v109, v109, v110, v190
	v_add_f64 v[110:111], v[34:35], v[98:99]
	v_add_f64 v[112:113], v[32:33], v[96:97]
	v_cvt_f32_f64_e32 v112, v[112:113]
	v_cvt_f32_f64_e32 v110, v[110:111]
	v_min_f32_e32 v110, v112, v110
	v_min3_f32 v108, v108, v110, v109
	v_cvt_f64_f32_e32 v[108:109], v108
	v_lshl_add_u64 v[110:111], v[136:137], 3, v[104:105]
	flat_store_dwordx2 v[110:111], v[108:109]
	s_or_b64 exec, exec, s[26:27]
	s_and_b64 s[34:35], s[12:13], s[18:19]
	s_and_saveexec_b64 s[26:27], s[34:35]
	s_cbranch_execz .LBB109_177
.LBB109_199:
	s_and_b64 vcc, exec, s[0:1]
	s_cbranch_vccnz .LBB109_201
; %bb.200:
	v_lshl_add_u64 v[108:109], v[138:139], 3, v[106:107]
	flat_load_dwordx2 v[108:109], v[108:109]
	s_waitcnt vmcnt(0) lgkmcnt(0)
	v_mul_f64 v[108:109], s[22:23], v[108:109]
	v_cvt_f32_f64_e32 v108, v[108:109]
	s_branch .LBB109_202
.LBB109_201:
	v_mov_b32_e32 v108, 0
.LBB109_202:
	v_add_f64 v[110:111], v[30:31], v[102:103]
	v_add_f64 v[112:113], v[28:29], v[100:101]
	v_cvt_f32_f64_e32 v109, v[112:113]
	v_cvt_f32_f64_e32 v110, v[110:111]
	v_min3_f32 v109, v109, v110, v189
	v_add_f64 v[110:111], v[26:27], v[98:99]
	v_add_f64 v[112:113], v[24:25], v[96:97]
	v_cvt_f32_f64_e32 v112, v[112:113]
	v_cvt_f32_f64_e32 v110, v[110:111]
	v_min_f32_e32 v110, v112, v110
	v_min3_f32 v108, v108, v110, v109
	v_cvt_f64_f32_e32 v[108:109], v108
	v_lshl_add_u64 v[110:111], v[138:139], 3, v[104:105]
	flat_store_dwordx2 v[110:111], v[108:109]
	s_or_b64 exec, exec, s[26:27]
	s_and_b64 s[34:35], s[14:15], s[18:19]
	s_and_saveexec_b64 s[26:27], s[34:35]
	s_cbranch_execz .LBB109_178
.LBB109_203:
	s_and_b64 vcc, exec, s[0:1]
	s_cbranch_vccnz .LBB109_205
; %bb.204:
	v_lshl_add_u64 v[108:109], v[140:141], 3, v[106:107]
	flat_load_dwordx2 v[108:109], v[108:109]
	s_waitcnt vmcnt(0) lgkmcnt(0)
	v_mul_f64 v[108:109], s[22:23], v[108:109]
	v_cvt_f32_f64_e32 v108, v[108:109]
	s_branch .LBB109_206
.LBB109_205:
	v_mov_b32_e32 v108, 0
.LBB109_206:
	v_add_f64 v[110:111], v[22:23], v[102:103]
	v_add_f64 v[112:113], v[20:21], v[100:101]
	v_cvt_f32_f64_e32 v109, v[112:113]
	v_cvt_f32_f64_e32 v110, v[110:111]
	v_min3_f32 v109, v109, v110, v188
	v_add_f64 v[110:111], v[18:19], v[98:99]
	v_add_f64 v[112:113], v[16:17], v[96:97]
	v_cvt_f32_f64_e32 v112, v[112:113]
	v_cvt_f32_f64_e32 v110, v[110:111]
	v_min_f32_e32 v110, v112, v110
	v_min3_f32 v108, v108, v110, v109
	v_cvt_f64_f32_e32 v[108:109], v108
	v_lshl_add_u64 v[110:111], v[140:141], 3, v[104:105]
	flat_store_dwordx2 v[110:111], v[108:109]
	s_or_b64 exec, exec, s[26:27]
	s_and_b64 s[26:27], s[16:17], s[18:19]
	s_and_saveexec_b64 s[18:19], s[26:27]
	s_cbranch_execz .LBB109_211
.LBB109_207:
	s_and_b64 vcc, exec, s[0:1]
	s_cbranch_vccnz .LBB109_209
; %bb.208:
	v_lshl_add_u64 v[106:107], v[142:143], 3, v[106:107]
	flat_load_dwordx2 v[106:107], v[106:107]
	s_waitcnt vmcnt(0) lgkmcnt(0)
	v_mul_f64 v[106:107], s[22:23], v[106:107]
	v_cvt_f32_f64_e32 v106, v[106:107]
	s_branch .LBB109_210
.LBB109_209:
	v_mov_b32_e32 v106, 0
.LBB109_210:
	v_add_f64 v[102:103], v[6:7], v[102:103]
	v_add_f64 v[100:101], v[4:5], v[100:101]
	;; [unrolled: 1-line block ×4, first 2 shown]
	v_cvt_f32_f64_e32 v100, v[100:101]
	v_cvt_f32_f64_e32 v101, v[102:103]
	;; [unrolled: 1-line block ×4, first 2 shown]
	v_min3_f32 v100, v100, v101, v187
	v_min_f32_e32 v96, v96, v97
	v_min3_f32 v96, v106, v96, v100
	v_cvt_f64_f32_e32 v[96:97], v96
	v_lshl_add_u64 v[98:99], v[142:143], 3, v[104:105]
	flat_store_dwordx2 v[98:99], v[96:97]
.LBB109_211:
	s_or_b64 exec, exec, s[18:19]
	v_add_u32_e32 v100, 32, v152
	v_mad_i64_i32 v[96:97], s[26:27], v100, s31, 0
	v_cmp_gt_i32_e64 s[18:19], s25, v100
	v_lshl_add_u64 v[98:99], v[96:97], 3, s[28:29]
	v_mad_i64_i32 v[96:97], s[26:27], v100, s30, 0
	v_lshl_add_u64 v[96:97], v[96:97], 3, s[20:21]
	s_and_b64 s[34:35], s[2:3], s[18:19]
	s_and_saveexec_b64 s[26:27], s[34:35]
	s_cbranch_execnz .LBB109_219
; %bb.212:
	s_or_b64 exec, exec, s[26:27]
	s_and_b64 s[34:35], s[4:5], s[18:19]
	s_and_saveexec_b64 s[26:27], s[34:35]
	s_cbranch_execnz .LBB109_223
.LBB109_213:
	s_or_b64 exec, exec, s[26:27]
	s_and_b64 s[34:35], s[6:7], s[18:19]
	s_and_saveexec_b64 s[26:27], s[34:35]
	s_cbranch_execnz .LBB109_227
.LBB109_214:
	s_or_b64 exec, exec, s[26:27]
	s_and_b64 s[34:35], s[8:9], s[18:19]
	s_and_saveexec_b64 s[26:27], s[34:35]
	s_cbranch_execnz .LBB109_231
.LBB109_215:
	s_or_b64 exec, exec, s[26:27]
	s_and_b64 s[34:35], s[10:11], s[18:19]
	s_and_saveexec_b64 s[26:27], s[34:35]
	s_cbranch_execnz .LBB109_235
.LBB109_216:
	s_or_b64 exec, exec, s[26:27]
	s_and_b64 s[34:35], s[12:13], s[18:19]
	s_and_saveexec_b64 s[26:27], s[34:35]
	s_cbranch_execnz .LBB109_239
.LBB109_217:
	s_or_b64 exec, exec, s[26:27]
	s_and_b64 s[34:35], s[14:15], s[18:19]
	s_and_saveexec_b64 s[26:27], s[34:35]
	s_cbranch_execnz .LBB109_243
.LBB109_218:
	s_or_b64 exec, exec, s[26:27]
	s_and_b64 s[26:27], s[16:17], s[18:19]
	s_and_saveexec_b64 s[18:19], s[26:27]
	s_cbranch_execnz .LBB109_247
	s_branch .LBB109_251
.LBB109_219:
	s_and_b64 vcc, exec, s[0:1]
	s_cbranch_vccnz .LBB109_221
; %bb.220:
	v_lshl_add_u64 v[100:101], v[128:129], 3, v[98:99]
	flat_load_dwordx2 v[100:101], v[100:101]
	s_waitcnt vmcnt(0) lgkmcnt(0)
	v_mul_f64 v[100:101], s[22:23], v[100:101]
	v_cvt_f32_f64_e32 v100, v[100:101]
	s_branch .LBB109_222
.LBB109_221:
	v_mov_b32_e32 v100, 0
.LBB109_222:
	v_add_f64 v[102:103], v[70:71], v[94:95]
	v_add_f64 v[104:105], v[68:69], v[92:93]
	v_cvt_f32_f64_e32 v101, v[104:105]
	v_cvt_f32_f64_e32 v102, v[102:103]
	v_min3_f32 v101, v101, v102, v186
	v_add_f64 v[102:103], v[66:67], v[90:91]
	v_add_f64 v[104:105], v[64:65], v[88:89]
	v_cvt_f32_f64_e32 v104, v[104:105]
	v_cvt_f32_f64_e32 v102, v[102:103]
	v_min_f32_e32 v102, v104, v102
	v_min3_f32 v100, v100, v102, v101
	v_cvt_f64_f32_e32 v[100:101], v100
	v_lshl_add_u64 v[102:103], v[128:129], 3, v[96:97]
	flat_store_dwordx2 v[102:103], v[100:101]
	s_or_b64 exec, exec, s[26:27]
	s_and_b64 s[34:35], s[4:5], s[18:19]
	s_and_saveexec_b64 s[26:27], s[34:35]
	s_cbranch_execz .LBB109_213
.LBB109_223:
	s_and_b64 vcc, exec, s[0:1]
	s_cbranch_vccnz .LBB109_225
; %bb.224:
	v_lshl_add_u64 v[100:101], v[130:131], 3, v[98:99]
	flat_load_dwordx2 v[100:101], v[100:101]
	s_waitcnt vmcnt(0) lgkmcnt(0)
	v_mul_f64 v[100:101], s[22:23], v[100:101]
	v_cvt_f32_f64_e32 v100, v[100:101]
	s_branch .LBB109_226
.LBB109_225:
	v_mov_b32_e32 v100, 0
.LBB109_226:
	v_add_f64 v[102:103], v[62:63], v[94:95]
	v_add_f64 v[104:105], v[60:61], v[92:93]
	v_cvt_f32_f64_e32 v101, v[104:105]
	v_cvt_f32_f64_e32 v102, v[102:103]
	v_min3_f32 v101, v101, v102, v185
	v_add_f64 v[102:103], v[58:59], v[90:91]
	v_add_f64 v[104:105], v[56:57], v[88:89]
	v_cvt_f32_f64_e32 v104, v[104:105]
	v_cvt_f32_f64_e32 v102, v[102:103]
	v_min_f32_e32 v102, v104, v102
	v_min3_f32 v100, v100, v102, v101
	v_cvt_f64_f32_e32 v[100:101], v100
	v_lshl_add_u64 v[102:103], v[130:131], 3, v[96:97]
	flat_store_dwordx2 v[102:103], v[100:101]
	s_or_b64 exec, exec, s[26:27]
	s_and_b64 s[34:35], s[6:7], s[18:19]
	s_and_saveexec_b64 s[26:27], s[34:35]
	s_cbranch_execz .LBB109_214
.LBB109_227:
	s_and_b64 vcc, exec, s[0:1]
	s_cbranch_vccnz .LBB109_229
; %bb.228:
	v_lshl_add_u64 v[100:101], v[132:133], 3, v[98:99]
	flat_load_dwordx2 v[100:101], v[100:101]
	s_waitcnt vmcnt(0) lgkmcnt(0)
	v_mul_f64 v[100:101], s[22:23], v[100:101]
	v_cvt_f32_f64_e32 v100, v[100:101]
	s_branch .LBB109_230
.LBB109_229:
	v_mov_b32_e32 v100, 0
.LBB109_230:
	v_add_f64 v[102:103], v[54:55], v[94:95]
	v_add_f64 v[104:105], v[52:53], v[92:93]
	v_cvt_f32_f64_e32 v101, v[104:105]
	v_cvt_f32_f64_e32 v102, v[102:103]
	v_min3_f32 v101, v101, v102, v184
	v_add_f64 v[102:103], v[50:51], v[90:91]
	v_add_f64 v[104:105], v[48:49], v[88:89]
	v_cvt_f32_f64_e32 v104, v[104:105]
	v_cvt_f32_f64_e32 v102, v[102:103]
	v_min_f32_e32 v102, v104, v102
	v_min3_f32 v100, v100, v102, v101
	v_cvt_f64_f32_e32 v[100:101], v100
	v_lshl_add_u64 v[102:103], v[132:133], 3, v[96:97]
	flat_store_dwordx2 v[102:103], v[100:101]
	s_or_b64 exec, exec, s[26:27]
	s_and_b64 s[34:35], s[8:9], s[18:19]
	s_and_saveexec_b64 s[26:27], s[34:35]
	s_cbranch_execz .LBB109_215
.LBB109_231:
	s_and_b64 vcc, exec, s[0:1]
	s_cbranch_vccnz .LBB109_233
; %bb.232:
	v_lshl_add_u64 v[100:101], v[134:135], 3, v[98:99]
	flat_load_dwordx2 v[100:101], v[100:101]
	s_waitcnt vmcnt(0) lgkmcnt(0)
	v_mul_f64 v[100:101], s[22:23], v[100:101]
	v_cvt_f32_f64_e32 v100, v[100:101]
	s_branch .LBB109_234
.LBB109_233:
	v_mov_b32_e32 v100, 0
.LBB109_234:
	v_add_f64 v[102:103], v[46:47], v[94:95]
	v_add_f64 v[104:105], v[44:45], v[92:93]
	v_cvt_f32_f64_e32 v101, v[104:105]
	v_cvt_f32_f64_e32 v102, v[102:103]
	v_min3_f32 v101, v101, v102, v183
	v_add_f64 v[102:103], v[42:43], v[90:91]
	v_add_f64 v[104:105], v[40:41], v[88:89]
	v_cvt_f32_f64_e32 v104, v[104:105]
	v_cvt_f32_f64_e32 v102, v[102:103]
	v_min_f32_e32 v102, v104, v102
	v_min3_f32 v100, v100, v102, v101
	v_cvt_f64_f32_e32 v[100:101], v100
	v_lshl_add_u64 v[102:103], v[134:135], 3, v[96:97]
	flat_store_dwordx2 v[102:103], v[100:101]
	s_or_b64 exec, exec, s[26:27]
	s_and_b64 s[34:35], s[10:11], s[18:19]
	s_and_saveexec_b64 s[26:27], s[34:35]
	s_cbranch_execz .LBB109_216
.LBB109_235:
	s_and_b64 vcc, exec, s[0:1]
	s_cbranch_vccnz .LBB109_237
; %bb.236:
	v_lshl_add_u64 v[100:101], v[136:137], 3, v[98:99]
	flat_load_dwordx2 v[100:101], v[100:101]
	s_waitcnt vmcnt(0) lgkmcnt(0)
	v_mul_f64 v[100:101], s[22:23], v[100:101]
	v_cvt_f32_f64_e32 v100, v[100:101]
	s_branch .LBB109_238
.LBB109_237:
	v_mov_b32_e32 v100, 0
.LBB109_238:
	v_add_f64 v[102:103], v[38:39], v[94:95]
	v_add_f64 v[104:105], v[36:37], v[92:93]
	v_cvt_f32_f64_e32 v101, v[104:105]
	v_cvt_f32_f64_e32 v102, v[102:103]
	v_min3_f32 v101, v101, v102, v182
	v_add_f64 v[102:103], v[34:35], v[90:91]
	v_add_f64 v[104:105], v[32:33], v[88:89]
	v_cvt_f32_f64_e32 v104, v[104:105]
	v_cvt_f32_f64_e32 v102, v[102:103]
	v_min_f32_e32 v102, v104, v102
	v_min3_f32 v100, v100, v102, v101
	v_cvt_f64_f32_e32 v[100:101], v100
	v_lshl_add_u64 v[102:103], v[136:137], 3, v[96:97]
	flat_store_dwordx2 v[102:103], v[100:101]
	s_or_b64 exec, exec, s[26:27]
	s_and_b64 s[34:35], s[12:13], s[18:19]
	s_and_saveexec_b64 s[26:27], s[34:35]
	s_cbranch_execz .LBB109_217
.LBB109_239:
	s_and_b64 vcc, exec, s[0:1]
	s_cbranch_vccnz .LBB109_241
; %bb.240:
	v_lshl_add_u64 v[100:101], v[138:139], 3, v[98:99]
	flat_load_dwordx2 v[100:101], v[100:101]
	s_waitcnt vmcnt(0) lgkmcnt(0)
	v_mul_f64 v[100:101], s[22:23], v[100:101]
	v_cvt_f32_f64_e32 v100, v[100:101]
	s_branch .LBB109_242
.LBB109_241:
	v_mov_b32_e32 v100, 0
.LBB109_242:
	v_add_f64 v[102:103], v[30:31], v[94:95]
	v_add_f64 v[104:105], v[28:29], v[92:93]
	v_cvt_f32_f64_e32 v101, v[104:105]
	v_cvt_f32_f64_e32 v102, v[102:103]
	v_min3_f32 v101, v101, v102, v181
	v_add_f64 v[102:103], v[26:27], v[90:91]
	v_add_f64 v[104:105], v[24:25], v[88:89]
	v_cvt_f32_f64_e32 v104, v[104:105]
	v_cvt_f32_f64_e32 v102, v[102:103]
	v_min_f32_e32 v102, v104, v102
	v_min3_f32 v100, v100, v102, v101
	v_cvt_f64_f32_e32 v[100:101], v100
	v_lshl_add_u64 v[102:103], v[138:139], 3, v[96:97]
	flat_store_dwordx2 v[102:103], v[100:101]
	s_or_b64 exec, exec, s[26:27]
	s_and_b64 s[34:35], s[14:15], s[18:19]
	s_and_saveexec_b64 s[26:27], s[34:35]
	s_cbranch_execz .LBB109_218
.LBB109_243:
	s_and_b64 vcc, exec, s[0:1]
	s_cbranch_vccnz .LBB109_245
; %bb.244:
	v_lshl_add_u64 v[100:101], v[140:141], 3, v[98:99]
	flat_load_dwordx2 v[100:101], v[100:101]
	s_waitcnt vmcnt(0) lgkmcnt(0)
	v_mul_f64 v[100:101], s[22:23], v[100:101]
	v_cvt_f32_f64_e32 v100, v[100:101]
	s_branch .LBB109_246
.LBB109_245:
	v_mov_b32_e32 v100, 0
.LBB109_246:
	v_add_f64 v[102:103], v[22:23], v[94:95]
	v_add_f64 v[104:105], v[20:21], v[92:93]
	v_cvt_f32_f64_e32 v101, v[104:105]
	v_cvt_f32_f64_e32 v102, v[102:103]
	v_min3_f32 v101, v101, v102, v180
	v_add_f64 v[102:103], v[18:19], v[90:91]
	v_add_f64 v[104:105], v[16:17], v[88:89]
	v_cvt_f32_f64_e32 v104, v[104:105]
	v_cvt_f32_f64_e32 v102, v[102:103]
	v_min_f32_e32 v102, v104, v102
	v_min3_f32 v100, v100, v102, v101
	v_cvt_f64_f32_e32 v[100:101], v100
	v_lshl_add_u64 v[102:103], v[140:141], 3, v[96:97]
	flat_store_dwordx2 v[102:103], v[100:101]
	s_or_b64 exec, exec, s[26:27]
	s_and_b64 s[26:27], s[16:17], s[18:19]
	s_and_saveexec_b64 s[18:19], s[26:27]
	s_cbranch_execz .LBB109_251
.LBB109_247:
	s_and_b64 vcc, exec, s[0:1]
	s_cbranch_vccnz .LBB109_249
; %bb.248:
	v_lshl_add_u64 v[98:99], v[142:143], 3, v[98:99]
	flat_load_dwordx2 v[98:99], v[98:99]
	s_waitcnt vmcnt(0) lgkmcnt(0)
	v_mul_f64 v[98:99], s[22:23], v[98:99]
	v_cvt_f32_f64_e32 v98, v[98:99]
	s_branch .LBB109_250
.LBB109_249:
	v_mov_b32_e32 v98, 0
.LBB109_250:
	v_add_f64 v[94:95], v[6:7], v[94:95]
	v_add_f64 v[92:93], v[4:5], v[92:93]
	;; [unrolled: 1-line block ×4, first 2 shown]
	v_cvt_f32_f64_e32 v92, v[92:93]
	v_cvt_f32_f64_e32 v93, v[94:95]
	;; [unrolled: 1-line block ×4, first 2 shown]
	v_min3_f32 v92, v92, v93, v179
	v_min_f32_e32 v88, v88, v89
	v_min3_f32 v88, v98, v88, v92
	v_cvt_f64_f32_e32 v[88:89], v88
	v_lshl_add_u64 v[90:91], v[142:143], 3, v[96:97]
	flat_store_dwordx2 v[90:91], v[88:89]
.LBB109_251:
	s_or_b64 exec, exec, s[18:19]
	v_add_u32_e32 v92, 40, v152
	v_mad_i64_i32 v[88:89], s[26:27], v92, s31, 0
	v_cmp_gt_i32_e64 s[18:19], s25, v92
	v_lshl_add_u64 v[90:91], v[88:89], 3, s[28:29]
	v_mad_i64_i32 v[88:89], s[26:27], v92, s30, 0
	v_lshl_add_u64 v[88:89], v[88:89], 3, s[20:21]
	s_and_b64 s[34:35], s[2:3], s[18:19]
	s_and_saveexec_b64 s[26:27], s[34:35]
	s_cbranch_execnz .LBB109_259
; %bb.252:
	s_or_b64 exec, exec, s[26:27]
	s_and_b64 s[34:35], s[4:5], s[18:19]
	s_and_saveexec_b64 s[26:27], s[34:35]
	s_cbranch_execnz .LBB109_263
.LBB109_253:
	s_or_b64 exec, exec, s[26:27]
	s_and_b64 s[34:35], s[6:7], s[18:19]
	s_and_saveexec_b64 s[26:27], s[34:35]
	s_cbranch_execnz .LBB109_267
.LBB109_254:
	s_or_b64 exec, exec, s[26:27]
	s_and_b64 s[34:35], s[8:9], s[18:19]
	s_and_saveexec_b64 s[26:27], s[34:35]
	s_cbranch_execnz .LBB109_271
.LBB109_255:
	s_or_b64 exec, exec, s[26:27]
	s_and_b64 s[34:35], s[10:11], s[18:19]
	s_and_saveexec_b64 s[26:27], s[34:35]
	s_cbranch_execnz .LBB109_275
.LBB109_256:
	s_or_b64 exec, exec, s[26:27]
	s_and_b64 s[34:35], s[12:13], s[18:19]
	s_and_saveexec_b64 s[26:27], s[34:35]
	s_cbranch_execnz .LBB109_279
.LBB109_257:
	s_or_b64 exec, exec, s[26:27]
	s_and_b64 s[34:35], s[14:15], s[18:19]
	s_and_saveexec_b64 s[26:27], s[34:35]
	s_cbranch_execnz .LBB109_283
.LBB109_258:
	s_or_b64 exec, exec, s[26:27]
	s_and_b64 s[26:27], s[16:17], s[18:19]
	s_and_saveexec_b64 s[18:19], s[26:27]
	s_cbranch_execnz .LBB109_287
	s_branch .LBB109_291
.LBB109_259:
	s_and_b64 vcc, exec, s[0:1]
	s_cbranch_vccnz .LBB109_261
; %bb.260:
	v_lshl_add_u64 v[92:93], v[128:129], 3, v[90:91]
	flat_load_dwordx2 v[92:93], v[92:93]
	s_waitcnt vmcnt(0) lgkmcnt(0)
	v_mul_f64 v[92:93], s[22:23], v[92:93]
	v_cvt_f32_f64_e32 v92, v[92:93]
	s_branch .LBB109_262
.LBB109_261:
	v_mov_b32_e32 v92, 0
.LBB109_262:
	v_add_f64 v[94:95], v[70:71], v[86:87]
	v_add_f64 v[96:97], v[68:69], v[84:85]
	v_cvt_f32_f64_e32 v93, v[96:97]
	v_cvt_f32_f64_e32 v94, v[94:95]
	v_min3_f32 v93, v93, v94, v178
	v_add_f64 v[94:95], v[66:67], v[82:83]
	v_add_f64 v[96:97], v[64:65], v[80:81]
	v_cvt_f32_f64_e32 v96, v[96:97]
	v_cvt_f32_f64_e32 v94, v[94:95]
	v_min_f32_e32 v94, v96, v94
	v_min3_f32 v92, v92, v94, v93
	v_cvt_f64_f32_e32 v[92:93], v92
	v_lshl_add_u64 v[94:95], v[128:129], 3, v[88:89]
	flat_store_dwordx2 v[94:95], v[92:93]
	s_or_b64 exec, exec, s[26:27]
	s_and_b64 s[34:35], s[4:5], s[18:19]
	s_and_saveexec_b64 s[26:27], s[34:35]
	s_cbranch_execz .LBB109_253
.LBB109_263:
	s_and_b64 vcc, exec, s[0:1]
	s_cbranch_vccnz .LBB109_265
; %bb.264:
	v_lshl_add_u64 v[92:93], v[130:131], 3, v[90:91]
	flat_load_dwordx2 v[92:93], v[92:93]
	s_waitcnt vmcnt(0) lgkmcnt(0)
	v_mul_f64 v[92:93], s[22:23], v[92:93]
	v_cvt_f32_f64_e32 v92, v[92:93]
	s_branch .LBB109_266
.LBB109_265:
	v_mov_b32_e32 v92, 0
.LBB109_266:
	v_add_f64 v[94:95], v[62:63], v[86:87]
	v_add_f64 v[96:97], v[60:61], v[84:85]
	v_cvt_f32_f64_e32 v93, v[96:97]
	v_cvt_f32_f64_e32 v94, v[94:95]
	v_min3_f32 v93, v93, v94, v177
	v_add_f64 v[94:95], v[58:59], v[82:83]
	v_add_f64 v[96:97], v[56:57], v[80:81]
	v_cvt_f32_f64_e32 v96, v[96:97]
	v_cvt_f32_f64_e32 v94, v[94:95]
	v_min_f32_e32 v94, v96, v94
	v_min3_f32 v92, v92, v94, v93
	v_cvt_f64_f32_e32 v[92:93], v92
	v_lshl_add_u64 v[94:95], v[130:131], 3, v[88:89]
	flat_store_dwordx2 v[94:95], v[92:93]
	s_or_b64 exec, exec, s[26:27]
	s_and_b64 s[34:35], s[6:7], s[18:19]
	s_and_saveexec_b64 s[26:27], s[34:35]
	s_cbranch_execz .LBB109_254
.LBB109_267:
	s_and_b64 vcc, exec, s[0:1]
	s_cbranch_vccnz .LBB109_269
; %bb.268:
	v_lshl_add_u64 v[92:93], v[132:133], 3, v[90:91]
	flat_load_dwordx2 v[92:93], v[92:93]
	s_waitcnt vmcnt(0) lgkmcnt(0)
	v_mul_f64 v[92:93], s[22:23], v[92:93]
	v_cvt_f32_f64_e32 v92, v[92:93]
	s_branch .LBB109_270
.LBB109_269:
	v_mov_b32_e32 v92, 0
.LBB109_270:
	v_add_f64 v[94:95], v[54:55], v[86:87]
	v_add_f64 v[96:97], v[52:53], v[84:85]
	v_cvt_f32_f64_e32 v93, v[96:97]
	v_cvt_f32_f64_e32 v94, v[94:95]
	v_min3_f32 v93, v93, v94, v176
	v_add_f64 v[94:95], v[50:51], v[82:83]
	v_add_f64 v[96:97], v[48:49], v[80:81]
	v_cvt_f32_f64_e32 v96, v[96:97]
	v_cvt_f32_f64_e32 v94, v[94:95]
	v_min_f32_e32 v94, v96, v94
	v_min3_f32 v92, v92, v94, v93
	v_cvt_f64_f32_e32 v[92:93], v92
	v_lshl_add_u64 v[94:95], v[132:133], 3, v[88:89]
	flat_store_dwordx2 v[94:95], v[92:93]
	s_or_b64 exec, exec, s[26:27]
	s_and_b64 s[34:35], s[8:9], s[18:19]
	s_and_saveexec_b64 s[26:27], s[34:35]
	s_cbranch_execz .LBB109_255
.LBB109_271:
	s_and_b64 vcc, exec, s[0:1]
	s_cbranch_vccnz .LBB109_273
; %bb.272:
	v_lshl_add_u64 v[92:93], v[134:135], 3, v[90:91]
	flat_load_dwordx2 v[92:93], v[92:93]
	s_waitcnt vmcnt(0) lgkmcnt(0)
	v_mul_f64 v[92:93], s[22:23], v[92:93]
	v_cvt_f32_f64_e32 v92, v[92:93]
	s_branch .LBB109_274
.LBB109_273:
	v_mov_b32_e32 v92, 0
.LBB109_274:
	v_add_f64 v[94:95], v[46:47], v[86:87]
	v_add_f64 v[96:97], v[44:45], v[84:85]
	v_cvt_f32_f64_e32 v93, v[96:97]
	v_cvt_f32_f64_e32 v94, v[94:95]
	v_min3_f32 v93, v93, v94, v175
	v_add_f64 v[94:95], v[42:43], v[82:83]
	v_add_f64 v[96:97], v[40:41], v[80:81]
	v_cvt_f32_f64_e32 v96, v[96:97]
	v_cvt_f32_f64_e32 v94, v[94:95]
	v_min_f32_e32 v94, v96, v94
	v_min3_f32 v92, v92, v94, v93
	v_cvt_f64_f32_e32 v[92:93], v92
	v_lshl_add_u64 v[94:95], v[134:135], 3, v[88:89]
	flat_store_dwordx2 v[94:95], v[92:93]
	s_or_b64 exec, exec, s[26:27]
	s_and_b64 s[34:35], s[10:11], s[18:19]
	s_and_saveexec_b64 s[26:27], s[34:35]
	s_cbranch_execz .LBB109_256
.LBB109_275:
	s_and_b64 vcc, exec, s[0:1]
	s_cbranch_vccnz .LBB109_277
; %bb.276:
	v_lshl_add_u64 v[92:93], v[136:137], 3, v[90:91]
	flat_load_dwordx2 v[92:93], v[92:93]
	s_waitcnt vmcnt(0) lgkmcnt(0)
	v_mul_f64 v[92:93], s[22:23], v[92:93]
	v_cvt_f32_f64_e32 v92, v[92:93]
	s_branch .LBB109_278
.LBB109_277:
	v_mov_b32_e32 v92, 0
.LBB109_278:
	v_add_f64 v[94:95], v[38:39], v[86:87]
	v_add_f64 v[96:97], v[36:37], v[84:85]
	v_cvt_f32_f64_e32 v93, v[96:97]
	v_cvt_f32_f64_e32 v94, v[94:95]
	v_min3_f32 v93, v93, v94, v174
	v_add_f64 v[94:95], v[34:35], v[82:83]
	v_add_f64 v[96:97], v[32:33], v[80:81]
	v_cvt_f32_f64_e32 v96, v[96:97]
	v_cvt_f32_f64_e32 v94, v[94:95]
	v_min_f32_e32 v94, v96, v94
	v_min3_f32 v92, v92, v94, v93
	v_cvt_f64_f32_e32 v[92:93], v92
	v_lshl_add_u64 v[94:95], v[136:137], 3, v[88:89]
	flat_store_dwordx2 v[94:95], v[92:93]
	s_or_b64 exec, exec, s[26:27]
	s_and_b64 s[34:35], s[12:13], s[18:19]
	s_and_saveexec_b64 s[26:27], s[34:35]
	s_cbranch_execz .LBB109_257
.LBB109_279:
	s_and_b64 vcc, exec, s[0:1]
	s_cbranch_vccnz .LBB109_281
; %bb.280:
	v_lshl_add_u64 v[92:93], v[138:139], 3, v[90:91]
	flat_load_dwordx2 v[92:93], v[92:93]
	s_waitcnt vmcnt(0) lgkmcnt(0)
	v_mul_f64 v[92:93], s[22:23], v[92:93]
	v_cvt_f32_f64_e32 v92, v[92:93]
	s_branch .LBB109_282
.LBB109_281:
	v_mov_b32_e32 v92, 0
.LBB109_282:
	v_add_f64 v[94:95], v[30:31], v[86:87]
	v_add_f64 v[96:97], v[28:29], v[84:85]
	v_cvt_f32_f64_e32 v93, v[96:97]
	v_cvt_f32_f64_e32 v94, v[94:95]
	v_min3_f32 v93, v93, v94, v173
	v_add_f64 v[94:95], v[26:27], v[82:83]
	v_add_f64 v[96:97], v[24:25], v[80:81]
	v_cvt_f32_f64_e32 v96, v[96:97]
	v_cvt_f32_f64_e32 v94, v[94:95]
	v_min_f32_e32 v94, v96, v94
	v_min3_f32 v92, v92, v94, v93
	v_cvt_f64_f32_e32 v[92:93], v92
	v_lshl_add_u64 v[94:95], v[138:139], 3, v[88:89]
	flat_store_dwordx2 v[94:95], v[92:93]
	s_or_b64 exec, exec, s[26:27]
	s_and_b64 s[34:35], s[14:15], s[18:19]
	s_and_saveexec_b64 s[26:27], s[34:35]
	s_cbranch_execz .LBB109_258
.LBB109_283:
	s_and_b64 vcc, exec, s[0:1]
	s_cbranch_vccnz .LBB109_285
; %bb.284:
	v_lshl_add_u64 v[92:93], v[140:141], 3, v[90:91]
	flat_load_dwordx2 v[92:93], v[92:93]
	s_waitcnt vmcnt(0) lgkmcnt(0)
	v_mul_f64 v[92:93], s[22:23], v[92:93]
	v_cvt_f32_f64_e32 v92, v[92:93]
	s_branch .LBB109_286
.LBB109_285:
	v_mov_b32_e32 v92, 0
.LBB109_286:
	v_add_f64 v[94:95], v[22:23], v[86:87]
	v_add_f64 v[96:97], v[20:21], v[84:85]
	v_cvt_f32_f64_e32 v93, v[96:97]
	v_cvt_f32_f64_e32 v94, v[94:95]
	v_min3_f32 v93, v93, v94, v172
	v_add_f64 v[94:95], v[18:19], v[82:83]
	v_add_f64 v[96:97], v[16:17], v[80:81]
	v_cvt_f32_f64_e32 v96, v[96:97]
	v_cvt_f32_f64_e32 v94, v[94:95]
	v_min_f32_e32 v94, v96, v94
	v_min3_f32 v92, v92, v94, v93
	v_cvt_f64_f32_e32 v[92:93], v92
	v_lshl_add_u64 v[94:95], v[140:141], 3, v[88:89]
	flat_store_dwordx2 v[94:95], v[92:93]
	s_or_b64 exec, exec, s[26:27]
	s_and_b64 s[26:27], s[16:17], s[18:19]
	s_and_saveexec_b64 s[18:19], s[26:27]
	s_cbranch_execz .LBB109_291
.LBB109_287:
	s_and_b64 vcc, exec, s[0:1]
	s_cbranch_vccnz .LBB109_289
; %bb.288:
	v_lshl_add_u64 v[90:91], v[142:143], 3, v[90:91]
	flat_load_dwordx2 v[90:91], v[90:91]
	s_waitcnt vmcnt(0) lgkmcnt(0)
	v_mul_f64 v[90:91], s[22:23], v[90:91]
	v_cvt_f32_f64_e32 v90, v[90:91]
	s_branch .LBB109_290
.LBB109_289:
	v_mov_b32_e32 v90, 0
.LBB109_290:
	v_add_f64 v[86:87], v[6:7], v[86:87]
	v_add_f64 v[84:85], v[4:5], v[84:85]
	;; [unrolled: 1-line block ×4, first 2 shown]
	v_cvt_f32_f64_e32 v84, v[84:85]
	v_cvt_f32_f64_e32 v85, v[86:87]
	;; [unrolled: 1-line block ×4, first 2 shown]
	v_min3_f32 v84, v84, v85, v171
	v_min_f32_e32 v80, v80, v81
	v_min3_f32 v80, v90, v80, v84
	v_cvt_f64_f32_e32 v[80:81], v80
	v_lshl_add_u64 v[82:83], v[142:143], 3, v[88:89]
	flat_store_dwordx2 v[82:83], v[80:81]
.LBB109_291:
	s_or_b64 exec, exec, s[18:19]
	v_add_u32_e32 v84, 48, v152
	v_mad_i64_i32 v[80:81], s[26:27], v84, s31, 0
	v_cmp_gt_i32_e64 s[18:19], s25, v84
	v_lshl_add_u64 v[82:83], v[80:81], 3, s[28:29]
	v_mad_i64_i32 v[80:81], s[26:27], v84, s30, 0
	v_lshl_add_u64 v[80:81], v[80:81], 3, s[20:21]
	s_and_b64 s[34:35], s[2:3], s[18:19]
	s_and_saveexec_b64 s[26:27], s[34:35]
	s_cbranch_execnz .LBB109_299
; %bb.292:
	s_or_b64 exec, exec, s[26:27]
	s_and_b64 s[34:35], s[4:5], s[18:19]
	s_and_saveexec_b64 s[26:27], s[34:35]
	s_cbranch_execnz .LBB109_303
.LBB109_293:
	s_or_b64 exec, exec, s[26:27]
	s_and_b64 s[34:35], s[6:7], s[18:19]
	s_and_saveexec_b64 s[26:27], s[34:35]
	s_cbranch_execnz .LBB109_307
.LBB109_294:
	s_or_b64 exec, exec, s[26:27]
	s_and_b64 s[34:35], s[8:9], s[18:19]
	s_and_saveexec_b64 s[26:27], s[34:35]
	s_cbranch_execnz .LBB109_311
.LBB109_295:
	s_or_b64 exec, exec, s[26:27]
	s_and_b64 s[34:35], s[10:11], s[18:19]
	s_and_saveexec_b64 s[26:27], s[34:35]
	s_cbranch_execnz .LBB109_315
.LBB109_296:
	s_or_b64 exec, exec, s[26:27]
	s_and_b64 s[34:35], s[12:13], s[18:19]
	s_and_saveexec_b64 s[26:27], s[34:35]
	s_cbranch_execnz .LBB109_319
.LBB109_297:
	s_or_b64 exec, exec, s[26:27]
	s_and_b64 s[34:35], s[14:15], s[18:19]
	s_and_saveexec_b64 s[26:27], s[34:35]
	s_cbranch_execnz .LBB109_323
.LBB109_298:
	s_or_b64 exec, exec, s[26:27]
	s_and_b64 s[26:27], s[16:17], s[18:19]
	s_and_saveexec_b64 s[18:19], s[26:27]
	s_cbranch_execnz .LBB109_327
	s_branch .LBB109_331
.LBB109_299:
	s_and_b64 vcc, exec, s[0:1]
	s_cbranch_vccnz .LBB109_301
; %bb.300:
	v_lshl_add_u64 v[84:85], v[128:129], 3, v[82:83]
	flat_load_dwordx2 v[84:85], v[84:85]
	s_waitcnt vmcnt(0) lgkmcnt(0)
	v_mul_f64 v[84:85], s[22:23], v[84:85]
	v_cvt_f32_f64_e32 v84, v[84:85]
	s_branch .LBB109_302
.LBB109_301:
	v_mov_b32_e32 v84, 0
.LBB109_302:
	v_add_f64 v[86:87], v[70:71], v[78:79]
	v_add_f64 v[88:89], v[68:69], v[76:77]
	v_cvt_f32_f64_e32 v85, v[88:89]
	v_cvt_f32_f64_e32 v86, v[86:87]
	v_min3_f32 v85, v85, v86, v170
	v_add_f64 v[86:87], v[66:67], v[74:75]
	v_add_f64 v[88:89], v[64:65], v[72:73]
	v_cvt_f32_f64_e32 v88, v[88:89]
	v_cvt_f32_f64_e32 v86, v[86:87]
	v_min_f32_e32 v86, v88, v86
	v_min3_f32 v84, v84, v86, v85
	v_cvt_f64_f32_e32 v[84:85], v84
	v_lshl_add_u64 v[86:87], v[128:129], 3, v[80:81]
	flat_store_dwordx2 v[86:87], v[84:85]
	s_or_b64 exec, exec, s[26:27]
	s_and_b64 s[34:35], s[4:5], s[18:19]
	s_and_saveexec_b64 s[26:27], s[34:35]
	s_cbranch_execz .LBB109_293
.LBB109_303:
	s_and_b64 vcc, exec, s[0:1]
	s_cbranch_vccnz .LBB109_305
; %bb.304:
	v_lshl_add_u64 v[84:85], v[130:131], 3, v[82:83]
	flat_load_dwordx2 v[84:85], v[84:85]
	s_waitcnt vmcnt(0) lgkmcnt(0)
	v_mul_f64 v[84:85], s[22:23], v[84:85]
	v_cvt_f32_f64_e32 v84, v[84:85]
	s_branch .LBB109_306
.LBB109_305:
	v_mov_b32_e32 v84, 0
.LBB109_306:
	v_add_f64 v[86:87], v[62:63], v[78:79]
	v_add_f64 v[88:89], v[60:61], v[76:77]
	v_cvt_f32_f64_e32 v85, v[88:89]
	v_cvt_f32_f64_e32 v86, v[86:87]
	v_min3_f32 v85, v85, v86, v168
	v_add_f64 v[86:87], v[58:59], v[74:75]
	v_add_f64 v[88:89], v[56:57], v[72:73]
	v_cvt_f32_f64_e32 v88, v[88:89]
	v_cvt_f32_f64_e32 v86, v[86:87]
	v_min_f32_e32 v86, v88, v86
	v_min3_f32 v84, v84, v86, v85
	v_cvt_f64_f32_e32 v[84:85], v84
	v_lshl_add_u64 v[86:87], v[130:131], 3, v[80:81]
	flat_store_dwordx2 v[86:87], v[84:85]
	s_or_b64 exec, exec, s[26:27]
	s_and_b64 s[34:35], s[6:7], s[18:19]
	s_and_saveexec_b64 s[26:27], s[34:35]
	s_cbranch_execz .LBB109_294
.LBB109_307:
	s_and_b64 vcc, exec, s[0:1]
	s_cbranch_vccnz .LBB109_309
; %bb.308:
	v_lshl_add_u64 v[84:85], v[132:133], 3, v[82:83]
	flat_load_dwordx2 v[84:85], v[84:85]
	s_waitcnt vmcnt(0) lgkmcnt(0)
	v_mul_f64 v[84:85], s[22:23], v[84:85]
	v_cvt_f32_f64_e32 v84, v[84:85]
	s_branch .LBB109_310
.LBB109_309:
	v_mov_b32_e32 v84, 0
.LBB109_310:
	v_add_f64 v[86:87], v[54:55], v[78:79]
	v_add_f64 v[88:89], v[52:53], v[76:77]
	v_cvt_f32_f64_e32 v85, v[88:89]
	v_cvt_f32_f64_e32 v86, v[86:87]
	v_min3_f32 v85, v85, v86, v167
	v_add_f64 v[86:87], v[50:51], v[74:75]
	v_add_f64 v[88:89], v[48:49], v[72:73]
	v_cvt_f32_f64_e32 v88, v[88:89]
	v_cvt_f32_f64_e32 v86, v[86:87]
	v_min_f32_e32 v86, v88, v86
	v_min3_f32 v84, v84, v86, v85
	v_cvt_f64_f32_e32 v[84:85], v84
	v_lshl_add_u64 v[86:87], v[132:133], 3, v[80:81]
	flat_store_dwordx2 v[86:87], v[84:85]
	s_or_b64 exec, exec, s[26:27]
	s_and_b64 s[34:35], s[8:9], s[18:19]
	s_and_saveexec_b64 s[26:27], s[34:35]
	s_cbranch_execz .LBB109_295
.LBB109_311:
	s_and_b64 vcc, exec, s[0:1]
	s_cbranch_vccnz .LBB109_313
; %bb.312:
	v_lshl_add_u64 v[84:85], v[134:135], 3, v[82:83]
	flat_load_dwordx2 v[84:85], v[84:85]
	s_waitcnt vmcnt(0) lgkmcnt(0)
	v_mul_f64 v[84:85], s[22:23], v[84:85]
	v_cvt_f32_f64_e32 v84, v[84:85]
	s_branch .LBB109_314
.LBB109_313:
	v_mov_b32_e32 v84, 0
.LBB109_314:
	v_add_f64 v[86:87], v[46:47], v[78:79]
	v_add_f64 v[88:89], v[44:45], v[76:77]
	v_cvt_f32_f64_e32 v85, v[88:89]
	v_cvt_f32_f64_e32 v86, v[86:87]
	v_min3_f32 v85, v85, v86, v166
	v_add_f64 v[86:87], v[42:43], v[74:75]
	v_add_f64 v[88:89], v[40:41], v[72:73]
	v_cvt_f32_f64_e32 v88, v[88:89]
	v_cvt_f32_f64_e32 v86, v[86:87]
	v_min_f32_e32 v86, v88, v86
	v_min3_f32 v84, v84, v86, v85
	v_cvt_f64_f32_e32 v[84:85], v84
	v_lshl_add_u64 v[86:87], v[134:135], 3, v[80:81]
	flat_store_dwordx2 v[86:87], v[84:85]
	s_or_b64 exec, exec, s[26:27]
	s_and_b64 s[34:35], s[10:11], s[18:19]
	s_and_saveexec_b64 s[26:27], s[34:35]
	s_cbranch_execz .LBB109_296
.LBB109_315:
	s_and_b64 vcc, exec, s[0:1]
	s_cbranch_vccnz .LBB109_317
; %bb.316:
	v_lshl_add_u64 v[84:85], v[136:137], 3, v[82:83]
	flat_load_dwordx2 v[84:85], v[84:85]
	s_waitcnt vmcnt(0) lgkmcnt(0)
	v_mul_f64 v[84:85], s[22:23], v[84:85]
	v_cvt_f32_f64_e32 v84, v[84:85]
	s_branch .LBB109_318
.LBB109_317:
	v_mov_b32_e32 v84, 0
.LBB109_318:
	v_add_f64 v[86:87], v[38:39], v[78:79]
	v_add_f64 v[88:89], v[36:37], v[76:77]
	v_cvt_f32_f64_e32 v85, v[88:89]
	v_cvt_f32_f64_e32 v86, v[86:87]
	v_min3_f32 v85, v85, v86, v164
	v_add_f64 v[86:87], v[34:35], v[74:75]
	v_add_f64 v[88:89], v[32:33], v[72:73]
	v_cvt_f32_f64_e32 v88, v[88:89]
	v_cvt_f32_f64_e32 v86, v[86:87]
	v_min_f32_e32 v86, v88, v86
	v_min3_f32 v84, v84, v86, v85
	v_cvt_f64_f32_e32 v[84:85], v84
	v_lshl_add_u64 v[86:87], v[136:137], 3, v[80:81]
	flat_store_dwordx2 v[86:87], v[84:85]
	s_or_b64 exec, exec, s[26:27]
	s_and_b64 s[34:35], s[12:13], s[18:19]
	s_and_saveexec_b64 s[26:27], s[34:35]
	s_cbranch_execz .LBB109_297
.LBB109_319:
	s_and_b64 vcc, exec, s[0:1]
	s_cbranch_vccnz .LBB109_321
; %bb.320:
	v_lshl_add_u64 v[84:85], v[138:139], 3, v[82:83]
	flat_load_dwordx2 v[84:85], v[84:85]
	s_waitcnt vmcnt(0) lgkmcnt(0)
	v_mul_f64 v[84:85], s[22:23], v[84:85]
	v_cvt_f32_f64_e32 v84, v[84:85]
	s_branch .LBB109_322
.LBB109_321:
	v_mov_b32_e32 v84, 0
.LBB109_322:
	v_add_f64 v[86:87], v[30:31], v[78:79]
	v_add_f64 v[88:89], v[28:29], v[76:77]
	v_cvt_f32_f64_e32 v85, v[88:89]
	v_cvt_f32_f64_e32 v86, v[86:87]
	v_min3_f32 v85, v85, v86, v163
	v_add_f64 v[86:87], v[26:27], v[74:75]
	v_add_f64 v[88:89], v[24:25], v[72:73]
	v_cvt_f32_f64_e32 v88, v[88:89]
	v_cvt_f32_f64_e32 v86, v[86:87]
	v_min_f32_e32 v86, v88, v86
	v_min3_f32 v84, v84, v86, v85
	v_cvt_f64_f32_e32 v[84:85], v84
	v_lshl_add_u64 v[86:87], v[138:139], 3, v[80:81]
	flat_store_dwordx2 v[86:87], v[84:85]
	s_or_b64 exec, exec, s[26:27]
	s_and_b64 s[34:35], s[14:15], s[18:19]
	s_and_saveexec_b64 s[26:27], s[34:35]
	s_cbranch_execz .LBB109_298
.LBB109_323:
	s_and_b64 vcc, exec, s[0:1]
	s_cbranch_vccnz .LBB109_325
; %bb.324:
	v_lshl_add_u64 v[84:85], v[140:141], 3, v[82:83]
	flat_load_dwordx2 v[84:85], v[84:85]
	s_waitcnt vmcnt(0) lgkmcnt(0)
	v_mul_f64 v[84:85], s[22:23], v[84:85]
	v_cvt_f32_f64_e32 v84, v[84:85]
	s_branch .LBB109_326
.LBB109_325:
	v_mov_b32_e32 v84, 0
.LBB109_326:
	v_add_f64 v[86:87], v[22:23], v[78:79]
	v_add_f64 v[88:89], v[20:21], v[76:77]
	v_cvt_f32_f64_e32 v85, v[88:89]
	v_cvt_f32_f64_e32 v86, v[86:87]
	v_min3_f32 v85, v85, v86, v159
	v_add_f64 v[86:87], v[18:19], v[74:75]
	v_add_f64 v[88:89], v[16:17], v[72:73]
	v_cvt_f32_f64_e32 v88, v[88:89]
	v_cvt_f32_f64_e32 v86, v[86:87]
	v_min_f32_e32 v86, v88, v86
	v_min3_f32 v84, v84, v86, v85
	v_cvt_f64_f32_e32 v[84:85], v84
	v_lshl_add_u64 v[86:87], v[140:141], 3, v[80:81]
	flat_store_dwordx2 v[86:87], v[84:85]
	s_or_b64 exec, exec, s[26:27]
	s_and_b64 s[26:27], s[16:17], s[18:19]
	s_and_saveexec_b64 s[18:19], s[26:27]
	s_cbranch_execz .LBB109_331
.LBB109_327:
	s_and_b64 vcc, exec, s[0:1]
	s_cbranch_vccnz .LBB109_329
; %bb.328:
	v_lshl_add_u64 v[82:83], v[142:143], 3, v[82:83]
	flat_load_dwordx2 v[82:83], v[82:83]
	s_waitcnt vmcnt(0) lgkmcnt(0)
	v_mul_f64 v[82:83], s[22:23], v[82:83]
	v_cvt_f32_f64_e32 v82, v[82:83]
	s_branch .LBB109_330
.LBB109_329:
	v_mov_b32_e32 v82, 0
.LBB109_330:
	v_add_f64 v[78:79], v[6:7], v[78:79]
	v_add_f64 v[76:77], v[4:5], v[76:77]
	;; [unrolled: 1-line block ×4, first 2 shown]
	v_cvt_f32_f64_e32 v76, v[76:77]
	v_cvt_f32_f64_e32 v77, v[78:79]
	;; [unrolled: 1-line block ×4, first 2 shown]
	v_min3_f32 v76, v76, v77, v158
	v_min_f32_e32 v72, v72, v73
	v_min3_f32 v72, v82, v72, v76
	v_cvt_f64_f32_e32 v[72:73], v72
	v_lshl_add_u64 v[74:75], v[142:143], 3, v[80:81]
	flat_store_dwordx2 v[74:75], v[72:73]
.LBB109_331:
	s_or_b64 exec, exec, s[18:19]
	v_add_u32_e32 v76, 56, v152
	v_cmp_gt_i32_e64 s[18:19], s25, v76
	v_mad_i64_i32 v[72:73], s[24:25], v76, s31, 0
	v_lshl_add_u64 v[74:75], v[72:73], 3, s[28:29]
	v_mad_i64_i32 v[72:73], s[24:25], v76, s30, 0
	v_lshl_add_u64 v[72:73], v[72:73], 3, s[20:21]
	s_and_b64 s[20:21], s[2:3], s[18:19]
	s_and_saveexec_b64 s[2:3], s[20:21]
	s_cbranch_execnz .LBB109_340
; %bb.332:
	s_or_b64 exec, exec, s[2:3]
	s_and_b64 s[4:5], s[4:5], s[18:19]
	s_and_saveexec_b64 s[2:3], s[4:5]
	s_cbranch_execnz .LBB109_344
.LBB109_333:
	s_or_b64 exec, exec, s[2:3]
	s_and_b64 s[4:5], s[6:7], s[18:19]
	s_and_saveexec_b64 s[2:3], s[4:5]
	s_cbranch_execnz .LBB109_348
.LBB109_334:
	s_or_b64 exec, exec, s[2:3]
	s_and_b64 s[4:5], s[8:9], s[18:19]
	s_and_saveexec_b64 s[2:3], s[4:5]
	s_cbranch_execnz .LBB109_352
.LBB109_335:
	s_or_b64 exec, exec, s[2:3]
	s_and_b64 s[4:5], s[10:11], s[18:19]
	s_and_saveexec_b64 s[2:3], s[4:5]
	s_cbranch_execnz .LBB109_356
.LBB109_336:
	s_or_b64 exec, exec, s[2:3]
	s_and_b64 s[4:5], s[12:13], s[18:19]
	s_and_saveexec_b64 s[2:3], s[4:5]
	s_cbranch_execnz .LBB109_360
.LBB109_337:
	s_or_b64 exec, exec, s[2:3]
	s_and_b64 s[4:5], s[14:15], s[18:19]
	s_and_saveexec_b64 s[2:3], s[4:5]
	s_cbranch_execnz .LBB109_364
.LBB109_338:
	s_or_b64 exec, exec, s[2:3]
	s_and_b64 s[2:3], s[16:17], s[18:19]
	s_and_saveexec_b64 s[4:5], s[2:3]
	s_cbranch_execnz .LBB109_368
.LBB109_339:
	s_endpgm
.LBB109_340:
	s_and_b64 vcc, exec, s[0:1]
	s_cbranch_vccnz .LBB109_342
; %bb.341:
	v_lshl_add_u64 v[76:77], v[128:129], 3, v[74:75]
	flat_load_dwordx2 v[76:77], v[76:77]
	s_waitcnt vmcnt(0) lgkmcnt(0)
	v_mul_f64 v[76:77], s[22:23], v[76:77]
	v_cvt_f32_f64_e32 v76, v[76:77]
	s_branch .LBB109_343
.LBB109_342:
	v_mov_b32_e32 v76, 0
.LBB109_343:
	v_add_f64 v[70:71], v[70:71], v[14:15]
	v_add_f64 v[68:69], v[68:69], v[12:13]
	;; [unrolled: 1-line block ×4, first 2 shown]
	v_cvt_f32_f64_e32 v68, v[68:69]
	v_cvt_f32_f64_e32 v69, v[70:71]
	;; [unrolled: 1-line block ×4, first 2 shown]
	v_min3_f32 v68, v68, v69, v157
	v_min_f32_e32 v64, v64, v65
	v_min3_f32 v64, v76, v64, v68
	v_cvt_f64_f32_e32 v[64:65], v64
	v_lshl_add_u64 v[66:67], v[128:129], 3, v[72:73]
	flat_store_dwordx2 v[66:67], v[64:65]
	s_or_b64 exec, exec, s[2:3]
	s_and_b64 s[4:5], s[4:5], s[18:19]
	s_and_saveexec_b64 s[2:3], s[4:5]
	s_cbranch_execz .LBB109_333
.LBB109_344:
	s_and_b64 vcc, exec, s[0:1]
	s_cbranch_vccnz .LBB109_346
; %bb.345:
	v_lshl_add_u64 v[64:65], v[130:131], 3, v[74:75]
	flat_load_dwordx2 v[64:65], v[64:65]
	s_waitcnt vmcnt(0) lgkmcnt(0)
	v_mul_f64 v[64:65], s[22:23], v[64:65]
	v_cvt_f32_f64_e32 v64, v[64:65]
	s_branch .LBB109_347
.LBB109_346:
	v_mov_b32_e32 v64, 0
.LBB109_347:
	v_add_f64 v[62:63], v[62:63], v[14:15]
	v_add_f64 v[60:61], v[60:61], v[12:13]
	v_add_f64 v[58:59], v[58:59], v[10:11]
	v_add_f64 v[56:57], v[56:57], v[8:9]
	v_cvt_f32_f64_e32 v60, v[60:61]
	v_cvt_f32_f64_e32 v61, v[62:63]
	;; [unrolled: 1-line block ×4, first 2 shown]
	v_min3_f32 v60, v60, v61, v156
	v_min_f32_e32 v56, v56, v57
	v_min3_f32 v56, v64, v56, v60
	v_cvt_f64_f32_e32 v[56:57], v56
	v_lshl_add_u64 v[58:59], v[130:131], 3, v[72:73]
	flat_store_dwordx2 v[58:59], v[56:57]
	s_or_b64 exec, exec, s[2:3]
	s_and_b64 s[4:5], s[6:7], s[18:19]
	s_and_saveexec_b64 s[2:3], s[4:5]
	s_cbranch_execz .LBB109_334
.LBB109_348:
	s_and_b64 vcc, exec, s[0:1]
	s_cbranch_vccnz .LBB109_350
; %bb.349:
	v_lshl_add_u64 v[56:57], v[132:133], 3, v[74:75]
	flat_load_dwordx2 v[56:57], v[56:57]
	s_waitcnt vmcnt(0) lgkmcnt(0)
	v_mul_f64 v[56:57], s[22:23], v[56:57]
	v_cvt_f32_f64_e32 v56, v[56:57]
	s_branch .LBB109_351
.LBB109_350:
	v_mov_b32_e32 v56, 0
.LBB109_351:
	v_add_f64 v[54:55], v[54:55], v[14:15]
	v_add_f64 v[52:53], v[52:53], v[12:13]
	;; [unrolled: 1-line block ×4, first 2 shown]
	v_cvt_f32_f64_e32 v52, v[52:53]
	v_cvt_f32_f64_e32 v53, v[54:55]
	;; [unrolled: 1-line block ×4, first 2 shown]
	v_min3_f32 v52, v52, v53, v155
	v_min_f32_e32 v48, v48, v49
	v_min3_f32 v48, v56, v48, v52
	v_cvt_f64_f32_e32 v[48:49], v48
	v_lshl_add_u64 v[50:51], v[132:133], 3, v[72:73]
	flat_store_dwordx2 v[50:51], v[48:49]
	s_or_b64 exec, exec, s[2:3]
	s_and_b64 s[4:5], s[8:9], s[18:19]
	s_and_saveexec_b64 s[2:3], s[4:5]
	s_cbranch_execz .LBB109_335
.LBB109_352:
	s_and_b64 vcc, exec, s[0:1]
	s_cbranch_vccnz .LBB109_354
; %bb.353:
	v_lshl_add_u64 v[48:49], v[134:135], 3, v[74:75]
	flat_load_dwordx2 v[48:49], v[48:49]
	s_waitcnt vmcnt(0) lgkmcnt(0)
	v_mul_f64 v[48:49], s[22:23], v[48:49]
	v_cvt_f32_f64_e32 v48, v[48:49]
	s_branch .LBB109_355
.LBB109_354:
	v_mov_b32_e32 v48, 0
.LBB109_355:
	v_add_f64 v[46:47], v[46:47], v[14:15]
	v_add_f64 v[44:45], v[44:45], v[12:13]
	;; [unrolled: 1-line block ×4, first 2 shown]
	v_cvt_f32_f64_e32 v44, v[44:45]
	v_cvt_f32_f64_e32 v45, v[46:47]
	v_cvt_f32_f64_e32 v40, v[40:41]
	v_cvt_f32_f64_e32 v41, v[42:43]
	v_min3_f32 v44, v44, v45, v154
	v_min_f32_e32 v40, v40, v41
	v_min3_f32 v40, v48, v40, v44
	v_cvt_f64_f32_e32 v[40:41], v40
	v_lshl_add_u64 v[42:43], v[134:135], 3, v[72:73]
	flat_store_dwordx2 v[42:43], v[40:41]
	s_or_b64 exec, exec, s[2:3]
	s_and_b64 s[4:5], s[10:11], s[18:19]
	s_and_saveexec_b64 s[2:3], s[4:5]
	s_cbranch_execz .LBB109_336
.LBB109_356:
	s_and_b64 vcc, exec, s[0:1]
	s_cbranch_vccnz .LBB109_358
; %bb.357:
	v_lshl_add_u64 v[40:41], v[136:137], 3, v[74:75]
	flat_load_dwordx2 v[40:41], v[40:41]
	s_waitcnt vmcnt(0) lgkmcnt(0)
	v_mul_f64 v[40:41], s[22:23], v[40:41]
	v_cvt_f32_f64_e32 v40, v[40:41]
	s_branch .LBB109_359
.LBB109_358:
	v_mov_b32_e32 v40, 0
.LBB109_359:
	v_add_f64 v[38:39], v[38:39], v[14:15]
	v_add_f64 v[36:37], v[36:37], v[12:13]
	;; [unrolled: 1-line block ×4, first 2 shown]
	v_cvt_f32_f64_e32 v36, v[36:37]
	v_cvt_f32_f64_e32 v37, v[38:39]
	;; [unrolled: 1-line block ×4, first 2 shown]
	v_min3_f32 v36, v36, v37, v151
	v_min_f32_e32 v32, v32, v33
	v_min3_f32 v32, v40, v32, v36
	v_cvt_f64_f32_e32 v[32:33], v32
	v_lshl_add_u64 v[34:35], v[136:137], 3, v[72:73]
	flat_store_dwordx2 v[34:35], v[32:33]
	s_or_b64 exec, exec, s[2:3]
	s_and_b64 s[4:5], s[12:13], s[18:19]
	s_and_saveexec_b64 s[2:3], s[4:5]
	s_cbranch_execz .LBB109_337
.LBB109_360:
	s_and_b64 vcc, exec, s[0:1]
	s_cbranch_vccnz .LBB109_362
; %bb.361:
	v_lshl_add_u64 v[32:33], v[138:139], 3, v[74:75]
	flat_load_dwordx2 v[32:33], v[32:33]
	s_waitcnt vmcnt(0) lgkmcnt(0)
	v_mul_f64 v[32:33], s[22:23], v[32:33]
	v_cvt_f32_f64_e32 v32, v[32:33]
	s_branch .LBB109_363
.LBB109_362:
	v_mov_b32_e32 v32, 0
.LBB109_363:
	v_add_f64 v[30:31], v[30:31], v[14:15]
	v_add_f64 v[28:29], v[28:29], v[12:13]
	;; [unrolled: 1-line block ×4, first 2 shown]
	v_cvt_f32_f64_e32 v28, v[28:29]
	v_cvt_f32_f64_e32 v29, v[30:31]
	;; [unrolled: 1-line block ×4, first 2 shown]
	v_min3_f32 v28, v28, v29, v150
	v_min_f32_e32 v24, v24, v25
	v_min3_f32 v24, v32, v24, v28
	v_cvt_f64_f32_e32 v[24:25], v24
	v_lshl_add_u64 v[26:27], v[138:139], 3, v[72:73]
	flat_store_dwordx2 v[26:27], v[24:25]
	s_or_b64 exec, exec, s[2:3]
	s_and_b64 s[4:5], s[14:15], s[18:19]
	s_and_saveexec_b64 s[2:3], s[4:5]
	s_cbranch_execz .LBB109_338
.LBB109_364:
	s_and_b64 vcc, exec, s[0:1]
	s_cbranch_vccnz .LBB109_366
; %bb.365:
	v_lshl_add_u64 v[24:25], v[140:141], 3, v[74:75]
	flat_load_dwordx2 v[24:25], v[24:25]
	s_waitcnt vmcnt(0) lgkmcnt(0)
	v_mul_f64 v[24:25], s[22:23], v[24:25]
	v_cvt_f32_f64_e32 v24, v[24:25]
	s_branch .LBB109_367
.LBB109_366:
	v_mov_b32_e32 v24, 0
.LBB109_367:
	v_add_f64 v[22:23], v[22:23], v[14:15]
	v_add_f64 v[20:21], v[20:21], v[12:13]
	;; [unrolled: 1-line block ×4, first 2 shown]
	v_cvt_f32_f64_e32 v20, v[20:21]
	v_cvt_f32_f64_e32 v21, v[22:23]
	;; [unrolled: 1-line block ×4, first 2 shown]
	v_min3_f32 v20, v20, v21, v149
	v_min_f32_e32 v16, v16, v17
	v_min3_f32 v16, v24, v16, v20
	v_cvt_f64_f32_e32 v[16:17], v16
	v_lshl_add_u64 v[18:19], v[140:141], 3, v[72:73]
	flat_store_dwordx2 v[18:19], v[16:17]
	s_or_b64 exec, exec, s[2:3]
	s_and_b64 s[2:3], s[16:17], s[18:19]
	s_and_saveexec_b64 s[4:5], s[2:3]
	s_cbranch_execz .LBB109_339
.LBB109_368:
	s_and_b64 vcc, exec, s[0:1]
	s_cbranch_vccnz .LBB109_370
; %bb.369:
	v_lshl_add_u64 v[16:17], v[142:143], 3, v[74:75]
	flat_load_dwordx2 v[16:17], v[16:17]
	s_waitcnt vmcnt(0) lgkmcnt(0)
	v_mul_f64 v[16:17], s[22:23], v[16:17]
	v_cvt_f32_f64_e32 v16, v[16:17]
	s_branch .LBB109_371
.LBB109_370:
	v_mov_b32_e32 v16, 0
.LBB109_371:
	v_add_f64 v[6:7], v[6:7], v[14:15]
	v_add_f64 v[4:5], v[4:5], v[12:13]
	;; [unrolled: 1-line block ×4, first 2 shown]
	v_cvt_f32_f64_e32 v4, v[4:5]
	v_cvt_f32_f64_e32 v5, v[6:7]
	;; [unrolled: 1-line block ×4, first 2 shown]
	v_min3_f32 v4, v4, v5, v148
	v_min_f32_e32 v0, v0, v1
	v_min3_f32 v0, v16, v0, v4
	v_cvt_f64_f32_e32 v[0:1], v0
	v_lshl_add_u64 v[2:3], v[142:143], 3, v[72:73]
	flat_store_dwordx2 v[2:3], v[0:1]
	s_endpgm
	.section	.rodata,"a",@progbits
	.p2align	6, 0x0
	.amdhsa_kernel _ZN12_GLOBAL__N_120geam_min_plus_kernelId15HIP_vector_typeIdLj2EEdLi32ELi8ELi256ELi64ELi4ELi64ELi4ELi4ELi64ELc78ELc78ELb1ELb1ELb1EdKPKdKPdEEviiiT16_PT17_ilSA_ilS8_SA_ilPT18_ili26rocblas_geam_ex_operation_
		.amdhsa_group_segment_fixed_size 20480
		.amdhsa_private_segment_fixed_size 0
		.amdhsa_kernarg_size 136
		.amdhsa_user_sgpr_count 2
		.amdhsa_user_sgpr_dispatch_ptr 0
		.amdhsa_user_sgpr_queue_ptr 0
		.amdhsa_user_sgpr_kernarg_segment_ptr 1
		.amdhsa_user_sgpr_dispatch_id 0
		.amdhsa_user_sgpr_kernarg_preload_length 0
		.amdhsa_user_sgpr_kernarg_preload_offset 0
		.amdhsa_user_sgpr_private_segment_size 0
		.amdhsa_uses_dynamic_stack 0
		.amdhsa_enable_private_segment 0
		.amdhsa_system_sgpr_workgroup_id_x 1
		.amdhsa_system_sgpr_workgroup_id_y 0
		.amdhsa_system_sgpr_workgroup_id_z 1
		.amdhsa_system_sgpr_workgroup_info 0
		.amdhsa_system_vgpr_workitem_id 1
		.amdhsa_next_free_vgpr 230
		.amdhsa_next_free_sgpr 38
		.amdhsa_accum_offset 232
		.amdhsa_reserve_vcc 1
		.amdhsa_float_round_mode_32 0
		.amdhsa_float_round_mode_16_64 0
		.amdhsa_float_denorm_mode_32 3
		.amdhsa_float_denorm_mode_16_64 3
		.amdhsa_dx10_clamp 1
		.amdhsa_ieee_mode 1
		.amdhsa_fp16_overflow 0
		.amdhsa_tg_split 0
		.amdhsa_exception_fp_ieee_invalid_op 0
		.amdhsa_exception_fp_denorm_src 0
		.amdhsa_exception_fp_ieee_div_zero 0
		.amdhsa_exception_fp_ieee_overflow 0
		.amdhsa_exception_fp_ieee_underflow 0
		.amdhsa_exception_fp_ieee_inexact 0
		.amdhsa_exception_int_div_zero 0
	.end_amdhsa_kernel
	.section	.text._ZN12_GLOBAL__N_120geam_min_plus_kernelId15HIP_vector_typeIdLj2EEdLi32ELi8ELi256ELi64ELi4ELi64ELi4ELi4ELi64ELc78ELc78ELb1ELb1ELb1EdKPKdKPdEEviiiT16_PT17_ilSA_ilS8_SA_ilPT18_ili26rocblas_geam_ex_operation_,"axG",@progbits,_ZN12_GLOBAL__N_120geam_min_plus_kernelId15HIP_vector_typeIdLj2EEdLi32ELi8ELi256ELi64ELi4ELi64ELi4ELi4ELi64ELc78ELc78ELb1ELb1ELb1EdKPKdKPdEEviiiT16_PT17_ilSA_ilS8_SA_ilPT18_ili26rocblas_geam_ex_operation_,comdat
.Lfunc_end109:
	.size	_ZN12_GLOBAL__N_120geam_min_plus_kernelId15HIP_vector_typeIdLj2EEdLi32ELi8ELi256ELi64ELi4ELi64ELi4ELi4ELi64ELc78ELc78ELb1ELb1ELb1EdKPKdKPdEEviiiT16_PT17_ilSA_ilS8_SA_ilPT18_ili26rocblas_geam_ex_operation_, .Lfunc_end109-_ZN12_GLOBAL__N_120geam_min_plus_kernelId15HIP_vector_typeIdLj2EEdLi32ELi8ELi256ELi64ELi4ELi64ELi4ELi4ELi64ELc78ELc78ELb1ELb1ELb1EdKPKdKPdEEviiiT16_PT17_ilSA_ilS8_SA_ilPT18_ili26rocblas_geam_ex_operation_
                                        ; -- End function
	.set _ZN12_GLOBAL__N_120geam_min_plus_kernelId15HIP_vector_typeIdLj2EEdLi32ELi8ELi256ELi64ELi4ELi64ELi4ELi4ELi64ELc78ELc78ELb1ELb1ELb1EdKPKdKPdEEviiiT16_PT17_ilSA_ilS8_SA_ilPT18_ili26rocblas_geam_ex_operation_.num_vgpr, 230
	.set _ZN12_GLOBAL__N_120geam_min_plus_kernelId15HIP_vector_typeIdLj2EEdLi32ELi8ELi256ELi64ELi4ELi64ELi4ELi4ELi64ELc78ELc78ELb1ELb1ELb1EdKPKdKPdEEviiiT16_PT17_ilSA_ilS8_SA_ilPT18_ili26rocblas_geam_ex_operation_.num_agpr, 0
	.set _ZN12_GLOBAL__N_120geam_min_plus_kernelId15HIP_vector_typeIdLj2EEdLi32ELi8ELi256ELi64ELi4ELi64ELi4ELi4ELi64ELc78ELc78ELb1ELb1ELb1EdKPKdKPdEEviiiT16_PT17_ilSA_ilS8_SA_ilPT18_ili26rocblas_geam_ex_operation_.numbered_sgpr, 38
	.set _ZN12_GLOBAL__N_120geam_min_plus_kernelId15HIP_vector_typeIdLj2EEdLi32ELi8ELi256ELi64ELi4ELi64ELi4ELi4ELi64ELc78ELc78ELb1ELb1ELb1EdKPKdKPdEEviiiT16_PT17_ilSA_ilS8_SA_ilPT18_ili26rocblas_geam_ex_operation_.num_named_barrier, 0
	.set _ZN12_GLOBAL__N_120geam_min_plus_kernelId15HIP_vector_typeIdLj2EEdLi32ELi8ELi256ELi64ELi4ELi64ELi4ELi4ELi64ELc78ELc78ELb1ELb1ELb1EdKPKdKPdEEviiiT16_PT17_ilSA_ilS8_SA_ilPT18_ili26rocblas_geam_ex_operation_.private_seg_size, 0
	.set _ZN12_GLOBAL__N_120geam_min_plus_kernelId15HIP_vector_typeIdLj2EEdLi32ELi8ELi256ELi64ELi4ELi64ELi4ELi4ELi64ELc78ELc78ELb1ELb1ELb1EdKPKdKPdEEviiiT16_PT17_ilSA_ilS8_SA_ilPT18_ili26rocblas_geam_ex_operation_.uses_vcc, 1
	.set _ZN12_GLOBAL__N_120geam_min_plus_kernelId15HIP_vector_typeIdLj2EEdLi32ELi8ELi256ELi64ELi4ELi64ELi4ELi4ELi64ELc78ELc78ELb1ELb1ELb1EdKPKdKPdEEviiiT16_PT17_ilSA_ilS8_SA_ilPT18_ili26rocblas_geam_ex_operation_.uses_flat_scratch, 0
	.set _ZN12_GLOBAL__N_120geam_min_plus_kernelId15HIP_vector_typeIdLj2EEdLi32ELi8ELi256ELi64ELi4ELi64ELi4ELi4ELi64ELc78ELc78ELb1ELb1ELb1EdKPKdKPdEEviiiT16_PT17_ilSA_ilS8_SA_ilPT18_ili26rocblas_geam_ex_operation_.has_dyn_sized_stack, 0
	.set _ZN12_GLOBAL__N_120geam_min_plus_kernelId15HIP_vector_typeIdLj2EEdLi32ELi8ELi256ELi64ELi4ELi64ELi4ELi4ELi64ELc78ELc78ELb1ELb1ELb1EdKPKdKPdEEviiiT16_PT17_ilSA_ilS8_SA_ilPT18_ili26rocblas_geam_ex_operation_.has_recursion, 0
	.set _ZN12_GLOBAL__N_120geam_min_plus_kernelId15HIP_vector_typeIdLj2EEdLi32ELi8ELi256ELi64ELi4ELi64ELi4ELi4ELi64ELc78ELc78ELb1ELb1ELb1EdKPKdKPdEEviiiT16_PT17_ilSA_ilS8_SA_ilPT18_ili26rocblas_geam_ex_operation_.has_indirect_call, 0
	.section	.AMDGPU.csdata,"",@progbits
; Kernel info:
; codeLenInByte = 26312
; TotalNumSgprs: 44
; NumVgprs: 230
; NumAgprs: 0
; TotalNumVgprs: 230
; ScratchSize: 0
; MemoryBound: 0
; FloatMode: 240
; IeeeMode: 1
; LDSByteSize: 20480 bytes/workgroup (compile time only)
; SGPRBlocks: 5
; VGPRBlocks: 28
; NumSGPRsForWavesPerEU: 44
; NumVGPRsForWavesPerEU: 230
; AccumOffset: 232
; Occupancy: 2
; WaveLimiterHint : 1
; COMPUTE_PGM_RSRC2:SCRATCH_EN: 0
; COMPUTE_PGM_RSRC2:USER_SGPR: 2
; COMPUTE_PGM_RSRC2:TRAP_HANDLER: 0
; COMPUTE_PGM_RSRC2:TGID_X_EN: 1
; COMPUTE_PGM_RSRC2:TGID_Y_EN: 0
; COMPUTE_PGM_RSRC2:TGID_Z_EN: 1
; COMPUTE_PGM_RSRC2:TIDIG_COMP_CNT: 1
; COMPUTE_PGM_RSRC3_GFX90A:ACCUM_OFFSET: 57
; COMPUTE_PGM_RSRC3_GFX90A:TG_SPLIT: 0
	.section	.text._ZN12_GLOBAL__N_120geam_min_plus_kernelId15HIP_vector_typeIdLj2EEdLi32ELi8ELi256ELi64ELi4ELi64ELi4ELi4ELi64ELc78ELc78ELb0ELb1ELb1EdKPKdKPdEEviiiT16_PT17_ilSA_ilS8_SA_ilPT18_ili26rocblas_geam_ex_operation_,"axG",@progbits,_ZN12_GLOBAL__N_120geam_min_plus_kernelId15HIP_vector_typeIdLj2EEdLi32ELi8ELi256ELi64ELi4ELi64ELi4ELi4ELi64ELc78ELc78ELb0ELb1ELb1EdKPKdKPdEEviiiT16_PT17_ilSA_ilS8_SA_ilPT18_ili26rocblas_geam_ex_operation_,comdat
	.globl	_ZN12_GLOBAL__N_120geam_min_plus_kernelId15HIP_vector_typeIdLj2EEdLi32ELi8ELi256ELi64ELi4ELi64ELi4ELi4ELi64ELc78ELc78ELb0ELb1ELb1EdKPKdKPdEEviiiT16_PT17_ilSA_ilS8_SA_ilPT18_ili26rocblas_geam_ex_operation_ ; -- Begin function _ZN12_GLOBAL__N_120geam_min_plus_kernelId15HIP_vector_typeIdLj2EEdLi32ELi8ELi256ELi64ELi4ELi64ELi4ELi4ELi64ELc78ELc78ELb0ELb1ELb1EdKPKdKPdEEviiiT16_PT17_ilSA_ilS8_SA_ilPT18_ili26rocblas_geam_ex_operation_
	.p2align	8
	.type	_ZN12_GLOBAL__N_120geam_min_plus_kernelId15HIP_vector_typeIdLj2EEdLi32ELi8ELi256ELi64ELi4ELi64ELi4ELi4ELi64ELc78ELc78ELb0ELb1ELb1EdKPKdKPdEEviiiT16_PT17_ilSA_ilS8_SA_ilPT18_ili26rocblas_geam_ex_operation_,@function
_ZN12_GLOBAL__N_120geam_min_plus_kernelId15HIP_vector_typeIdLj2EEdLi32ELi8ELi256ELi64ELi4ELi64ELi4ELi4ELi64ELc78ELc78ELb0ELb1ELb1EdKPKdKPdEEviiiT16_PT17_ilSA_ilS8_SA_ilPT18_ili26rocblas_geam_ex_operation_: ; @_ZN12_GLOBAL__N_120geam_min_plus_kernelId15HIP_vector_typeIdLj2EEdLi32ELi8ELi256ELi64ELi4ELi64ELi4ELi4ELi64ELc78ELc78ELb0ELb1ELb1EdKPKdKPdEEviiiT16_PT17_ilSA_ilS8_SA_ilPT18_ili26rocblas_geam_ex_operation_
; %bb.0:
	s_load_dwordx4 s[16:19], s[0:1], 0x10
	s_load_dwordx4 s[4:7], s[0:1], 0x28
	s_mov_b32 s8, s3
	s_mov_b64 s[30:31], 0
	s_waitcnt lgkmcnt(0)
	v_cmp_eq_f64_e64 s[12:13], s[16:17], 0
	s_and_b64 vcc, exec, s[12:13]
	s_cbranch_vccnz .LBB110_2
; %bb.1:
	s_mov_b32 s9, 0
	s_lshl_b64 s[10:11], s[8:9], 3
	s_add_u32 s10, s18, s10
	s_addc_u32 s11, s19, s11
	s_load_dwordx2 s[10:11], s[10:11], 0x0
	s_lshl_b64 s[4:5], s[4:5], 3
	s_waitcnt lgkmcnt(0)
	s_add_u32 s30, s10, s4
	s_addc_u32 s31, s11, s5
.LBB110_2:
	s_load_dwordx4 s[20:23], s[0:1], 0x40
	s_load_dwordx2 s[10:11], s[0:1], 0x50
	s_andn2_b64 vcc, exec, s[12:13]
	s_mov_b32 s9, 0
	s_cbranch_vccnz .LBB110_4
; %bb.3:
	s_mov_b64 s[28:29], 0
	s_mov_b64 s[34:35], 0
	s_cbranch_execz .LBB110_5
	s_branch .LBB110_6
.LBB110_4:
	s_mov_b64 s[28:29], 0
	s_mov_b64 s[34:35], 0
.LBB110_5:
	s_lshl_b64 s[4:5], s[8:9], 3
	s_add_u32 s4, s6, s4
	s_addc_u32 s5, s7, s5
	s_load_dwordx2 s[4:5], s[4:5], 0x0
	s_waitcnt lgkmcnt(0)
	s_lshl_b64 s[6:7], s[20:21], 3
	s_add_u32 s34, s4, s6
	s_addc_u32 s35, s5, s7
.LBB110_6:
	s_load_dwordx4 s[4:7], s[0:1], 0x60
	s_waitcnt lgkmcnt(0)
	v_cmp_eq_f64_e64 s[12:13], s[22:23], 0
	v_cmp_neq_f64_e64 s[14:15], s[22:23], 0
	s_and_b64 vcc, exec, s[12:13]
	s_cbranch_vccnz .LBB110_8
; %bb.7:
	s_lshl_b64 s[12:13], s[8:9], 3
	s_add_u32 s10, s10, s12
	s_addc_u32 s11, s11, s13
	s_load_dwordx2 s[10:11], s[10:11], 0x0
	s_lshl_b64 s[4:5], s[4:5], 3
	s_waitcnt lgkmcnt(0)
	s_add_u32 s28, s10, s4
	s_addc_u32 s29, s11, s5
.LBB110_8:
	s_load_dwordx4 s[24:27], s[0:1], 0x0
	s_load_dword s36, s[0:1], 0x20
	s_lshl_b64 s[4:5], s[8:9], 3
	s_add_u32 s20, s6, s4
	s_addc_u32 s21, s7, s5
	s_waitcnt lgkmcnt(0)
	s_add_i32 s3, s24, -1
	s_ashr_i32 s4, s3, 31
	s_lshr_b32 s4, s4, 24
	s_add_i32 s3, s3, s4
	s_ashr_i32 s3, s3, 8
	s_add_i32 s4, s3, 1
	v_cvt_f32_u32_e32 v1, s4
	v_and_b32_e32 v142, 0x3ff, v0
	v_bfe_u32 v143, v0, 10, 10
	s_not_b32 s3, s3
	v_rcp_iflag_f32_e32 v1, v1
	v_lshl_add_u32 v10, v143, 5, v142
	v_lshrrev_b32_e32 v144, 6, v10
	v_and_b32_e32 v12, 63, v10
	v_mul_f32_e32 v0, 0x4f7ffffe, v1
	v_cvt_u32_f32_e32 v0, v0
	v_cmp_le_i32_e32 vcc, s26, v144
	v_cmp_eq_f64_e64 s[18:19], s[16:17], 0
	v_mov_b32_e32 v2, 0x7fefffff
	v_readfirstlane_b32 s5, v0
	s_mul_i32 s3, s3, s5
	s_mul_hi_u32 s3, s5, s3
	s_add_i32 s5, s5, s3
	s_mul_hi_u32 s3, s2, s5
	s_mul_i32 s5, s3, s4
	s_sub_i32 s5, s2, s5
	s_add_i32 s6, s3, 1
	s_sub_i32 s7, s5, s4
	s_cmp_ge_u32 s5, s4
	s_cselect_b32 s3, s6, s3
	s_cselect_b32 s5, s7, s5
	s_add_i32 s6, s3, 1
	s_cmp_ge_u32 s5, s4
	s_cselect_b32 s12, s6, s3
	s_mul_i32 s3, s12, s4
	s_sub_i32 s2, s2, s3
	s_add_i32 s37, s26, -1
	s_lshl_b32 s27, s2, 8
	v_min_i32_e32 v0, s37, v144
	v_or_b32_e32 v128, s27, v12
	v_mad_i64_i32 v[0:1], s[2:3], s36, v0, 0
	v_cmp_le_i32_e64 s[2:3], s24, v128
	s_or_b64 s[4:5], s[2:3], vcc
	v_lshl_add_u64 v[8:9], v[0:1], 3, s[30:31]
	v_cndmask_b32_e64 v1, 0, v2, s[4:5]
	s_nor_b64 s[6:7], s[18:19], s[4:5]
	v_cndmask_b32_e64 v0, 0, -1, s[4:5]
	v_ashrrev_i32_e32 v129, 31, v128
	s_and_saveexec_b64 s[4:5], s[6:7]
	s_cbranch_execz .LBB110_10
; %bb.9:
	v_lshl_add_u64 v[0:1], v[128:129], 3, v[8:9]
	flat_load_dwordx2 v[0:1], v[0:1]
	s_waitcnt vmcnt(0) lgkmcnt(0)
	v_mul_f64 v[0:1], s[16:17], v[0:1]
.LBB110_10:
	s_or_b64 exec, exec, s[4:5]
	v_or_b32_e32 v3, 64, v128
	v_cmp_le_i32_e64 s[4:5], s24, v3
	s_or_b64 s[6:7], s[4:5], vcc
	v_cndmask_b32_e64 v3, 0, v2, s[6:7]
	s_nor_b64 s[8:9], s[18:19], s[6:7]
	v_cndmask_b32_e64 v2, 0, -1, s[6:7]
	s_and_saveexec_b64 s[6:7], s[8:9]
	s_cbranch_execz .LBB110_12
; %bb.11:
	v_lshl_add_u64 v[2:3], v[128:129], 3, v[8:9]
	flat_load_dwordx2 v[2:3], v[2:3] offset:512
	s_waitcnt vmcnt(0) lgkmcnt(0)
	v_mul_f64 v[2:3], s[16:17], v[2:3]
.LBB110_12:
	s_or_b64 exec, exec, s[6:7]
	v_or_b32_e32 v4, 0x80, v128
	v_cmp_le_i32_e64 s[6:7], s24, v4
	v_mov_b32_e32 v6, 0x7fefffff
	s_or_b64 s[8:9], s[6:7], vcc
	v_cndmask_b32_e64 v5, 0, v6, s[8:9]
	s_nor_b64 s[10:11], s[18:19], s[8:9]
	v_cndmask_b32_e64 v4, 0, -1, s[8:9]
	s_and_saveexec_b64 s[8:9], s[10:11]
	s_cbranch_execz .LBB110_14
; %bb.13:
	v_lshl_add_u64 v[4:5], v[128:129], 3, v[8:9]
	flat_load_dwordx2 v[4:5], v[4:5] offset:1024
	s_waitcnt vmcnt(0) lgkmcnt(0)
	v_mul_f64 v[4:5], s[16:17], v[4:5]
.LBB110_14:
	s_or_b64 exec, exec, s[8:9]
	v_or_b32_e32 v7, 0xc0, v128
	v_cmp_le_i32_e64 s[8:9], s24, v7
	s_or_b64 vcc, s[8:9], vcc
	v_cndmask_b32_e32 v7, 0, v6, vcc
	s_nor_b64 s[38:39], s[18:19], vcc
	v_cndmask_b32_e64 v6, 0, -1, vcc
	s_and_saveexec_b64 s[10:11], s[38:39]
	s_cbranch_execz .LBB110_16
; %bb.15:
	v_lshl_add_u64 v[6:7], v[128:129], 3, v[8:9]
	flat_load_dwordx2 v[6:7], v[6:7] offset:1536
	s_waitcnt vmcnt(0) lgkmcnt(0)
	v_mul_f64 v[6:7], s[16:17], v[6:7]
.LBB110_16:
	s_or_b64 exec, exec, s[10:11]
	s_load_dword s39, s[0:1], 0x38
	v_lshrrev_b32_e32 v13, 2, v10
	s_lshl_b32 s33, s12, 6
	v_and_b32_e32 v147, 3, v142
	v_add_u32_e32 v101, s33, v13
	v_cmp_le_i32_e32 vcc, s26, v147
	v_cmp_le_i32_e64 s[10:11], s25, v101
	v_mov_b32_e32 v14, 0x7fefffff
	s_or_b64 vcc, vcc, s[10:11]
	v_cndmask_b32_e32 v9, 0, v14, vcc
	s_nor_b64 s[40:41], s[18:19], vcc
	v_cndmask_b32_e64 v8, 0, -1, vcc
	s_and_saveexec_b64 s[12:13], s[40:41]
	s_cbranch_execz .LBB110_18
; %bb.17:
	s_waitcnt lgkmcnt(0)
	v_mad_i64_i32 v[8:9], s[40:41], v101, s39, 0
	v_min_u32_e32 v10, s37, v147
	v_lshl_add_u64 v[8:9], v[8:9], 3, s[34:35]
	v_lshlrev_b32_e32 v10, 3, v10
	v_mov_b32_e32 v11, 0
	v_lshl_add_u64 v[8:9], v[8:9], 0, v[10:11]
	flat_load_dwordx2 v[8:9], v[8:9]
	s_waitcnt vmcnt(0) lgkmcnt(0)
	v_mul_f64 v[8:9], s[16:17], v[8:9]
.LBB110_18:
	s_or_b64 exec, exec, s[12:13]
	v_add_u32_e32 v10, 4, v144
	v_cmp_le_i32_e32 vcc, s26, v10
	v_min_i32_e32 v10, s37, v10
	v_mad_i64_i32 v[10:11], s[12:13], s36, v10, 0
	s_or_b64 s[12:13], s[2:3], vcc
	v_lshl_add_u64 v[10:11], v[10:11], 3, s[30:31]
	v_cndmask_b32_e64 v105, 0, v14, s[12:13]
	s_nor_b64 s[40:41], s[18:19], s[12:13]
	v_cndmask_b32_e64 v104, 0, -1, s[12:13]
	s_and_saveexec_b64 s[12:13], s[40:41]
	s_cbranch_execz .LBB110_20
; %bb.19:
	v_lshl_add_u64 v[14:15], v[128:129], 3, v[10:11]
	flat_load_dwordx2 v[14:15], v[14:15]
	s_waitcnt vmcnt(0) lgkmcnt(0)
	v_mul_f64 v[104:105], s[16:17], v[14:15]
.LBB110_20:
	s_or_b64 exec, exec, s[12:13]
	v_mov_b32_e32 v14, 0x7fefffff
	s_or_b64 s[12:13], s[4:5], vcc
	v_cndmask_b32_e64 v107, 0, v14, s[12:13]
	s_nor_b64 s[40:41], s[18:19], s[12:13]
	v_cndmask_b32_e64 v106, 0, -1, s[12:13]
	s_and_saveexec_b64 s[12:13], s[40:41]
	s_cbranch_execz .LBB110_22
; %bb.21:
	v_lshl_add_u64 v[16:17], v[128:129], 3, v[10:11]
	flat_load_dwordx2 v[16:17], v[16:17] offset:512
	s_waitcnt vmcnt(0) lgkmcnt(0)
	v_mul_f64 v[106:107], s[16:17], v[16:17]
.LBB110_22:
	s_or_b64 exec, exec, s[12:13]
	s_or_b64 s[12:13], s[6:7], vcc
	v_cndmask_b32_e64 v109, 0, v14, s[12:13]
	s_nor_b64 s[40:41], s[18:19], s[12:13]
	v_cndmask_b32_e64 v108, 0, -1, s[12:13]
	s_and_saveexec_b64 s[12:13], s[40:41]
	s_cbranch_execz .LBB110_24
; %bb.23:
	v_lshl_add_u64 v[14:15], v[128:129], 3, v[10:11]
	flat_load_dwordx2 v[14:15], v[14:15] offset:1024
	s_waitcnt vmcnt(0) lgkmcnt(0)
	v_mul_f64 v[108:109], s[16:17], v[14:15]
.LBB110_24:
	s_or_b64 exec, exec, s[12:13]
	v_mov_b32_e32 v14, 0x7fefffff
	s_or_b64 vcc, s[8:9], vcc
	v_cndmask_b32_e32 v111, 0, v14, vcc
	s_nor_b64 s[40:41], s[18:19], vcc
	v_cndmask_b32_e64 v110, 0, -1, vcc
	s_and_saveexec_b64 s[12:13], s[40:41]
	s_cbranch_execz .LBB110_26
; %bb.25:
	v_lshl_add_u64 v[10:11], v[128:129], 3, v[10:11]
	flat_load_dwordx2 v[10:11], v[10:11] offset:1536
	s_waitcnt vmcnt(0) lgkmcnt(0)
	v_mul_f64 v[110:111], s[16:17], v[10:11]
.LBB110_26:
	s_or_b64 exec, exec, s[12:13]
	v_or_b32_e32 v10, 4, v147
	v_cmp_le_i32_e32 vcc, s26, v10
	s_or_b64 vcc, vcc, s[10:11]
	s_nor_b64 s[40:41], s[18:19], vcc
	v_cndmask_b32_e32 v103, 0, v14, vcc
	v_cndmask_b32_e64 v102, 0, -1, vcc
	s_and_saveexec_b64 s[12:13], s[40:41]
	s_cbranch_execz .LBB110_28
; %bb.27:
	s_waitcnt lgkmcnt(0)
	v_mad_i64_i32 v[14:15], s[40:41], v101, s39, 0
	v_min_u32_e32 v10, s37, v10
	v_lshl_add_u64 v[14:15], v[14:15], 3, s[34:35]
	v_lshlrev_b32_e32 v10, 3, v10
	v_mov_b32_e32 v11, 0
	v_lshl_add_u64 v[10:11], v[14:15], 0, v[10:11]
	flat_load_dwordx2 v[10:11], v[10:11]
	s_waitcnt vmcnt(0) lgkmcnt(0)
	v_mul_f64 v[102:103], s[16:17], v[10:11]
.LBB110_28:
	s_or_b64 exec, exec, s[12:13]
	v_lshlrev_b32_e32 v10, 5, v12
	v_lshlrev_b32_e32 v100, 3, v147
	v_lshl_add_u32 v163, v144, 3, v10
	v_lshl_or_b32 v112, v13, 5, v100
	v_lshlrev_b32_e32 v146, 5, v142
	s_load_dwordx2 s[20:21], s[20:21], 0x0
	ds_write2st64_b64 v163, v[0:1], v[2:3] offset1:4
	ds_write2st64_b64 v163, v[4:5], v[6:7] offset0:8 offset1:12
	ds_write_b64 v112, v[8:9] offset:16384
	s_waitcnt lgkmcnt(0)
	s_barrier
	v_lshlrev_b32_e32 v145, 5, v143
	ds_read_b128 v[32:35], v146 offset:1024
	ds_read_b128 v[28:31], v146 offset:2048
	;; [unrolled: 1-line block ×12, first 2 shown]
	ds_read_b128 v[40:43], v146
	ds_read_b128 v[96:99], v145 offset:16384
	ds_read_b128 v[44:47], v145 offset:17920
	;; [unrolled: 1-line block ×5, first 2 shown]
	s_waitcnt lgkmcnt(5)
	v_add_f64 v[114:115], v[42:43], v[94:95]
	v_add_f64 v[116:117], v[40:41], v[92:93]
	s_mov_b32 s12, 0x7f800000
	v_cvt_f32_f64_e32 v116, v[116:117]
	v_cvt_f32_f64_e32 v114, v[114:115]
	v_min3_f32 v178, v116, v114, s12
	v_add_f64 v[114:115], v[34:35], v[94:95]
	v_add_f64 v[116:117], v[32:33], v[92:93]
	v_cvt_f32_f64_e32 v116, v[116:117]
	v_cvt_f32_f64_e32 v114, v[114:115]
	v_min3_f32 v179, v116, v114, s12
	v_add_f64 v[114:115], v[30:31], v[94:95]
	v_add_f64 v[116:117], v[28:29], v[92:93]
	;; [unrolled: 5-line block ×34, first 2 shown]
	v_cvt_f32_f64_e32 v116, v[116:117]
	v_cvt_f32_f64_e32 v114, v[114:115]
	v_min3_f32 v120, v116, v114, s12
	s_waitcnt lgkmcnt(3)
	v_add_f64 v[114:115], v[42:43], v[46:47]
	v_add_f64 v[116:117], v[40:41], v[44:45]
	v_cvt_f32_f64_e32 v116, v[116:117]
	v_cvt_f32_f64_e32 v114, v[114:115]
	v_min3_f32 v126, v116, v114, s12
	v_add_f64 v[114:115], v[34:35], v[46:47]
	v_add_f64 v[116:117], v[32:33], v[44:45]
	v_cvt_f32_f64_e32 v116, v[116:117]
	v_cvt_f32_f64_e32 v114, v[114:115]
	v_min3_f32 v123, v116, v114, s12
	;; [unrolled: 5-line block ×3, first 2 shown]
	v_add_f64 v[114:115], v[26:27], v[46:47]
	v_add_f64 v[116:117], v[24:25], v[44:45]
	v_cvt_f32_f64_e32 v116, v[116:117]
	v_cvt_f32_f64_e32 v114, v[114:115]
	v_add_f64 v[56:57], v[42:43], v[98:99]
	v_add_f64 v[58:59], v[40:41], v[96:97]
	v_min3_f32 v119, v116, v114, s12
	v_add_f64 v[114:115], v[22:23], v[46:47]
	v_add_f64 v[116:117], v[20:21], v[44:45]
	v_cvt_f32_f64_e32 v58, v[58:59]
	v_cvt_f32_f64_e32 v56, v[56:57]
	;; [unrolled: 1-line block ×4, first 2 shown]
	v_min3_f32 v113, v58, v56, s12
	ds_read_b128 v[56:59], v146 offset:1040
	v_add_f64 v[60:61], v[34:35], v[98:99]
	v_add_f64 v[62:63], v[32:33], v[96:97]
	v_min3_f32 v117, v116, v114, s12
	v_add_f64 v[114:115], v[18:19], v[46:47]
	v_add_f64 v[170:171], v[16:17], v[44:45]
	v_cvt_f32_f64_e32 v62, v[62:63]
	v_cvt_f32_f64_e32 v60, v[60:61]
	;; [unrolled: 1-line block ×4, first 2 shown]
	v_min3_f32 v169, v62, v60, s12
	ds_read_b128 v[60:63], v146 offset:2064
	v_add_f64 v[64:65], v[30:31], v[98:99]
	v_add_f64 v[66:67], v[28:29], v[96:97]
	;; [unrolled: 1-line block ×22, first 2 shown]
	v_min3_f32 v116, v116, v114, s12
	v_add_f64 v[114:115], v[14:15], v[46:47]
	v_add_f64 v[170:171], v[12:13], v[44:45]
	;; [unrolled: 1-line block ×4, first 2 shown]
	s_waitcnt lgkmcnt(4)
	v_add_f64 v[14:15], v[14:15], v[38:39]
	v_add_f64 v[12:13], v[12:13], v[36:37]
	;; [unrolled: 1-line block ×4, first 2 shown]
	v_cvt_f32_f64_e32 v66, v[66:67]
	v_cvt_f32_f64_e32 v64, v[64:65]
	;; [unrolled: 1-line block ×6, first 2 shown]
	s_waitcnt lgkmcnt(2)
	v_add_f64 v[10:11], v[2:3], v[6:7]
	v_add_f64 v[14:15], v[0:1], v[4:5]
	v_min3_f32 v172, v66, v64, s12
	ds_read_b128 v[64:67], v146 offset:3088
	v_cvt_f32_f64_e32 v170, v[170:171]
	v_cvt_f32_f64_e32 v114, v[114:115]
	;; [unrolled: 1-line block ×4, first 2 shown]
	v_min3_f32 v8, v8, v9, s12
	v_cvt_f32_f64_e32 v9, v[14:15]
	v_cvt_f32_f64_e32 v10, v[10:11]
	;; [unrolled: 1-line block ×4, first 2 shown]
	v_min3_f32 v115, v170, v114, s12
	v_min3_f32 v114, v44, v45, s12
	ds_read_b128 v[44:47], v145 offset:18192
	v_min3_f32 v219, v9, v10, v113
	s_waitcnt lgkmcnt(3)
	v_add_f64 v[10:11], v[58:59], v[6:7]
	v_add_f64 v[14:15], v[56:57], v[4:5]
	v_min3_f32 v173, v70, v68, s12
	ds_read_b128 v[68:71], v146 offset:4112
	v_cvt_f32_f64_e32 v9, v[14:15]
	v_cvt_f32_f64_e32 v10, v[10:11]
	;; [unrolled: 1-line block ×4, first 2 shown]
	v_min3_f32 v218, v9, v10, v169
	s_waitcnt lgkmcnt(3)
	v_add_f64 v[10:11], v[62:63], v[6:7]
	v_add_f64 v[14:15], v[60:61], v[4:5]
	v_min3_f32 v174, v74, v72, s12
	ds_read_b128 v[72:75], v146 offset:5136
	v_cvt_f32_f64_e32 v9, v[14:15]
	v_cvt_f32_f64_e32 v10, v[10:11]
	;; [unrolled: 1-line block ×6, first 2 shown]
	v_min3_f32 v217, v9, v10, v172
	s_waitcnt lgkmcnt(3)
	v_add_f64 v[10:11], v[66:67], v[6:7]
	v_add_f64 v[14:15], v[64:65], v[4:5]
	v_min3_f32 v175, v78, v76, s12
	ds_read_b128 v[76:79], v146 offset:6160
	v_min3_f32 v176, v82, v80, s12
	ds_read_b128 v[80:83], v146 offset:7184
	v_cvt_f32_f64_e32 v9, v[14:15]
	v_cvt_f32_f64_e32 v10, v[10:11]
	;; [unrolled: 1-line block ×4, first 2 shown]
	v_min3_f32 v216, v9, v10, v173
	s_waitcnt lgkmcnt(3)
	v_add_f64 v[10:11], v[70:71], v[6:7]
	v_add_f64 v[14:15], v[68:69], v[4:5]
	v_min3_f32 v177, v96, v97, s12
	ds_read_b128 v[96:99], v145 offset:16656
	v_cvt_f32_f64_e32 v9, v[14:15]
	v_cvt_f32_f64_e32 v10, v[10:11]
	v_min3_f32 v215, v9, v10, v174
	s_waitcnt lgkmcnt(3)
	v_add_f64 v[10:11], v[74:75], v[6:7]
	v_add_f64 v[14:15], v[72:73], v[4:5]
	v_cvt_f32_f64_e32 v9, v[14:15]
	v_cvt_f32_f64_e32 v10, v[10:11]
	v_min3_f32 v207, v9, v10, v175
	s_waitcnt lgkmcnt(2)
	v_add_f64 v[10:11], v[78:79], v[6:7]
	v_add_f64 v[14:15], v[76:77], v[4:5]
	s_waitcnt lgkmcnt(1)
	v_add_f64 v[6:7], v[82:83], v[6:7]
	v_add_f64 v[4:5], v[80:81], v[4:5]
	v_cvt_f32_f64_e32 v92, v[92:93]
	v_cvt_f32_f64_e32 v93, v[94:95]
	;; [unrolled: 1-line block ×4, first 2 shown]
	v_min3_f32 v157, v92, v93, s12
	ds_read_b128 v[92:95], v145 offset:16912
	v_min3_f32 v205, v4, v5, v177
	s_waitcnt lgkmcnt(1)
	v_add_f64 v[4:5], v[2:3], v[98:99]
	v_add_f64 v[6:7], v[0:1], v[96:97]
	v_cvt_f32_f64_e32 v6, v[6:7]
	v_cvt_f32_f64_e32 v4, v[4:5]
	v_min3_f32 v204, v6, v4, v178
	v_add_f64 v[4:5], v[58:59], v[98:99]
	v_add_f64 v[6:7], v[56:57], v[96:97]
	v_cvt_f32_f64_e32 v6, v[6:7]
	v_cvt_f32_f64_e32 v4, v[4:5]
	v_min3_f32 v203, v6, v4, v179
	;; [unrolled: 5-line block ×8, first 2 shown]
	s_waitcnt lgkmcnt(0)
	v_add_f64 v[4:5], v[2:3], v[94:95]
	v_add_f64 v[6:7], v[0:1], v[92:93]
	v_cvt_f32_f64_e32 v6, v[6:7]
	v_cvt_f32_f64_e32 v4, v[4:5]
	v_min3_f32 v196, v6, v4, v166
	v_add_f64 v[4:5], v[58:59], v[94:95]
	v_add_f64 v[6:7], v[56:57], v[92:93]
	v_cvt_f32_f64_e32 v6, v[6:7]
	v_cvt_f32_f64_e32 v4, v[4:5]
	v_min3_f32 v195, v6, v4, v164
	;; [unrolled: 5-line block ×4, first 2 shown]
	v_add_f64 v[4:5], v[70:71], v[94:95]
	v_add_f64 v[6:7], v[68:69], v[92:93]
	v_cvt_f32_f64_e32 v6, v[6:7]
	v_cvt_f32_f64_e32 v4, v[4:5]
	;; [unrolled: 1-line block ×4, first 2 shown]
	v_min3_f32 v192, v6, v4, v156
	v_add_f64 v[4:5], v[74:75], v[94:95]
	v_add_f64 v[6:7], v[72:73], v[92:93]
	v_min3_f32 v149, v88, v89, s12
	ds_read_b128 v[88:91], v145 offset:17168
	v_cvt_f32_f64_e32 v6, v[6:7]
	v_cvt_f32_f64_e32 v4, v[4:5]
	v_min3_f32 v191, v6, v4, v154
	v_add_f64 v[4:5], v[78:79], v[94:95]
	v_add_f64 v[6:7], v[76:77], v[92:93]
	v_cvt_f32_f64_e32 v6, v[6:7]
	v_cvt_f32_f64_e32 v4, v[4:5]
	v_min3_f32 v190, v6, v4, v152
	v_add_f64 v[4:5], v[82:83], v[94:95]
	v_add_f64 v[6:7], v[80:81], v[92:93]
	v_cvt_f32_f64_e32 v84, v[84:85]
	v_cvt_f32_f64_e32 v85, v[86:87]
	;; [unrolled: 1-line block ×4, first 2 shown]
	v_min3_f32 v135, v84, v85, s12
	ds_read_b128 v[84:87], v145 offset:17424
	v_min3_f32 v189, v6, v4, v149
	s_waitcnt lgkmcnt(1)
	v_add_f64 v[4:5], v[2:3], v[90:91]
	v_add_f64 v[6:7], v[0:1], v[88:89]
	v_cvt_f32_f64_e32 v6, v[6:7]
	v_cvt_f32_f64_e32 v4, v[4:5]
	v_min3_f32 v188, v6, v4, v158
	v_add_f64 v[4:5], v[58:59], v[90:91]
	v_add_f64 v[6:7], v[56:57], v[88:89]
	v_cvt_f32_f64_e32 v6, v[6:7]
	v_cvt_f32_f64_e32 v4, v[4:5]
	v_min3_f32 v187, v6, v4, v155
	;; [unrolled: 5-line block ×8, first 2 shown]
	s_waitcnt lgkmcnt(0)
	v_add_f64 v[4:5], v[2:3], v[86:87]
	v_add_f64 v[6:7], v[0:1], v[84:85]
	v_cvt_f32_f64_e32 v6, v[6:7]
	v_cvt_f32_f64_e32 v4, v[4:5]
	v_min3_f32 v180, v6, v4, v150
	v_add_f64 v[4:5], v[58:59], v[86:87]
	v_add_f64 v[6:7], v[56:57], v[84:85]
	v_cvt_f32_f64_e32 v6, v[6:7]
	v_cvt_f32_f64_e32 v4, v[4:5]
	v_min3_f32 v179, v6, v4, v141
	;; [unrolled: 5-line block ×4, first 2 shown]
	v_add_f64 v[4:5], v[70:71], v[86:87]
	v_add_f64 v[6:7], v[68:69], v[84:85]
	v_cvt_f32_f64_e32 v9, v[14:15]
	v_cvt_f32_f64_e32 v10, v[10:11]
	;; [unrolled: 1-line block ×6, first 2 shown]
	v_min3_f32 v206, v9, v10, v176
	v_min3_f32 v176, v6, v4, v134
	v_add_f64 v[4:5], v[74:75], v[86:87]
	v_add_f64 v[6:7], v[72:73], v[84:85]
	v_min3_f32 v125, v52, v53, s12
	ds_read_b128 v[52:55], v145 offset:17680
	v_cvt_f32_f64_e32 v6, v[6:7]
	v_cvt_f32_f64_e32 v4, v[4:5]
	v_min3_f32 v175, v6, v4, v132
	v_add_f64 v[4:5], v[78:79], v[86:87]
	v_add_f64 v[6:7], v[76:77], v[84:85]
	v_cvt_f32_f64_e32 v6, v[6:7]
	v_cvt_f32_f64_e32 v4, v[4:5]
	v_min3_f32 v174, v6, v4, v130
	v_add_f64 v[4:5], v[82:83], v[86:87]
	v_add_f64 v[6:7], v[80:81], v[84:85]
	v_cvt_f32_f64_e32 v48, v[48:49]
	v_cvt_f32_f64_e32 v49, v[50:51]
	;; [unrolled: 1-line block ×4, first 2 shown]
	v_min3_f32 v118, v48, v49, s12
	ds_read_b128 v[48:51], v145 offset:17936
	v_min3_f32 v173, v6, v4, v125
	s_waitcnt lgkmcnt(1)
	v_add_f64 v[4:5], v[2:3], v[54:55]
	v_add_f64 v[6:7], v[0:1], v[52:53]
	v_cvt_f32_f64_e32 v6, v[6:7]
	v_cvt_f32_f64_e32 v4, v[4:5]
	v_min3_f32 v172, v6, v4, v136
	v_add_f64 v[4:5], v[58:59], v[54:55]
	v_add_f64 v[6:7], v[56:57], v[52:53]
	v_cvt_f32_f64_e32 v6, v[6:7]
	v_cvt_f32_f64_e32 v4, v[4:5]
	v_min3_f32 v171, v6, v4, v133
	;; [unrolled: 5-line block ×7, first 2 shown]
	v_add_f64 v[4:5], v[82:83], v[54:55]
	v_add_f64 v[6:7], v[80:81], v[52:53]
	;; [unrolled: 1-line block ×4, first 2 shown]
	v_cvt_f32_f64_e32 v6, v[6:7]
	v_cvt_f32_f64_e32 v4, v[4:5]
	;; [unrolled: 1-line block ×4, first 2 shown]
	v_min3_f32 v165, v6, v4, v118
	s_waitcnt lgkmcnt(0)
	v_add_f64 v[4:5], v[2:3], v[50:51]
	v_add_f64 v[6:7], v[0:1], v[48:49]
	;; [unrolled: 1-line block ×4, first 2 shown]
	v_min3_f32 v40, v40, v41, s12
	v_add_f64 v[34:35], v[34:35], v[38:39]
	v_add_f64 v[32:33], v[32:33], v[36:37]
	v_cvt_f32_f64_e32 v6, v[6:7]
	v_cvt_f32_f64_e32 v4, v[4:5]
	v_cvt_f32_f64_e32 v0, v[0:1]
	v_cvt_f32_f64_e32 v1, v[2:3]
	v_cvt_f32_f64_e32 v32, v[32:33]
	v_cvt_f32_f64_e32 v33, v[34:35]
	v_min3_f32 v164, v6, v4, v126
	v_add_f64 v[4:5], v[58:59], v[50:51]
	v_add_f64 v[6:7], v[56:57], v[48:49]
	v_min3_f32 v155, v0, v1, v40
	v_add_f64 v[0:1], v[58:59], v[46:47]
	v_add_f64 v[2:3], v[56:57], v[44:45]
	v_min3_f32 v32, v32, v33, s12
	v_add_f64 v[30:31], v[30:31], v[38:39]
	v_add_f64 v[28:29], v[28:29], v[36:37]
	v_cvt_f32_f64_e32 v6, v[6:7]
	v_cvt_f32_f64_e32 v4, v[4:5]
	v_cvt_f32_f64_e32 v2, v[2:3]
	v_cvt_f32_f64_e32 v0, v[0:1]
	v_cvt_f32_f64_e32 v28, v[28:29]
	v_cvt_f32_f64_e32 v29, v[30:31]
	v_min3_f32 v162, v6, v4, v123
	v_add_f64 v[4:5], v[62:63], v[50:51]
	v_add_f64 v[6:7], v[60:61], v[48:49]
	v_min3_f32 v154, v2, v0, v32
	v_add_f64 v[0:1], v[62:63], v[46:47]
	v_add_f64 v[2:3], v[60:61], v[44:45]
	;; [unrolled: 15-line block ×5, first 2 shown]
	v_min3_f32 v16, v16, v17, s12
	v_cvt_f32_f64_e32 v6, v[6:7]
	v_cvt_f32_f64_e32 v4, v[4:5]
	;; [unrolled: 1-line block ×4, first 2 shown]
	v_min3_f32 v158, v6, v4, v116
	v_add_f64 v[4:5], v[78:79], v[50:51]
	v_add_f64 v[6:7], v[76:77], v[48:49]
	v_min3_f32 v150, v2, v0, v16
	v_add_f64 v[0:1], v[78:79], v[46:47]
	v_add_f64 v[2:3], v[76:77], v[44:45]
	v_min3_f32 v12, v12, v13, s12
	v_cvt_f32_f64_e32 v6, v[6:7]
	v_cvt_f32_f64_e32 v4, v[4:5]
	;; [unrolled: 1-line block ×4, first 2 shown]
	v_min3_f32 v157, v6, v4, v115
	v_add_f64 v[4:5], v[82:83], v[50:51]
	v_add_f64 v[6:7], v[80:81], v[48:49]
	v_min3_f32 v149, v2, v0, v12
	v_add_f64 v[0:1], v[82:83], v[46:47]
	v_add_f64 v[2:3], v[80:81], v[44:45]
	v_cvt_f32_f64_e32 v6, v[6:7]
	v_cvt_f32_f64_e32 v4, v[4:5]
	;; [unrolled: 1-line block ×4, first 2 shown]
	v_min3_f32 v156, v6, v4, v114
	v_min3_f32 v148, v2, v0, v8
	s_cmp_lt_i32 s26, 9
	ds_write2st64_b64 v163, v[104:105], v[106:107] offset0:16 offset1:20
	ds_write2st64_b64 v163, v[108:109], v[110:111] offset0:24 offset1:28
	ds_write_b64 v112, v[102:103] offset:18432
	s_waitcnt lgkmcnt(0)
	s_barrier
	s_cbranch_scc1 .LBB110_51
; %bb.29:
	v_mov_b32_e32 v0, 0x2000
	v_lshl_add_u32 v212, v142, 5, v0
	v_mov_b32_e32 v0, 0x4800
	v_lshl_add_u32 v213, v143, 5, v0
	v_mad_i64_i32 v[0:1], s[12:13], s39, v101, 0
	v_mov_b32_e32 v101, 0
	v_lshl_add_u64 v[0:1], v[0:1], 3, v[100:101]
	v_lshl_add_u64 v[0:1], s[34:35], 0, v[0:1]
	s_mov_b64 s[12:13], 0x60
	v_add_u32_e32 v208, 0x4000, v112
	v_add_u32_e32 v209, 0x4000, v145
	;; [unrolled: 1-line block ×4, first 2 shown]
	s_add_i32 s38, s26, -8
	v_lshl_add_u64 v[130:131], v[0:1], 0, s[12:13]
	s_mov_b32 s34, 0
	v_mov_b32_e32 v214, 0x7fefffff
	s_branch .LBB110_31
.LBB110_30:                             ;   in Loop: Header=BB110_31 Depth=1
	s_or_b64 exec, exec, s[12:13]
	v_add_f64 v[220:221], v[98:99], v[126:127]
	v_add_f64 v[222:223], v[96:97], v[124:125]
	v_cvt_f32_f64_e32 v222, v[222:223]
	v_cvt_f32_f64_e32 v220, v[220:221]
	v_min3_f32 v224, v222, v220, v219
	v_add_f64 v[220:221], v[94:95], v[126:127]
	v_add_f64 v[222:223], v[92:93], v[124:125]
	v_cvt_f32_f64_e32 v219, v[222:223]
	v_cvt_f32_f64_e32 v220, v[220:221]
	v_min3_f32 v222, v219, v220, v218
	;; [unrolled: 5-line block ×6, first 2 shown]
	v_add_f64 v[216:217], v[70:71], v[126:127]
	v_add_f64 v[218:219], v[68:69], v[124:125]
	;; [unrolled: 1-line block ×4, first 2 shown]
	v_cvt_f32_f64_e32 v124, v[124:125]
	v_cvt_f32_f64_e32 v125, v[126:127]
	v_min3_f32 v205, v124, v125, v205
	v_add_f64 v[124:125], v[98:99], v[122:123]
	v_add_f64 v[126:127], v[96:97], v[120:121]
	v_cvt_f32_f64_e32 v126, v[126:127]
	v_cvt_f32_f64_e32 v124, v[124:125]
	v_min3_f32 v204, v126, v124, v204
	v_add_f64 v[124:125], v[94:95], v[122:123]
	v_add_f64 v[126:127], v[92:93], v[120:121]
	;; [unrolled: 5-line block ×7, first 2 shown]
	v_add_f64 v[122:123], v[66:67], v[122:123]
	v_add_f64 v[120:121], v[64:65], v[120:121]
	v_cvt_f32_f64_e32 v120, v[120:121]
	v_cvt_f32_f64_e32 v121, v[122:123]
	;; [unrolled: 1-line block ×3, first 2 shown]
	v_min3_f32 v125, v120, v121, v197
	v_add_f64 v[120:121], v[98:99], v[118:119]
	v_add_f64 v[122:123], v[96:97], v[116:117]
	v_cvt_f32_f64_e32 v126, v[126:127]
	v_cvt_f32_f64_e32 v122, v[122:123]
	;; [unrolled: 1-line block ×3, first 2 shown]
	v_min3_f32 v124, v126, v124, v198
	v_min3_f32 v126, v122, v120, v196
	v_add_f64 v[120:121], v[94:95], v[118:119]
	v_add_f64 v[122:123], v[92:93], v[116:117]
	v_cvt_f32_f64_e32 v122, v[122:123]
	v_cvt_f32_f64_e32 v120, v[120:121]
	v_min3_f32 v127, v122, v120, v195
	v_add_f64 v[120:121], v[90:91], v[118:119]
	v_add_f64 v[122:123], v[88:89], v[116:117]
	v_cvt_f32_f64_e32 v122, v[122:123]
	v_cvt_f32_f64_e32 v120, v[120:121]
	;; [unrolled: 5-line block ×5, first 2 shown]
	v_min3_f32 v191, v122, v120, v191
	v_add_f64 v[120:121], v[70:71], v[118:119]
	v_add_f64 v[122:123], v[68:69], v[116:117]
	;; [unrolled: 1-line block ×4, first 2 shown]
	v_cvt_f32_f64_e32 v116, v[116:117]
	v_cvt_f32_f64_e32 v117, v[118:119]
	;; [unrolled: 1-line block ×3, first 2 shown]
	v_min3_f32 v121, v116, v117, v189
	v_add_f64 v[116:117], v[98:99], v[114:115]
	v_add_f64 v[118:119], v[96:97], v[112:113]
	v_cvt_f32_f64_e32 v122, v[122:123]
	v_cvt_f32_f64_e32 v118, v[118:119]
	;; [unrolled: 1-line block ×3, first 2 shown]
	v_min3_f32 v120, v122, v120, v190
	v_min3_f32 v122, v118, v116, v188
	v_add_f64 v[116:117], v[94:95], v[114:115]
	v_add_f64 v[118:119], v[92:93], v[112:113]
	v_cvt_f32_f64_e32 v118, v[118:119]
	v_cvt_f32_f64_e32 v116, v[116:117]
	v_min3_f32 v123, v118, v116, v187
	v_add_f64 v[116:117], v[90:91], v[114:115]
	v_add_f64 v[118:119], v[88:89], v[112:113]
	v_cvt_f32_f64_e32 v118, v[118:119]
	v_cvt_f32_f64_e32 v116, v[116:117]
	v_min3_f32 v186, v118, v116, v186
	v_add_f64 v[116:117], v[82:83], v[114:115]
	v_add_f64 v[118:119], v[80:81], v[112:113]
	v_cvt_f32_f64_e32 v118, v[118:119]
	v_cvt_f32_f64_e32 v116, v[116:117]
	v_min3_f32 v185, v118, v116, v185
	v_add_f64 v[116:117], v[78:79], v[114:115]
	v_add_f64 v[118:119], v[76:77], v[112:113]
	v_cvt_f32_f64_e32 v118, v[118:119]
	v_cvt_f32_f64_e32 v116, v[116:117]
	v_min3_f32 v184, v118, v116, v184
	v_add_f64 v[116:117], v[74:75], v[114:115]
	v_add_f64 v[118:119], v[72:73], v[112:113]
	v_cvt_f32_f64_e32 v118, v[118:119]
	v_cvt_f32_f64_e32 v116, v[116:117]
	v_min3_f32 v183, v118, v116, v183
	v_add_f64 v[116:117], v[70:71], v[114:115]
	v_add_f64 v[118:119], v[68:69], v[112:113]
	v_add_f64 v[114:115], v[66:67], v[114:115]
	v_add_f64 v[112:113], v[64:65], v[112:113]
	v_cvt_f32_f64_e32 v112, v[112:113]
	v_cvt_f32_f64_e32 v113, v[114:115]
	v_min3_f32 v181, v112, v113, v181
	v_add_f64 v[112:113], v[98:99], v[110:111]
	v_add_f64 v[114:115], v[96:97], v[108:109]
	v_cvt_f32_f64_e32 v114, v[114:115]
	v_cvt_f32_f64_e32 v112, v[112:113]
	v_min3_f32 v180, v114, v112, v180
	v_add_f64 v[112:113], v[94:95], v[110:111]
	v_add_f64 v[114:115], v[92:93], v[108:109]
	v_cvt_f32_f64_e32 v114, v[114:115]
	v_cvt_f32_f64_e32 v112, v[112:113]
	v_min3_f32 v179, v114, v112, v179
	v_add_f64 v[112:113], v[90:91], v[110:111]
	v_add_f64 v[114:115], v[88:89], v[108:109]
	v_cvt_f32_f64_e32 v114, v[114:115]
	v_cvt_f32_f64_e32 v112, v[112:113]
	v_min3_f32 v178, v114, v112, v178
	v_add_f64 v[112:113], v[82:83], v[110:111]
	v_add_f64 v[114:115], v[80:81], v[108:109]
	v_cvt_f32_f64_e32 v114, v[114:115]
	v_cvt_f32_f64_e32 v112, v[112:113]
	v_min3_f32 v177, v114, v112, v177
	v_add_f64 v[112:113], v[78:79], v[110:111]
	v_add_f64 v[114:115], v[76:77], v[108:109]
	v_cvt_f32_f64_e32 v114, v[114:115]
	v_cvt_f32_f64_e32 v112, v[112:113]
	v_min3_f32 v176, v114, v112, v176
	v_add_f64 v[112:113], v[74:75], v[110:111]
	v_add_f64 v[114:115], v[72:73], v[108:109]
	v_cvt_f32_f64_e32 v114, v[114:115]
	v_cvt_f32_f64_e32 v112, v[112:113]
	v_min3_f32 v175, v114, v112, v175
	v_add_f64 v[112:113], v[70:71], v[110:111]
	v_add_f64 v[114:115], v[68:69], v[108:109]
	v_add_f64 v[110:111], v[66:67], v[110:111]
	v_add_f64 v[108:109], v[64:65], v[108:109]
	v_cvt_f32_f64_e32 v108, v[108:109]
	v_cvt_f32_f64_e32 v109, v[110:111]
	v_min3_f32 v173, v108, v109, v173
	v_add_f64 v[108:109], v[98:99], v[106:107]
	v_add_f64 v[110:111], v[96:97], v[104:105]
	v_cvt_f32_f64_e32 v110, v[110:111]
	v_cvt_f32_f64_e32 v108, v[108:109]
	;; [unrolled: 37-line block ×3, first 2 shown]
	v_min3_f32 v164, v106, v104, v164
	v_add_f64 v[104:105], v[94:95], v[102:103]
	v_add_f64 v[106:107], v[92:93], v[100:101]
	v_cvt_f32_f64_e32 v106, v[106:107]
	v_cvt_f32_f64_e32 v104, v[104:105]
	v_min3_f32 v162, v106, v104, v162
	v_add_f64 v[104:105], v[90:91], v[102:103]
	v_add_f64 v[106:107], v[88:89], v[100:101]
	v_cvt_f32_f64_e32 v106, v[106:107]
	v_cvt_f32_f64_e32 v104, v[104:105]
	v_min3_f32 v187, v106, v104, v161
	v_add_f64 v[104:105], v[82:83], v[102:103]
	v_add_f64 v[106:107], v[80:81], v[100:101]
	v_cvt_f32_f64_e32 v106, v[106:107]
	v_cvt_f32_f64_e32 v104, v[104:105]
	v_min3_f32 v188, v106, v104, v160
	v_add_f64 v[104:105], v[78:79], v[102:103]
	v_add_f64 v[106:107], v[76:77], v[100:101]
	v_cvt_f32_f64_e32 v106, v[106:107]
	v_cvt_f32_f64_e32 v104, v[104:105]
	v_min3_f32 v189, v106, v104, v159
	v_add_f64 v[104:105], v[74:75], v[102:103]
	v_add_f64 v[106:107], v[72:73], v[100:101]
	v_cvt_f32_f64_e32 v106, v[106:107]
	v_cvt_f32_f64_e32 v104, v[104:105]
	v_min3_f32 v190, v106, v104, v158
	v_add_f64 v[104:105], v[70:71], v[102:103]
	v_add_f64 v[106:107], v[68:69], v[100:101]
	v_add_f64 v[102:103], v[66:67], v[102:103]
	v_add_f64 v[100:101], v[64:65], v[100:101]
	v_add_f64 v[78:79], v[78:79], v[86:87]
	v_add_f64 v[76:77], v[76:77], v[84:85]
	v_add_f64 v[66:67], v[66:67], v[86:87]
	v_add_f64 v[64:65], v[64:65], v[84:85]
	v_cvt_f32_f64_e32 v76, v[76:77]
	v_cvt_f32_f64_e32 v77, v[78:79]
	;; [unrolled: 1-line block ×4, first 2 shown]
	v_min3_f32 v76, v76, v77, v151
	v_min3_f32 v77, v64, v65, v148
	v_add_f64 v[64:65], v[34:35], v[62:63]
	v_add_f64 v[66:67], v[32:33], v[60:61]
	v_cvt_f32_f64_e32 v66, v[66:67]
	v_cvt_f32_f64_e32 v64, v[64:65]
	v_add_f64 v[70:71], v[70:71], v[86:87]
	v_add_f64 v[68:69], v[68:69], v[84:85]
	v_min3_f32 v197, v66, v64, v224
	v_add_f64 v[64:65], v[30:31], v[62:63]
	v_add_f64 v[66:67], v[28:29], v[60:61]
	;; [unrolled: 1-line block ×4, first 2 shown]
	v_cvt_f32_f64_e32 v68, v[68:69]
	v_cvt_f32_f64_e32 v69, v[70:71]
	;; [unrolled: 1-line block ×6, first 2 shown]
	v_min3_f32 v75, v68, v69, v149
	v_min3_f32 v64, v66, v64, v222
	v_add_f64 v[66:67], v[26:27], v[62:63]
	v_add_f64 v[68:69], v[24:25], v[60:61]
	v_cvt_f32_f64_e32 v65, v[68:69]
	v_cvt_f32_f64_e32 v66, v[66:67]
	v_min3_f32 v65, v65, v66, v223
	v_add_f64 v[66:67], v[18:19], v[62:63]
	v_add_f64 v[68:69], v[16:17], v[60:61]
	v_cvt_f32_f64_e32 v68, v[68:69]
	v_cvt_f32_f64_e32 v66, v[66:67]
	;; [unrolled: 5-line block ×4, first 2 shown]
	v_min3_f32 v74, v72, v73, v150
	v_min3_f32 v68, v70, v68, v207
	v_add_f64 v[70:71], v[6:7], v[62:63]
	v_add_f64 v[72:73], v[4:5], v[60:61]
	v_add_f64 v[62:63], v[2:3], v[62:63]
	v_add_f64 v[60:61], v[0:1], v[60:61]
	v_cvt_f32_f64_e32 v100, v[100:101]
	v_cvt_f32_f64_e32 v101, v[102:103]
	v_cvt_f32_f64_e32 v60, v[60:61]
	v_cvt_f32_f64_e32 v61, v[62:63]
	v_min3_f32 v196, v100, v101, v156
	v_min3_f32 v100, v60, v61, v205
	v_add_f64 v[60:61], v[34:35], v[58:59]
	v_add_f64 v[62:63], v[32:33], v[56:57]
	v_cvt_f32_f64_e32 v62, v[62:63]
	v_cvt_f32_f64_e32 v60, v[60:61]
	v_min3_f32 v101, v62, v60, v204
	v_add_f64 v[60:61], v[30:31], v[58:59]
	v_add_f64 v[62:63], v[28:29], v[56:57]
	v_cvt_f32_f64_e32 v62, v[62:63]
	v_cvt_f32_f64_e32 v60, v[60:61]
	v_min3_f32 v102, v62, v60, v203
	v_add_f64 v[60:61], v[26:27], v[58:59]
	v_add_f64 v[62:63], v[24:25], v[56:57]
	v_cvt_f32_f64_e32 v62, v[62:63]
	v_cvt_f32_f64_e32 v60, v[60:61]
	v_min3_f32 v103, v62, v60, v202
	v_add_f64 v[60:61], v[18:19], v[58:59]
	v_add_f64 v[62:63], v[16:17], v[56:57]
	v_cvt_f32_f64_e32 v106, v[106:107]
	v_cvt_f32_f64_e32 v104, v[104:105]
	v_cvt_f32_f64_e32 v62, v[62:63]
	v_cvt_f32_f64_e32 v60, v[60:61]
	v_min3_f32 v195, v106, v104, v157
	v_min3_f32 v104, v62, v60, v201
	v_add_f64 v[60:61], v[14:15], v[58:59]
	v_add_f64 v[62:63], v[12:13], v[56:57]
	v_cvt_f32_f64_e32 v62, v[62:63]
	v_cvt_f32_f64_e32 v60, v[60:61]
	v_min3_f32 v105, v62, v60, v200
	v_add_f64 v[60:61], v[10:11], v[58:59]
	v_add_f64 v[62:63], v[8:9], v[56:57]
	v_cvt_f32_f64_e32 v62, v[62:63]
	v_cvt_f32_f64_e32 v60, v[60:61]
	v_min3_f32 v106, v62, v60, v199
	v_add_f64 v[60:61], v[6:7], v[58:59]
	v_add_f64 v[62:63], v[4:5], v[56:57]
	v_add_f64 v[58:59], v[2:3], v[58:59]
	v_add_f64 v[56:57], v[0:1], v[56:57]
	v_cvt_f32_f64_e32 v110, v[110:111]
	v_cvt_f32_f64_e32 v108, v[108:109]
	v_cvt_f32_f64_e32 v56, v[56:57]
	v_cvt_f32_f64_e32 v57, v[58:59]
	v_min3_f32 v166, v110, v108, v166
	v_min3_f32 v108, v56, v57, v125
	v_add_f64 v[56:57], v[34:35], v[54:55]
	v_add_f64 v[58:59], v[32:33], v[52:53]
	v_cvt_f32_f64_e32 v58, v[58:59]
	v_cvt_f32_f64_e32 v56, v[56:57]
	v_min3_f32 v109, v58, v56, v126
	v_add_f64 v[56:57], v[30:31], v[54:55]
	v_add_f64 v[58:59], v[28:29], v[52:53]
	v_cvt_f32_f64_e32 v58, v[58:59]
	v_cvt_f32_f64_e32 v56, v[56:57]
	v_min3_f32 v110, v58, v56, v127
	v_add_f64 v[56:57], v[26:27], v[54:55]
	v_add_f64 v[58:59], v[24:25], v[52:53]
	v_cvt_f32_f64_e32 v58, v[58:59]
	v_cvt_f32_f64_e32 v56, v[56:57]
	v_min3_f32 v111, v58, v56, v194
	v_add_f64 v[56:57], v[18:19], v[54:55]
	v_add_f64 v[58:59], v[16:17], v[52:53]
	v_cvt_f32_f64_e32 v114, v[114:115]
	v_cvt_f32_f64_e32 v112, v[112:113]
	v_cvt_f32_f64_e32 v58, v[58:59]
	v_cvt_f32_f64_e32 v56, v[56:57]
	v_min3_f32 v174, v114, v112, v174
	v_min3_f32 v112, v58, v56, v193
	v_add_f64 v[56:57], v[14:15], v[54:55]
	v_add_f64 v[58:59], v[12:13], v[52:53]
	v_cvt_f32_f64_e32 v58, v[58:59]
	v_cvt_f32_f64_e32 v56, v[56:57]
	v_min3_f32 v113, v58, v56, v192
	v_add_f64 v[56:57], v[10:11], v[54:55]
	v_add_f64 v[58:59], v[8:9], v[52:53]
	v_cvt_f32_f64_e32 v58, v[58:59]
	v_cvt_f32_f64_e32 v56, v[56:57]
	;; [unrolled: 43-line block ×3, first 2 shown]
	v_min3_f32 v122, v54, v52, v183
	v_add_f64 v[52:53], v[6:7], v[50:51]
	v_add_f64 v[54:55], v[4:5], v[48:49]
	;; [unrolled: 1-line block ×4, first 2 shown]
	v_cvt_f32_f64_e32 v62, v[62:63]
	v_cvt_f32_f64_e32 v60, v[60:61]
	;; [unrolled: 1-line block ×4, first 2 shown]
	v_min3_f32 v107, v62, v60, v124
	v_min3_f32 v124, v48, v49, v181
	v_add_f64 v[48:49], v[34:35], v[46:47]
	v_add_f64 v[50:51], v[32:33], v[44:45]
	v_cvt_f32_f64_e32 v50, v[50:51]
	v_cvt_f32_f64_e32 v48, v[48:49]
	v_min3_f32 v125, v50, v48, v180
	v_add_f64 v[48:49], v[30:31], v[46:47]
	v_add_f64 v[50:51], v[28:29], v[44:45]
	v_cvt_f32_f64_e32 v50, v[50:51]
	v_cvt_f32_f64_e32 v48, v[48:49]
	;; [unrolled: 5-line block ×6, first 2 shown]
	v_add_f64 v[82:83], v[82:83], v[86:87]
	v_add_f64 v[80:81], v[80:81], v[84:85]
	v_min3_f32 v150, v50, v48, v175
	v_add_f64 v[48:49], v[6:7], v[46:47]
	v_add_f64 v[50:51], v[4:5], v[44:45]
	v_add_f64 v[46:47], v[2:3], v[46:47]
	v_add_f64 v[44:45], v[0:1], v[44:45]
	v_cvt_f32_f64_e32 v80, v[80:81]
	v_cvt_f32_f64_e32 v81, v[82:83]
	v_cvt_f32_f64_e32 v44, v[44:45]
	v_cvt_f32_f64_e32 v45, v[46:47]
	v_add_f64 v[90:91], v[90:91], v[86:87]
	v_add_f64 v[88:89], v[88:89], v[84:85]
	v_min3_f32 v80, v80, v81, v152
	v_min3_f32 v152, v44, v45, v173
	v_add_f64 v[44:45], v[34:35], v[42:43]
	v_add_f64 v[46:47], v[32:33], v[40:41]
	v_cvt_f32_f64_e32 v88, v[88:89]
	v_cvt_f32_f64_e32 v89, v[90:91]
	v_cvt_f32_f64_e32 v46, v[46:47]
	v_cvt_f32_f64_e32 v44, v[44:45]
	v_add_f64 v[94:95], v[94:95], v[86:87]
	v_add_f64 v[92:93], v[92:93], v[84:85]
	v_min3_f32 v88, v88, v89, v153
	v_min3_f32 v153, v46, v44, v172
	v_add_f64 v[44:45], v[30:31], v[42:43]
	v_add_f64 v[46:47], v[28:29], v[40:41]
	;; [unrolled: 10-line block ×3, first 2 shown]
	v_cvt_f32_f64_e32 v96, v[96:97]
	v_cvt_f32_f64_e32 v97, v[98:99]
	;; [unrolled: 1-line block ×4, first 2 shown]
	v_min3_f32 v96, v96, v97, v155
	v_min3_f32 v155, v46, v44, v170
	v_add_f64 v[44:45], v[18:19], v[42:43]
	v_add_f64 v[46:47], v[16:17], v[40:41]
	v_cvt_f32_f64_e32 v46, v[46:47]
	v_cvt_f32_f64_e32 v44, v[44:45]
	v_min3_f32 v156, v46, v44, v169
	v_add_f64 v[44:45], v[14:15], v[42:43]
	v_add_f64 v[46:47], v[12:13], v[40:41]
	v_cvt_f32_f64_e32 v46, v[46:47]
	v_cvt_f32_f64_e32 v44, v[44:45]
	;; [unrolled: 5-line block ×3, first 2 shown]
	v_min3_f32 v158, v46, v44, v167
	v_add_f64 v[44:45], v[6:7], v[42:43]
	v_add_f64 v[46:47], v[4:5], v[40:41]
	;; [unrolled: 1-line block ×4, first 2 shown]
	v_cvt_f32_f64_e32 v40, v[40:41]
	v_cvt_f32_f64_e32 v41, v[42:43]
	v_min3_f32 v160, v40, v41, v165
	v_add_f64 v[40:41], v[34:35], v[38:39]
	v_add_f64 v[42:43], v[32:33], v[36:37]
	v_cvt_f32_f64_e32 v42, v[42:43]
	v_cvt_f32_f64_e32 v40, v[40:41]
	v_min3_f32 v161, v42, v40, v164
	v_add_f64 v[40:41], v[30:31], v[38:39]
	v_add_f64 v[42:43], v[28:29], v[36:37]
	;; [unrolled: 5-line block ×5, first 2 shown]
	v_cvt_f32_f64_e32 v46, v[46:47]
	v_cvt_f32_f64_e32 v44, v[44:45]
	;; [unrolled: 1-line block ×4, first 2 shown]
	v_min3_f32 v159, v46, v44, v166
	v_min3_f32 v166, v42, v40, v189
	v_add_f64 v[40:41], v[10:11], v[38:39]
	v_add_f64 v[42:43], v[8:9], v[36:37]
	v_cvt_f32_f64_e32 v42, v[42:43]
	v_cvt_f32_f64_e32 v40, v[40:41]
	v_min3_f32 v167, v42, v40, v190
	v_add_f64 v[40:41], v[6:7], v[38:39]
	v_add_f64 v[42:43], v[4:5], v[36:37]
	;; [unrolled: 1-line block ×20, first 2 shown]
	v_cvt_f32_f64_e32 v54, v[54:55]
	v_cvt_f32_f64_e32 v52, v[52:53]
	;; [unrolled: 1-line block ×23, first 2 shown]
	v_min3_f32 v123, v54, v52, v182
	v_min3_f32 v151, v50, v48, v174
	v_min3_f32 v169, v36, v37, v196
	v_min3_f32 v170, v32, v33, v96
	v_min3_f32 v171, v28, v29, v92
	v_min3_f32 v172, v24, v25, v88
	v_min3_f32 v173, v16, v17, v80
	v_min3_f32 v174, v12, v13, v76
	v_min3_f32 v175, v8, v9, v74
	v_min3_f32 v176, v4, v5, v75
	v_min3_f32 v177, v0, v1, v77
	ds_read_b128 v[36:39], v146 offset:1024
	ds_read_b128 v[32:35], v146 offset:2048
	;; [unrolled: 1-line block ×12, first 2 shown]
	ds_read_b128 v[96:99], v209
	ds_read_b128 v[48:51], v146
	ds_read_b128 v[72:75], v209 offset:1536
	ds_read_b128 v[24:27], v209 offset:1792
	;; [unrolled: 1-line block ×4, first 2 shown]
	s_waitcnt lgkmcnt(5)
	v_add_f64 v[44:45], v[38:39], v[98:99]
	v_add_f64 v[46:47], v[36:37], v[96:97]
	;; [unrolled: 1-line block ×8, first 2 shown]
	v_cvt_f32_f64_e32 v218, v[218:219]
	v_cvt_f32_f64_e32 v216, v[216:217]
	;; [unrolled: 1-line block ×10, first 2 shown]
	v_min3_f32 v206, v218, v216, v206
	v_cvt_f32_f64_e32 v70, v[70:71]
	v_cvt_f32_f64_e32 v42, v[42:43]
	;; [unrolled: 1-line block ×3, first 2 shown]
	v_min3_f32 v179, v46, v44, v64
	v_min3_f32 v184, v54, v52, v65
	;; [unrolled: 1-line block ×4, first 2 shown]
	v_add_f64 v[64:65], v[18:19], v[98:99]
	v_add_f64 v[66:67], v[16:17], v[96:97]
	v_min3_f32 v69, v69, v70, v206
	v_min3_f32 v168, v42, v40, v195
	s_waitcnt lgkmcnt(4)
	v_add_f64 v[40:41], v[50:51], v[98:99]
	v_add_f64 v[42:43], v[48:49], v[96:97]
	v_cvt_f32_f64_e32 v66, v[66:67]
	v_cvt_f32_f64_e32 v64, v[64:65]
	v_add_f64 v[70:71], v[14:15], v[98:99]
	v_add_f64 v[180:181], v[12:13], v[96:97]
	;; [unrolled: 1-line block ×4, first 2 shown]
	v_min3_f32 v187, v66, v64, v68
	v_cvt_f32_f64_e32 v68, v[180:181]
	v_cvt_f32_f64_e32 v96, v[96:97]
	;; [unrolled: 1-line block ×3, first 2 shown]
	v_add_f64 v[180:181], v[50:51], v[94:95]
	v_add_f64 v[182:183], v[48:49], v[92:93]
	v_min3_f32 v189, v96, v97, v100
	v_cvt_f32_f64_e32 v100, v[182:183]
	v_cvt_f32_f64_e32 v180, v[180:181]
	v_min3_f32 v182, v100, v180, v101
	v_add_f64 v[100:101], v[38:39], v[94:95]
	v_add_f64 v[180:181], v[36:37], v[92:93]
	v_cvt_f32_f64_e32 v180, v[180:181]
	v_cvt_f32_f64_e32 v100, v[100:101]
	v_min3_f32 v183, v180, v100, v102
	v_add_f64 v[100:101], v[34:35], v[94:95]
	v_add_f64 v[180:181], v[32:33], v[92:93]
	;; [unrolled: 5-line block ×34, first 2 shown]
	v_cvt_f32_f64_e32 v102, v[102:103]
	v_cvt_f32_f64_e32 v100, v[100:101]
	v_min3_f32 v159, v102, v100, v159
	s_waitcnt lgkmcnt(3)
	v_add_f64 v[100:101], v[50:51], v[74:75]
	v_add_f64 v[102:103], v[48:49], v[72:73]
	v_cvt_f32_f64_e32 v102, v[102:103]
	v_cvt_f32_f64_e32 v100, v[100:101]
	v_min3_f32 v161, v102, v100, v161
	v_add_f64 v[100:101], v[38:39], v[74:75]
	v_add_f64 v[102:103], v[36:37], v[72:73]
	v_cvt_f32_f64_e32 v102, v[102:103]
	v_cvt_f32_f64_e32 v100, v[100:101]
	v_min3_f32 v162, v102, v100, v162
	v_add_f64 v[100:101], v[34:35], v[74:75]
	v_add_f64 v[102:103], v[32:33], v[72:73]
	v_cvt_f32_f64_e32 v102, v[102:103]
	v_cvt_f32_f64_e32 v100, v[100:101]
	v_min3_f32 v220, v102, v100, v164
	v_add_f64 v[100:101], v[30:31], v[74:75]
	v_add_f64 v[102:103], v[28:29], v[72:73]
	v_cvt_f32_f64_e32 v102, v[102:103]
	v_cvt_f32_f64_e32 v100, v[100:101]
	v_min3_f32 v221, v102, v100, v165
	v_add_f64 v[100:101], v[22:23], v[74:75]
	v_add_f64 v[102:103], v[20:21], v[72:73]
	v_cvt_f32_f64_e32 v102, v[102:103]
	v_cvt_f32_f64_e32 v100, v[100:101]
	;; [unrolled: 1-line block ×4, first 2 shown]
	v_min3_f32 v222, v102, v100, v166
	v_add_f64 v[100:101], v[18:19], v[74:75]
	v_add_f64 v[102:103], v[16:17], v[72:73]
	v_min3_f32 v178, v42, v40, v197
	ds_read_b128 v[40:43], v146 offset:1040
	ds_read_b128 v[44:47], v146 offset:2064
	v_cvt_f32_f64_e32 v102, v[102:103]
	v_cvt_f32_f64_e32 v100, v[100:101]
	v_add_f64 v[94:95], v[10:11], v[94:95]
	v_add_f64 v[92:93], v[8:9], v[92:93]
	v_add_f64 v[90:91], v[10:11], v[90:91]
	v_add_f64 v[88:89], v[8:9], v[88:89]
	v_add_f64 v[86:87], v[10:11], v[86:87]
	v_add_f64 v[84:85], v[8:9], v[84:85]
	v_add_f64 v[82:83], v[10:11], v[82:83]
	v_add_f64 v[80:81], v[8:9], v[80:81]
	v_add_f64 v[78:79], v[10:11], v[78:79]
	v_add_f64 v[76:77], v[8:9], v[76:77]
	v_min3_f32 v223, v102, v100, v167
	v_add_f64 v[100:101], v[14:15], v[74:75]
	v_add_f64 v[102:103], v[12:13], v[72:73]
	;; [unrolled: 1-line block ×4, first 2 shown]
	s_waitcnt lgkmcnt(4)
	v_add_f64 v[14:15], v[14:15], v[26:27]
	v_add_f64 v[12:13], v[12:13], v[24:25]
	;; [unrolled: 1-line block ×4, first 2 shown]
	v_cvt_f32_f64_e32 v12, v[12:13]
	v_cvt_f32_f64_e32 v13, v[14:15]
	;; [unrolled: 1-line block ×4, first 2 shown]
	v_min3_f32 v12, v12, v13, v176
	v_min3_f32 v13, v8, v9, v177
	s_waitcnt lgkmcnt(2)
	v_add_f64 v[8:9], v[2:3], v[6:7]
	v_add_f64 v[10:11], v[0:1], v[4:5]
	ds_read_b128 v[52:55], v146 offset:3088
	ds_read_b128 v[56:59], v146 offset:4112
	v_cvt_f32_f64_e32 v10, v[10:11]
	v_cvt_f32_f64_e32 v8, v[8:9]
	v_min3_f32 v219, v10, v8, v178
	s_waitcnt lgkmcnt(3)
	v_add_f64 v[8:9], v[42:43], v[6:7]
	v_add_f64 v[10:11], v[40:41], v[4:5]
	v_cvt_f32_f64_e32 v10, v[10:11]
	v_cvt_f32_f64_e32 v8, v[8:9]
	v_min3_f32 v218, v10, v8, v179
	s_waitcnt lgkmcnt(2)
	v_add_f64 v[8:9], v[46:47], v[6:7]
	v_add_f64 v[10:11], v[44:45], v[4:5]
	ds_read_b128 v[60:63], v146 offset:5136
	ds_read_b128 v[64:67], v146 offset:6160
	v_cvt_f32_f64_e32 v10, v[10:11]
	v_cvt_f32_f64_e32 v8, v[8:9]
	;; [unrolled: 1-line block ×3, first 2 shown]
	v_min3_f32 v217, v10, v8, v184
	s_waitcnt lgkmcnt(3)
	v_add_f64 v[8:9], v[54:55], v[6:7]
	v_add_f64 v[10:11], v[52:53], v[4:5]
	v_min3_f32 v188, v68, v70, v69
	ds_read_b128 v[68:71], v146 offset:7184
	ds_read_b128 v[96:99], v209 offset:272
	v_cvt_f32_f64_e32 v10, v[10:11]
	v_cvt_f32_f64_e32 v8, v[8:9]
	v_min3_f32 v216, v10, v8, v185
	s_waitcnt lgkmcnt(4)
	v_add_f64 v[8:9], v[58:59], v[6:7]
	v_add_f64 v[10:11], v[56:57], v[4:5]
	v_cvt_f32_f64_e32 v10, v[10:11]
	v_cvt_f32_f64_e32 v8, v[8:9]
	v_min3_f32 v215, v10, v8, v186
	s_waitcnt lgkmcnt(3)
	v_add_f64 v[8:9], v[62:63], v[6:7]
	v_add_f64 v[10:11], v[60:61], v[4:5]
	;; [unrolled: 6-line block ×3, first 2 shown]
	s_waitcnt lgkmcnt(1)
	v_add_f64 v[6:7], v[70:71], v[6:7]
	v_add_f64 v[4:5], v[68:69], v[4:5]
	v_cvt_f32_f64_e32 v4, v[4:5]
	v_cvt_f32_f64_e32 v5, v[6:7]
	v_min3_f32 v205, v4, v5, v189
	s_waitcnt lgkmcnt(0)
	v_add_f64 v[4:5], v[2:3], v[98:99]
	v_add_f64 v[6:7], v[0:1], v[96:97]
	v_cvt_f32_f64_e32 v6, v[6:7]
	v_cvt_f32_f64_e32 v4, v[4:5]
	v_min3_f32 v204, v6, v4, v182
	v_add_f64 v[4:5], v[42:43], v[98:99]
	v_add_f64 v[6:7], v[40:41], v[96:97]
	v_cvt_f32_f64_e32 v6, v[6:7]
	v_cvt_f32_f64_e32 v4, v[4:5]
	v_min3_f32 v203, v6, v4, v183
	;; [unrolled: 5-line block ×4, first 2 shown]
	v_add_f64 v[4:5], v[58:59], v[98:99]
	v_add_f64 v[6:7], v[56:57], v[96:97]
	v_cvt_f32_f64_e32 v6, v[6:7]
	v_cvt_f32_f64_e32 v4, v[4:5]
	;; [unrolled: 1-line block ×4, first 2 shown]
	v_min3_f32 v200, v6, v4, v105
	v_add_f64 v[4:5], v[62:63], v[98:99]
	v_add_f64 v[6:7], v[60:61], v[96:97]
	v_min3_f32 v108, v92, v93, v108
	ds_read_b128 v[92:95], v209 offset:528
	v_cvt_f32_f64_e32 v6, v[6:7]
	v_cvt_f32_f64_e32 v4, v[4:5]
	v_min3_f32 v199, v6, v4, v106
	v_add_f64 v[4:5], v[66:67], v[98:99]
	v_add_f64 v[6:7], v[64:65], v[96:97]
	v_cvt_f32_f64_e32 v6, v[6:7]
	v_cvt_f32_f64_e32 v4, v[4:5]
	v_min3_f32 v198, v6, v4, v107
	v_add_f64 v[4:5], v[70:71], v[98:99]
	v_add_f64 v[6:7], v[68:69], v[96:97]
	v_cvt_f32_f64_e32 v88, v[88:89]
	v_cvt_f32_f64_e32 v89, v[90:91]
	;; [unrolled: 1-line block ×4, first 2 shown]
	v_min3_f32 v116, v88, v89, v116
	ds_read_b128 v[88:91], v209 offset:784
	v_min3_f32 v197, v6, v4, v108
	s_waitcnt lgkmcnt(1)
	v_add_f64 v[4:5], v[2:3], v[94:95]
	v_add_f64 v[6:7], v[0:1], v[92:93]
	v_cvt_f32_f64_e32 v6, v[6:7]
	v_cvt_f32_f64_e32 v4, v[4:5]
	v_min3_f32 v196, v6, v4, v109
	v_add_f64 v[4:5], v[42:43], v[94:95]
	v_add_f64 v[6:7], v[40:41], v[92:93]
	v_cvt_f32_f64_e32 v6, v[6:7]
	v_cvt_f32_f64_e32 v4, v[4:5]
	v_min3_f32 v195, v6, v4, v110
	;; [unrolled: 5-line block ×8, first 2 shown]
	s_waitcnt lgkmcnt(0)
	v_add_f64 v[4:5], v[2:3], v[90:91]
	v_add_f64 v[6:7], v[0:1], v[88:89]
	v_cvt_f32_f64_e32 v10, v[10:11]
	v_cvt_f32_f64_e32 v8, v[8:9]
	;; [unrolled: 1-line block ×4, first 2 shown]
	v_min3_f32 v206, v10, v8, v188
	v_min3_f32 v188, v6, v4, v117
	v_add_f64 v[4:5], v[42:43], v[90:91]
	v_add_f64 v[6:7], v[40:41], v[88:89]
	v_cvt_f32_f64_e32 v6, v[6:7]
	v_cvt_f32_f64_e32 v4, v[4:5]
	v_min3_f32 v187, v6, v4, v118
	v_add_f64 v[4:5], v[46:47], v[90:91]
	v_add_f64 v[6:7], v[44:45], v[88:89]
	v_cvt_f32_f64_e32 v6, v[6:7]
	v_cvt_f32_f64_e32 v4, v[4:5]
	;; [unrolled: 5-line block ×4, first 2 shown]
	v_cvt_f32_f64_e32 v84, v[84:85]
	v_cvt_f32_f64_e32 v85, v[86:87]
	v_min3_f32 v184, v6, v4, v121
	v_add_f64 v[4:5], v[62:63], v[90:91]
	v_add_f64 v[6:7], v[60:61], v[88:89]
	v_min3_f32 v124, v84, v85, v124
	ds_read_b128 v[84:87], v209 offset:1040
	v_cvt_f32_f64_e32 v6, v[6:7]
	v_cvt_f32_f64_e32 v4, v[4:5]
	v_min3_f32 v183, v6, v4, v122
	v_add_f64 v[4:5], v[66:67], v[90:91]
	v_add_f64 v[6:7], v[64:65], v[88:89]
	v_cvt_f32_f64_e32 v6, v[6:7]
	v_cvt_f32_f64_e32 v4, v[4:5]
	v_min3_f32 v182, v6, v4, v123
	v_add_f64 v[4:5], v[70:71], v[90:91]
	v_add_f64 v[6:7], v[68:69], v[88:89]
	v_cvt_f32_f64_e32 v80, v[80:81]
	v_cvt_f32_f64_e32 v81, v[82:83]
	;; [unrolled: 1-line block ×4, first 2 shown]
	v_min3_f32 v152, v80, v81, v152
	ds_read_b128 v[80:83], v209 offset:1296
	v_min3_f32 v181, v6, v4, v124
	s_waitcnt lgkmcnt(1)
	v_add_f64 v[4:5], v[2:3], v[86:87]
	v_add_f64 v[6:7], v[0:1], v[84:85]
	v_cvt_f32_f64_e32 v6, v[6:7]
	v_cvt_f32_f64_e32 v4, v[4:5]
	v_min3_f32 v180, v6, v4, v125
	v_add_f64 v[4:5], v[42:43], v[86:87]
	v_add_f64 v[6:7], v[40:41], v[84:85]
	v_cvt_f32_f64_e32 v6, v[6:7]
	v_cvt_f32_f64_e32 v4, v[4:5]
	v_min3_f32 v179, v6, v4, v126
	;; [unrolled: 5-line block ×4, first 2 shown]
	v_add_f64 v[4:5], v[58:59], v[86:87]
	v_add_f64 v[6:7], v[56:57], v[84:85]
	v_cvt_f32_f64_e32 v6, v[6:7]
	v_cvt_f32_f64_e32 v4, v[4:5]
	v_add_f64 v[18:19], v[18:19], v[26:27]
	v_add_f64 v[16:17], v[16:17], v[24:25]
	v_min3_f32 v176, v6, v4, v149
	v_add_f64 v[4:5], v[62:63], v[86:87]
	v_add_f64 v[6:7], v[60:61], v[84:85]
	v_cvt_f32_f64_e32 v16, v[16:17]
	v_cvt_f32_f64_e32 v17, v[18:19]
	v_cvt_f32_f64_e32 v6, v[6:7]
	v_cvt_f32_f64_e32 v4, v[4:5]
	v_add_f64 v[22:23], v[22:23], v[26:27]
	v_add_f64 v[20:21], v[20:21], v[24:25]
	v_min3_f32 v16, v16, v17, v175
	v_min3_f32 v175, v6, v4, v150
	v_add_f64 v[4:5], v[66:67], v[86:87]
	v_add_f64 v[6:7], v[64:65], v[84:85]
	v_cvt_f32_f64_e32 v20, v[20:21]
	v_cvt_f32_f64_e32 v21, v[22:23]
	v_cvt_f32_f64_e32 v6, v[6:7]
	v_cvt_f32_f64_e32 v4, v[4:5]
	v_add_f64 v[30:31], v[30:31], v[26:27]
	v_add_f64 v[28:29], v[28:29], v[24:25]
	v_min3_f32 v20, v20, v21, v174
	;; [unrolled: 10-line block ×3, first 2 shown]
	v_min3_f32 v173, v6, v4, v152
	s_waitcnt lgkmcnt(0)
	v_add_f64 v[4:5], v[2:3], v[82:83]
	v_add_f64 v[6:7], v[0:1], v[80:81]
	v_cvt_f32_f64_e32 v32, v[32:33]
	v_cvt_f32_f64_e32 v33, v[34:35]
	;; [unrolled: 1-line block ×4, first 2 shown]
	v_add_f64 v[38:39], v[38:39], v[26:27]
	v_add_f64 v[36:37], v[36:37], v[24:25]
	v_min3_f32 v32, v32, v33, v172
	v_min3_f32 v172, v6, v4, v153
	v_add_f64 v[4:5], v[42:43], v[82:83]
	v_add_f64 v[6:7], v[40:41], v[80:81]
	v_cvt_f32_f64_e32 v36, v[36:37]
	v_cvt_f32_f64_e32 v37, v[38:39]
	;; [unrolled: 1-line block ×4, first 2 shown]
	v_add_f64 v[50:51], v[50:51], v[26:27]
	v_add_f64 v[48:49], v[48:49], v[24:25]
	v_min3_f32 v36, v36, v37, v171
	v_min3_f32 v171, v6, v4, v154
	v_add_f64 v[4:5], v[46:47], v[82:83]
	v_add_f64 v[6:7], v[44:45], v[80:81]
	v_cvt_f32_f64_e32 v48, v[48:49]
	v_cvt_f32_f64_e32 v49, v[50:51]
	;; [unrolled: 1-line block ×4, first 2 shown]
	v_min3_f32 v48, v48, v49, v170
	v_min3_f32 v170, v6, v4, v155
	v_add_f64 v[4:5], v[54:55], v[82:83]
	v_add_f64 v[6:7], v[52:53], v[80:81]
	v_cvt_f32_f64_e32 v72, v[72:73]
	v_cvt_f32_f64_e32 v73, v[74:75]
	;; [unrolled: 1-line block ×5, first 2 shown]
	v_min3_f32 v101, v72, v73, v169
	v_min3_f32 v169, v6, v4, v156
	v_add_f64 v[4:5], v[58:59], v[82:83]
	v_add_f64 v[6:7], v[56:57], v[80:81]
	v_cvt_f32_f64_e32 v102, v[102:103]
	v_cvt_f32_f64_e32 v6, v[6:7]
	;; [unrolled: 1-line block ×5, first 2 shown]
	v_min3_f32 v100, v102, v100, v168
	v_min3_f32 v168, v6, v4, v157
	v_add_f64 v[4:5], v[62:63], v[82:83]
	v_add_f64 v[6:7], v[60:61], v[80:81]
	v_min3_f32 v160, v76, v77, v160
	ds_read_b128 v[76:79], v209 offset:1552
	ds_read_b128 v[72:75], v209 offset:1808
	v_cvt_f32_f64_e32 v6, v[6:7]
	v_cvt_f32_f64_e32 v4, v[4:5]
	v_min3_f32 v167, v6, v4, v158
	v_add_f64 v[4:5], v[66:67], v[82:83]
	v_add_f64 v[6:7], v[64:65], v[80:81]
	v_cvt_f32_f64_e32 v6, v[6:7]
	v_cvt_f32_f64_e32 v4, v[4:5]
	v_min3_f32 v166, v6, v4, v159
	v_add_f64 v[4:5], v[70:71], v[82:83]
	v_add_f64 v[6:7], v[68:69], v[80:81]
	v_cvt_f32_f64_e32 v6, v[6:7]
	v_cvt_f32_f64_e32 v4, v[4:5]
	v_min3_f32 v165, v6, v4, v160
	s_waitcnt lgkmcnt(1)
	v_add_f64 v[4:5], v[2:3], v[78:79]
	v_add_f64 v[6:7], v[0:1], v[76:77]
	s_waitcnt lgkmcnt(0)
	v_add_f64 v[2:3], v[2:3], v[74:75]
	v_add_f64 v[0:1], v[0:1], v[72:73]
	v_cvt_f32_f64_e32 v6, v[6:7]
	v_cvt_f32_f64_e32 v4, v[4:5]
	v_cvt_f32_f64_e32 v0, v[0:1]
	v_cvt_f32_f64_e32 v1, v[2:3]
	v_min3_f32 v164, v6, v4, v161
	v_add_f64 v[4:5], v[42:43], v[78:79]
	v_add_f64 v[6:7], v[40:41], v[76:77]
	v_min3_f32 v155, v0, v1, v48
	v_add_f64 v[0:1], v[42:43], v[74:75]
	v_add_f64 v[2:3], v[40:41], v[72:73]
	v_cvt_f32_f64_e32 v6, v[6:7]
	v_cvt_f32_f64_e32 v4, v[4:5]
	v_cvt_f32_f64_e32 v2, v[2:3]
	v_cvt_f32_f64_e32 v0, v[0:1]
	v_min3_f32 v162, v6, v4, v162
	v_add_f64 v[4:5], v[46:47], v[78:79]
	v_add_f64 v[6:7], v[44:45], v[76:77]
	v_min3_f32 v154, v2, v0, v36
	;; [unrolled: 10-line block ×7, first 2 shown]
	v_add_f64 v[0:1], v[70:71], v[74:75]
	v_add_f64 v[2:3], v[68:69], v[72:73]
	v_cvt_f32_f64_e32 v6, v[6:7]
	v_cvt_f32_f64_e32 v4, v[4:5]
	;; [unrolled: 1-line block ×4, first 2 shown]
	s_add_i32 s34, s34, 8
	v_min3_f32 v156, v6, v4, v101
	v_min3_f32 v148, v2, v0, v13
	s_cmp_ge_i32 s34, s38
	v_lshl_add_u64 v[130:131], v[130:131], 0, 64
	ds_write2st64_b64 v210, v[132:133], v[134:135] offset1:4
	ds_write2st64_b64 v210, v[136:137], v[138:139] offset0:8 offset1:12
	ds_write_b64 v211, v[140:141]
	s_waitcnt lgkmcnt(0)
	s_barrier
	s_cbranch_scc1 .LBB110_51
.LBB110_31:                             ; =>This Inner Loop Header: Depth=1
	v_add_u32_e32 v220, s34, v144
	v_add_u32_e32 v0, 8, v220
	v_cmp_le_i32_e32 vcc, s26, v0
	v_min_i32_e32 v0, s37, v0
	v_mad_i64_i32 v[0:1], s[12:13], v0, s36, 0
	v_lshl_add_u64 v[0:1], v[0:1], 3, s[30:31]
	s_or_b64 s[12:13], s[2:3], vcc
	v_cndmask_b32_e64 v133, 0, v214, s[12:13]
	s_nor_b64 s[40:41], s[18:19], s[12:13]
	v_cndmask_b32_e64 v132, 0, -1, s[12:13]
	v_lshl_add_u64 v[0:1], v[128:129], 3, v[0:1]
	s_and_saveexec_b64 s[12:13], s[40:41]
	s_cbranch_execz .LBB110_33
; %bb.32:                               ;   in Loop: Header=BB110_31 Depth=1
	flat_load_dwordx2 v[2:3], v[0:1]
	s_waitcnt vmcnt(0) lgkmcnt(0)
	v_mul_f64 v[132:133], s[16:17], v[2:3]
.LBB110_33:                             ;   in Loop: Header=BB110_31 Depth=1
	s_or_b64 exec, exec, s[12:13]
	s_or_b64 s[12:13], s[4:5], vcc
	v_cndmask_b32_e64 v135, 0, v214, s[12:13]
	s_nor_b64 s[40:41], s[18:19], s[12:13]
	v_cndmask_b32_e64 v134, 0, -1, s[12:13]
	s_and_saveexec_b64 s[12:13], s[40:41]
	s_cbranch_execz .LBB110_35
; %bb.34:                               ;   in Loop: Header=BB110_31 Depth=1
	flat_load_dwordx2 v[2:3], v[0:1] offset:512
	s_waitcnt vmcnt(0) lgkmcnt(0)
	v_mul_f64 v[134:135], s[16:17], v[2:3]
.LBB110_35:                             ;   in Loop: Header=BB110_31 Depth=1
	s_or_b64 exec, exec, s[12:13]
	s_or_b64 s[12:13], s[6:7], vcc
	v_cndmask_b32_e64 v137, 0, v214, s[12:13]
	s_nor_b64 s[40:41], s[18:19], s[12:13]
	v_cndmask_b32_e64 v136, 0, -1, s[12:13]
	s_and_saveexec_b64 s[12:13], s[40:41]
	s_cbranch_execz .LBB110_37
; %bb.36:                               ;   in Loop: Header=BB110_31 Depth=1
	flat_load_dwordx2 v[2:3], v[0:1] offset:1024
	s_waitcnt vmcnt(0) lgkmcnt(0)
	v_mul_f64 v[136:137], s[16:17], v[2:3]
.LBB110_37:                             ;   in Loop: Header=BB110_31 Depth=1
	s_or_b64 exec, exec, s[12:13]
	s_or_b64 vcc, s[8:9], vcc
	v_cndmask_b32_e32 v139, 0, v214, vcc
	s_nor_b64 s[40:41], s[18:19], vcc
	v_cndmask_b32_e64 v138, 0, -1, vcc
	s_and_saveexec_b64 s[12:13], s[40:41]
	s_cbranch_execz .LBB110_39
; %bb.38:                               ;   in Loop: Header=BB110_31 Depth=1
	flat_load_dwordx2 v[0:1], v[0:1] offset:1536
	s_waitcnt vmcnt(0) lgkmcnt(0)
	v_mul_f64 v[138:139], s[16:17], v[0:1]
.LBB110_39:                             ;   in Loop: Header=BB110_31 Depth=1
	s_or_b64 exec, exec, s[12:13]
	v_add_u32_e32 v221, s34, v147
	v_add_u32_e32 v0, 8, v221
	v_cmp_le_i32_e32 vcc, s26, v0
	s_or_b64 vcc, vcc, s[10:11]
	s_nor_b64 s[40:41], s[18:19], vcc
	v_cndmask_b32_e32 v141, 0, v214, vcc
	v_cndmask_b32_e64 v140, 0, -1, vcc
	s_and_saveexec_b64 s[12:13], s[40:41]
	s_cbranch_execz .LBB110_41
; %bb.40:                               ;   in Loop: Header=BB110_31 Depth=1
	v_add_co_u32_e32 v0, vcc, 0xffffffe0, v130
	s_nop 1
	v_addc_co_u32_e32 v1, vcc, -1, v131, vcc
	flat_load_dwordx2 v[0:1], v[0:1]
	s_waitcnt vmcnt(0) lgkmcnt(0)
	v_mul_f64 v[140:141], s[16:17], v[0:1]
.LBB110_41:                             ;   in Loop: Header=BB110_31 Depth=1
	s_or_b64 exec, exec, s[12:13]
	ds_read_b128 v[124:127], v213
	ds_read_b128 v[60:63], v213 offset:16
	ds_read_b128 v[96:99], v212
	ds_read_b128 v[32:35], v212 offset:16
	ds_read_b128 v[92:95], v212 offset:1024
	ds_read_b128 v[28:31], v212 offset:1040
	ds_read_b128 v[88:91], v212 offset:2048
	ds_read_b128 v[24:27], v212 offset:2064
	ds_read_b128 v[80:83], v212 offset:3072
	ds_read_b128 v[16:19], v212 offset:3088
	ds_read_b128 v[76:79], v212 offset:4096
	ds_read_b128 v[12:15], v212 offset:4112
	ds_read_b128 v[72:75], v212 offset:5120
	ds_read_b128 v[8:11], v212 offset:5136
	ds_read_b128 v[68:71], v212 offset:6144
	ds_read_b128 v[4:7], v212 offset:6160
	ds_read_b128 v[64:67], v212 offset:7168
	ds_read_b128 v[0:3], v212 offset:7184
	ds_read_b128 v[120:123], v213 offset:256
	ds_read_b128 v[56:59], v213 offset:272
	ds_read_b128 v[116:119], v213 offset:512
	ds_read_b128 v[52:55], v213 offset:528
	ds_read_b128 v[112:115], v213 offset:768
	ds_read_b128 v[48:51], v213 offset:784
	ds_read_b128 v[108:111], v213 offset:1024
	ds_read_b128 v[44:47], v213 offset:1040
	ds_read_b128 v[104:107], v213 offset:1280
	ds_read_b128 v[40:43], v213 offset:1296
	ds_read_b128 v[100:103], v213 offset:1536
	ds_read_b128 v[36:39], v213 offset:1552
	ds_read_b128 v[84:87], v213 offset:1792
	ds_read_b128 v[20:23], v213 offset:1808
	ds_write2st64_b64 v163, v[132:133], v[134:135] offset1:4
	ds_write2st64_b64 v163, v[136:137], v[138:139] offset0:8 offset1:12
	ds_write_b64 v208, v[140:141]
	v_add_u32_e32 v132, 12, v220
	v_cmp_le_i32_e32 vcc, s26, v132
	v_min_i32_e32 v132, s37, v132
	v_mad_i64_i32 v[132:133], s[12:13], v132, s36, 0
	v_lshl_add_u64 v[134:135], v[132:133], 3, s[30:31]
	s_or_b64 s[12:13], s[2:3], vcc
	v_cndmask_b32_e64 v133, 0, v214, s[12:13]
	s_nor_b64 s[40:41], s[18:19], s[12:13]
	v_cndmask_b32_e64 v132, 0, -1, s[12:13]
	v_lshl_add_u64 v[140:141], v[128:129], 3, v[134:135]
	s_waitcnt lgkmcnt(0)
	s_barrier
	s_and_saveexec_b64 s[12:13], s[40:41]
	s_cbranch_execz .LBB110_43
; %bb.42:                               ;   in Loop: Header=BB110_31 Depth=1
	flat_load_dwordx2 v[132:133], v[140:141]
	s_waitcnt vmcnt(0) lgkmcnt(0)
	v_mul_f64 v[132:133], s[16:17], v[132:133]
.LBB110_43:                             ;   in Loop: Header=BB110_31 Depth=1
	s_or_b64 exec, exec, s[12:13]
	s_or_b64 s[12:13], s[4:5], vcc
	v_cndmask_b32_e64 v135, 0, v214, s[12:13]
	s_nor_b64 s[40:41], s[18:19], s[12:13]
	v_cndmask_b32_e64 v134, 0, -1, s[12:13]
	s_and_saveexec_b64 s[12:13], s[40:41]
	s_cbranch_execz .LBB110_45
; %bb.44:                               ;   in Loop: Header=BB110_31 Depth=1
	flat_load_dwordx2 v[134:135], v[140:141] offset:512
	s_waitcnt vmcnt(0) lgkmcnt(0)
	v_mul_f64 v[134:135], s[16:17], v[134:135]
.LBB110_45:                             ;   in Loop: Header=BB110_31 Depth=1
	s_or_b64 exec, exec, s[12:13]
	s_or_b64 s[12:13], s[6:7], vcc
	v_cndmask_b32_e64 v137, 0, v214, s[12:13]
	s_nor_b64 s[40:41], s[18:19], s[12:13]
	v_cndmask_b32_e64 v136, 0, -1, s[12:13]
	s_and_saveexec_b64 s[12:13], s[40:41]
	s_cbranch_execz .LBB110_47
; %bb.46:                               ;   in Loop: Header=BB110_31 Depth=1
	flat_load_dwordx2 v[136:137], v[140:141] offset:1024
	s_waitcnt vmcnt(0) lgkmcnt(0)
	v_mul_f64 v[136:137], s[16:17], v[136:137]
.LBB110_47:                             ;   in Loop: Header=BB110_31 Depth=1
	s_or_b64 exec, exec, s[12:13]
	s_or_b64 vcc, s[8:9], vcc
	v_cndmask_b32_e32 v139, 0, v214, vcc
	s_nor_b64 s[40:41], s[18:19], vcc
	v_cndmask_b32_e64 v138, 0, -1, vcc
	s_and_saveexec_b64 s[12:13], s[40:41]
	s_cbranch_execz .LBB110_49
; %bb.48:                               ;   in Loop: Header=BB110_31 Depth=1
	flat_load_dwordx2 v[138:139], v[140:141] offset:1536
	s_waitcnt vmcnt(0) lgkmcnt(0)
	v_mul_f64 v[138:139], s[16:17], v[138:139]
.LBB110_49:                             ;   in Loop: Header=BB110_31 Depth=1
	s_or_b64 exec, exec, s[12:13]
	v_add_u32_e32 v140, 12, v221
	v_cmp_le_i32_e32 vcc, s26, v140
	s_or_b64 vcc, vcc, s[10:11]
	s_nor_b64 s[40:41], s[18:19], vcc
	v_cndmask_b32_e32 v141, 0, v214, vcc
	v_cndmask_b32_e64 v140, 0, -1, vcc
	s_and_saveexec_b64 s[12:13], s[40:41]
	s_cbranch_execz .LBB110_30
; %bb.50:                               ;   in Loop: Header=BB110_31 Depth=1
	flat_load_dwordx2 v[140:141], v[130:131]
	s_waitcnt vmcnt(0) lgkmcnt(0)
	v_mul_f64 v[140:141], s[16:17], v[140:141]
	s_branch .LBB110_30
.LBB110_51:
	s_load_dwordx2 s[2:3], s[0:1], 0x78
	s_load_dword s31, s[0:1], 0x58
	s_load_dword s30, s[0:1], 0x70
	ds_read_b128 v[68:71], v146 offset:8192
	ds_read_b128 v[64:67], v146 offset:8208
	;; [unrolled: 1-line block ×32, first 2 shown]
	s_waitcnt lgkmcnt(0)
	s_lshl_b64 s[0:1], s[2:3], 3
	s_add_u32 s20, s20, s0
	v_add_u32_e32 v163, s33, v143
	s_addc_u32 s21, s21, s1
	v_mad_i64_i32 v[130:131], s[0:1], v163, s31, 0
	v_add_u32_e32 v128, s27, v142
	v_lshl_add_u64 v[146:147], v[130:131], 3, s[28:29]
	v_mad_i64_i32 v[130:131], s[0:1], v163, s30, 0
	v_cmp_gt_i32_e64 s[2:3], s24, v128
	v_cmp_gt_i32_e64 s[18:19], s25, v163
	v_lshl_add_u64 v[144:145], v[130:131], 3, s[20:21]
	v_cndmask_b32_e64 v130, 0, 1, s[14:15]
	v_ashrrev_i32_e32 v129, 31, v128
	s_and_b64 s[6:7], s[2:3], s[18:19]
	v_cmp_ne_u32_e64 s[0:1], 1, v130
	s_and_saveexec_b64 s[4:5], s[6:7]
	s_cbranch_execz .LBB110_56
; %bb.52:
	s_and_b64 vcc, exec, s[0:1]
	s_cbranch_vccnz .LBB110_54
; %bb.53:
	v_lshl_add_u64 v[130:131], v[128:129], 3, v[146:147]
	flat_load_dwordx2 v[130:131], v[130:131]
	s_waitcnt vmcnt(0) lgkmcnt(0)
	v_mul_f64 v[130:131], s[22:23], v[130:131]
	v_cvt_f32_f64_e32 v130, v[130:131]
	s_branch .LBB110_55
.LBB110_54:
	v_mov_b32_e32 v130, 0
.LBB110_55:
	v_add_f64 v[132:133], v[70:71], v[126:127]
	v_add_f64 v[134:135], v[68:69], v[124:125]
	v_cvt_f32_f64_e32 v131, v[134:135]
	v_cvt_f32_f64_e32 v132, v[132:133]
	v_min3_f32 v131, v131, v132, v219
	v_add_f64 v[132:133], v[66:67], v[122:123]
	v_add_f64 v[134:135], v[64:65], v[120:121]
	v_cvt_f32_f64_e32 v134, v[134:135]
	v_cvt_f32_f64_e32 v132, v[132:133]
	v_min_f32_e32 v132, v134, v132
	v_min3_f32 v130, v130, v132, v131
	v_cvt_f64_f32_e32 v[130:131], v130
	v_lshl_add_u64 v[132:133], v[128:129], 3, v[144:145]
	flat_store_dwordx2 v[132:133], v[130:131]
.LBB110_56:
	s_or_b64 exec, exec, s[4:5]
	v_add_u32_e32 v130, 32, v128
	v_cmp_gt_i32_e64 s[4:5], s24, v130
	v_ashrrev_i32_e32 v131, 31, v130
	s_and_b64 s[8:9], s[4:5], s[18:19]
	s_and_saveexec_b64 s[6:7], s[8:9]
	s_cbranch_execz .LBB110_61
; %bb.57:
	s_and_b64 vcc, exec, s[0:1]
	s_cbranch_vccnz .LBB110_59
; %bb.58:
	v_lshl_add_u64 v[132:133], v[130:131], 3, v[146:147]
	flat_load_dwordx2 v[132:133], v[132:133]
	s_waitcnt vmcnt(0) lgkmcnt(0)
	v_mul_f64 v[132:133], s[22:23], v[132:133]
	v_cvt_f32_f64_e32 v132, v[132:133]
	s_branch .LBB110_60
.LBB110_59:
	v_mov_b32_e32 v132, 0
.LBB110_60:
	v_add_f64 v[134:135], v[62:63], v[126:127]
	v_add_f64 v[136:137], v[60:61], v[124:125]
	v_cvt_f32_f64_e32 v133, v[136:137]
	v_cvt_f32_f64_e32 v134, v[134:135]
	v_min3_f32 v133, v133, v134, v218
	v_add_f64 v[134:135], v[58:59], v[122:123]
	v_add_f64 v[136:137], v[56:57], v[120:121]
	v_cvt_f32_f64_e32 v136, v[136:137]
	v_cvt_f32_f64_e32 v134, v[134:135]
	v_min_f32_e32 v134, v136, v134
	v_min3_f32 v132, v132, v134, v133
	v_cvt_f64_f32_e32 v[132:133], v132
	v_lshl_add_u64 v[134:135], v[130:131], 3, v[144:145]
	flat_store_dwordx2 v[134:135], v[132:133]
.LBB110_61:
	s_or_b64 exec, exec, s[6:7]
	v_add_u32_e32 v132, 64, v128
	v_cmp_gt_i32_e64 s[6:7], s24, v132
	v_ashrrev_i32_e32 v133, 31, v132
	s_and_b64 s[10:11], s[6:7], s[18:19]
	;; [unrolled: 35-line block ×7, first 2 shown]
	s_and_saveexec_b64 s[18:19], s[26:27]
	s_cbranch_execz .LBB110_91
; %bb.87:
	s_and_b64 vcc, exec, s[0:1]
	s_cbranch_vccnz .LBB110_89
; %bb.88:
	v_lshl_add_u64 v[146:147], v[142:143], 3, v[146:147]
	flat_load_dwordx2 v[146:147], v[146:147]
	s_waitcnt vmcnt(0) lgkmcnt(0)
	v_mul_f64 v[146:147], s[22:23], v[146:147]
	v_cvt_f32_f64_e32 v146, v[146:147]
	s_branch .LBB110_90
.LBB110_89:
	v_mov_b32_e32 v146, 0
.LBB110_90:
	v_add_f64 v[126:127], v[6:7], v[126:127]
	v_add_f64 v[124:125], v[4:5], v[124:125]
	;; [unrolled: 1-line block ×4, first 2 shown]
	v_cvt_f32_f64_e32 v124, v[124:125]
	v_cvt_f32_f64_e32 v125, v[126:127]
	v_cvt_f32_f64_e32 v120, v[120:121]
	v_cvt_f32_f64_e32 v121, v[122:123]
	v_min3_f32 v124, v124, v125, v205
	v_min_f32_e32 v120, v120, v121
	v_min3_f32 v120, v146, v120, v124
	v_cvt_f64_f32_e32 v[120:121], v120
	v_lshl_add_u64 v[122:123], v[142:143], 3, v[144:145]
	flat_store_dwordx2 v[122:123], v[120:121]
.LBB110_91:
	s_or_b64 exec, exec, s[18:19]
	v_add_u32_e32 v124, 8, v163
	v_mad_i64_i32 v[120:121], s[26:27], v124, s31, 0
	v_cmp_gt_i32_e64 s[18:19], s25, v124
	v_lshl_add_u64 v[122:123], v[120:121], 3, s[28:29]
	v_mad_i64_i32 v[120:121], s[26:27], v124, s30, 0
	v_lshl_add_u64 v[120:121], v[120:121], 3, s[20:21]
	s_and_b64 s[34:35], s[2:3], s[18:19]
	s_and_saveexec_b64 s[26:27], s[34:35]
	s_cbranch_execnz .LBB110_99
; %bb.92:
	s_or_b64 exec, exec, s[26:27]
	s_and_b64 s[34:35], s[4:5], s[18:19]
	s_and_saveexec_b64 s[26:27], s[34:35]
	s_cbranch_execnz .LBB110_103
.LBB110_93:
	s_or_b64 exec, exec, s[26:27]
	s_and_b64 s[34:35], s[6:7], s[18:19]
	s_and_saveexec_b64 s[26:27], s[34:35]
	s_cbranch_execnz .LBB110_107
.LBB110_94:
	s_or_b64 exec, exec, s[26:27]
	s_and_b64 s[34:35], s[8:9], s[18:19]
	s_and_saveexec_b64 s[26:27], s[34:35]
	s_cbranch_execnz .LBB110_111
.LBB110_95:
	s_or_b64 exec, exec, s[26:27]
	s_and_b64 s[34:35], s[10:11], s[18:19]
	s_and_saveexec_b64 s[26:27], s[34:35]
	s_cbranch_execnz .LBB110_115
.LBB110_96:
	s_or_b64 exec, exec, s[26:27]
	s_and_b64 s[34:35], s[12:13], s[18:19]
	s_and_saveexec_b64 s[26:27], s[34:35]
	s_cbranch_execnz .LBB110_119
.LBB110_97:
	s_or_b64 exec, exec, s[26:27]
	s_and_b64 s[34:35], s[14:15], s[18:19]
	s_and_saveexec_b64 s[26:27], s[34:35]
	s_cbranch_execnz .LBB110_123
.LBB110_98:
	s_or_b64 exec, exec, s[26:27]
	s_and_b64 s[26:27], s[16:17], s[18:19]
	s_and_saveexec_b64 s[18:19], s[26:27]
	s_cbranch_execnz .LBB110_127
	s_branch .LBB110_131
.LBB110_99:
	s_and_b64 vcc, exec, s[0:1]
	s_cbranch_vccnz .LBB110_101
; %bb.100:
	v_lshl_add_u64 v[124:125], v[128:129], 3, v[122:123]
	flat_load_dwordx2 v[124:125], v[124:125]
	s_waitcnt vmcnt(0) lgkmcnt(0)
	v_mul_f64 v[124:125], s[22:23], v[124:125]
	v_cvt_f32_f64_e32 v124, v[124:125]
	s_branch .LBB110_102
.LBB110_101:
	v_mov_b32_e32 v124, 0
.LBB110_102:
	v_add_f64 v[126:127], v[70:71], v[118:119]
	v_add_f64 v[144:145], v[68:69], v[116:117]
	v_cvt_f32_f64_e32 v125, v[144:145]
	v_cvt_f32_f64_e32 v126, v[126:127]
	v_min3_f32 v125, v125, v126, v204
	v_add_f64 v[126:127], v[66:67], v[114:115]
	v_add_f64 v[144:145], v[64:65], v[112:113]
	v_cvt_f32_f64_e32 v144, v[144:145]
	v_cvt_f32_f64_e32 v126, v[126:127]
	v_min_f32_e32 v126, v144, v126
	v_min3_f32 v124, v124, v126, v125
	v_cvt_f64_f32_e32 v[124:125], v124
	v_lshl_add_u64 v[126:127], v[128:129], 3, v[120:121]
	flat_store_dwordx2 v[126:127], v[124:125]
	s_or_b64 exec, exec, s[26:27]
	s_and_b64 s[34:35], s[4:5], s[18:19]
	s_and_saveexec_b64 s[26:27], s[34:35]
	s_cbranch_execz .LBB110_93
.LBB110_103:
	s_and_b64 vcc, exec, s[0:1]
	s_cbranch_vccnz .LBB110_105
; %bb.104:
	v_lshl_add_u64 v[124:125], v[130:131], 3, v[122:123]
	flat_load_dwordx2 v[124:125], v[124:125]
	s_waitcnt vmcnt(0) lgkmcnt(0)
	v_mul_f64 v[124:125], s[22:23], v[124:125]
	v_cvt_f32_f64_e32 v124, v[124:125]
	s_branch .LBB110_106
.LBB110_105:
	v_mov_b32_e32 v124, 0
.LBB110_106:
	v_add_f64 v[126:127], v[62:63], v[118:119]
	v_add_f64 v[144:145], v[60:61], v[116:117]
	v_cvt_f32_f64_e32 v125, v[144:145]
	v_cvt_f32_f64_e32 v126, v[126:127]
	v_min3_f32 v125, v125, v126, v203
	v_add_f64 v[126:127], v[58:59], v[114:115]
	v_add_f64 v[144:145], v[56:57], v[112:113]
	v_cvt_f32_f64_e32 v144, v[144:145]
	v_cvt_f32_f64_e32 v126, v[126:127]
	v_min_f32_e32 v126, v144, v126
	v_min3_f32 v124, v124, v126, v125
	v_cvt_f64_f32_e32 v[124:125], v124
	v_lshl_add_u64 v[126:127], v[130:131], 3, v[120:121]
	flat_store_dwordx2 v[126:127], v[124:125]
	s_or_b64 exec, exec, s[26:27]
	s_and_b64 s[34:35], s[6:7], s[18:19]
	s_and_saveexec_b64 s[26:27], s[34:35]
	s_cbranch_execz .LBB110_94
.LBB110_107:
	s_and_b64 vcc, exec, s[0:1]
	s_cbranch_vccnz .LBB110_109
; %bb.108:
	v_lshl_add_u64 v[124:125], v[132:133], 3, v[122:123]
	flat_load_dwordx2 v[124:125], v[124:125]
	s_waitcnt vmcnt(0) lgkmcnt(0)
	v_mul_f64 v[124:125], s[22:23], v[124:125]
	v_cvt_f32_f64_e32 v124, v[124:125]
	s_branch .LBB110_110
.LBB110_109:
	v_mov_b32_e32 v124, 0
.LBB110_110:
	v_add_f64 v[126:127], v[54:55], v[118:119]
	v_add_f64 v[144:145], v[52:53], v[116:117]
	v_cvt_f32_f64_e32 v125, v[144:145]
	v_cvt_f32_f64_e32 v126, v[126:127]
	v_min3_f32 v125, v125, v126, v202
	v_add_f64 v[126:127], v[50:51], v[114:115]
	v_add_f64 v[144:145], v[48:49], v[112:113]
	v_cvt_f32_f64_e32 v144, v[144:145]
	v_cvt_f32_f64_e32 v126, v[126:127]
	v_min_f32_e32 v126, v144, v126
	v_min3_f32 v124, v124, v126, v125
	v_cvt_f64_f32_e32 v[124:125], v124
	v_lshl_add_u64 v[126:127], v[132:133], 3, v[120:121]
	flat_store_dwordx2 v[126:127], v[124:125]
	s_or_b64 exec, exec, s[26:27]
	s_and_b64 s[34:35], s[8:9], s[18:19]
	s_and_saveexec_b64 s[26:27], s[34:35]
	s_cbranch_execz .LBB110_95
.LBB110_111:
	s_and_b64 vcc, exec, s[0:1]
	s_cbranch_vccnz .LBB110_113
; %bb.112:
	v_lshl_add_u64 v[124:125], v[134:135], 3, v[122:123]
	flat_load_dwordx2 v[124:125], v[124:125]
	s_waitcnt vmcnt(0) lgkmcnt(0)
	v_mul_f64 v[124:125], s[22:23], v[124:125]
	v_cvt_f32_f64_e32 v124, v[124:125]
	s_branch .LBB110_114
.LBB110_113:
	v_mov_b32_e32 v124, 0
.LBB110_114:
	v_add_f64 v[126:127], v[46:47], v[118:119]
	v_add_f64 v[144:145], v[44:45], v[116:117]
	v_cvt_f32_f64_e32 v125, v[144:145]
	v_cvt_f32_f64_e32 v126, v[126:127]
	v_min3_f32 v125, v125, v126, v201
	v_add_f64 v[126:127], v[42:43], v[114:115]
	v_add_f64 v[144:145], v[40:41], v[112:113]
	v_cvt_f32_f64_e32 v144, v[144:145]
	v_cvt_f32_f64_e32 v126, v[126:127]
	v_min_f32_e32 v126, v144, v126
	v_min3_f32 v124, v124, v126, v125
	v_cvt_f64_f32_e32 v[124:125], v124
	v_lshl_add_u64 v[126:127], v[134:135], 3, v[120:121]
	flat_store_dwordx2 v[126:127], v[124:125]
	s_or_b64 exec, exec, s[26:27]
	s_and_b64 s[34:35], s[10:11], s[18:19]
	s_and_saveexec_b64 s[26:27], s[34:35]
	s_cbranch_execz .LBB110_96
.LBB110_115:
	s_and_b64 vcc, exec, s[0:1]
	s_cbranch_vccnz .LBB110_117
; %bb.116:
	v_lshl_add_u64 v[124:125], v[136:137], 3, v[122:123]
	flat_load_dwordx2 v[124:125], v[124:125]
	s_waitcnt vmcnt(0) lgkmcnt(0)
	v_mul_f64 v[124:125], s[22:23], v[124:125]
	v_cvt_f32_f64_e32 v124, v[124:125]
	s_branch .LBB110_118
.LBB110_117:
	v_mov_b32_e32 v124, 0
.LBB110_118:
	v_add_f64 v[126:127], v[38:39], v[118:119]
	v_add_f64 v[144:145], v[36:37], v[116:117]
	v_cvt_f32_f64_e32 v125, v[144:145]
	v_cvt_f32_f64_e32 v126, v[126:127]
	v_min3_f32 v125, v125, v126, v200
	v_add_f64 v[126:127], v[34:35], v[114:115]
	v_add_f64 v[144:145], v[32:33], v[112:113]
	v_cvt_f32_f64_e32 v144, v[144:145]
	v_cvt_f32_f64_e32 v126, v[126:127]
	v_min_f32_e32 v126, v144, v126
	v_min3_f32 v124, v124, v126, v125
	v_cvt_f64_f32_e32 v[124:125], v124
	v_lshl_add_u64 v[126:127], v[136:137], 3, v[120:121]
	flat_store_dwordx2 v[126:127], v[124:125]
	s_or_b64 exec, exec, s[26:27]
	s_and_b64 s[34:35], s[12:13], s[18:19]
	s_and_saveexec_b64 s[26:27], s[34:35]
	s_cbranch_execz .LBB110_97
.LBB110_119:
	s_and_b64 vcc, exec, s[0:1]
	s_cbranch_vccnz .LBB110_121
; %bb.120:
	v_lshl_add_u64 v[124:125], v[138:139], 3, v[122:123]
	flat_load_dwordx2 v[124:125], v[124:125]
	s_waitcnt vmcnt(0) lgkmcnt(0)
	v_mul_f64 v[124:125], s[22:23], v[124:125]
	v_cvt_f32_f64_e32 v124, v[124:125]
	s_branch .LBB110_122
.LBB110_121:
	v_mov_b32_e32 v124, 0
.LBB110_122:
	v_add_f64 v[126:127], v[30:31], v[118:119]
	v_add_f64 v[144:145], v[28:29], v[116:117]
	v_cvt_f32_f64_e32 v125, v[144:145]
	v_cvt_f32_f64_e32 v126, v[126:127]
	v_min3_f32 v125, v125, v126, v199
	v_add_f64 v[126:127], v[26:27], v[114:115]
	v_add_f64 v[144:145], v[24:25], v[112:113]
	v_cvt_f32_f64_e32 v144, v[144:145]
	v_cvt_f32_f64_e32 v126, v[126:127]
	v_min_f32_e32 v126, v144, v126
	v_min3_f32 v124, v124, v126, v125
	v_cvt_f64_f32_e32 v[124:125], v124
	v_lshl_add_u64 v[126:127], v[138:139], 3, v[120:121]
	flat_store_dwordx2 v[126:127], v[124:125]
	s_or_b64 exec, exec, s[26:27]
	s_and_b64 s[34:35], s[14:15], s[18:19]
	s_and_saveexec_b64 s[26:27], s[34:35]
	s_cbranch_execz .LBB110_98
.LBB110_123:
	s_and_b64 vcc, exec, s[0:1]
	s_cbranch_vccnz .LBB110_125
; %bb.124:
	v_lshl_add_u64 v[124:125], v[140:141], 3, v[122:123]
	flat_load_dwordx2 v[124:125], v[124:125]
	s_waitcnt vmcnt(0) lgkmcnt(0)
	v_mul_f64 v[124:125], s[22:23], v[124:125]
	v_cvt_f32_f64_e32 v124, v[124:125]
	s_branch .LBB110_126
.LBB110_125:
	v_mov_b32_e32 v124, 0
.LBB110_126:
	v_add_f64 v[126:127], v[22:23], v[118:119]
	v_add_f64 v[144:145], v[20:21], v[116:117]
	v_cvt_f32_f64_e32 v125, v[144:145]
	v_cvt_f32_f64_e32 v126, v[126:127]
	v_min3_f32 v125, v125, v126, v198
	v_add_f64 v[126:127], v[18:19], v[114:115]
	v_add_f64 v[144:145], v[16:17], v[112:113]
	v_cvt_f32_f64_e32 v144, v[144:145]
	v_cvt_f32_f64_e32 v126, v[126:127]
	v_min_f32_e32 v126, v144, v126
	v_min3_f32 v124, v124, v126, v125
	v_cvt_f64_f32_e32 v[124:125], v124
	v_lshl_add_u64 v[126:127], v[140:141], 3, v[120:121]
	flat_store_dwordx2 v[126:127], v[124:125]
	s_or_b64 exec, exec, s[26:27]
	s_and_b64 s[26:27], s[16:17], s[18:19]
	s_and_saveexec_b64 s[18:19], s[26:27]
	s_cbranch_execz .LBB110_131
.LBB110_127:
	s_and_b64 vcc, exec, s[0:1]
	s_cbranch_vccnz .LBB110_129
; %bb.128:
	v_lshl_add_u64 v[122:123], v[142:143], 3, v[122:123]
	flat_load_dwordx2 v[122:123], v[122:123]
	s_waitcnt vmcnt(0) lgkmcnt(0)
	v_mul_f64 v[122:123], s[22:23], v[122:123]
	v_cvt_f32_f64_e32 v122, v[122:123]
	s_branch .LBB110_130
.LBB110_129:
	v_mov_b32_e32 v122, 0
.LBB110_130:
	v_add_f64 v[118:119], v[6:7], v[118:119]
	v_add_f64 v[116:117], v[4:5], v[116:117]
	;; [unrolled: 1-line block ×4, first 2 shown]
	v_cvt_f32_f64_e32 v116, v[116:117]
	v_cvt_f32_f64_e32 v117, v[118:119]
	;; [unrolled: 1-line block ×4, first 2 shown]
	v_min3_f32 v116, v116, v117, v197
	v_min_f32_e32 v112, v112, v113
	v_min3_f32 v112, v122, v112, v116
	v_cvt_f64_f32_e32 v[112:113], v112
	v_lshl_add_u64 v[114:115], v[142:143], 3, v[120:121]
	flat_store_dwordx2 v[114:115], v[112:113]
.LBB110_131:
	s_or_b64 exec, exec, s[18:19]
	v_add_u32_e32 v116, 16, v163
	v_mad_i64_i32 v[112:113], s[26:27], v116, s31, 0
	v_cmp_gt_i32_e64 s[18:19], s25, v116
	v_lshl_add_u64 v[114:115], v[112:113], 3, s[28:29]
	v_mad_i64_i32 v[112:113], s[26:27], v116, s30, 0
	v_lshl_add_u64 v[112:113], v[112:113], 3, s[20:21]
	s_and_b64 s[34:35], s[2:3], s[18:19]
	s_and_saveexec_b64 s[26:27], s[34:35]
	s_cbranch_execnz .LBB110_139
; %bb.132:
	s_or_b64 exec, exec, s[26:27]
	s_and_b64 s[34:35], s[4:5], s[18:19]
	s_and_saveexec_b64 s[26:27], s[34:35]
	s_cbranch_execnz .LBB110_143
.LBB110_133:
	s_or_b64 exec, exec, s[26:27]
	s_and_b64 s[34:35], s[6:7], s[18:19]
	s_and_saveexec_b64 s[26:27], s[34:35]
	s_cbranch_execnz .LBB110_147
.LBB110_134:
	s_or_b64 exec, exec, s[26:27]
	s_and_b64 s[34:35], s[8:9], s[18:19]
	s_and_saveexec_b64 s[26:27], s[34:35]
	s_cbranch_execnz .LBB110_151
.LBB110_135:
	s_or_b64 exec, exec, s[26:27]
	s_and_b64 s[34:35], s[10:11], s[18:19]
	s_and_saveexec_b64 s[26:27], s[34:35]
	s_cbranch_execnz .LBB110_155
.LBB110_136:
	s_or_b64 exec, exec, s[26:27]
	s_and_b64 s[34:35], s[12:13], s[18:19]
	s_and_saveexec_b64 s[26:27], s[34:35]
	s_cbranch_execnz .LBB110_159
.LBB110_137:
	s_or_b64 exec, exec, s[26:27]
	s_and_b64 s[34:35], s[14:15], s[18:19]
	s_and_saveexec_b64 s[26:27], s[34:35]
	s_cbranch_execnz .LBB110_163
.LBB110_138:
	s_or_b64 exec, exec, s[26:27]
	s_and_b64 s[26:27], s[16:17], s[18:19]
	s_and_saveexec_b64 s[18:19], s[26:27]
	s_cbranch_execnz .LBB110_167
	s_branch .LBB110_171
.LBB110_139:
	s_and_b64 vcc, exec, s[0:1]
	s_cbranch_vccnz .LBB110_141
; %bb.140:
	v_lshl_add_u64 v[116:117], v[128:129], 3, v[114:115]
	flat_load_dwordx2 v[116:117], v[116:117]
	s_waitcnt vmcnt(0) lgkmcnt(0)
	v_mul_f64 v[116:117], s[22:23], v[116:117]
	v_cvt_f32_f64_e32 v116, v[116:117]
	s_branch .LBB110_142
.LBB110_141:
	v_mov_b32_e32 v116, 0
.LBB110_142:
	v_add_f64 v[118:119], v[70:71], v[110:111]
	v_add_f64 v[120:121], v[68:69], v[108:109]
	v_cvt_f32_f64_e32 v117, v[120:121]
	v_cvt_f32_f64_e32 v118, v[118:119]
	v_min3_f32 v117, v117, v118, v196
	v_add_f64 v[118:119], v[66:67], v[106:107]
	v_add_f64 v[120:121], v[64:65], v[104:105]
	v_cvt_f32_f64_e32 v120, v[120:121]
	v_cvt_f32_f64_e32 v118, v[118:119]
	v_min_f32_e32 v118, v120, v118
	v_min3_f32 v116, v116, v118, v117
	v_cvt_f64_f32_e32 v[116:117], v116
	v_lshl_add_u64 v[118:119], v[128:129], 3, v[112:113]
	flat_store_dwordx2 v[118:119], v[116:117]
	s_or_b64 exec, exec, s[26:27]
	s_and_b64 s[34:35], s[4:5], s[18:19]
	s_and_saveexec_b64 s[26:27], s[34:35]
	s_cbranch_execz .LBB110_133
.LBB110_143:
	s_and_b64 vcc, exec, s[0:1]
	s_cbranch_vccnz .LBB110_145
; %bb.144:
	v_lshl_add_u64 v[116:117], v[130:131], 3, v[114:115]
	flat_load_dwordx2 v[116:117], v[116:117]
	s_waitcnt vmcnt(0) lgkmcnt(0)
	v_mul_f64 v[116:117], s[22:23], v[116:117]
	v_cvt_f32_f64_e32 v116, v[116:117]
	s_branch .LBB110_146
.LBB110_145:
	v_mov_b32_e32 v116, 0
.LBB110_146:
	v_add_f64 v[118:119], v[62:63], v[110:111]
	v_add_f64 v[120:121], v[60:61], v[108:109]
	v_cvt_f32_f64_e32 v117, v[120:121]
	v_cvt_f32_f64_e32 v118, v[118:119]
	v_min3_f32 v117, v117, v118, v195
	v_add_f64 v[118:119], v[58:59], v[106:107]
	v_add_f64 v[120:121], v[56:57], v[104:105]
	v_cvt_f32_f64_e32 v120, v[120:121]
	v_cvt_f32_f64_e32 v118, v[118:119]
	v_min_f32_e32 v118, v120, v118
	v_min3_f32 v116, v116, v118, v117
	v_cvt_f64_f32_e32 v[116:117], v116
	v_lshl_add_u64 v[118:119], v[130:131], 3, v[112:113]
	flat_store_dwordx2 v[118:119], v[116:117]
	s_or_b64 exec, exec, s[26:27]
	s_and_b64 s[34:35], s[6:7], s[18:19]
	s_and_saveexec_b64 s[26:27], s[34:35]
	s_cbranch_execz .LBB110_134
.LBB110_147:
	s_and_b64 vcc, exec, s[0:1]
	s_cbranch_vccnz .LBB110_149
; %bb.148:
	v_lshl_add_u64 v[116:117], v[132:133], 3, v[114:115]
	flat_load_dwordx2 v[116:117], v[116:117]
	s_waitcnt vmcnt(0) lgkmcnt(0)
	v_mul_f64 v[116:117], s[22:23], v[116:117]
	v_cvt_f32_f64_e32 v116, v[116:117]
	s_branch .LBB110_150
.LBB110_149:
	v_mov_b32_e32 v116, 0
.LBB110_150:
	v_add_f64 v[118:119], v[54:55], v[110:111]
	v_add_f64 v[120:121], v[52:53], v[108:109]
	v_cvt_f32_f64_e32 v117, v[120:121]
	v_cvt_f32_f64_e32 v118, v[118:119]
	v_min3_f32 v117, v117, v118, v194
	v_add_f64 v[118:119], v[50:51], v[106:107]
	v_add_f64 v[120:121], v[48:49], v[104:105]
	v_cvt_f32_f64_e32 v120, v[120:121]
	v_cvt_f32_f64_e32 v118, v[118:119]
	v_min_f32_e32 v118, v120, v118
	v_min3_f32 v116, v116, v118, v117
	v_cvt_f64_f32_e32 v[116:117], v116
	v_lshl_add_u64 v[118:119], v[132:133], 3, v[112:113]
	flat_store_dwordx2 v[118:119], v[116:117]
	s_or_b64 exec, exec, s[26:27]
	s_and_b64 s[34:35], s[8:9], s[18:19]
	s_and_saveexec_b64 s[26:27], s[34:35]
	s_cbranch_execz .LBB110_135
.LBB110_151:
	s_and_b64 vcc, exec, s[0:1]
	s_cbranch_vccnz .LBB110_153
; %bb.152:
	v_lshl_add_u64 v[116:117], v[134:135], 3, v[114:115]
	flat_load_dwordx2 v[116:117], v[116:117]
	s_waitcnt vmcnt(0) lgkmcnt(0)
	v_mul_f64 v[116:117], s[22:23], v[116:117]
	v_cvt_f32_f64_e32 v116, v[116:117]
	s_branch .LBB110_154
.LBB110_153:
	v_mov_b32_e32 v116, 0
.LBB110_154:
	v_add_f64 v[118:119], v[46:47], v[110:111]
	v_add_f64 v[120:121], v[44:45], v[108:109]
	v_cvt_f32_f64_e32 v117, v[120:121]
	v_cvt_f32_f64_e32 v118, v[118:119]
	v_min3_f32 v117, v117, v118, v193
	v_add_f64 v[118:119], v[42:43], v[106:107]
	v_add_f64 v[120:121], v[40:41], v[104:105]
	v_cvt_f32_f64_e32 v120, v[120:121]
	v_cvt_f32_f64_e32 v118, v[118:119]
	v_min_f32_e32 v118, v120, v118
	v_min3_f32 v116, v116, v118, v117
	v_cvt_f64_f32_e32 v[116:117], v116
	v_lshl_add_u64 v[118:119], v[134:135], 3, v[112:113]
	flat_store_dwordx2 v[118:119], v[116:117]
	s_or_b64 exec, exec, s[26:27]
	s_and_b64 s[34:35], s[10:11], s[18:19]
	s_and_saveexec_b64 s[26:27], s[34:35]
	s_cbranch_execz .LBB110_136
.LBB110_155:
	s_and_b64 vcc, exec, s[0:1]
	s_cbranch_vccnz .LBB110_157
; %bb.156:
	v_lshl_add_u64 v[116:117], v[136:137], 3, v[114:115]
	flat_load_dwordx2 v[116:117], v[116:117]
	s_waitcnt vmcnt(0) lgkmcnt(0)
	v_mul_f64 v[116:117], s[22:23], v[116:117]
	v_cvt_f32_f64_e32 v116, v[116:117]
	s_branch .LBB110_158
.LBB110_157:
	v_mov_b32_e32 v116, 0
.LBB110_158:
	v_add_f64 v[118:119], v[38:39], v[110:111]
	v_add_f64 v[120:121], v[36:37], v[108:109]
	v_cvt_f32_f64_e32 v117, v[120:121]
	v_cvt_f32_f64_e32 v118, v[118:119]
	v_min3_f32 v117, v117, v118, v192
	v_add_f64 v[118:119], v[34:35], v[106:107]
	v_add_f64 v[120:121], v[32:33], v[104:105]
	v_cvt_f32_f64_e32 v120, v[120:121]
	v_cvt_f32_f64_e32 v118, v[118:119]
	v_min_f32_e32 v118, v120, v118
	v_min3_f32 v116, v116, v118, v117
	v_cvt_f64_f32_e32 v[116:117], v116
	v_lshl_add_u64 v[118:119], v[136:137], 3, v[112:113]
	flat_store_dwordx2 v[118:119], v[116:117]
	s_or_b64 exec, exec, s[26:27]
	s_and_b64 s[34:35], s[12:13], s[18:19]
	s_and_saveexec_b64 s[26:27], s[34:35]
	s_cbranch_execz .LBB110_137
.LBB110_159:
	s_and_b64 vcc, exec, s[0:1]
	s_cbranch_vccnz .LBB110_161
; %bb.160:
	v_lshl_add_u64 v[116:117], v[138:139], 3, v[114:115]
	flat_load_dwordx2 v[116:117], v[116:117]
	s_waitcnt vmcnt(0) lgkmcnt(0)
	v_mul_f64 v[116:117], s[22:23], v[116:117]
	v_cvt_f32_f64_e32 v116, v[116:117]
	s_branch .LBB110_162
.LBB110_161:
	v_mov_b32_e32 v116, 0
.LBB110_162:
	v_add_f64 v[118:119], v[30:31], v[110:111]
	v_add_f64 v[120:121], v[28:29], v[108:109]
	v_cvt_f32_f64_e32 v117, v[120:121]
	v_cvt_f32_f64_e32 v118, v[118:119]
	v_min3_f32 v117, v117, v118, v191
	v_add_f64 v[118:119], v[26:27], v[106:107]
	v_add_f64 v[120:121], v[24:25], v[104:105]
	v_cvt_f32_f64_e32 v120, v[120:121]
	v_cvt_f32_f64_e32 v118, v[118:119]
	v_min_f32_e32 v118, v120, v118
	v_min3_f32 v116, v116, v118, v117
	v_cvt_f64_f32_e32 v[116:117], v116
	v_lshl_add_u64 v[118:119], v[138:139], 3, v[112:113]
	flat_store_dwordx2 v[118:119], v[116:117]
	s_or_b64 exec, exec, s[26:27]
	s_and_b64 s[34:35], s[14:15], s[18:19]
	s_and_saveexec_b64 s[26:27], s[34:35]
	s_cbranch_execz .LBB110_138
.LBB110_163:
	s_and_b64 vcc, exec, s[0:1]
	s_cbranch_vccnz .LBB110_165
; %bb.164:
	v_lshl_add_u64 v[116:117], v[140:141], 3, v[114:115]
	flat_load_dwordx2 v[116:117], v[116:117]
	s_waitcnt vmcnt(0) lgkmcnt(0)
	v_mul_f64 v[116:117], s[22:23], v[116:117]
	v_cvt_f32_f64_e32 v116, v[116:117]
	s_branch .LBB110_166
.LBB110_165:
	v_mov_b32_e32 v116, 0
.LBB110_166:
	v_add_f64 v[118:119], v[22:23], v[110:111]
	v_add_f64 v[120:121], v[20:21], v[108:109]
	v_cvt_f32_f64_e32 v117, v[120:121]
	v_cvt_f32_f64_e32 v118, v[118:119]
	v_min3_f32 v117, v117, v118, v190
	v_add_f64 v[118:119], v[18:19], v[106:107]
	v_add_f64 v[120:121], v[16:17], v[104:105]
	v_cvt_f32_f64_e32 v120, v[120:121]
	v_cvt_f32_f64_e32 v118, v[118:119]
	v_min_f32_e32 v118, v120, v118
	v_min3_f32 v116, v116, v118, v117
	v_cvt_f64_f32_e32 v[116:117], v116
	v_lshl_add_u64 v[118:119], v[140:141], 3, v[112:113]
	flat_store_dwordx2 v[118:119], v[116:117]
	s_or_b64 exec, exec, s[26:27]
	s_and_b64 s[26:27], s[16:17], s[18:19]
	s_and_saveexec_b64 s[18:19], s[26:27]
	s_cbranch_execz .LBB110_171
.LBB110_167:
	s_and_b64 vcc, exec, s[0:1]
	s_cbranch_vccnz .LBB110_169
; %bb.168:
	v_lshl_add_u64 v[114:115], v[142:143], 3, v[114:115]
	flat_load_dwordx2 v[114:115], v[114:115]
	s_waitcnt vmcnt(0) lgkmcnt(0)
	v_mul_f64 v[114:115], s[22:23], v[114:115]
	v_cvt_f32_f64_e32 v114, v[114:115]
	s_branch .LBB110_170
.LBB110_169:
	v_mov_b32_e32 v114, 0
.LBB110_170:
	v_add_f64 v[110:111], v[6:7], v[110:111]
	v_add_f64 v[108:109], v[4:5], v[108:109]
	;; [unrolled: 1-line block ×4, first 2 shown]
	v_cvt_f32_f64_e32 v108, v[108:109]
	v_cvt_f32_f64_e32 v109, v[110:111]
	;; [unrolled: 1-line block ×4, first 2 shown]
	v_min3_f32 v108, v108, v109, v189
	v_min_f32_e32 v104, v104, v105
	v_min3_f32 v104, v114, v104, v108
	v_cvt_f64_f32_e32 v[104:105], v104
	v_lshl_add_u64 v[106:107], v[142:143], 3, v[112:113]
	flat_store_dwordx2 v[106:107], v[104:105]
.LBB110_171:
	s_or_b64 exec, exec, s[18:19]
	v_add_u32_e32 v108, 24, v163
	v_mad_i64_i32 v[104:105], s[26:27], v108, s31, 0
	v_cmp_gt_i32_e64 s[18:19], s25, v108
	v_lshl_add_u64 v[106:107], v[104:105], 3, s[28:29]
	v_mad_i64_i32 v[104:105], s[26:27], v108, s30, 0
	v_lshl_add_u64 v[104:105], v[104:105], 3, s[20:21]
	s_and_b64 s[34:35], s[2:3], s[18:19]
	s_and_saveexec_b64 s[26:27], s[34:35]
	s_cbranch_execnz .LBB110_179
; %bb.172:
	s_or_b64 exec, exec, s[26:27]
	s_and_b64 s[34:35], s[4:5], s[18:19]
	s_and_saveexec_b64 s[26:27], s[34:35]
	s_cbranch_execnz .LBB110_183
.LBB110_173:
	s_or_b64 exec, exec, s[26:27]
	s_and_b64 s[34:35], s[6:7], s[18:19]
	s_and_saveexec_b64 s[26:27], s[34:35]
	s_cbranch_execnz .LBB110_187
.LBB110_174:
	s_or_b64 exec, exec, s[26:27]
	s_and_b64 s[34:35], s[8:9], s[18:19]
	s_and_saveexec_b64 s[26:27], s[34:35]
	s_cbranch_execnz .LBB110_191
.LBB110_175:
	s_or_b64 exec, exec, s[26:27]
	s_and_b64 s[34:35], s[10:11], s[18:19]
	s_and_saveexec_b64 s[26:27], s[34:35]
	s_cbranch_execnz .LBB110_195
.LBB110_176:
	s_or_b64 exec, exec, s[26:27]
	s_and_b64 s[34:35], s[12:13], s[18:19]
	s_and_saveexec_b64 s[26:27], s[34:35]
	s_cbranch_execnz .LBB110_199
.LBB110_177:
	s_or_b64 exec, exec, s[26:27]
	s_and_b64 s[34:35], s[14:15], s[18:19]
	s_and_saveexec_b64 s[26:27], s[34:35]
	s_cbranch_execnz .LBB110_203
.LBB110_178:
	s_or_b64 exec, exec, s[26:27]
	s_and_b64 s[26:27], s[16:17], s[18:19]
	s_and_saveexec_b64 s[18:19], s[26:27]
	s_cbranch_execnz .LBB110_207
	s_branch .LBB110_211
.LBB110_179:
	s_and_b64 vcc, exec, s[0:1]
	s_cbranch_vccnz .LBB110_181
; %bb.180:
	v_lshl_add_u64 v[108:109], v[128:129], 3, v[106:107]
	flat_load_dwordx2 v[108:109], v[108:109]
	s_waitcnt vmcnt(0) lgkmcnt(0)
	v_mul_f64 v[108:109], s[22:23], v[108:109]
	v_cvt_f32_f64_e32 v108, v[108:109]
	s_branch .LBB110_182
.LBB110_181:
	v_mov_b32_e32 v108, 0
.LBB110_182:
	v_add_f64 v[110:111], v[70:71], v[102:103]
	v_add_f64 v[112:113], v[68:69], v[100:101]
	v_cvt_f32_f64_e32 v109, v[112:113]
	v_cvt_f32_f64_e32 v110, v[110:111]
	v_min3_f32 v109, v109, v110, v188
	v_add_f64 v[110:111], v[66:67], v[98:99]
	v_add_f64 v[112:113], v[64:65], v[96:97]
	v_cvt_f32_f64_e32 v112, v[112:113]
	v_cvt_f32_f64_e32 v110, v[110:111]
	v_min_f32_e32 v110, v112, v110
	v_min3_f32 v108, v108, v110, v109
	v_cvt_f64_f32_e32 v[108:109], v108
	v_lshl_add_u64 v[110:111], v[128:129], 3, v[104:105]
	flat_store_dwordx2 v[110:111], v[108:109]
	s_or_b64 exec, exec, s[26:27]
	s_and_b64 s[34:35], s[4:5], s[18:19]
	s_and_saveexec_b64 s[26:27], s[34:35]
	s_cbranch_execz .LBB110_173
.LBB110_183:
	s_and_b64 vcc, exec, s[0:1]
	s_cbranch_vccnz .LBB110_185
; %bb.184:
	v_lshl_add_u64 v[108:109], v[130:131], 3, v[106:107]
	flat_load_dwordx2 v[108:109], v[108:109]
	s_waitcnt vmcnt(0) lgkmcnt(0)
	v_mul_f64 v[108:109], s[22:23], v[108:109]
	v_cvt_f32_f64_e32 v108, v[108:109]
	s_branch .LBB110_186
.LBB110_185:
	v_mov_b32_e32 v108, 0
.LBB110_186:
	v_add_f64 v[110:111], v[62:63], v[102:103]
	v_add_f64 v[112:113], v[60:61], v[100:101]
	v_cvt_f32_f64_e32 v109, v[112:113]
	v_cvt_f32_f64_e32 v110, v[110:111]
	v_min3_f32 v109, v109, v110, v187
	v_add_f64 v[110:111], v[58:59], v[98:99]
	v_add_f64 v[112:113], v[56:57], v[96:97]
	v_cvt_f32_f64_e32 v112, v[112:113]
	v_cvt_f32_f64_e32 v110, v[110:111]
	v_min_f32_e32 v110, v112, v110
	v_min3_f32 v108, v108, v110, v109
	v_cvt_f64_f32_e32 v[108:109], v108
	v_lshl_add_u64 v[110:111], v[130:131], 3, v[104:105]
	flat_store_dwordx2 v[110:111], v[108:109]
	s_or_b64 exec, exec, s[26:27]
	s_and_b64 s[34:35], s[6:7], s[18:19]
	s_and_saveexec_b64 s[26:27], s[34:35]
	s_cbranch_execz .LBB110_174
.LBB110_187:
	s_and_b64 vcc, exec, s[0:1]
	s_cbranch_vccnz .LBB110_189
; %bb.188:
	v_lshl_add_u64 v[108:109], v[132:133], 3, v[106:107]
	flat_load_dwordx2 v[108:109], v[108:109]
	s_waitcnt vmcnt(0) lgkmcnt(0)
	v_mul_f64 v[108:109], s[22:23], v[108:109]
	v_cvt_f32_f64_e32 v108, v[108:109]
	s_branch .LBB110_190
.LBB110_189:
	v_mov_b32_e32 v108, 0
.LBB110_190:
	v_add_f64 v[110:111], v[54:55], v[102:103]
	v_add_f64 v[112:113], v[52:53], v[100:101]
	v_cvt_f32_f64_e32 v109, v[112:113]
	v_cvt_f32_f64_e32 v110, v[110:111]
	v_min3_f32 v109, v109, v110, v186
	v_add_f64 v[110:111], v[50:51], v[98:99]
	v_add_f64 v[112:113], v[48:49], v[96:97]
	v_cvt_f32_f64_e32 v112, v[112:113]
	v_cvt_f32_f64_e32 v110, v[110:111]
	v_min_f32_e32 v110, v112, v110
	v_min3_f32 v108, v108, v110, v109
	v_cvt_f64_f32_e32 v[108:109], v108
	v_lshl_add_u64 v[110:111], v[132:133], 3, v[104:105]
	flat_store_dwordx2 v[110:111], v[108:109]
	s_or_b64 exec, exec, s[26:27]
	s_and_b64 s[34:35], s[8:9], s[18:19]
	s_and_saveexec_b64 s[26:27], s[34:35]
	s_cbranch_execz .LBB110_175
.LBB110_191:
	s_and_b64 vcc, exec, s[0:1]
	s_cbranch_vccnz .LBB110_193
; %bb.192:
	v_lshl_add_u64 v[108:109], v[134:135], 3, v[106:107]
	flat_load_dwordx2 v[108:109], v[108:109]
	s_waitcnt vmcnt(0) lgkmcnt(0)
	v_mul_f64 v[108:109], s[22:23], v[108:109]
	v_cvt_f32_f64_e32 v108, v[108:109]
	s_branch .LBB110_194
.LBB110_193:
	v_mov_b32_e32 v108, 0
.LBB110_194:
	v_add_f64 v[110:111], v[46:47], v[102:103]
	v_add_f64 v[112:113], v[44:45], v[100:101]
	v_cvt_f32_f64_e32 v109, v[112:113]
	v_cvt_f32_f64_e32 v110, v[110:111]
	v_min3_f32 v109, v109, v110, v185
	v_add_f64 v[110:111], v[42:43], v[98:99]
	v_add_f64 v[112:113], v[40:41], v[96:97]
	v_cvt_f32_f64_e32 v112, v[112:113]
	v_cvt_f32_f64_e32 v110, v[110:111]
	v_min_f32_e32 v110, v112, v110
	v_min3_f32 v108, v108, v110, v109
	v_cvt_f64_f32_e32 v[108:109], v108
	v_lshl_add_u64 v[110:111], v[134:135], 3, v[104:105]
	flat_store_dwordx2 v[110:111], v[108:109]
	s_or_b64 exec, exec, s[26:27]
	s_and_b64 s[34:35], s[10:11], s[18:19]
	s_and_saveexec_b64 s[26:27], s[34:35]
	s_cbranch_execz .LBB110_176
.LBB110_195:
	s_and_b64 vcc, exec, s[0:1]
	s_cbranch_vccnz .LBB110_197
; %bb.196:
	v_lshl_add_u64 v[108:109], v[136:137], 3, v[106:107]
	flat_load_dwordx2 v[108:109], v[108:109]
	s_waitcnt vmcnt(0) lgkmcnt(0)
	v_mul_f64 v[108:109], s[22:23], v[108:109]
	v_cvt_f32_f64_e32 v108, v[108:109]
	s_branch .LBB110_198
.LBB110_197:
	v_mov_b32_e32 v108, 0
.LBB110_198:
	v_add_f64 v[110:111], v[38:39], v[102:103]
	v_add_f64 v[112:113], v[36:37], v[100:101]
	v_cvt_f32_f64_e32 v109, v[112:113]
	v_cvt_f32_f64_e32 v110, v[110:111]
	v_min3_f32 v109, v109, v110, v184
	v_add_f64 v[110:111], v[34:35], v[98:99]
	v_add_f64 v[112:113], v[32:33], v[96:97]
	v_cvt_f32_f64_e32 v112, v[112:113]
	v_cvt_f32_f64_e32 v110, v[110:111]
	v_min_f32_e32 v110, v112, v110
	v_min3_f32 v108, v108, v110, v109
	v_cvt_f64_f32_e32 v[108:109], v108
	v_lshl_add_u64 v[110:111], v[136:137], 3, v[104:105]
	flat_store_dwordx2 v[110:111], v[108:109]
	s_or_b64 exec, exec, s[26:27]
	s_and_b64 s[34:35], s[12:13], s[18:19]
	s_and_saveexec_b64 s[26:27], s[34:35]
	s_cbranch_execz .LBB110_177
.LBB110_199:
	s_and_b64 vcc, exec, s[0:1]
	s_cbranch_vccnz .LBB110_201
; %bb.200:
	v_lshl_add_u64 v[108:109], v[138:139], 3, v[106:107]
	flat_load_dwordx2 v[108:109], v[108:109]
	s_waitcnt vmcnt(0) lgkmcnt(0)
	v_mul_f64 v[108:109], s[22:23], v[108:109]
	v_cvt_f32_f64_e32 v108, v[108:109]
	s_branch .LBB110_202
.LBB110_201:
	v_mov_b32_e32 v108, 0
.LBB110_202:
	v_add_f64 v[110:111], v[30:31], v[102:103]
	v_add_f64 v[112:113], v[28:29], v[100:101]
	v_cvt_f32_f64_e32 v109, v[112:113]
	v_cvt_f32_f64_e32 v110, v[110:111]
	v_min3_f32 v109, v109, v110, v183
	v_add_f64 v[110:111], v[26:27], v[98:99]
	v_add_f64 v[112:113], v[24:25], v[96:97]
	v_cvt_f32_f64_e32 v112, v[112:113]
	v_cvt_f32_f64_e32 v110, v[110:111]
	v_min_f32_e32 v110, v112, v110
	v_min3_f32 v108, v108, v110, v109
	v_cvt_f64_f32_e32 v[108:109], v108
	v_lshl_add_u64 v[110:111], v[138:139], 3, v[104:105]
	flat_store_dwordx2 v[110:111], v[108:109]
	s_or_b64 exec, exec, s[26:27]
	s_and_b64 s[34:35], s[14:15], s[18:19]
	s_and_saveexec_b64 s[26:27], s[34:35]
	s_cbranch_execz .LBB110_178
.LBB110_203:
	s_and_b64 vcc, exec, s[0:1]
	s_cbranch_vccnz .LBB110_205
; %bb.204:
	v_lshl_add_u64 v[108:109], v[140:141], 3, v[106:107]
	flat_load_dwordx2 v[108:109], v[108:109]
	s_waitcnt vmcnt(0) lgkmcnt(0)
	v_mul_f64 v[108:109], s[22:23], v[108:109]
	v_cvt_f32_f64_e32 v108, v[108:109]
	s_branch .LBB110_206
.LBB110_205:
	v_mov_b32_e32 v108, 0
.LBB110_206:
	v_add_f64 v[110:111], v[22:23], v[102:103]
	v_add_f64 v[112:113], v[20:21], v[100:101]
	v_cvt_f32_f64_e32 v109, v[112:113]
	v_cvt_f32_f64_e32 v110, v[110:111]
	v_min3_f32 v109, v109, v110, v182
	v_add_f64 v[110:111], v[18:19], v[98:99]
	v_add_f64 v[112:113], v[16:17], v[96:97]
	v_cvt_f32_f64_e32 v112, v[112:113]
	v_cvt_f32_f64_e32 v110, v[110:111]
	v_min_f32_e32 v110, v112, v110
	v_min3_f32 v108, v108, v110, v109
	v_cvt_f64_f32_e32 v[108:109], v108
	v_lshl_add_u64 v[110:111], v[140:141], 3, v[104:105]
	flat_store_dwordx2 v[110:111], v[108:109]
	s_or_b64 exec, exec, s[26:27]
	s_and_b64 s[26:27], s[16:17], s[18:19]
	s_and_saveexec_b64 s[18:19], s[26:27]
	s_cbranch_execz .LBB110_211
.LBB110_207:
	s_and_b64 vcc, exec, s[0:1]
	s_cbranch_vccnz .LBB110_209
; %bb.208:
	v_lshl_add_u64 v[106:107], v[142:143], 3, v[106:107]
	flat_load_dwordx2 v[106:107], v[106:107]
	s_waitcnt vmcnt(0) lgkmcnt(0)
	v_mul_f64 v[106:107], s[22:23], v[106:107]
	v_cvt_f32_f64_e32 v106, v[106:107]
	s_branch .LBB110_210
.LBB110_209:
	v_mov_b32_e32 v106, 0
.LBB110_210:
	v_add_f64 v[102:103], v[6:7], v[102:103]
	v_add_f64 v[100:101], v[4:5], v[100:101]
	;; [unrolled: 1-line block ×4, first 2 shown]
	v_cvt_f32_f64_e32 v100, v[100:101]
	v_cvt_f32_f64_e32 v101, v[102:103]
	;; [unrolled: 1-line block ×4, first 2 shown]
	v_min3_f32 v100, v100, v101, v181
	v_min_f32_e32 v96, v96, v97
	v_min3_f32 v96, v106, v96, v100
	v_cvt_f64_f32_e32 v[96:97], v96
	v_lshl_add_u64 v[98:99], v[142:143], 3, v[104:105]
	flat_store_dwordx2 v[98:99], v[96:97]
.LBB110_211:
	s_or_b64 exec, exec, s[18:19]
	v_add_u32_e32 v100, 32, v163
	v_mad_i64_i32 v[96:97], s[26:27], v100, s31, 0
	v_cmp_gt_i32_e64 s[18:19], s25, v100
	v_lshl_add_u64 v[98:99], v[96:97], 3, s[28:29]
	v_mad_i64_i32 v[96:97], s[26:27], v100, s30, 0
	v_lshl_add_u64 v[96:97], v[96:97], 3, s[20:21]
	s_and_b64 s[34:35], s[2:3], s[18:19]
	s_and_saveexec_b64 s[26:27], s[34:35]
	s_cbranch_execnz .LBB110_219
; %bb.212:
	s_or_b64 exec, exec, s[26:27]
	s_and_b64 s[34:35], s[4:5], s[18:19]
	s_and_saveexec_b64 s[26:27], s[34:35]
	s_cbranch_execnz .LBB110_223
.LBB110_213:
	s_or_b64 exec, exec, s[26:27]
	s_and_b64 s[34:35], s[6:7], s[18:19]
	s_and_saveexec_b64 s[26:27], s[34:35]
	s_cbranch_execnz .LBB110_227
.LBB110_214:
	s_or_b64 exec, exec, s[26:27]
	s_and_b64 s[34:35], s[8:9], s[18:19]
	s_and_saveexec_b64 s[26:27], s[34:35]
	s_cbranch_execnz .LBB110_231
.LBB110_215:
	s_or_b64 exec, exec, s[26:27]
	s_and_b64 s[34:35], s[10:11], s[18:19]
	s_and_saveexec_b64 s[26:27], s[34:35]
	s_cbranch_execnz .LBB110_235
.LBB110_216:
	s_or_b64 exec, exec, s[26:27]
	s_and_b64 s[34:35], s[12:13], s[18:19]
	s_and_saveexec_b64 s[26:27], s[34:35]
	s_cbranch_execnz .LBB110_239
.LBB110_217:
	s_or_b64 exec, exec, s[26:27]
	s_and_b64 s[34:35], s[14:15], s[18:19]
	s_and_saveexec_b64 s[26:27], s[34:35]
	s_cbranch_execnz .LBB110_243
.LBB110_218:
	s_or_b64 exec, exec, s[26:27]
	s_and_b64 s[26:27], s[16:17], s[18:19]
	s_and_saveexec_b64 s[18:19], s[26:27]
	s_cbranch_execnz .LBB110_247
	s_branch .LBB110_251
.LBB110_219:
	s_and_b64 vcc, exec, s[0:1]
	s_cbranch_vccnz .LBB110_221
; %bb.220:
	v_lshl_add_u64 v[100:101], v[128:129], 3, v[98:99]
	flat_load_dwordx2 v[100:101], v[100:101]
	s_waitcnt vmcnt(0) lgkmcnt(0)
	v_mul_f64 v[100:101], s[22:23], v[100:101]
	v_cvt_f32_f64_e32 v100, v[100:101]
	s_branch .LBB110_222
.LBB110_221:
	v_mov_b32_e32 v100, 0
.LBB110_222:
	v_add_f64 v[102:103], v[70:71], v[94:95]
	v_add_f64 v[104:105], v[68:69], v[92:93]
	v_cvt_f32_f64_e32 v101, v[104:105]
	v_cvt_f32_f64_e32 v102, v[102:103]
	v_min3_f32 v101, v101, v102, v180
	v_add_f64 v[102:103], v[66:67], v[90:91]
	v_add_f64 v[104:105], v[64:65], v[88:89]
	v_cvt_f32_f64_e32 v104, v[104:105]
	v_cvt_f32_f64_e32 v102, v[102:103]
	v_min_f32_e32 v102, v104, v102
	v_min3_f32 v100, v100, v102, v101
	v_cvt_f64_f32_e32 v[100:101], v100
	v_lshl_add_u64 v[102:103], v[128:129], 3, v[96:97]
	flat_store_dwordx2 v[102:103], v[100:101]
	s_or_b64 exec, exec, s[26:27]
	s_and_b64 s[34:35], s[4:5], s[18:19]
	s_and_saveexec_b64 s[26:27], s[34:35]
	s_cbranch_execz .LBB110_213
.LBB110_223:
	s_and_b64 vcc, exec, s[0:1]
	s_cbranch_vccnz .LBB110_225
; %bb.224:
	v_lshl_add_u64 v[100:101], v[130:131], 3, v[98:99]
	flat_load_dwordx2 v[100:101], v[100:101]
	s_waitcnt vmcnt(0) lgkmcnt(0)
	v_mul_f64 v[100:101], s[22:23], v[100:101]
	v_cvt_f32_f64_e32 v100, v[100:101]
	s_branch .LBB110_226
.LBB110_225:
	v_mov_b32_e32 v100, 0
.LBB110_226:
	v_add_f64 v[102:103], v[62:63], v[94:95]
	v_add_f64 v[104:105], v[60:61], v[92:93]
	v_cvt_f32_f64_e32 v101, v[104:105]
	v_cvt_f32_f64_e32 v102, v[102:103]
	v_min3_f32 v101, v101, v102, v179
	v_add_f64 v[102:103], v[58:59], v[90:91]
	v_add_f64 v[104:105], v[56:57], v[88:89]
	v_cvt_f32_f64_e32 v104, v[104:105]
	v_cvt_f32_f64_e32 v102, v[102:103]
	v_min_f32_e32 v102, v104, v102
	v_min3_f32 v100, v100, v102, v101
	v_cvt_f64_f32_e32 v[100:101], v100
	v_lshl_add_u64 v[102:103], v[130:131], 3, v[96:97]
	flat_store_dwordx2 v[102:103], v[100:101]
	s_or_b64 exec, exec, s[26:27]
	s_and_b64 s[34:35], s[6:7], s[18:19]
	s_and_saveexec_b64 s[26:27], s[34:35]
	s_cbranch_execz .LBB110_214
.LBB110_227:
	s_and_b64 vcc, exec, s[0:1]
	s_cbranch_vccnz .LBB110_229
; %bb.228:
	v_lshl_add_u64 v[100:101], v[132:133], 3, v[98:99]
	flat_load_dwordx2 v[100:101], v[100:101]
	s_waitcnt vmcnt(0) lgkmcnt(0)
	v_mul_f64 v[100:101], s[22:23], v[100:101]
	v_cvt_f32_f64_e32 v100, v[100:101]
	s_branch .LBB110_230
.LBB110_229:
	v_mov_b32_e32 v100, 0
.LBB110_230:
	v_add_f64 v[102:103], v[54:55], v[94:95]
	v_add_f64 v[104:105], v[52:53], v[92:93]
	v_cvt_f32_f64_e32 v101, v[104:105]
	v_cvt_f32_f64_e32 v102, v[102:103]
	v_min3_f32 v101, v101, v102, v178
	v_add_f64 v[102:103], v[50:51], v[90:91]
	v_add_f64 v[104:105], v[48:49], v[88:89]
	v_cvt_f32_f64_e32 v104, v[104:105]
	v_cvt_f32_f64_e32 v102, v[102:103]
	v_min_f32_e32 v102, v104, v102
	v_min3_f32 v100, v100, v102, v101
	v_cvt_f64_f32_e32 v[100:101], v100
	v_lshl_add_u64 v[102:103], v[132:133], 3, v[96:97]
	flat_store_dwordx2 v[102:103], v[100:101]
	s_or_b64 exec, exec, s[26:27]
	s_and_b64 s[34:35], s[8:9], s[18:19]
	s_and_saveexec_b64 s[26:27], s[34:35]
	s_cbranch_execz .LBB110_215
.LBB110_231:
	s_and_b64 vcc, exec, s[0:1]
	s_cbranch_vccnz .LBB110_233
; %bb.232:
	v_lshl_add_u64 v[100:101], v[134:135], 3, v[98:99]
	flat_load_dwordx2 v[100:101], v[100:101]
	s_waitcnt vmcnt(0) lgkmcnt(0)
	v_mul_f64 v[100:101], s[22:23], v[100:101]
	v_cvt_f32_f64_e32 v100, v[100:101]
	s_branch .LBB110_234
.LBB110_233:
	v_mov_b32_e32 v100, 0
.LBB110_234:
	v_add_f64 v[102:103], v[46:47], v[94:95]
	v_add_f64 v[104:105], v[44:45], v[92:93]
	v_cvt_f32_f64_e32 v101, v[104:105]
	v_cvt_f32_f64_e32 v102, v[102:103]
	v_min3_f32 v101, v101, v102, v177
	v_add_f64 v[102:103], v[42:43], v[90:91]
	v_add_f64 v[104:105], v[40:41], v[88:89]
	v_cvt_f32_f64_e32 v104, v[104:105]
	v_cvt_f32_f64_e32 v102, v[102:103]
	v_min_f32_e32 v102, v104, v102
	v_min3_f32 v100, v100, v102, v101
	v_cvt_f64_f32_e32 v[100:101], v100
	v_lshl_add_u64 v[102:103], v[134:135], 3, v[96:97]
	flat_store_dwordx2 v[102:103], v[100:101]
	s_or_b64 exec, exec, s[26:27]
	s_and_b64 s[34:35], s[10:11], s[18:19]
	s_and_saveexec_b64 s[26:27], s[34:35]
	s_cbranch_execz .LBB110_216
.LBB110_235:
	s_and_b64 vcc, exec, s[0:1]
	s_cbranch_vccnz .LBB110_237
; %bb.236:
	v_lshl_add_u64 v[100:101], v[136:137], 3, v[98:99]
	flat_load_dwordx2 v[100:101], v[100:101]
	s_waitcnt vmcnt(0) lgkmcnt(0)
	v_mul_f64 v[100:101], s[22:23], v[100:101]
	v_cvt_f32_f64_e32 v100, v[100:101]
	s_branch .LBB110_238
.LBB110_237:
	v_mov_b32_e32 v100, 0
.LBB110_238:
	v_add_f64 v[102:103], v[38:39], v[94:95]
	v_add_f64 v[104:105], v[36:37], v[92:93]
	v_cvt_f32_f64_e32 v101, v[104:105]
	v_cvt_f32_f64_e32 v102, v[102:103]
	v_min3_f32 v101, v101, v102, v176
	v_add_f64 v[102:103], v[34:35], v[90:91]
	v_add_f64 v[104:105], v[32:33], v[88:89]
	v_cvt_f32_f64_e32 v104, v[104:105]
	v_cvt_f32_f64_e32 v102, v[102:103]
	v_min_f32_e32 v102, v104, v102
	v_min3_f32 v100, v100, v102, v101
	v_cvt_f64_f32_e32 v[100:101], v100
	v_lshl_add_u64 v[102:103], v[136:137], 3, v[96:97]
	flat_store_dwordx2 v[102:103], v[100:101]
	s_or_b64 exec, exec, s[26:27]
	s_and_b64 s[34:35], s[12:13], s[18:19]
	s_and_saveexec_b64 s[26:27], s[34:35]
	s_cbranch_execz .LBB110_217
.LBB110_239:
	s_and_b64 vcc, exec, s[0:1]
	s_cbranch_vccnz .LBB110_241
; %bb.240:
	v_lshl_add_u64 v[100:101], v[138:139], 3, v[98:99]
	flat_load_dwordx2 v[100:101], v[100:101]
	s_waitcnt vmcnt(0) lgkmcnt(0)
	v_mul_f64 v[100:101], s[22:23], v[100:101]
	v_cvt_f32_f64_e32 v100, v[100:101]
	s_branch .LBB110_242
.LBB110_241:
	v_mov_b32_e32 v100, 0
.LBB110_242:
	v_add_f64 v[102:103], v[30:31], v[94:95]
	v_add_f64 v[104:105], v[28:29], v[92:93]
	v_cvt_f32_f64_e32 v101, v[104:105]
	v_cvt_f32_f64_e32 v102, v[102:103]
	v_min3_f32 v101, v101, v102, v175
	v_add_f64 v[102:103], v[26:27], v[90:91]
	v_add_f64 v[104:105], v[24:25], v[88:89]
	v_cvt_f32_f64_e32 v104, v[104:105]
	v_cvt_f32_f64_e32 v102, v[102:103]
	v_min_f32_e32 v102, v104, v102
	v_min3_f32 v100, v100, v102, v101
	v_cvt_f64_f32_e32 v[100:101], v100
	v_lshl_add_u64 v[102:103], v[138:139], 3, v[96:97]
	flat_store_dwordx2 v[102:103], v[100:101]
	s_or_b64 exec, exec, s[26:27]
	s_and_b64 s[34:35], s[14:15], s[18:19]
	s_and_saveexec_b64 s[26:27], s[34:35]
	s_cbranch_execz .LBB110_218
.LBB110_243:
	s_and_b64 vcc, exec, s[0:1]
	s_cbranch_vccnz .LBB110_245
; %bb.244:
	v_lshl_add_u64 v[100:101], v[140:141], 3, v[98:99]
	flat_load_dwordx2 v[100:101], v[100:101]
	s_waitcnt vmcnt(0) lgkmcnt(0)
	v_mul_f64 v[100:101], s[22:23], v[100:101]
	v_cvt_f32_f64_e32 v100, v[100:101]
	s_branch .LBB110_246
.LBB110_245:
	v_mov_b32_e32 v100, 0
.LBB110_246:
	v_add_f64 v[102:103], v[22:23], v[94:95]
	v_add_f64 v[104:105], v[20:21], v[92:93]
	v_cvt_f32_f64_e32 v101, v[104:105]
	v_cvt_f32_f64_e32 v102, v[102:103]
	v_min3_f32 v101, v101, v102, v174
	v_add_f64 v[102:103], v[18:19], v[90:91]
	v_add_f64 v[104:105], v[16:17], v[88:89]
	v_cvt_f32_f64_e32 v104, v[104:105]
	v_cvt_f32_f64_e32 v102, v[102:103]
	v_min_f32_e32 v102, v104, v102
	v_min3_f32 v100, v100, v102, v101
	v_cvt_f64_f32_e32 v[100:101], v100
	v_lshl_add_u64 v[102:103], v[140:141], 3, v[96:97]
	flat_store_dwordx2 v[102:103], v[100:101]
	s_or_b64 exec, exec, s[26:27]
	s_and_b64 s[26:27], s[16:17], s[18:19]
	s_and_saveexec_b64 s[18:19], s[26:27]
	s_cbranch_execz .LBB110_251
.LBB110_247:
	s_and_b64 vcc, exec, s[0:1]
	s_cbranch_vccnz .LBB110_249
; %bb.248:
	v_lshl_add_u64 v[98:99], v[142:143], 3, v[98:99]
	flat_load_dwordx2 v[98:99], v[98:99]
	s_waitcnt vmcnt(0) lgkmcnt(0)
	v_mul_f64 v[98:99], s[22:23], v[98:99]
	v_cvt_f32_f64_e32 v98, v[98:99]
	s_branch .LBB110_250
.LBB110_249:
	v_mov_b32_e32 v98, 0
.LBB110_250:
	v_add_f64 v[94:95], v[6:7], v[94:95]
	v_add_f64 v[92:93], v[4:5], v[92:93]
	;; [unrolled: 1-line block ×4, first 2 shown]
	v_cvt_f32_f64_e32 v92, v[92:93]
	v_cvt_f32_f64_e32 v93, v[94:95]
	;; [unrolled: 1-line block ×4, first 2 shown]
	v_min3_f32 v92, v92, v93, v173
	v_min_f32_e32 v88, v88, v89
	v_min3_f32 v88, v98, v88, v92
	v_cvt_f64_f32_e32 v[88:89], v88
	v_lshl_add_u64 v[90:91], v[142:143], 3, v[96:97]
	flat_store_dwordx2 v[90:91], v[88:89]
.LBB110_251:
	s_or_b64 exec, exec, s[18:19]
	v_add_u32_e32 v92, 40, v163
	v_mad_i64_i32 v[88:89], s[26:27], v92, s31, 0
	v_cmp_gt_i32_e64 s[18:19], s25, v92
	v_lshl_add_u64 v[90:91], v[88:89], 3, s[28:29]
	v_mad_i64_i32 v[88:89], s[26:27], v92, s30, 0
	v_lshl_add_u64 v[88:89], v[88:89], 3, s[20:21]
	s_and_b64 s[34:35], s[2:3], s[18:19]
	s_and_saveexec_b64 s[26:27], s[34:35]
	s_cbranch_execnz .LBB110_259
; %bb.252:
	s_or_b64 exec, exec, s[26:27]
	s_and_b64 s[34:35], s[4:5], s[18:19]
	s_and_saveexec_b64 s[26:27], s[34:35]
	s_cbranch_execnz .LBB110_263
.LBB110_253:
	s_or_b64 exec, exec, s[26:27]
	s_and_b64 s[34:35], s[6:7], s[18:19]
	s_and_saveexec_b64 s[26:27], s[34:35]
	s_cbranch_execnz .LBB110_267
.LBB110_254:
	s_or_b64 exec, exec, s[26:27]
	s_and_b64 s[34:35], s[8:9], s[18:19]
	s_and_saveexec_b64 s[26:27], s[34:35]
	s_cbranch_execnz .LBB110_271
.LBB110_255:
	s_or_b64 exec, exec, s[26:27]
	s_and_b64 s[34:35], s[10:11], s[18:19]
	s_and_saveexec_b64 s[26:27], s[34:35]
	s_cbranch_execnz .LBB110_275
.LBB110_256:
	s_or_b64 exec, exec, s[26:27]
	s_and_b64 s[34:35], s[12:13], s[18:19]
	s_and_saveexec_b64 s[26:27], s[34:35]
	s_cbranch_execnz .LBB110_279
.LBB110_257:
	s_or_b64 exec, exec, s[26:27]
	s_and_b64 s[34:35], s[14:15], s[18:19]
	s_and_saveexec_b64 s[26:27], s[34:35]
	s_cbranch_execnz .LBB110_283
.LBB110_258:
	s_or_b64 exec, exec, s[26:27]
	s_and_b64 s[26:27], s[16:17], s[18:19]
	s_and_saveexec_b64 s[18:19], s[26:27]
	s_cbranch_execnz .LBB110_287
	s_branch .LBB110_291
.LBB110_259:
	s_and_b64 vcc, exec, s[0:1]
	s_cbranch_vccnz .LBB110_261
; %bb.260:
	v_lshl_add_u64 v[92:93], v[128:129], 3, v[90:91]
	flat_load_dwordx2 v[92:93], v[92:93]
	s_waitcnt vmcnt(0) lgkmcnt(0)
	v_mul_f64 v[92:93], s[22:23], v[92:93]
	v_cvt_f32_f64_e32 v92, v[92:93]
	s_branch .LBB110_262
.LBB110_261:
	v_mov_b32_e32 v92, 0
.LBB110_262:
	v_add_f64 v[94:95], v[70:71], v[86:87]
	v_add_f64 v[96:97], v[68:69], v[84:85]
	v_cvt_f32_f64_e32 v93, v[96:97]
	v_cvt_f32_f64_e32 v94, v[94:95]
	v_min3_f32 v93, v93, v94, v172
	v_add_f64 v[94:95], v[66:67], v[82:83]
	v_add_f64 v[96:97], v[64:65], v[80:81]
	v_cvt_f32_f64_e32 v96, v[96:97]
	v_cvt_f32_f64_e32 v94, v[94:95]
	v_min_f32_e32 v94, v96, v94
	v_min3_f32 v92, v92, v94, v93
	v_cvt_f64_f32_e32 v[92:93], v92
	v_lshl_add_u64 v[94:95], v[128:129], 3, v[88:89]
	flat_store_dwordx2 v[94:95], v[92:93]
	s_or_b64 exec, exec, s[26:27]
	s_and_b64 s[34:35], s[4:5], s[18:19]
	s_and_saveexec_b64 s[26:27], s[34:35]
	s_cbranch_execz .LBB110_253
.LBB110_263:
	s_and_b64 vcc, exec, s[0:1]
	s_cbranch_vccnz .LBB110_265
; %bb.264:
	v_lshl_add_u64 v[92:93], v[130:131], 3, v[90:91]
	flat_load_dwordx2 v[92:93], v[92:93]
	s_waitcnt vmcnt(0) lgkmcnt(0)
	v_mul_f64 v[92:93], s[22:23], v[92:93]
	v_cvt_f32_f64_e32 v92, v[92:93]
	s_branch .LBB110_266
.LBB110_265:
	v_mov_b32_e32 v92, 0
.LBB110_266:
	v_add_f64 v[94:95], v[62:63], v[86:87]
	v_add_f64 v[96:97], v[60:61], v[84:85]
	v_cvt_f32_f64_e32 v93, v[96:97]
	v_cvt_f32_f64_e32 v94, v[94:95]
	v_min3_f32 v93, v93, v94, v171
	v_add_f64 v[94:95], v[58:59], v[82:83]
	v_add_f64 v[96:97], v[56:57], v[80:81]
	v_cvt_f32_f64_e32 v96, v[96:97]
	v_cvt_f32_f64_e32 v94, v[94:95]
	v_min_f32_e32 v94, v96, v94
	v_min3_f32 v92, v92, v94, v93
	v_cvt_f64_f32_e32 v[92:93], v92
	v_lshl_add_u64 v[94:95], v[130:131], 3, v[88:89]
	flat_store_dwordx2 v[94:95], v[92:93]
	s_or_b64 exec, exec, s[26:27]
	s_and_b64 s[34:35], s[6:7], s[18:19]
	s_and_saveexec_b64 s[26:27], s[34:35]
	s_cbranch_execz .LBB110_254
.LBB110_267:
	s_and_b64 vcc, exec, s[0:1]
	s_cbranch_vccnz .LBB110_269
; %bb.268:
	v_lshl_add_u64 v[92:93], v[132:133], 3, v[90:91]
	flat_load_dwordx2 v[92:93], v[92:93]
	s_waitcnt vmcnt(0) lgkmcnt(0)
	v_mul_f64 v[92:93], s[22:23], v[92:93]
	v_cvt_f32_f64_e32 v92, v[92:93]
	s_branch .LBB110_270
.LBB110_269:
	v_mov_b32_e32 v92, 0
.LBB110_270:
	v_add_f64 v[94:95], v[54:55], v[86:87]
	v_add_f64 v[96:97], v[52:53], v[84:85]
	v_cvt_f32_f64_e32 v93, v[96:97]
	v_cvt_f32_f64_e32 v94, v[94:95]
	v_min3_f32 v93, v93, v94, v170
	v_add_f64 v[94:95], v[50:51], v[82:83]
	v_add_f64 v[96:97], v[48:49], v[80:81]
	v_cvt_f32_f64_e32 v96, v[96:97]
	v_cvt_f32_f64_e32 v94, v[94:95]
	v_min_f32_e32 v94, v96, v94
	v_min3_f32 v92, v92, v94, v93
	v_cvt_f64_f32_e32 v[92:93], v92
	v_lshl_add_u64 v[94:95], v[132:133], 3, v[88:89]
	flat_store_dwordx2 v[94:95], v[92:93]
	s_or_b64 exec, exec, s[26:27]
	s_and_b64 s[34:35], s[8:9], s[18:19]
	s_and_saveexec_b64 s[26:27], s[34:35]
	s_cbranch_execz .LBB110_255
.LBB110_271:
	s_and_b64 vcc, exec, s[0:1]
	s_cbranch_vccnz .LBB110_273
; %bb.272:
	v_lshl_add_u64 v[92:93], v[134:135], 3, v[90:91]
	flat_load_dwordx2 v[92:93], v[92:93]
	s_waitcnt vmcnt(0) lgkmcnt(0)
	v_mul_f64 v[92:93], s[22:23], v[92:93]
	v_cvt_f32_f64_e32 v92, v[92:93]
	s_branch .LBB110_274
.LBB110_273:
	v_mov_b32_e32 v92, 0
.LBB110_274:
	v_add_f64 v[94:95], v[46:47], v[86:87]
	v_add_f64 v[96:97], v[44:45], v[84:85]
	v_cvt_f32_f64_e32 v93, v[96:97]
	v_cvt_f32_f64_e32 v94, v[94:95]
	v_min3_f32 v93, v93, v94, v169
	v_add_f64 v[94:95], v[42:43], v[82:83]
	v_add_f64 v[96:97], v[40:41], v[80:81]
	v_cvt_f32_f64_e32 v96, v[96:97]
	v_cvt_f32_f64_e32 v94, v[94:95]
	v_min_f32_e32 v94, v96, v94
	v_min3_f32 v92, v92, v94, v93
	v_cvt_f64_f32_e32 v[92:93], v92
	v_lshl_add_u64 v[94:95], v[134:135], 3, v[88:89]
	flat_store_dwordx2 v[94:95], v[92:93]
	s_or_b64 exec, exec, s[26:27]
	s_and_b64 s[34:35], s[10:11], s[18:19]
	s_and_saveexec_b64 s[26:27], s[34:35]
	s_cbranch_execz .LBB110_256
.LBB110_275:
	s_and_b64 vcc, exec, s[0:1]
	s_cbranch_vccnz .LBB110_277
; %bb.276:
	v_lshl_add_u64 v[92:93], v[136:137], 3, v[90:91]
	flat_load_dwordx2 v[92:93], v[92:93]
	s_waitcnt vmcnt(0) lgkmcnt(0)
	v_mul_f64 v[92:93], s[22:23], v[92:93]
	v_cvt_f32_f64_e32 v92, v[92:93]
	s_branch .LBB110_278
.LBB110_277:
	v_mov_b32_e32 v92, 0
.LBB110_278:
	v_add_f64 v[94:95], v[38:39], v[86:87]
	v_add_f64 v[96:97], v[36:37], v[84:85]
	v_cvt_f32_f64_e32 v93, v[96:97]
	v_cvt_f32_f64_e32 v94, v[94:95]
	v_min3_f32 v93, v93, v94, v168
	v_add_f64 v[94:95], v[34:35], v[82:83]
	v_add_f64 v[96:97], v[32:33], v[80:81]
	v_cvt_f32_f64_e32 v96, v[96:97]
	v_cvt_f32_f64_e32 v94, v[94:95]
	v_min_f32_e32 v94, v96, v94
	v_min3_f32 v92, v92, v94, v93
	v_cvt_f64_f32_e32 v[92:93], v92
	v_lshl_add_u64 v[94:95], v[136:137], 3, v[88:89]
	flat_store_dwordx2 v[94:95], v[92:93]
	s_or_b64 exec, exec, s[26:27]
	s_and_b64 s[34:35], s[12:13], s[18:19]
	s_and_saveexec_b64 s[26:27], s[34:35]
	s_cbranch_execz .LBB110_257
.LBB110_279:
	s_and_b64 vcc, exec, s[0:1]
	s_cbranch_vccnz .LBB110_281
; %bb.280:
	v_lshl_add_u64 v[92:93], v[138:139], 3, v[90:91]
	flat_load_dwordx2 v[92:93], v[92:93]
	s_waitcnt vmcnt(0) lgkmcnt(0)
	v_mul_f64 v[92:93], s[22:23], v[92:93]
	v_cvt_f32_f64_e32 v92, v[92:93]
	s_branch .LBB110_282
.LBB110_281:
	v_mov_b32_e32 v92, 0
.LBB110_282:
	v_add_f64 v[94:95], v[30:31], v[86:87]
	v_add_f64 v[96:97], v[28:29], v[84:85]
	v_cvt_f32_f64_e32 v93, v[96:97]
	v_cvt_f32_f64_e32 v94, v[94:95]
	v_min3_f32 v93, v93, v94, v167
	v_add_f64 v[94:95], v[26:27], v[82:83]
	v_add_f64 v[96:97], v[24:25], v[80:81]
	v_cvt_f32_f64_e32 v96, v[96:97]
	v_cvt_f32_f64_e32 v94, v[94:95]
	v_min_f32_e32 v94, v96, v94
	v_min3_f32 v92, v92, v94, v93
	v_cvt_f64_f32_e32 v[92:93], v92
	v_lshl_add_u64 v[94:95], v[138:139], 3, v[88:89]
	flat_store_dwordx2 v[94:95], v[92:93]
	s_or_b64 exec, exec, s[26:27]
	s_and_b64 s[34:35], s[14:15], s[18:19]
	s_and_saveexec_b64 s[26:27], s[34:35]
	s_cbranch_execz .LBB110_258
.LBB110_283:
	s_and_b64 vcc, exec, s[0:1]
	s_cbranch_vccnz .LBB110_285
; %bb.284:
	v_lshl_add_u64 v[92:93], v[140:141], 3, v[90:91]
	flat_load_dwordx2 v[92:93], v[92:93]
	s_waitcnt vmcnt(0) lgkmcnt(0)
	v_mul_f64 v[92:93], s[22:23], v[92:93]
	v_cvt_f32_f64_e32 v92, v[92:93]
	s_branch .LBB110_286
.LBB110_285:
	v_mov_b32_e32 v92, 0
.LBB110_286:
	v_add_f64 v[94:95], v[22:23], v[86:87]
	v_add_f64 v[96:97], v[20:21], v[84:85]
	v_cvt_f32_f64_e32 v93, v[96:97]
	v_cvt_f32_f64_e32 v94, v[94:95]
	v_min3_f32 v93, v93, v94, v166
	v_add_f64 v[94:95], v[18:19], v[82:83]
	v_add_f64 v[96:97], v[16:17], v[80:81]
	v_cvt_f32_f64_e32 v96, v[96:97]
	v_cvt_f32_f64_e32 v94, v[94:95]
	v_min_f32_e32 v94, v96, v94
	v_min3_f32 v92, v92, v94, v93
	v_cvt_f64_f32_e32 v[92:93], v92
	v_lshl_add_u64 v[94:95], v[140:141], 3, v[88:89]
	flat_store_dwordx2 v[94:95], v[92:93]
	s_or_b64 exec, exec, s[26:27]
	s_and_b64 s[26:27], s[16:17], s[18:19]
	s_and_saveexec_b64 s[18:19], s[26:27]
	s_cbranch_execz .LBB110_291
.LBB110_287:
	s_and_b64 vcc, exec, s[0:1]
	s_cbranch_vccnz .LBB110_289
; %bb.288:
	v_lshl_add_u64 v[90:91], v[142:143], 3, v[90:91]
	flat_load_dwordx2 v[90:91], v[90:91]
	s_waitcnt vmcnt(0) lgkmcnt(0)
	v_mul_f64 v[90:91], s[22:23], v[90:91]
	v_cvt_f32_f64_e32 v90, v[90:91]
	s_branch .LBB110_290
.LBB110_289:
	v_mov_b32_e32 v90, 0
.LBB110_290:
	v_add_f64 v[86:87], v[6:7], v[86:87]
	v_add_f64 v[84:85], v[4:5], v[84:85]
	;; [unrolled: 1-line block ×4, first 2 shown]
	v_cvt_f32_f64_e32 v84, v[84:85]
	v_cvt_f32_f64_e32 v85, v[86:87]
	;; [unrolled: 1-line block ×4, first 2 shown]
	v_min3_f32 v84, v84, v85, v165
	v_min_f32_e32 v80, v80, v81
	v_min3_f32 v80, v90, v80, v84
	v_cvt_f64_f32_e32 v[80:81], v80
	v_lshl_add_u64 v[82:83], v[142:143], 3, v[88:89]
	flat_store_dwordx2 v[82:83], v[80:81]
.LBB110_291:
	s_or_b64 exec, exec, s[18:19]
	v_add_u32_e32 v84, 48, v163
	v_mad_i64_i32 v[80:81], s[26:27], v84, s31, 0
	v_cmp_gt_i32_e64 s[18:19], s25, v84
	v_lshl_add_u64 v[82:83], v[80:81], 3, s[28:29]
	v_mad_i64_i32 v[80:81], s[26:27], v84, s30, 0
	v_lshl_add_u64 v[80:81], v[80:81], 3, s[20:21]
	s_and_b64 s[34:35], s[2:3], s[18:19]
	s_and_saveexec_b64 s[26:27], s[34:35]
	s_cbranch_execnz .LBB110_299
; %bb.292:
	s_or_b64 exec, exec, s[26:27]
	s_and_b64 s[34:35], s[4:5], s[18:19]
	s_and_saveexec_b64 s[26:27], s[34:35]
	s_cbranch_execnz .LBB110_303
.LBB110_293:
	s_or_b64 exec, exec, s[26:27]
	s_and_b64 s[34:35], s[6:7], s[18:19]
	s_and_saveexec_b64 s[26:27], s[34:35]
	s_cbranch_execnz .LBB110_307
.LBB110_294:
	s_or_b64 exec, exec, s[26:27]
	s_and_b64 s[34:35], s[8:9], s[18:19]
	s_and_saveexec_b64 s[26:27], s[34:35]
	s_cbranch_execnz .LBB110_311
.LBB110_295:
	s_or_b64 exec, exec, s[26:27]
	s_and_b64 s[34:35], s[10:11], s[18:19]
	s_and_saveexec_b64 s[26:27], s[34:35]
	s_cbranch_execnz .LBB110_315
.LBB110_296:
	s_or_b64 exec, exec, s[26:27]
	s_and_b64 s[34:35], s[12:13], s[18:19]
	s_and_saveexec_b64 s[26:27], s[34:35]
	s_cbranch_execnz .LBB110_319
.LBB110_297:
	s_or_b64 exec, exec, s[26:27]
	s_and_b64 s[34:35], s[14:15], s[18:19]
	s_and_saveexec_b64 s[26:27], s[34:35]
	s_cbranch_execnz .LBB110_323
.LBB110_298:
	s_or_b64 exec, exec, s[26:27]
	s_and_b64 s[26:27], s[16:17], s[18:19]
	s_and_saveexec_b64 s[18:19], s[26:27]
	s_cbranch_execnz .LBB110_327
	s_branch .LBB110_331
.LBB110_299:
	s_and_b64 vcc, exec, s[0:1]
	s_cbranch_vccnz .LBB110_301
; %bb.300:
	v_lshl_add_u64 v[84:85], v[128:129], 3, v[82:83]
	flat_load_dwordx2 v[84:85], v[84:85]
	s_waitcnt vmcnt(0) lgkmcnt(0)
	v_mul_f64 v[84:85], s[22:23], v[84:85]
	v_cvt_f32_f64_e32 v84, v[84:85]
	s_branch .LBB110_302
.LBB110_301:
	v_mov_b32_e32 v84, 0
.LBB110_302:
	v_add_f64 v[86:87], v[70:71], v[78:79]
	v_add_f64 v[88:89], v[68:69], v[76:77]
	v_cvt_f32_f64_e32 v85, v[88:89]
	v_cvt_f32_f64_e32 v86, v[86:87]
	v_min3_f32 v85, v85, v86, v164
	v_add_f64 v[86:87], v[66:67], v[74:75]
	v_add_f64 v[88:89], v[64:65], v[72:73]
	v_cvt_f32_f64_e32 v88, v[88:89]
	v_cvt_f32_f64_e32 v86, v[86:87]
	v_min_f32_e32 v86, v88, v86
	v_min3_f32 v84, v84, v86, v85
	v_cvt_f64_f32_e32 v[84:85], v84
	v_lshl_add_u64 v[86:87], v[128:129], 3, v[80:81]
	flat_store_dwordx2 v[86:87], v[84:85]
	s_or_b64 exec, exec, s[26:27]
	s_and_b64 s[34:35], s[4:5], s[18:19]
	s_and_saveexec_b64 s[26:27], s[34:35]
	s_cbranch_execz .LBB110_293
.LBB110_303:
	s_and_b64 vcc, exec, s[0:1]
	s_cbranch_vccnz .LBB110_305
; %bb.304:
	v_lshl_add_u64 v[84:85], v[130:131], 3, v[82:83]
	flat_load_dwordx2 v[84:85], v[84:85]
	s_waitcnt vmcnt(0) lgkmcnt(0)
	v_mul_f64 v[84:85], s[22:23], v[84:85]
	v_cvt_f32_f64_e32 v84, v[84:85]
	s_branch .LBB110_306
.LBB110_305:
	v_mov_b32_e32 v84, 0
.LBB110_306:
	v_add_f64 v[86:87], v[62:63], v[78:79]
	v_add_f64 v[88:89], v[60:61], v[76:77]
	v_cvt_f32_f64_e32 v85, v[88:89]
	v_cvt_f32_f64_e32 v86, v[86:87]
	v_min3_f32 v85, v85, v86, v162
	v_add_f64 v[86:87], v[58:59], v[74:75]
	v_add_f64 v[88:89], v[56:57], v[72:73]
	v_cvt_f32_f64_e32 v88, v[88:89]
	v_cvt_f32_f64_e32 v86, v[86:87]
	v_min_f32_e32 v86, v88, v86
	v_min3_f32 v84, v84, v86, v85
	v_cvt_f64_f32_e32 v[84:85], v84
	v_lshl_add_u64 v[86:87], v[130:131], 3, v[80:81]
	flat_store_dwordx2 v[86:87], v[84:85]
	s_or_b64 exec, exec, s[26:27]
	s_and_b64 s[34:35], s[6:7], s[18:19]
	s_and_saveexec_b64 s[26:27], s[34:35]
	s_cbranch_execz .LBB110_294
.LBB110_307:
	s_and_b64 vcc, exec, s[0:1]
	s_cbranch_vccnz .LBB110_309
; %bb.308:
	v_lshl_add_u64 v[84:85], v[132:133], 3, v[82:83]
	flat_load_dwordx2 v[84:85], v[84:85]
	s_waitcnt vmcnt(0) lgkmcnt(0)
	v_mul_f64 v[84:85], s[22:23], v[84:85]
	v_cvt_f32_f64_e32 v84, v[84:85]
	s_branch .LBB110_310
.LBB110_309:
	v_mov_b32_e32 v84, 0
.LBB110_310:
	v_add_f64 v[86:87], v[54:55], v[78:79]
	v_add_f64 v[88:89], v[52:53], v[76:77]
	v_cvt_f32_f64_e32 v85, v[88:89]
	v_cvt_f32_f64_e32 v86, v[86:87]
	v_min3_f32 v85, v85, v86, v161
	v_add_f64 v[86:87], v[50:51], v[74:75]
	v_add_f64 v[88:89], v[48:49], v[72:73]
	v_cvt_f32_f64_e32 v88, v[88:89]
	v_cvt_f32_f64_e32 v86, v[86:87]
	v_min_f32_e32 v86, v88, v86
	v_min3_f32 v84, v84, v86, v85
	v_cvt_f64_f32_e32 v[84:85], v84
	v_lshl_add_u64 v[86:87], v[132:133], 3, v[80:81]
	flat_store_dwordx2 v[86:87], v[84:85]
	s_or_b64 exec, exec, s[26:27]
	s_and_b64 s[34:35], s[8:9], s[18:19]
	s_and_saveexec_b64 s[26:27], s[34:35]
	s_cbranch_execz .LBB110_295
.LBB110_311:
	s_and_b64 vcc, exec, s[0:1]
	s_cbranch_vccnz .LBB110_313
; %bb.312:
	v_lshl_add_u64 v[84:85], v[134:135], 3, v[82:83]
	flat_load_dwordx2 v[84:85], v[84:85]
	s_waitcnt vmcnt(0) lgkmcnt(0)
	v_mul_f64 v[84:85], s[22:23], v[84:85]
	v_cvt_f32_f64_e32 v84, v[84:85]
	s_branch .LBB110_314
.LBB110_313:
	v_mov_b32_e32 v84, 0
.LBB110_314:
	v_add_f64 v[86:87], v[46:47], v[78:79]
	v_add_f64 v[88:89], v[44:45], v[76:77]
	v_cvt_f32_f64_e32 v85, v[88:89]
	v_cvt_f32_f64_e32 v86, v[86:87]
	v_min3_f32 v85, v85, v86, v160
	v_add_f64 v[86:87], v[42:43], v[74:75]
	v_add_f64 v[88:89], v[40:41], v[72:73]
	v_cvt_f32_f64_e32 v88, v[88:89]
	v_cvt_f32_f64_e32 v86, v[86:87]
	v_min_f32_e32 v86, v88, v86
	v_min3_f32 v84, v84, v86, v85
	v_cvt_f64_f32_e32 v[84:85], v84
	v_lshl_add_u64 v[86:87], v[134:135], 3, v[80:81]
	flat_store_dwordx2 v[86:87], v[84:85]
	s_or_b64 exec, exec, s[26:27]
	s_and_b64 s[34:35], s[10:11], s[18:19]
	s_and_saveexec_b64 s[26:27], s[34:35]
	s_cbranch_execz .LBB110_296
.LBB110_315:
	s_and_b64 vcc, exec, s[0:1]
	s_cbranch_vccnz .LBB110_317
; %bb.316:
	v_lshl_add_u64 v[84:85], v[136:137], 3, v[82:83]
	flat_load_dwordx2 v[84:85], v[84:85]
	s_waitcnt vmcnt(0) lgkmcnt(0)
	v_mul_f64 v[84:85], s[22:23], v[84:85]
	v_cvt_f32_f64_e32 v84, v[84:85]
	s_branch .LBB110_318
.LBB110_317:
	v_mov_b32_e32 v84, 0
.LBB110_318:
	v_add_f64 v[86:87], v[38:39], v[78:79]
	v_add_f64 v[88:89], v[36:37], v[76:77]
	v_cvt_f32_f64_e32 v85, v[88:89]
	v_cvt_f32_f64_e32 v86, v[86:87]
	v_min3_f32 v85, v85, v86, v159
	v_add_f64 v[86:87], v[34:35], v[74:75]
	v_add_f64 v[88:89], v[32:33], v[72:73]
	v_cvt_f32_f64_e32 v88, v[88:89]
	v_cvt_f32_f64_e32 v86, v[86:87]
	v_min_f32_e32 v86, v88, v86
	v_min3_f32 v84, v84, v86, v85
	v_cvt_f64_f32_e32 v[84:85], v84
	v_lshl_add_u64 v[86:87], v[136:137], 3, v[80:81]
	flat_store_dwordx2 v[86:87], v[84:85]
	s_or_b64 exec, exec, s[26:27]
	s_and_b64 s[34:35], s[12:13], s[18:19]
	s_and_saveexec_b64 s[26:27], s[34:35]
	s_cbranch_execz .LBB110_297
.LBB110_319:
	s_and_b64 vcc, exec, s[0:1]
	s_cbranch_vccnz .LBB110_321
; %bb.320:
	v_lshl_add_u64 v[84:85], v[138:139], 3, v[82:83]
	flat_load_dwordx2 v[84:85], v[84:85]
	s_waitcnt vmcnt(0) lgkmcnt(0)
	v_mul_f64 v[84:85], s[22:23], v[84:85]
	v_cvt_f32_f64_e32 v84, v[84:85]
	s_branch .LBB110_322
.LBB110_321:
	v_mov_b32_e32 v84, 0
.LBB110_322:
	v_add_f64 v[86:87], v[30:31], v[78:79]
	v_add_f64 v[88:89], v[28:29], v[76:77]
	v_cvt_f32_f64_e32 v85, v[88:89]
	v_cvt_f32_f64_e32 v86, v[86:87]
	v_min3_f32 v85, v85, v86, v158
	v_add_f64 v[86:87], v[26:27], v[74:75]
	v_add_f64 v[88:89], v[24:25], v[72:73]
	v_cvt_f32_f64_e32 v88, v[88:89]
	v_cvt_f32_f64_e32 v86, v[86:87]
	v_min_f32_e32 v86, v88, v86
	v_min3_f32 v84, v84, v86, v85
	v_cvt_f64_f32_e32 v[84:85], v84
	v_lshl_add_u64 v[86:87], v[138:139], 3, v[80:81]
	flat_store_dwordx2 v[86:87], v[84:85]
	s_or_b64 exec, exec, s[26:27]
	s_and_b64 s[34:35], s[14:15], s[18:19]
	s_and_saveexec_b64 s[26:27], s[34:35]
	s_cbranch_execz .LBB110_298
.LBB110_323:
	s_and_b64 vcc, exec, s[0:1]
	s_cbranch_vccnz .LBB110_325
; %bb.324:
	v_lshl_add_u64 v[84:85], v[140:141], 3, v[82:83]
	flat_load_dwordx2 v[84:85], v[84:85]
	s_waitcnt vmcnt(0) lgkmcnt(0)
	v_mul_f64 v[84:85], s[22:23], v[84:85]
	v_cvt_f32_f64_e32 v84, v[84:85]
	s_branch .LBB110_326
.LBB110_325:
	v_mov_b32_e32 v84, 0
.LBB110_326:
	v_add_f64 v[86:87], v[22:23], v[78:79]
	v_add_f64 v[88:89], v[20:21], v[76:77]
	v_cvt_f32_f64_e32 v85, v[88:89]
	v_cvt_f32_f64_e32 v86, v[86:87]
	v_min3_f32 v85, v85, v86, v157
	v_add_f64 v[86:87], v[18:19], v[74:75]
	v_add_f64 v[88:89], v[16:17], v[72:73]
	v_cvt_f32_f64_e32 v88, v[88:89]
	v_cvt_f32_f64_e32 v86, v[86:87]
	v_min_f32_e32 v86, v88, v86
	v_min3_f32 v84, v84, v86, v85
	v_cvt_f64_f32_e32 v[84:85], v84
	v_lshl_add_u64 v[86:87], v[140:141], 3, v[80:81]
	flat_store_dwordx2 v[86:87], v[84:85]
	s_or_b64 exec, exec, s[26:27]
	s_and_b64 s[26:27], s[16:17], s[18:19]
	s_and_saveexec_b64 s[18:19], s[26:27]
	s_cbranch_execz .LBB110_331
.LBB110_327:
	s_and_b64 vcc, exec, s[0:1]
	s_cbranch_vccnz .LBB110_329
; %bb.328:
	v_lshl_add_u64 v[82:83], v[142:143], 3, v[82:83]
	flat_load_dwordx2 v[82:83], v[82:83]
	s_waitcnt vmcnt(0) lgkmcnt(0)
	v_mul_f64 v[82:83], s[22:23], v[82:83]
	v_cvt_f32_f64_e32 v82, v[82:83]
	s_branch .LBB110_330
.LBB110_329:
	v_mov_b32_e32 v82, 0
.LBB110_330:
	v_add_f64 v[78:79], v[6:7], v[78:79]
	v_add_f64 v[76:77], v[4:5], v[76:77]
	;; [unrolled: 1-line block ×4, first 2 shown]
	v_cvt_f32_f64_e32 v76, v[76:77]
	v_cvt_f32_f64_e32 v77, v[78:79]
	;; [unrolled: 1-line block ×4, first 2 shown]
	v_min3_f32 v76, v76, v77, v156
	v_min_f32_e32 v72, v72, v73
	v_min3_f32 v72, v82, v72, v76
	v_cvt_f64_f32_e32 v[72:73], v72
	v_lshl_add_u64 v[74:75], v[142:143], 3, v[80:81]
	flat_store_dwordx2 v[74:75], v[72:73]
.LBB110_331:
	s_or_b64 exec, exec, s[18:19]
	v_add_u32_e32 v76, 56, v163
	v_cmp_gt_i32_e64 s[18:19], s25, v76
	v_mad_i64_i32 v[72:73], s[24:25], v76, s31, 0
	v_lshl_add_u64 v[74:75], v[72:73], 3, s[28:29]
	v_mad_i64_i32 v[72:73], s[24:25], v76, s30, 0
	v_lshl_add_u64 v[72:73], v[72:73], 3, s[20:21]
	s_and_b64 s[20:21], s[2:3], s[18:19]
	s_and_saveexec_b64 s[2:3], s[20:21]
	s_cbranch_execnz .LBB110_340
; %bb.332:
	s_or_b64 exec, exec, s[2:3]
	s_and_b64 s[4:5], s[4:5], s[18:19]
	s_and_saveexec_b64 s[2:3], s[4:5]
	s_cbranch_execnz .LBB110_344
.LBB110_333:
	s_or_b64 exec, exec, s[2:3]
	s_and_b64 s[4:5], s[6:7], s[18:19]
	s_and_saveexec_b64 s[2:3], s[4:5]
	s_cbranch_execnz .LBB110_348
.LBB110_334:
	s_or_b64 exec, exec, s[2:3]
	s_and_b64 s[4:5], s[8:9], s[18:19]
	s_and_saveexec_b64 s[2:3], s[4:5]
	s_cbranch_execnz .LBB110_352
.LBB110_335:
	s_or_b64 exec, exec, s[2:3]
	s_and_b64 s[4:5], s[10:11], s[18:19]
	s_and_saveexec_b64 s[2:3], s[4:5]
	s_cbranch_execnz .LBB110_356
.LBB110_336:
	s_or_b64 exec, exec, s[2:3]
	s_and_b64 s[4:5], s[12:13], s[18:19]
	s_and_saveexec_b64 s[2:3], s[4:5]
	s_cbranch_execnz .LBB110_360
.LBB110_337:
	s_or_b64 exec, exec, s[2:3]
	s_and_b64 s[4:5], s[14:15], s[18:19]
	s_and_saveexec_b64 s[2:3], s[4:5]
	s_cbranch_execnz .LBB110_364
.LBB110_338:
	s_or_b64 exec, exec, s[2:3]
	s_and_b64 s[2:3], s[16:17], s[18:19]
	s_and_saveexec_b64 s[4:5], s[2:3]
	s_cbranch_execnz .LBB110_368
.LBB110_339:
	s_endpgm
.LBB110_340:
	s_and_b64 vcc, exec, s[0:1]
	s_cbranch_vccnz .LBB110_342
; %bb.341:
	v_lshl_add_u64 v[76:77], v[128:129], 3, v[74:75]
	flat_load_dwordx2 v[76:77], v[76:77]
	s_waitcnt vmcnt(0) lgkmcnt(0)
	v_mul_f64 v[76:77], s[22:23], v[76:77]
	v_cvt_f32_f64_e32 v76, v[76:77]
	s_branch .LBB110_343
.LBB110_342:
	v_mov_b32_e32 v76, 0
.LBB110_343:
	v_add_f64 v[70:71], v[70:71], v[14:15]
	v_add_f64 v[68:69], v[68:69], v[12:13]
	;; [unrolled: 1-line block ×4, first 2 shown]
	v_cvt_f32_f64_e32 v68, v[68:69]
	v_cvt_f32_f64_e32 v69, v[70:71]
	;; [unrolled: 1-line block ×4, first 2 shown]
	v_min3_f32 v68, v68, v69, v155
	v_min_f32_e32 v64, v64, v65
	v_min3_f32 v64, v76, v64, v68
	v_cvt_f64_f32_e32 v[64:65], v64
	v_lshl_add_u64 v[66:67], v[128:129], 3, v[72:73]
	flat_store_dwordx2 v[66:67], v[64:65]
	s_or_b64 exec, exec, s[2:3]
	s_and_b64 s[4:5], s[4:5], s[18:19]
	s_and_saveexec_b64 s[2:3], s[4:5]
	s_cbranch_execz .LBB110_333
.LBB110_344:
	s_and_b64 vcc, exec, s[0:1]
	s_cbranch_vccnz .LBB110_346
; %bb.345:
	v_lshl_add_u64 v[64:65], v[130:131], 3, v[74:75]
	flat_load_dwordx2 v[64:65], v[64:65]
	s_waitcnt vmcnt(0) lgkmcnt(0)
	v_mul_f64 v[64:65], s[22:23], v[64:65]
	v_cvt_f32_f64_e32 v64, v[64:65]
	s_branch .LBB110_347
.LBB110_346:
	v_mov_b32_e32 v64, 0
.LBB110_347:
	v_add_f64 v[62:63], v[62:63], v[14:15]
	v_add_f64 v[60:61], v[60:61], v[12:13]
	;; [unrolled: 1-line block ×4, first 2 shown]
	v_cvt_f32_f64_e32 v60, v[60:61]
	v_cvt_f32_f64_e32 v61, v[62:63]
	;; [unrolled: 1-line block ×4, first 2 shown]
	v_min3_f32 v60, v60, v61, v154
	v_min_f32_e32 v56, v56, v57
	v_min3_f32 v56, v64, v56, v60
	v_cvt_f64_f32_e32 v[56:57], v56
	v_lshl_add_u64 v[58:59], v[130:131], 3, v[72:73]
	flat_store_dwordx2 v[58:59], v[56:57]
	s_or_b64 exec, exec, s[2:3]
	s_and_b64 s[4:5], s[6:7], s[18:19]
	s_and_saveexec_b64 s[2:3], s[4:5]
	s_cbranch_execz .LBB110_334
.LBB110_348:
	s_and_b64 vcc, exec, s[0:1]
	s_cbranch_vccnz .LBB110_350
; %bb.349:
	v_lshl_add_u64 v[56:57], v[132:133], 3, v[74:75]
	flat_load_dwordx2 v[56:57], v[56:57]
	s_waitcnt vmcnt(0) lgkmcnt(0)
	v_mul_f64 v[56:57], s[22:23], v[56:57]
	v_cvt_f32_f64_e32 v56, v[56:57]
	s_branch .LBB110_351
.LBB110_350:
	v_mov_b32_e32 v56, 0
.LBB110_351:
	v_add_f64 v[54:55], v[54:55], v[14:15]
	v_add_f64 v[52:53], v[52:53], v[12:13]
	;; [unrolled: 1-line block ×4, first 2 shown]
	v_cvt_f32_f64_e32 v52, v[52:53]
	v_cvt_f32_f64_e32 v53, v[54:55]
	v_cvt_f32_f64_e32 v48, v[48:49]
	v_cvt_f32_f64_e32 v49, v[50:51]
	v_min3_f32 v52, v52, v53, v153
	v_min_f32_e32 v48, v48, v49
	v_min3_f32 v48, v56, v48, v52
	v_cvt_f64_f32_e32 v[48:49], v48
	v_lshl_add_u64 v[50:51], v[132:133], 3, v[72:73]
	flat_store_dwordx2 v[50:51], v[48:49]
	s_or_b64 exec, exec, s[2:3]
	s_and_b64 s[4:5], s[8:9], s[18:19]
	s_and_saveexec_b64 s[2:3], s[4:5]
	s_cbranch_execz .LBB110_335
.LBB110_352:
	s_and_b64 vcc, exec, s[0:1]
	s_cbranch_vccnz .LBB110_354
; %bb.353:
	v_lshl_add_u64 v[48:49], v[134:135], 3, v[74:75]
	flat_load_dwordx2 v[48:49], v[48:49]
	s_waitcnt vmcnt(0) lgkmcnt(0)
	v_mul_f64 v[48:49], s[22:23], v[48:49]
	v_cvt_f32_f64_e32 v48, v[48:49]
	s_branch .LBB110_355
.LBB110_354:
	v_mov_b32_e32 v48, 0
.LBB110_355:
	v_add_f64 v[46:47], v[46:47], v[14:15]
	v_add_f64 v[44:45], v[44:45], v[12:13]
	;; [unrolled: 1-line block ×4, first 2 shown]
	v_cvt_f32_f64_e32 v44, v[44:45]
	v_cvt_f32_f64_e32 v45, v[46:47]
	;; [unrolled: 1-line block ×4, first 2 shown]
	v_min3_f32 v44, v44, v45, v152
	v_min_f32_e32 v40, v40, v41
	v_min3_f32 v40, v48, v40, v44
	v_cvt_f64_f32_e32 v[40:41], v40
	v_lshl_add_u64 v[42:43], v[134:135], 3, v[72:73]
	flat_store_dwordx2 v[42:43], v[40:41]
	s_or_b64 exec, exec, s[2:3]
	s_and_b64 s[4:5], s[10:11], s[18:19]
	s_and_saveexec_b64 s[2:3], s[4:5]
	s_cbranch_execz .LBB110_336
.LBB110_356:
	s_and_b64 vcc, exec, s[0:1]
	s_cbranch_vccnz .LBB110_358
; %bb.357:
	v_lshl_add_u64 v[40:41], v[136:137], 3, v[74:75]
	flat_load_dwordx2 v[40:41], v[40:41]
	s_waitcnt vmcnt(0) lgkmcnt(0)
	v_mul_f64 v[40:41], s[22:23], v[40:41]
	v_cvt_f32_f64_e32 v40, v[40:41]
	s_branch .LBB110_359
.LBB110_358:
	v_mov_b32_e32 v40, 0
.LBB110_359:
	v_add_f64 v[38:39], v[38:39], v[14:15]
	v_add_f64 v[36:37], v[36:37], v[12:13]
	;; [unrolled: 1-line block ×4, first 2 shown]
	v_cvt_f32_f64_e32 v36, v[36:37]
	v_cvt_f32_f64_e32 v37, v[38:39]
	;; [unrolled: 1-line block ×4, first 2 shown]
	v_min3_f32 v36, v36, v37, v151
	v_min_f32_e32 v32, v32, v33
	v_min3_f32 v32, v40, v32, v36
	v_cvt_f64_f32_e32 v[32:33], v32
	v_lshl_add_u64 v[34:35], v[136:137], 3, v[72:73]
	flat_store_dwordx2 v[34:35], v[32:33]
	s_or_b64 exec, exec, s[2:3]
	s_and_b64 s[4:5], s[12:13], s[18:19]
	s_and_saveexec_b64 s[2:3], s[4:5]
	s_cbranch_execz .LBB110_337
.LBB110_360:
	s_and_b64 vcc, exec, s[0:1]
	s_cbranch_vccnz .LBB110_362
; %bb.361:
	v_lshl_add_u64 v[32:33], v[138:139], 3, v[74:75]
	flat_load_dwordx2 v[32:33], v[32:33]
	s_waitcnt vmcnt(0) lgkmcnt(0)
	v_mul_f64 v[32:33], s[22:23], v[32:33]
	v_cvt_f32_f64_e32 v32, v[32:33]
	s_branch .LBB110_363
.LBB110_362:
	v_mov_b32_e32 v32, 0
.LBB110_363:
	v_add_f64 v[30:31], v[30:31], v[14:15]
	v_add_f64 v[28:29], v[28:29], v[12:13]
	;; [unrolled: 1-line block ×4, first 2 shown]
	v_cvt_f32_f64_e32 v28, v[28:29]
	v_cvt_f32_f64_e32 v29, v[30:31]
	;; [unrolled: 1-line block ×4, first 2 shown]
	v_min3_f32 v28, v28, v29, v150
	v_min_f32_e32 v24, v24, v25
	v_min3_f32 v24, v32, v24, v28
	v_cvt_f64_f32_e32 v[24:25], v24
	v_lshl_add_u64 v[26:27], v[138:139], 3, v[72:73]
	flat_store_dwordx2 v[26:27], v[24:25]
	s_or_b64 exec, exec, s[2:3]
	s_and_b64 s[4:5], s[14:15], s[18:19]
	s_and_saveexec_b64 s[2:3], s[4:5]
	s_cbranch_execz .LBB110_338
.LBB110_364:
	s_and_b64 vcc, exec, s[0:1]
	s_cbranch_vccnz .LBB110_366
; %bb.365:
	v_lshl_add_u64 v[24:25], v[140:141], 3, v[74:75]
	flat_load_dwordx2 v[24:25], v[24:25]
	s_waitcnt vmcnt(0) lgkmcnt(0)
	v_mul_f64 v[24:25], s[22:23], v[24:25]
	v_cvt_f32_f64_e32 v24, v[24:25]
	s_branch .LBB110_367
.LBB110_366:
	v_mov_b32_e32 v24, 0
.LBB110_367:
	v_add_f64 v[22:23], v[22:23], v[14:15]
	v_add_f64 v[20:21], v[20:21], v[12:13]
	;; [unrolled: 1-line block ×4, first 2 shown]
	v_cvt_f32_f64_e32 v20, v[20:21]
	v_cvt_f32_f64_e32 v21, v[22:23]
	;; [unrolled: 1-line block ×4, first 2 shown]
	v_min3_f32 v20, v20, v21, v149
	v_min_f32_e32 v16, v16, v17
	v_min3_f32 v16, v24, v16, v20
	v_cvt_f64_f32_e32 v[16:17], v16
	v_lshl_add_u64 v[18:19], v[140:141], 3, v[72:73]
	flat_store_dwordx2 v[18:19], v[16:17]
	s_or_b64 exec, exec, s[2:3]
	s_and_b64 s[2:3], s[16:17], s[18:19]
	s_and_saveexec_b64 s[4:5], s[2:3]
	s_cbranch_execz .LBB110_339
.LBB110_368:
	s_and_b64 vcc, exec, s[0:1]
	s_cbranch_vccnz .LBB110_370
; %bb.369:
	v_lshl_add_u64 v[16:17], v[142:143], 3, v[74:75]
	flat_load_dwordx2 v[16:17], v[16:17]
	s_waitcnt vmcnt(0) lgkmcnt(0)
	v_mul_f64 v[16:17], s[22:23], v[16:17]
	v_cvt_f32_f64_e32 v16, v[16:17]
	s_branch .LBB110_371
.LBB110_370:
	v_mov_b32_e32 v16, 0
.LBB110_371:
	v_add_f64 v[6:7], v[6:7], v[14:15]
	v_add_f64 v[4:5], v[4:5], v[12:13]
	;; [unrolled: 1-line block ×4, first 2 shown]
	v_cvt_f32_f64_e32 v4, v[4:5]
	v_cvt_f32_f64_e32 v5, v[6:7]
	;; [unrolled: 1-line block ×4, first 2 shown]
	v_min3_f32 v4, v4, v5, v148
	v_min_f32_e32 v0, v0, v1
	v_min3_f32 v0, v16, v0, v4
	v_cvt_f64_f32_e32 v[0:1], v0
	v_lshl_add_u64 v[2:3], v[142:143], 3, v[72:73]
	flat_store_dwordx2 v[2:3], v[0:1]
	s_endpgm
	.section	.rodata,"a",@progbits
	.p2align	6, 0x0
	.amdhsa_kernel _ZN12_GLOBAL__N_120geam_min_plus_kernelId15HIP_vector_typeIdLj2EEdLi32ELi8ELi256ELi64ELi4ELi64ELi4ELi4ELi64ELc78ELc78ELb0ELb1ELb1EdKPKdKPdEEviiiT16_PT17_ilSA_ilS8_SA_ilPT18_ili26rocblas_geam_ex_operation_
		.amdhsa_group_segment_fixed_size 20480
		.amdhsa_private_segment_fixed_size 0
		.amdhsa_kernarg_size 136
		.amdhsa_user_sgpr_count 2
		.amdhsa_user_sgpr_dispatch_ptr 0
		.amdhsa_user_sgpr_queue_ptr 0
		.amdhsa_user_sgpr_kernarg_segment_ptr 1
		.amdhsa_user_sgpr_dispatch_id 0
		.amdhsa_user_sgpr_kernarg_preload_length 0
		.amdhsa_user_sgpr_kernarg_preload_offset 0
		.amdhsa_user_sgpr_private_segment_size 0
		.amdhsa_uses_dynamic_stack 0
		.amdhsa_enable_private_segment 0
		.amdhsa_system_sgpr_workgroup_id_x 1
		.amdhsa_system_sgpr_workgroup_id_y 0
		.amdhsa_system_sgpr_workgroup_id_z 1
		.amdhsa_system_sgpr_workgroup_info 0
		.amdhsa_system_vgpr_workitem_id 1
		.amdhsa_next_free_vgpr 225
		.amdhsa_next_free_sgpr 42
		.amdhsa_accum_offset 228
		.amdhsa_reserve_vcc 1
		.amdhsa_float_round_mode_32 0
		.amdhsa_float_round_mode_16_64 0
		.amdhsa_float_denorm_mode_32 3
		.amdhsa_float_denorm_mode_16_64 3
		.amdhsa_dx10_clamp 1
		.amdhsa_ieee_mode 1
		.amdhsa_fp16_overflow 0
		.amdhsa_tg_split 0
		.amdhsa_exception_fp_ieee_invalid_op 0
		.amdhsa_exception_fp_denorm_src 0
		.amdhsa_exception_fp_ieee_div_zero 0
		.amdhsa_exception_fp_ieee_overflow 0
		.amdhsa_exception_fp_ieee_underflow 0
		.amdhsa_exception_fp_ieee_inexact 0
		.amdhsa_exception_int_div_zero 0
	.end_amdhsa_kernel
	.section	.text._ZN12_GLOBAL__N_120geam_min_plus_kernelId15HIP_vector_typeIdLj2EEdLi32ELi8ELi256ELi64ELi4ELi64ELi4ELi4ELi64ELc78ELc78ELb0ELb1ELb1EdKPKdKPdEEviiiT16_PT17_ilSA_ilS8_SA_ilPT18_ili26rocblas_geam_ex_operation_,"axG",@progbits,_ZN12_GLOBAL__N_120geam_min_plus_kernelId15HIP_vector_typeIdLj2EEdLi32ELi8ELi256ELi64ELi4ELi64ELi4ELi4ELi64ELc78ELc78ELb0ELb1ELb1EdKPKdKPdEEviiiT16_PT17_ilSA_ilS8_SA_ilPT18_ili26rocblas_geam_ex_operation_,comdat
.Lfunc_end110:
	.size	_ZN12_GLOBAL__N_120geam_min_plus_kernelId15HIP_vector_typeIdLj2EEdLi32ELi8ELi256ELi64ELi4ELi64ELi4ELi4ELi64ELc78ELc78ELb0ELb1ELb1EdKPKdKPdEEviiiT16_PT17_ilSA_ilS8_SA_ilPT18_ili26rocblas_geam_ex_operation_, .Lfunc_end110-_ZN12_GLOBAL__N_120geam_min_plus_kernelId15HIP_vector_typeIdLj2EEdLi32ELi8ELi256ELi64ELi4ELi64ELi4ELi4ELi64ELc78ELc78ELb0ELb1ELb1EdKPKdKPdEEviiiT16_PT17_ilSA_ilS8_SA_ilPT18_ili26rocblas_geam_ex_operation_
                                        ; -- End function
	.set _ZN12_GLOBAL__N_120geam_min_plus_kernelId15HIP_vector_typeIdLj2EEdLi32ELi8ELi256ELi64ELi4ELi64ELi4ELi4ELi64ELc78ELc78ELb0ELb1ELb1EdKPKdKPdEEviiiT16_PT17_ilSA_ilS8_SA_ilPT18_ili26rocblas_geam_ex_operation_.num_vgpr, 225
	.set _ZN12_GLOBAL__N_120geam_min_plus_kernelId15HIP_vector_typeIdLj2EEdLi32ELi8ELi256ELi64ELi4ELi64ELi4ELi4ELi64ELc78ELc78ELb0ELb1ELb1EdKPKdKPdEEviiiT16_PT17_ilSA_ilS8_SA_ilPT18_ili26rocblas_geam_ex_operation_.num_agpr, 0
	.set _ZN12_GLOBAL__N_120geam_min_plus_kernelId15HIP_vector_typeIdLj2EEdLi32ELi8ELi256ELi64ELi4ELi64ELi4ELi4ELi64ELc78ELc78ELb0ELb1ELb1EdKPKdKPdEEviiiT16_PT17_ilSA_ilS8_SA_ilPT18_ili26rocblas_geam_ex_operation_.numbered_sgpr, 42
	.set _ZN12_GLOBAL__N_120geam_min_plus_kernelId15HIP_vector_typeIdLj2EEdLi32ELi8ELi256ELi64ELi4ELi64ELi4ELi4ELi64ELc78ELc78ELb0ELb1ELb1EdKPKdKPdEEviiiT16_PT17_ilSA_ilS8_SA_ilPT18_ili26rocblas_geam_ex_operation_.num_named_barrier, 0
	.set _ZN12_GLOBAL__N_120geam_min_plus_kernelId15HIP_vector_typeIdLj2EEdLi32ELi8ELi256ELi64ELi4ELi64ELi4ELi4ELi64ELc78ELc78ELb0ELb1ELb1EdKPKdKPdEEviiiT16_PT17_ilSA_ilS8_SA_ilPT18_ili26rocblas_geam_ex_operation_.private_seg_size, 0
	.set _ZN12_GLOBAL__N_120geam_min_plus_kernelId15HIP_vector_typeIdLj2EEdLi32ELi8ELi256ELi64ELi4ELi64ELi4ELi4ELi64ELc78ELc78ELb0ELb1ELb1EdKPKdKPdEEviiiT16_PT17_ilSA_ilS8_SA_ilPT18_ili26rocblas_geam_ex_operation_.uses_vcc, 1
	.set _ZN12_GLOBAL__N_120geam_min_plus_kernelId15HIP_vector_typeIdLj2EEdLi32ELi8ELi256ELi64ELi4ELi64ELi4ELi4ELi64ELc78ELc78ELb0ELb1ELb1EdKPKdKPdEEviiiT16_PT17_ilSA_ilS8_SA_ilPT18_ili26rocblas_geam_ex_operation_.uses_flat_scratch, 0
	.set _ZN12_GLOBAL__N_120geam_min_plus_kernelId15HIP_vector_typeIdLj2EEdLi32ELi8ELi256ELi64ELi4ELi64ELi4ELi4ELi64ELc78ELc78ELb0ELb1ELb1EdKPKdKPdEEviiiT16_PT17_ilSA_ilS8_SA_ilPT18_ili26rocblas_geam_ex_operation_.has_dyn_sized_stack, 0
	.set _ZN12_GLOBAL__N_120geam_min_plus_kernelId15HIP_vector_typeIdLj2EEdLi32ELi8ELi256ELi64ELi4ELi64ELi4ELi4ELi64ELc78ELc78ELb0ELb1ELb1EdKPKdKPdEEviiiT16_PT17_ilSA_ilS8_SA_ilPT18_ili26rocblas_geam_ex_operation_.has_recursion, 0
	.set _ZN12_GLOBAL__N_120geam_min_plus_kernelId15HIP_vector_typeIdLj2EEdLi32ELi8ELi256ELi64ELi4ELi64ELi4ELi4ELi64ELc78ELc78ELb0ELb1ELb1EdKPKdKPdEEviiiT16_PT17_ilSA_ilS8_SA_ilPT18_ili26rocblas_geam_ex_operation_.has_indirect_call, 0
	.section	.AMDGPU.csdata,"",@progbits
; Kernel info:
; codeLenInByte = 26868
; TotalNumSgprs: 48
; NumVgprs: 225
; NumAgprs: 0
; TotalNumVgprs: 225
; ScratchSize: 0
; MemoryBound: 1
; FloatMode: 240
; IeeeMode: 1
; LDSByteSize: 20480 bytes/workgroup (compile time only)
; SGPRBlocks: 5
; VGPRBlocks: 28
; NumSGPRsForWavesPerEU: 48
; NumVGPRsForWavesPerEU: 225
; AccumOffset: 228
; Occupancy: 2
; WaveLimiterHint : 1
; COMPUTE_PGM_RSRC2:SCRATCH_EN: 0
; COMPUTE_PGM_RSRC2:USER_SGPR: 2
; COMPUTE_PGM_RSRC2:TRAP_HANDLER: 0
; COMPUTE_PGM_RSRC2:TGID_X_EN: 1
; COMPUTE_PGM_RSRC2:TGID_Y_EN: 0
; COMPUTE_PGM_RSRC2:TGID_Z_EN: 1
; COMPUTE_PGM_RSRC2:TIDIG_COMP_CNT: 1
; COMPUTE_PGM_RSRC3_GFX90A:ACCUM_OFFSET: 56
; COMPUTE_PGM_RSRC3_GFX90A:TG_SPLIT: 0
	.section	.text._ZN12_GLOBAL__N_120geam_min_plus_kernelId15HIP_vector_typeIdLj2EEdLi32ELi8ELi128ELi128ELi4ELi4ELi64ELi4ELi64ELc84ELc78ELb0ELb0ELb1EPKdKS4_KPdEEviiiT16_PT17_ilSA_ilS8_SA_ilPT18_ili26rocblas_geam_ex_operation_,"axG",@progbits,_ZN12_GLOBAL__N_120geam_min_plus_kernelId15HIP_vector_typeIdLj2EEdLi32ELi8ELi128ELi128ELi4ELi4ELi64ELi4ELi64ELc84ELc78ELb0ELb0ELb1EPKdKS4_KPdEEviiiT16_PT17_ilSA_ilS8_SA_ilPT18_ili26rocblas_geam_ex_operation_,comdat
	.globl	_ZN12_GLOBAL__N_120geam_min_plus_kernelId15HIP_vector_typeIdLj2EEdLi32ELi8ELi128ELi128ELi4ELi4ELi64ELi4ELi64ELc84ELc78ELb0ELb0ELb1EPKdKS4_KPdEEviiiT16_PT17_ilSA_ilS8_SA_ilPT18_ili26rocblas_geam_ex_operation_ ; -- Begin function _ZN12_GLOBAL__N_120geam_min_plus_kernelId15HIP_vector_typeIdLj2EEdLi32ELi8ELi128ELi128ELi4ELi4ELi64ELi4ELi64ELc84ELc78ELb0ELb0ELb1EPKdKS4_KPdEEviiiT16_PT17_ilSA_ilS8_SA_ilPT18_ili26rocblas_geam_ex_operation_
	.p2align	8
	.type	_ZN12_GLOBAL__N_120geam_min_plus_kernelId15HIP_vector_typeIdLj2EEdLi32ELi8ELi128ELi128ELi4ELi4ELi64ELi4ELi64ELc84ELc78ELb0ELb0ELb1EPKdKS4_KPdEEviiiT16_PT17_ilSA_ilS8_SA_ilPT18_ili26rocblas_geam_ex_operation_,@function
_ZN12_GLOBAL__N_120geam_min_plus_kernelId15HIP_vector_typeIdLj2EEdLi32ELi8ELi128ELi128ELi4ELi4ELi64ELi4ELi64ELc84ELc78ELb0ELb0ELb1EPKdKS4_KPdEEviiiT16_PT17_ilSA_ilS8_SA_ilPT18_ili26rocblas_geam_ex_operation_: ; @_ZN12_GLOBAL__N_120geam_min_plus_kernelId15HIP_vector_typeIdLj2EEdLi32ELi8ELi128ELi128ELi4ELi4ELi64ELi4ELi64ELc84ELc78ELb0ELb0ELb1EPKdKS4_KPdEEviiiT16_PT17_ilSA_ilS8_SA_ilPT18_ili26rocblas_geam_ex_operation_
; %bb.0:
	s_load_dwordx4 s[4:7], s[0:1], 0x10
	s_load_dwordx4 s[12:15], s[0:1], 0x28
	;; [unrolled: 1-line block ×3, first 2 shown]
	s_mov_b32 s16, s3
	s_mov_b32 s17, 0
	s_lshl_b64 s[24:25], s[16:17], 3
	s_waitcnt lgkmcnt(0)
	s_add_u32 s4, s4, s24
	s_addc_u32 s5, s5, s25
	s_load_dwordx2 s[18:19], s[4:5], 0x0
	s_load_dwordx2 s[26:27], s[0:1], 0x50
	s_add_u32 s10, s10, s24
	s_addc_u32 s11, s11, s25
	s_mov_b64 s[22:23], 0
	s_waitcnt lgkmcnt(0)
	v_cmp_eq_f64_e64 s[4:5], s[18:19], 0
	s_and_b64 s[4:5], exec, s[4:5]
	v_cmp_neq_f64_e64 s[16:17], s[18:19], 0
	s_mov_b64 s[20:21], 0
	s_mov_b64 vcc, s[4:5]
	s_cbranch_vccnz .LBB111_2
; %bb.1:
	s_add_u32 s6, s6, s24
	s_addc_u32 s7, s7, s25
	s_load_dwordx2 s[6:7], s[6:7], 0x0
	s_lshl_b64 s[12:13], s[12:13], 3
	s_waitcnt lgkmcnt(0)
	s_add_u32 s20, s6, s12
	s_addc_u32 s21, s7, s13
.LBB111_2:
	s_load_dwordx2 s[10:11], s[10:11], 0x0
	v_cndmask_b32_e64 v1, 0, 1, s[16:17]
	v_cmp_ne_u32_e64 s[6:7], 1, v1
	s_andn2_b64 vcc, exec, s[16:17]
	s_cbranch_vccnz .LBB111_4
; %bb.3:
	s_add_u32 s12, s14, s24
	s_addc_u32 s13, s15, s25
	s_load_dwordx2 s[12:13], s[12:13], 0x0
	s_lshl_b64 s[8:9], s[8:9], 3
	s_waitcnt lgkmcnt(0)
	s_add_u32 s22, s12, s8
	s_addc_u32 s23, s13, s9
.LBB111_4:
	s_load_dwordx4 s[12:15], s[0:1], 0x60
	s_waitcnt lgkmcnt(0)
	v_cmp_eq_f64_e64 s[8:9], s[10:11], 0
	s_and_b64 s[8:9], exec, s[8:9]
	s_mov_b64 s[16:17], 0
	s_mov_b64 vcc, s[8:9]
	s_cbranch_vccnz .LBB111_6
; %bb.5:
	s_add_u32 s16, s26, s24
	s_addc_u32 s17, s27, s25
	s_load_dwordx2 s[16:17], s[16:17], 0x0
	s_lshl_b64 s[12:13], s[12:13], 3
	s_waitcnt lgkmcnt(0)
	s_add_u32 s16, s16, s12
	s_addc_u32 s17, s17, s13
.LBB111_6:
	s_load_dword s3, s[0:1], 0x0
	s_load_dword s26, s[0:1], 0x20
	s_add_u32 s12, s14, s24
	s_addc_u32 s13, s15, s25
	v_and_b32_e32 v176, 0x3ff, v0
	s_waitcnt lgkmcnt(0)
	s_add_i32 s3, s3, -1
	s_ashr_i32 s14, s3, 31
	s_lshr_b32 s14, s14, 25
	s_add_i32 s3, s3, s14
	s_ashr_i32 s3, s3, 7
	s_add_i32 s14, s3, 1
	v_cvt_f32_u32_e32 v1, s14
	v_bfe_u32 v177, v0, 10, 10
	v_and_b32_e32 v12, 3, v0
	s_not_b32 s3, s3
	v_rcp_iflag_f32_e32 v2, v1
	v_lshl_add_u32 v3, v177, 5, v176
	v_mov_b32_e32 v1, 0
	v_lshrrev_b32_e32 v13, 2, v3
	v_mul_f32_e32 v0, 0x4f7ffffe, v2
	v_cvt_u32_f32_e32 v2, v0
	v_lshlrev_b32_e32 v0, 3, v12
	v_lshl_add_u64 v[4:5], s[20:21], 0, v[0:1]
	v_readfirstlane_b32 s15, v2
	s_mul_i32 s3, s3, s15
	s_mul_hi_u32 s3, s15, s3
	s_add_i32 s15, s15, s3
	s_mul_hi_u32 s3, s2, s15
	s_mul_i32 s15, s3, s14
	s_sub_i32 s15, s2, s15
	s_add_i32 s24, s3, 1
	s_sub_i32 s25, s15, s14
	s_cmp_ge_u32 s15, s14
	s_cselect_b32 s3, s24, s3
	s_cselect_b32 s15, s25, s15
	s_add_i32 s24, s3, 1
	s_cmp_ge_u32 s15, s14
	s_cselect_b32 s3, s24, s3
	s_mul_i32 s14, s3, s14
	s_sub_i32 s2, s2, s14
	s_lshl_b32 s14, s2, 7
	v_add_u32_e32 v108, s14, v13
	s_and_b64 vcc, exec, s[6:7]
	s_cbranch_vccnz .LBB111_9
; %bb.7:
	v_mad_i64_i32 v[2:3], s[24:25], v108, s26, 0
	v_lshl_add_u64 v[2:3], v[2:3], 3, v[4:5]
	flat_load_dwordx2 v[2:3], v[2:3]
	s_waitcnt vmcnt(0) lgkmcnt(0)
	v_mul_f64 v[2:3], s[18:19], v[2:3]
	s_load_dword s25, s[0:1], 0x38
	s_lshl_b32 s15, s3, 7
	s_mov_b64 vcc, s[4:5]
	s_cbranch_vccz .LBB111_10
.LBB111_8:
	s_mov_b32 s2, 0
	v_mov_b32_e32 v6, s2
	v_mov_b32_e32 v7, s2
	s_mov_b64 s[2:3], 0
	s_branch .LBB111_11
.LBB111_9:
	v_mov_b64_e32 v[2:3], 0
	s_load_dword s25, s[0:1], 0x38
	s_lshl_b32 s15, s3, 7
	s_mov_b64 vcc, s[4:5]
	s_cbranch_vccnz .LBB111_8
.LBB111_10:
	s_mov_b64 s[2:3], -1
                                        ; implicit-def: $vgpr6_vgpr7
.LBB111_11:
	v_add_u32_e32 v110, s15, v13
	v_mov_b64_e32 v[100:101], 0
	s_andn2_b64 vcc, exec, s[2:3]
	v_add_u32_e32 v109, 64, v108
	v_add_u32_e32 v111, 64, v110
	v_mov_b64_e32 v[8:9], 0
	v_mov_b64_e32 v[10:11], 0
	s_cbranch_vccnz .LBB111_13
; %bb.12:
	v_mov_b32_e32 v1, 0
	v_mad_i64_i32 v[6:7], s[2:3], v109, s26, 0
	v_lshl_add_u64 v[8:9], s[22:23], 0, v[0:1]
	s_waitcnt lgkmcnt(0)
	v_mad_i64_i32 v[10:11], s[2:3], v110, s25, 0
	v_lshl_add_u64 v[6:7], v[6:7], 3, v[4:5]
	v_lshl_add_u64 v[10:11], v[10:11], 3, v[8:9]
	v_mad_i64_i32 v[14:15], s[2:3], v111, s25, 0
	flat_load_dwordx2 v[6:7], v[6:7]
	v_lshl_add_u64 v[8:9], v[14:15], 3, v[8:9]
	flat_load_dwordx2 v[14:15], v[10:11]
	flat_load_dwordx2 v[16:17], v[8:9]
	s_waitcnt vmcnt(0) lgkmcnt(0)
	v_mul_f64 v[6:7], s[18:19], v[6:7]
	v_mul_f64 v[10:11], s[18:19], v[14:15]
	;; [unrolled: 1-line block ×3, first 2 shown]
.LBB111_13:
	s_and_b64 vcc, exec, s[6:7]
	s_cbranch_vccnz .LBB111_15
; %bb.14:
	v_mad_i64_i32 v[14:15], s[2:3], v108, s26, 0
	v_lshl_add_u64 v[14:15], v[14:15], 3, v[4:5]
	flat_load_dwordx2 v[14:15], v[14:15] offset:32
	s_waitcnt vmcnt(0) lgkmcnt(0)
	v_mul_f64 v[100:101], s[18:19], v[14:15]
.LBB111_15:
	s_mov_b64 vcc, s[4:5]
	s_cbranch_vccz .LBB111_17
; %bb.16:
	s_mov_b32 s2, 0
	v_mov_b32_e32 v102, s2
	v_mov_b32_e32 v103, s2
	v_mov_b64_e32 v[104:105], 0
	v_mov_b64_e32 v[106:107], 0
	s_cbranch_execz .LBB111_18
	s_branch .LBB111_19
.LBB111_17:
                                        ; implicit-def: $vgpr102_vgpr103
	v_mov_b64_e32 v[104:105], 0
	v_mov_b64_e32 v[106:107], 0
.LBB111_18:
	v_mad_i64_i32 v[14:15], s[2:3], v109, s26, 0
	v_mov_b32_e32 v1, 0
	v_lshl_add_u64 v[4:5], v[14:15], 3, v[4:5]
	v_lshl_add_u64 v[0:1], s[22:23], 0, v[0:1]
	s_waitcnt lgkmcnt(0)
	v_mad_i64_i32 v[14:15], s[2:3], v110, s25, 0
	v_lshl_add_u64 v[14:15], v[14:15], 3, v[0:1]
	v_mad_i64_i32 v[16:17], s[2:3], v111, s25, 0
	flat_load_dwordx2 v[4:5], v[4:5] offset:32
	v_lshl_add_u64 v[0:1], v[16:17], 3, v[0:1]
	flat_load_dwordx2 v[16:17], v[14:15] offset:32
	flat_load_dwordx2 v[18:19], v[0:1] offset:32
	s_waitcnt vmcnt(0) lgkmcnt(0)
	v_mul_f64 v[102:103], s[18:19], v[4:5]
	v_mul_f64 v[106:107], s[18:19], v[16:17]
	;; [unrolled: 1-line block ×3, first 2 shown]
.LBB111_19:
	v_lshlrev_b32_e32 v0, 5, v13
	v_lshl_or_b32 v195, v12, 3, v0
	v_lshlrev_b32_e32 v191, 5, v176
	s_load_dwordx2 s[2:3], s[12:13], 0x0
	s_load_dword s24, s[0:1], 0x8
	ds_write2st64_b64 v195, v[2:3], v[6:7] offset1:4
	ds_write2st64_b64 v195, v[10:11], v[8:9] offset0:16 offset1:20
	s_waitcnt lgkmcnt(0)
	s_barrier
	v_lshlrev_b32_e32 v178, 5, v177
	ds_read_b128 v[16:19], v191 offset:1024
	ds_read_b128 v[12:15], v191 offset:2048
	ds_read_b128 v[8:11], v191 offset:3072
	ds_read_b128 v[92:95], v178 offset:8448
	ds_read_b128 v[88:91], v178 offset:8704
	ds_read_b128 v[84:87], v178 offset:8960
	ds_read_b128 v[80:83], v178 offset:9216
	ds_read_b128 v[76:79], v178 offset:9472
	ds_read_b128 v[72:75], v178 offset:9728
	ds_read_b128 v[68:71], v178 offset:9984
	ds_read_b128 v[64:67], v178 offset:10240
	ds_read_b128 v[60:63], v178 offset:10496
	ds_read_b128 v[44:47], v178 offset:10752
	ds_read_b128 v[40:43], v178 offset:11008
	ds_read_b128 v[36:39], v178 offset:11264
	ds_read_b128 v[32:35], v178 offset:11520
	ds_read_b128 v[24:27], v191
	ds_read_b128 v[96:99], v178 offset:8192
	ds_read_b128 v[28:31], v178 offset:11776
	;; [unrolled: 1-line block ×5, first 2 shown]
	s_waitcnt lgkmcnt(5)
	v_add_f64 v[114:115], v[26:27], v[94:95]
	v_add_f64 v[116:117], v[24:25], v[92:93]
	s_mov_b32 s12, 0x7f800000
	v_cvt_f32_f64_e32 v113, v[116:117]
	v_cvt_f32_f64_e32 v114, v[114:115]
	v_min3_f32 v172, v113, v114, s12
	v_add_f64 v[114:115], v[18:19], v[94:95]
	v_add_f64 v[116:117], v[16:17], v[92:93]
	v_cvt_f32_f64_e32 v113, v[116:117]
	v_cvt_f32_f64_e32 v114, v[114:115]
	v_min3_f32 v173, v113, v114, s12
	v_add_f64 v[114:115], v[14:15], v[94:95]
	v_add_f64 v[116:117], v[12:13], v[92:93]
	;; [unrolled: 5-line block ×36, first 2 shown]
	s_waitcnt lgkmcnt(4)
	v_add_f64 v[48:49], v[26:27], v[98:99]
	v_add_f64 v[50:51], v[24:25], v[96:97]
	v_cvt_f32_f64_e32 v113, v[116:117]
	v_cvt_f32_f64_e32 v114, v[114:115]
	v_cvt_f32_f64_e32 v50, v[50:51]
	v_cvt_f32_f64_e32 v48, v[48:49]
	v_min3_f32 v122, v113, v114, s12
	v_add_f64 v[114:115], v[18:19], v[34:35]
	v_add_f64 v[116:117], v[16:17], v[32:33]
	v_min3_f32 v112, v50, v48, s12
	v_add_f64 v[48:49], v[18:19], v[98:99]
	v_add_f64 v[50:51], v[16:17], v[96:97]
	v_cvt_f32_f64_e32 v113, v[116:117]
	v_cvt_f32_f64_e32 v114, v[114:115]
	v_cvt_f32_f64_e32 v50, v[50:51]
	v_cvt_f32_f64_e32 v48, v[48:49]
	v_min3_f32 v120, v113, v114, s12
	v_add_f64 v[114:115], v[14:15], v[34:35]
	v_add_f64 v[116:117], v[12:13], v[32:33]
	ds_read_b128 v[52:55], v191 offset:1040
	v_min3_f32 v165, v50, v48, s12
	v_add_f64 v[48:49], v[14:15], v[98:99]
	v_add_f64 v[50:51], v[12:13], v[96:97]
	v_cvt_f32_f64_e32 v113, v[116:117]
	v_cvt_f32_f64_e32 v114, v[114:115]
	s_waitcnt lgkmcnt(4)
	v_add_f64 v[166:167], v[26:27], v[30:31]
	v_add_f64 v[168:169], v[24:25], v[28:29]
	v_cvt_f32_f64_e32 v50, v[50:51]
	v_cvt_f32_f64_e32 v48, v[48:49]
	v_min3_f32 v117, v113, v114, s12
	v_cvt_f32_f64_e32 v113, v[168:169]
	v_cvt_f32_f64_e32 v114, v[166:167]
	v_add_f64 v[166:167], v[18:19], v[30:31]
	v_add_f64 v[168:169], v[16:17], v[28:29]
	ds_read_b128 v[56:59], v191 offset:2064
	v_min3_f32 v170, v50, v48, s12
	ds_read_b128 v[48:51], v191 offset:3088
	v_add_f64 v[98:99], v[10:11], v[98:99]
	v_add_f64 v[96:97], v[8:9], v[96:97]
	;; [unrolled: 1-line block ×28, first 2 shown]
	v_min3_f32 v118, v113, v114, s12
	v_cvt_f32_f64_e32 v113, v[168:169]
	v_cvt_f32_f64_e32 v114, v[166:167]
	v_add_f64 v[166:167], v[14:15], v[30:31]
	v_add_f64 v[168:169], v[12:13], v[28:29]
	v_add_f64 v[30:31], v[10:11], v[30:31]
	v_add_f64 v[28:29], v[8:9], v[28:29]
	s_waitcnt lgkmcnt(5)
	v_add_f64 v[14:15], v[14:15], v[22:23]
	v_add_f64 v[12:13], v[12:13], v[20:21]
	;; [unrolled: 1-line block ×4, first 2 shown]
	v_cvt_f32_f64_e32 v96, v[96:97]
	v_cvt_f32_f64_e32 v97, v[98:99]
	;; [unrolled: 1-line block ×6, first 2 shown]
	s_waitcnt lgkmcnt(3)
	v_add_f64 v[10:11], v[2:3], v[6:7]
	v_add_f64 v[14:15], v[0:1], v[4:5]
	v_min3_f32 v171, v96, v97, s12
	ds_read_b128 v[96:99], v178 offset:8464
	v_min3_f32 v116, v113, v114, s12
	v_cvt_f32_f64_e32 v113, v[168:169]
	v_cvt_f32_f64_e32 v114, v[166:167]
	;; [unrolled: 1-line block ×4, first 2 shown]
	v_min3_f32 v8, v8, v9, s12
	v_cvt_f32_f64_e32 v9, v[14:15]
	v_cvt_f32_f64_e32 v10, v[10:11]
	v_min3_f32 v114, v113, v114, s12
	v_min3_f32 v113, v28, v29, s12
	ds_read_b128 v[28:31], v178 offset:12048
	v_min3_f32 v192, v9, v10, v112
	s_waitcnt lgkmcnt(4)
	v_add_f64 v[10:11], v[54:55], v[6:7]
	v_add_f64 v[14:15], v[52:53], v[4:5]
	v_cvt_f32_f64_e32 v9, v[14:15]
	v_cvt_f32_f64_e32 v10, v[10:11]
	v_min3_f32 v188, v9, v10, v165
	s_waitcnt lgkmcnt(3)
	v_add_f64 v[10:11], v[58:59], v[6:7]
	v_add_f64 v[14:15], v[56:57], v[4:5]
	s_waitcnt lgkmcnt(2)
	v_add_f64 v[6:7], v[50:51], v[6:7]
	v_add_f64 v[4:5], v[48:49], v[4:5]
	v_cvt_f32_f64_e32 v92, v[92:93]
	v_cvt_f32_f64_e32 v93, v[94:95]
	v_cvt_f32_f64_e32 v4, v[4:5]
	v_cvt_f32_f64_e32 v5, v[6:7]
	v_min3_f32 v163, v92, v93, s12
	ds_read_b128 v[92:95], v178 offset:8720
	v_min3_f32 v189, v4, v5, v171
	s_waitcnt lgkmcnt(2)
	v_add_f64 v[4:5], v[2:3], v[98:99]
	v_add_f64 v[6:7], v[0:1], v[96:97]
	v_cvt_f32_f64_e32 v6, v[6:7]
	v_cvt_f32_f64_e32 v4, v[4:5]
	v_min3_f32 v255, v6, v4, v172
	v_add_f64 v[4:5], v[54:55], v[98:99]
	v_add_f64 v[6:7], v[52:53], v[96:97]
	v_cvt_f32_f64_e32 v6, v[6:7]
	v_cvt_f32_f64_e32 v4, v[4:5]
	v_min3_f32 v254, v6, v4, v173
	v_add_f64 v[4:5], v[58:59], v[98:99]
	v_add_f64 v[6:7], v[56:57], v[96:97]
	v_cvt_f32_f64_e32 v6, v[6:7]
	v_cvt_f32_f64_e32 v4, v[4:5]
	v_min3_f32 v253, v6, v4, v174
	v_add_f64 v[4:5], v[50:51], v[98:99]
	v_add_f64 v[6:7], v[48:49], v[96:97]
	v_cvt_f32_f64_e32 v6, v[6:7]
	v_cvt_f32_f64_e32 v4, v[4:5]
	v_min3_f32 v249, v6, v4, v163
	s_waitcnt lgkmcnt(0)
	v_add_f64 v[4:5], v[2:3], v[94:95]
	v_add_f64 v[6:7], v[0:1], v[92:93]
	v_cvt_f32_f64_e32 v6, v[6:7]
	v_cvt_f32_f64_e32 v4, v[4:5]
	v_cvt_f32_f64_e32 v88, v[88:89]
	v_cvt_f32_f64_e32 v89, v[90:91]
	v_min3_f32 v248, v6, v4, v175
	v_add_f64 v[4:5], v[54:55], v[94:95]
	v_add_f64 v[6:7], v[52:53], v[92:93]
	v_min3_f32 v159, v88, v89, s12
	ds_read_b128 v[88:91], v178 offset:8976
	v_cvt_f32_f64_e32 v6, v[6:7]
	v_cvt_f32_f64_e32 v4, v[4:5]
	v_min3_f32 v247, v6, v4, v164
	v_add_f64 v[4:5], v[58:59], v[94:95]
	v_add_f64 v[6:7], v[56:57], v[92:93]
	v_cvt_f32_f64_e32 v6, v[6:7]
	v_cvt_f32_f64_e32 v4, v[4:5]
	v_min3_f32 v246, v6, v4, v161
	v_add_f64 v[4:5], v[50:51], v[94:95]
	v_add_f64 v[6:7], v[48:49], v[92:93]
	v_cvt_f32_f64_e32 v84, v[84:85]
	v_cvt_f32_f64_e32 v85, v[86:87]
	v_cvt_f32_f64_e32 v6, v[6:7]
	v_cvt_f32_f64_e32 v4, v[4:5]
	v_min3_f32 v155, v84, v85, s12
	ds_read_b128 v[84:87], v178 offset:9232
	v_min3_f32 v245, v6, v4, v159
	s_waitcnt lgkmcnt(1)
	v_add_f64 v[4:5], v[2:3], v[90:91]
	v_add_f64 v[6:7], v[0:1], v[88:89]
	v_cvt_f32_f64_e32 v6, v[6:7]
	v_cvt_f32_f64_e32 v4, v[4:5]
	v_min3_f32 v244, v6, v4, v162
	v_add_f64 v[4:5], v[54:55], v[90:91]
	v_add_f64 v[6:7], v[52:53], v[88:89]
	v_cvt_f32_f64_e32 v6, v[6:7]
	v_cvt_f32_f64_e32 v4, v[4:5]
	v_min3_f32 v243, v6, v4, v160
	v_add_f64 v[4:5], v[58:59], v[90:91]
	v_add_f64 v[6:7], v[56:57], v[88:89]
	v_cvt_f32_f64_e32 v6, v[6:7]
	v_cvt_f32_f64_e32 v4, v[4:5]
	v_min3_f32 v242, v6, v4, v157
	v_add_f64 v[4:5], v[50:51], v[90:91]
	v_add_f64 v[6:7], v[48:49], v[88:89]
	v_cvt_f32_f64_e32 v6, v[6:7]
	v_cvt_f32_f64_e32 v4, v[4:5]
	v_min3_f32 v241, v6, v4, v155
	s_waitcnt lgkmcnt(0)
	v_add_f64 v[4:5], v[2:3], v[86:87]
	v_add_f64 v[6:7], v[0:1], v[84:85]
	v_cvt_f32_f64_e32 v6, v[6:7]
	v_cvt_f32_f64_e32 v4, v[4:5]
	v_cvt_f32_f64_e32 v80, v[80:81]
	v_cvt_f32_f64_e32 v81, v[82:83]
	v_min3_f32 v240, v6, v4, v158
	v_add_f64 v[4:5], v[54:55], v[86:87]
	v_add_f64 v[6:7], v[52:53], v[84:85]
	v_min3_f32 v151, v80, v81, s12
	ds_read_b128 v[80:83], v178 offset:9488
	v_cvt_f32_f64_e32 v6, v[6:7]
	v_cvt_f32_f64_e32 v4, v[4:5]
	v_min3_f32 v239, v6, v4, v156
	v_add_f64 v[4:5], v[58:59], v[86:87]
	v_add_f64 v[6:7], v[56:57], v[84:85]
	v_cvt_f32_f64_e32 v6, v[6:7]
	v_cvt_f32_f64_e32 v4, v[4:5]
	v_min3_f32 v238, v6, v4, v153
	;; [unrolled: 50-line block ×6, first 2 shown]
	v_add_f64 v[4:5], v[50:51], v[42:43]
	v_add_f64 v[6:7], v[48:49], v[40:41]
	v_cvt_f32_f64_e32 v32, v[32:33]
	v_cvt_f32_f64_e32 v33, v[34:35]
	;; [unrolled: 1-line block ×4, first 2 shown]
	v_min3_f32 v115, v32, v33, s12
	ds_read_b128 v[32:35], v178 offset:11792
	v_min3_f32 v205, v6, v4, v119
	s_waitcnt lgkmcnt(1)
	v_add_f64 v[4:5], v[2:3], v[38:39]
	v_add_f64 v[6:7], v[0:1], v[36:37]
	v_cvt_f32_f64_e32 v6, v[6:7]
	v_cvt_f32_f64_e32 v4, v[4:5]
	v_min3_f32 v204, v6, v4, v122
	v_add_f64 v[4:5], v[54:55], v[38:39]
	v_add_f64 v[6:7], v[52:53], v[36:37]
	v_cvt_f32_f64_e32 v6, v[6:7]
	v_cvt_f32_f64_e32 v4, v[4:5]
	v_min3_f32 v203, v6, v4, v120
	v_add_f64 v[4:5], v[58:59], v[38:39]
	v_add_f64 v[6:7], v[56:57], v[36:37]
	v_cvt_f32_f64_e32 v6, v[6:7]
	v_cvt_f32_f64_e32 v4, v[4:5]
	v_min3_f32 v202, v6, v4, v117
	v_add_f64 v[4:5], v[50:51], v[38:39]
	v_add_f64 v[6:7], v[48:49], v[36:37]
	;; [unrolled: 1-line block ×4, first 2 shown]
	v_cvt_f32_f64_e32 v6, v[6:7]
	v_cvt_f32_f64_e32 v4, v[4:5]
	;; [unrolled: 1-line block ×4, first 2 shown]
	v_min3_f32 v201, v6, v4, v115
	s_waitcnt lgkmcnt(0)
	v_add_f64 v[4:5], v[2:3], v[34:35]
	v_add_f64 v[6:7], v[0:1], v[32:33]
	;; [unrolled: 1-line block ×4, first 2 shown]
	v_min3_f32 v24, v24, v25, s12
	v_add_f64 v[18:19], v[18:19], v[22:23]
	v_add_f64 v[16:17], v[16:17], v[20:21]
	v_cvt_f32_f64_e32 v6, v[6:7]
	v_cvt_f32_f64_e32 v4, v[4:5]
	;; [unrolled: 1-line block ×6, first 2 shown]
	v_min3_f32 v200, v6, v4, v118
	v_add_f64 v[4:5], v[54:55], v[34:35]
	v_add_f64 v[6:7], v[52:53], v[32:33]
	v_min3_f32 v196, v0, v1, v24
	v_add_f64 v[0:1], v[54:55], v[30:31]
	v_add_f64 v[2:3], v[52:53], v[28:29]
	v_min3_f32 v16, v16, v17, s12
	v_cvt_f32_f64_e32 v6, v[6:7]
	v_cvt_f32_f64_e32 v4, v[4:5]
	;; [unrolled: 1-line block ×4, first 2 shown]
	v_min3_f32 v199, v6, v4, v116
	v_add_f64 v[4:5], v[58:59], v[34:35]
	v_add_f64 v[6:7], v[56:57], v[32:33]
	v_min3_f32 v194, v2, v0, v16
	v_add_f64 v[0:1], v[58:59], v[30:31]
	v_add_f64 v[2:3], v[56:57], v[28:29]
	v_min3_f32 v12, v12, v13, s12
	v_cvt_f32_f64_e32 v6, v[6:7]
	v_cvt_f32_f64_e32 v4, v[4:5]
	;; [unrolled: 1-line block ×4, first 2 shown]
	v_min3_f32 v198, v6, v4, v114
	v_add_f64 v[4:5], v[50:51], v[34:35]
	v_add_f64 v[6:7], v[48:49], v[32:33]
	v_min3_f32 v193, v2, v0, v12
	v_add_f64 v[0:1], v[50:51], v[30:31]
	v_add_f64 v[2:3], v[48:49], v[28:29]
	v_cvt_f32_f64_e32 v9, v[14:15]
	v_cvt_f32_f64_e32 v10, v[10:11]
	;; [unrolled: 1-line block ×6, first 2 shown]
	v_min3_f32 v190, v9, v10, v170
	v_min3_f32 v197, v6, v4, v113
	;; [unrolled: 1-line block ×3, first 2 shown]
	s_cmp_lt_i32 s24, 9
	ds_write2st64_b64 v195, v[100:101], v[102:103] offset0:8 offset1:12
	ds_write2st64_b64 v195, v[106:107], v[104:105] offset0:24 offset1:28
	s_waitcnt lgkmcnt(0)
	s_barrier
	s_cbranch_scc1 .LBB111_35
; %bb.20:
	v_mov_b32_e32 v0, 0x1000
	v_lshl_add_u32 v251, v176, 5, v0
	v_mov_b32_e32 v0, 0x3000
	v_lshl_add_u32 v252, v177, 5, v0
	v_and_b32_e32 v0, 3, v176
	v_lshlrev_b32_e32 v164, 3, v0
	v_mad_i64_i32 v[0:1], s[12:13], s25, v111, 0
	v_lshl_add_u64 v[166:167], v[0:1], 3, s[22:23]
	v_mad_i64_i32 v[0:1], s[12:13], s25, v110, 0
	v_lshl_add_u64 v[168:169], v[0:1], 3, s[22:23]
	;; [unrolled: 2-line block ×3, first 2 shown]
	v_mad_i64_i32 v[0:1], s[12:13], s26, v108, 0
	v_accvgpr_write_b32 a2, v178
	v_add_u32_e32 v250, 0x2000, v178
	s_add_i32 s24, s24, -8
	v_accvgpr_write_b32 a1, v177
	v_accvgpr_write_b32 a0, v176
	v_mov_b32_e32 v165, 0
	v_lshl_add_u64 v[172:173], v[0:1], 3, s[20:21]
	s_mov_b32 s20, 0
	s_mov_b32 s21, 0
	s_branch .LBB111_22
.LBB111_21:                             ;   in Loop: Header=BB111_22 Depth=1
	v_add_f64 v[2:3], v[96:97], v[160:161]
	v_cvt_f32_f64_e32 v180, v[2:3]
	v_add_f64 v[2:3], v[98:99], v[162:163]
	v_cvt_f32_f64_e32 v2, v[2:3]
	v_min3_f32 v180, v180, v2, v192
	v_add_f64 v[2:3], v[92:93], v[160:161]
	v_cvt_f32_f64_e32 v181, v[2:3]
	v_add_f64 v[2:3], v[94:95], v[162:163]
	v_cvt_f32_f64_e32 v2, v[2:3]
	v_min3_f32 v181, v181, v2, v188
	;; [unrolled: 5-line block ×3, first 2 shown]
	v_add_f64 v[2:3], v[86:87], v[162:163]
	v_add_f64 v[160:161], v[84:85], v[160:161]
	v_cvt_f32_f64_e32 v160, v[160:161]
	v_cvt_f32_f64_e32 v2, v[2:3]
	v_min3_f32 v160, v160, v2, v189
	v_add_f64 v[2:3], v[96:97], v[156:157]
	v_cvt_f32_f64_e32 v161, v[2:3]
	v_add_f64 v[2:3], v[98:99], v[158:159]
	v_cvt_f32_f64_e32 v2, v[2:3]
	v_min3_f32 v161, v161, v2, v255
	v_add_f64 v[2:3], v[92:93], v[156:157]
	v_cvt_f32_f64_e32 v162, v[2:3]
	v_add_f64 v[2:3], v[94:95], v[158:159]
	;; [unrolled: 5-line block ×3, first 2 shown]
	v_cvt_f32_f64_e32 v2, v[2:3]
	v_min3_f32 v163, v163, v2, v253
	v_add_f64 v[2:3], v[86:87], v[158:159]
	v_add_f64 v[156:157], v[84:85], v[156:157]
	v_cvt_f32_f64_e32 v156, v[156:157]
	v_cvt_f32_f64_e32 v2, v[2:3]
	v_min3_f32 v158, v156, v2, v249
	v_add_f64 v[2:3], v[98:99], v[154:155]
	v_add_f64 v[156:157], v[96:97], v[152:153]
	v_cvt_f32_f64_e32 v156, v[156:157]
	;; [unrolled: 5-line block ×57, first 2 shown]
	v_cvt_f32_f64_e32 v2, v[2:3]
	v_accvgpr_read_b32 v3, a3
	v_min3_f32 v86, v84, v2, v3
	v_add_f64 v[2:3], v[18:19], v[82:83]
	v_add_f64 v[84:85], v[16:17], v[80:81]
	v_cvt_f32_f64_e32 v84, v[84:85]
	v_cvt_f32_f64_e32 v2, v[2:3]
	v_min3_f32 v193, v84, v2, v180
	v_add_f64 v[2:3], v[14:15], v[82:83]
	v_add_f64 v[84:85], v[12:13], v[80:81]
	v_cvt_f32_f64_e32 v84, v[84:85]
	v_cvt_f32_f64_e32 v2, v[2:3]
	;; [unrolled: 5-line block ×64, first 2 shown]
	v_min3_f32 v180, v4, v2, v86
	ds_read_b128 v[18:21], v191 offset:1024
	ds_read_b128 v[14:17], v191 offset:2048
	ds_read_b128 v[10:13], v191 offset:3072
	ds_read_b128 v[94:97], v250 offset:256
	ds_read_b128 v[90:93], v250 offset:512
	ds_read_b128 v[86:89], v250 offset:768
	ds_read_b128 v[82:85], v250 offset:1024
	ds_read_b128 v[78:81], v250 offset:1280
	ds_read_b128 v[74:77], v250 offset:1536
	ds_read_b128 v[70:73], v250 offset:1792
	ds_read_b128 v[66:69], v250 offset:2048
	ds_read_b128 v[62:65], v250 offset:2304
	ds_read_b128 v[58:61], v250 offset:2560
	ds_read_b128 v[54:57], v250 offset:2816
	ds_read_b128 v[50:53], v250 offset:3072
	ds_read_b128 v[46:49], v250 offset:3328
	ds_read_b128 v[98:101], v250
	ds_read_b128 v[34:37], v191
	ds_read_b128 v[42:45], v250 offset:3584
	ds_read_b128 v[22:25], v250 offset:3840
	;; [unrolled: 1-line block ×4, first 2 shown]
	s_waitcnt lgkmcnt(5)
	v_add_f64 v[30:31], v[20:21], v[100:101]
	v_add_f64 v[32:33], v[18:19], v[98:99]
	;; [unrolled: 1-line block ×4, first 2 shown]
	s_waitcnt lgkmcnt(4)
	v_add_f64 v[26:27], v[36:37], v[100:101]
	v_add_f64 v[28:29], v[34:35], v[98:99]
	v_cvt_f32_f64_e32 v32, v[32:33]
	v_cvt_f32_f64_e32 v30, v[30:31]
	;; [unrolled: 1-line block ×4, first 2 shown]
	v_add_f64 v[100:101], v[12:13], v[100:101]
	v_add_f64 v[98:99], v[10:11], v[98:99]
	v_min3_f32 v184, v32, v30, v102
	v_min3_f32 v185, v40, v38, v103
	v_cvt_f32_f64_e32 v98, v[98:99]
	v_cvt_f32_f64_e32 v99, v[100:101]
	v_add_f64 v[102:103], v[36:37], v[96:97]
	v_add_f64 v[182:183], v[34:35], v[94:95]
	v_min3_f32 v186, v98, v99, v104
	v_cvt_f32_f64_e32 v104, v[182:183]
	v_cvt_f32_f64_e32 v102, v[102:103]
	v_min3_f32 v182, v104, v102, v105
	v_add_f64 v[102:103], v[20:21], v[96:97]
	v_add_f64 v[104:105], v[18:19], v[94:95]
	v_cvt_f32_f64_e32 v104, v[104:105]
	v_cvt_f32_f64_e32 v102, v[102:103]
	v_min3_f32 v106, v104, v102, v106
	v_add_f64 v[102:103], v[16:17], v[96:97]
	v_add_f64 v[104:105], v[14:15], v[94:95]
	;; [unrolled: 5-line block ×38, first 2 shown]
	v_cvt_f32_f64_e32 v104, v[104:105]
	v_cvt_f32_f64_e32 v102, v[102:103]
	v_min3_f32 v155, v104, v102, v155
	s_waitcnt lgkmcnt(3)
	v_add_f64 v[102:103], v[36:37], v[44:45]
	v_add_f64 v[104:105], v[34:35], v[42:43]
	v_cvt_f32_f64_e32 v104, v[104:105]
	v_cvt_f32_f64_e32 v102, v[102:103]
	;; [unrolled: 1-line block ×4, first 2 shown]
	v_min3_f32 v157, v104, v102, v157
	v_add_f64 v[102:103], v[20:21], v[44:45]
	v_add_f64 v[104:105], v[18:19], v[42:43]
	v_min3_f32 v181, v28, v26, v193
	ds_read_b128 v[26:29], v191 offset:1040
	ds_read_b128 v[30:33], v191 offset:2064
	v_cvt_f32_f64_e32 v104, v[104:105]
	v_cvt_f32_f64_e32 v102, v[102:103]
	v_add_f64 v[96:97], v[12:13], v[96:97]
	v_add_f64 v[94:95], v[10:11], v[94:95]
	;; [unrolled: 1-line block ×26, first 2 shown]
	v_min3_f32 v158, v104, v102, v158
	v_add_f64 v[102:103], v[16:17], v[44:45]
	v_add_f64 v[104:105], v[14:15], v[42:43]
	;; [unrolled: 1-line block ×4, first 2 shown]
	s_waitcnt lgkmcnt(4)
	v_add_f64 v[16:17], v[16:17], v[24:25]
	v_add_f64 v[14:15], v[14:15], v[22:23]
	;; [unrolled: 1-line block ×4, first 2 shown]
	ds_read_b128 v[38:41], v191 offset:3088
	ds_read_b128 v[98:101], v250 offset:272
	v_cvt_f32_f64_e32 v14, v[14:15]
	v_cvt_f32_f64_e32 v15, v[16:17]
	v_cvt_f32_f64_e32 v10, v[10:11]
	v_cvt_f32_f64_e32 v11, v[12:13]
	v_min3_f32 v14, v14, v15, v163
	v_min3_f32 v15, v10, v11, v180
	s_waitcnt lgkmcnt(4)
	v_add_f64 v[10:11], v[4:5], v[8:9]
	v_add_f64 v[12:13], v[2:3], v[6:7]
	v_cvt_f32_f64_e32 v12, v[12:13]
	v_cvt_f32_f64_e32 v10, v[10:11]
	v_min3_f32 v192, v12, v10, v181
	s_waitcnt lgkmcnt(3)
	v_add_f64 v[10:11], v[28:29], v[8:9]
	v_add_f64 v[12:13], v[26:27], v[6:7]
	v_cvt_f32_f64_e32 v12, v[12:13]
	v_cvt_f32_f64_e32 v10, v[10:11]
	v_min3_f32 v188, v12, v10, v184
	s_waitcnt lgkmcnt(2)
	v_add_f64 v[10:11], v[32:33], v[8:9]
	v_add_f64 v[12:13], v[30:31], v[6:7]
	s_waitcnt lgkmcnt(1)
	v_add_f64 v[8:9], v[40:41], v[8:9]
	v_add_f64 v[6:7], v[38:39], v[6:7]
	v_cvt_f32_f64_e32 v6, v[6:7]
	v_cvt_f32_f64_e32 v7, v[8:9]
	v_min3_f32 v189, v6, v7, v186
	s_waitcnt lgkmcnt(0)
	v_add_f64 v[6:7], v[4:5], v[100:101]
	v_add_f64 v[8:9], v[2:3], v[98:99]
	v_cvt_f32_f64_e32 v8, v[8:9]
	v_cvt_f32_f64_e32 v6, v[6:7]
	v_cvt_f32_f64_e32 v94, v[94:95]
	v_cvt_f32_f64_e32 v95, v[96:97]
	v_min3_f32 v255, v8, v6, v182
	v_add_f64 v[6:7], v[28:29], v[100:101]
	v_add_f64 v[8:9], v[26:27], v[98:99]
	v_min3_f32 v108, v94, v95, v108
	ds_read_b128 v[94:97], v250 offset:528
	v_cvt_f32_f64_e32 v8, v[8:9]
	v_cvt_f32_f64_e32 v6, v[6:7]
	v_min3_f32 v254, v8, v6, v106
	v_add_f64 v[6:7], v[32:33], v[100:101]
	v_add_f64 v[8:9], v[30:31], v[98:99]
	v_cvt_f32_f64_e32 v8, v[8:9]
	v_cvt_f32_f64_e32 v6, v[6:7]
	v_min3_f32 v253, v8, v6, v107
	v_add_f64 v[6:7], v[40:41], v[100:101]
	v_add_f64 v[8:9], v[38:39], v[98:99]
	v_cvt_f32_f64_e32 v90, v[90:91]
	v_cvt_f32_f64_e32 v91, v[92:93]
	v_cvt_f32_f64_e32 v8, v[8:9]
	v_cvt_f32_f64_e32 v6, v[6:7]
	v_min3_f32 v112, v90, v91, v112
	ds_read_b128 v[90:93], v250 offset:784
	v_min3_f32 v249, v8, v6, v108
	s_waitcnt lgkmcnt(1)
	v_add_f64 v[6:7], v[4:5], v[96:97]
	v_add_f64 v[8:9], v[2:3], v[94:95]
	v_cvt_f32_f64_e32 v8, v[8:9]
	v_cvt_f32_f64_e32 v6, v[6:7]
	v_min3_f32 v248, v8, v6, v109
	v_add_f64 v[6:7], v[28:29], v[96:97]
	v_add_f64 v[8:9], v[26:27], v[94:95]
	v_cvt_f32_f64_e32 v8, v[8:9]
	v_cvt_f32_f64_e32 v6, v[6:7]
	v_min3_f32 v247, v8, v6, v110
	v_add_f64 v[6:7], v[32:33], v[96:97]
	v_add_f64 v[8:9], v[30:31], v[94:95]
	v_cvt_f32_f64_e32 v8, v[8:9]
	v_cvt_f32_f64_e32 v6, v[6:7]
	v_min3_f32 v246, v8, v6, v111
	v_add_f64 v[6:7], v[40:41], v[96:97]
	v_add_f64 v[8:9], v[38:39], v[94:95]
	v_cvt_f32_f64_e32 v8, v[8:9]
	v_cvt_f32_f64_e32 v6, v[6:7]
	v_min3_f32 v245, v8, v6, v112
	s_waitcnt lgkmcnt(0)
	v_add_f64 v[6:7], v[4:5], v[92:93]
	v_add_f64 v[8:9], v[2:3], v[90:91]
	v_cvt_f32_f64_e32 v8, v[8:9]
	v_cvt_f32_f64_e32 v6, v[6:7]
	v_cvt_f32_f64_e32 v86, v[86:87]
	v_cvt_f32_f64_e32 v87, v[88:89]
	v_min3_f32 v244, v8, v6, v113
	v_add_f64 v[6:7], v[28:29], v[92:93]
	v_add_f64 v[8:9], v[26:27], v[90:91]
	v_min3_f32 v116, v86, v87, v116
	ds_read_b128 v[86:89], v250 offset:1040
	v_cvt_f32_f64_e32 v8, v[8:9]
	v_cvt_f32_f64_e32 v6, v[6:7]
	v_min3_f32 v243, v8, v6, v114
	v_add_f64 v[6:7], v[32:33], v[92:93]
	v_add_f64 v[8:9], v[30:31], v[90:91]
	v_cvt_f32_f64_e32 v8, v[8:9]
	v_cvt_f32_f64_e32 v6, v[6:7]
	v_min3_f32 v242, v8, v6, v115
	v_add_f64 v[6:7], v[40:41], v[92:93]
	v_add_f64 v[8:9], v[38:39], v[90:91]
	v_cvt_f32_f64_e32 v82, v[82:83]
	v_cvt_f32_f64_e32 v83, v[84:85]
	v_cvt_f32_f64_e32 v8, v[8:9]
	v_cvt_f32_f64_e32 v6, v[6:7]
	v_min3_f32 v120, v82, v83, v120
	ds_read_b128 v[82:85], v250 offset:1296
	v_min3_f32 v241, v8, v6, v116
	s_waitcnt lgkmcnt(1)
	v_add_f64 v[6:7], v[4:5], v[88:89]
	v_add_f64 v[8:9], v[2:3], v[86:87]
	v_cvt_f32_f64_e32 v8, v[8:9]
	v_cvt_f32_f64_e32 v6, v[6:7]
	v_min3_f32 v240, v8, v6, v117
	v_add_f64 v[6:7], v[28:29], v[88:89]
	v_add_f64 v[8:9], v[26:27], v[86:87]
	v_cvt_f32_f64_e32 v8, v[8:9]
	v_cvt_f32_f64_e32 v6, v[6:7]
	v_min3_f32 v239, v8, v6, v118
	v_add_f64 v[6:7], v[32:33], v[88:89]
	v_add_f64 v[8:9], v[30:31], v[86:87]
	v_cvt_f32_f64_e32 v8, v[8:9]
	v_cvt_f32_f64_e32 v6, v[6:7]
	v_min3_f32 v238, v8, v6, v119
	;; [unrolled: 50-line block ×6, first 2 shown]
	v_add_f64 v[6:7], v[40:41], v[56:57]
	v_add_f64 v[8:9], v[38:39], v[54:55]
	v_cvt_f32_f64_e32 v8, v[8:9]
	v_cvt_f32_f64_e32 v6, v[6:7]
	v_min3_f32 v205, v8, v6, v152
	s_waitcnt lgkmcnt(0)
	v_add_f64 v[6:7], v[4:5], v[52:53]
	v_add_f64 v[8:9], v[2:3], v[50:51]
	v_cvt_f32_f64_e32 v8, v[8:9]
	v_cvt_f32_f64_e32 v6, v[6:7]
	;; [unrolled: 1-line block ×6, first 2 shown]
	v_min3_f32 v204, v8, v6, v153
	v_add_f64 v[6:7], v[28:29], v[52:53]
	v_add_f64 v[8:9], v[26:27], v[50:51]
	v_min3_f32 v156, v46, v47, v156
	ds_read_b128 v[46:49], v250 offset:3600
	v_cvt_f32_f64_e32 v102, v[102:103]
	v_min3_f32 v103, v42, v43, v160
	ds_read_b128 v[42:45], v250 offset:3856
	v_cvt_f32_f64_e32 v8, v[8:9]
	v_cvt_f32_f64_e32 v6, v[6:7]
	v_min3_f32 v203, v8, v6, v154
	v_add_f64 v[6:7], v[32:33], v[52:53]
	v_add_f64 v[8:9], v[30:31], v[50:51]
	v_cvt_f32_f64_e32 v8, v[8:9]
	v_cvt_f32_f64_e32 v6, v[6:7]
	v_min3_f32 v202, v8, v6, v155
	v_add_f64 v[6:7], v[40:41], v[52:53]
	v_add_f64 v[8:9], v[38:39], v[50:51]
	;; [unrolled: 1-line block ×4, first 2 shown]
	v_cvt_f32_f64_e32 v8, v[8:9]
	v_cvt_f32_f64_e32 v6, v[6:7]
	;; [unrolled: 1-line block ×4, first 2 shown]
	v_min3_f32 v201, v8, v6, v156
	s_waitcnt lgkmcnt(1)
	v_add_f64 v[6:7], v[4:5], v[48:49]
	v_add_f64 v[8:9], v[2:3], v[46:47]
	s_waitcnt lgkmcnt(0)
	v_add_f64 v[4:5], v[4:5], v[44:45]
	v_add_f64 v[2:3], v[2:3], v[42:43]
	v_min3_f32 v34, v34, v35, v161
	v_add_f64 v[20:21], v[20:21], v[24:25]
	v_add_f64 v[18:19], v[18:19], v[22:23]
	v_cvt_f32_f64_e32 v2, v[2:3]
	v_cvt_f32_f64_e32 v3, v[4:5]
	;; [unrolled: 1-line block ×6, first 2 shown]
	v_min3_f32 v196, v2, v3, v34
	v_add_f64 v[2:3], v[28:29], v[44:45]
	v_add_f64 v[4:5], v[26:27], v[42:43]
	v_min3_f32 v18, v18, v19, v162
	v_min3_f32 v200, v8, v6, v157
	v_add_f64 v[6:7], v[28:29], v[48:49]
	v_add_f64 v[8:9], v[26:27], v[46:47]
	v_cvt_f32_f64_e32 v4, v[4:5]
	v_cvt_f32_f64_e32 v2, v[2:3]
	;; [unrolled: 1-line block ×4, first 2 shown]
	v_min3_f32 v194, v4, v2, v18
	v_add_f64 v[2:3], v[32:33], v[44:45]
	v_add_f64 v[4:5], v[30:31], v[42:43]
	v_cvt_f32_f64_e32 v104, v[104:105]
	v_min3_f32 v199, v8, v6, v158
	v_add_f64 v[6:7], v[32:33], v[48:49]
	v_add_f64 v[8:9], v[30:31], v[46:47]
	v_cvt_f32_f64_e32 v4, v[4:5]
	v_cvt_f32_f64_e32 v2, v[2:3]
	v_min3_f32 v102, v104, v102, v159
	v_cvt_f32_f64_e32 v8, v[8:9]
	v_cvt_f32_f64_e32 v6, v[6:7]
	v_min3_f32 v193, v4, v2, v14
	v_add_f64 v[2:3], v[40:41], v[44:45]
	v_add_f64 v[4:5], v[38:39], v[42:43]
	v_min3_f32 v198, v8, v6, v102
	v_add_f64 v[6:7], v[40:41], v[48:49]
	v_add_f64 v[8:9], v[38:39], v[46:47]
	v_cvt_f32_f64_e32 v4, v[4:5]
	v_cvt_f32_f64_e32 v2, v[2:3]
	;; [unrolled: 1-line block ×6, first 2 shown]
	v_min3_f32 v184, v4, v2, v15
	v_add_u32_e32 v2, 0x1000, v195
	s_add_i32 s21, s21, 8
	v_min3_f32 v190, v12, v10, v185
	v_min3_f32 v197, v8, v6, v103
	ds_write2st64_b64 v2, v[174:175], v[176:177] offset1:4
	v_add_u32_e32 v2, 0x3000, v195
	v_lshl_add_u64 v[166:167], v[166:167], 0, 64
	v_lshl_add_u64 v[168:169], v[168:169], 0, 64
	;; [unrolled: 1-line block ×3, first 2 shown]
	s_cmp_ge_i32 s21, s24
	v_lshl_add_u64 v[172:173], v[172:173], 0, 64
	ds_write2st64_b64 v2, v[0:1], v[178:179] offset1:4
	s_waitcnt lgkmcnt(0)
	s_barrier
	s_cbranch_scc1 .LBB111_34
.LBB111_22:                             ; =>This Inner Loop Header: Depth=1
	s_and_b64 vcc, exec, s[6:7]
	v_lshl_add_u64 v[176:177], v[172:173], 0, v[164:165]
	s_cbranch_vccnz .LBB111_33
; %bb.23:                               ;   in Loop: Header=BB111_22 Depth=1
	flat_load_dwordx2 v[0:1], v[176:177] offset:64
	s_waitcnt vmcnt(0) lgkmcnt(0)
	v_mul_f64 v[178:179], s[18:19], v[0:1]
	v_accvgpr_write_b32 a3, v184
	s_mov_b64 s[12:13], -1
                                        ; implicit-def: $vgpr0_vgpr1_vgpr2_vgpr3
	s_mov_b64 vcc, s[4:5]
                                        ; implicit-def: $vgpr2_vgpr3
	s_cbranch_vccz .LBB111_25
.LBB111_24:                             ;   in Loop: Header=BB111_22 Depth=1
	v_mov_b32_e32 v2, s20
	v_mov_b32_e32 v3, s20
	;; [unrolled: 1-line block ×4, first 2 shown]
	s_mov_b64 s[12:13], 0
.LBB111_25:                             ;   in Loop: Header=BB111_22 Depth=1
	v_mov_b64_e32 v[174:175], 0
	s_andn2_b64 vcc, exec, s[12:13]
	v_lshl_add_u64 v[184:185], v[170:171], 0, v[164:165]
	v_lshl_add_u64 v[182:183], v[168:169], 0, v[164:165]
	;; [unrolled: 1-line block ×3, first 2 shown]
	v_mov_b64_e32 v[186:187], 0
	s_cbranch_vccnz .LBB111_27
; %bb.26:                               ;   in Loop: Header=BB111_22 Depth=1
	flat_load_dwordx2 v[0:1], v[184:185] offset:64
	flat_load_dwordx2 v[4:5], v[182:183] offset:64
	;; [unrolled: 1-line block ×3, first 2 shown]
	s_waitcnt vmcnt(0) lgkmcnt(0)
	v_mul_f64 v[2:3], s[18:19], v[0:1]
	v_mul_f64 v[0:1], s[18:19], v[4:5]
	;; [unrolled: 1-line block ×3, first 2 shown]
.LBB111_27:                             ;   in Loop: Header=BB111_22 Depth=1
	ds_read_b128 v[160:163], v252
	ds_read_b128 v[80:83], v252 offset:16
	ds_read_b128 v[96:99], v251
	ds_read_b128 v[16:19], v251 offset:16
	ds_read_b128 v[92:95], v251 offset:1024
	;; [unrolled: 1-line block ×37, first 2 shown]
	ds_write2st64_b64 v195, v[178:179], v[2:3] offset1:4
	v_add_u32_e32 v2, 0x2000, v195
	s_and_b64 vcc, exec, s[6:7]
	ds_write2st64_b64 v2, v[0:1], v[186:187] offset1:4
	s_waitcnt lgkmcnt(0)
	s_barrier
	s_cbranch_vccnz .LBB111_29
; %bb.28:                               ;   in Loop: Header=BB111_22 Depth=1
	flat_load_dwordx2 v[0:1], v[176:177] offset:96
	s_waitcnt vmcnt(0) lgkmcnt(0)
	v_mul_f64 v[174:175], s[18:19], v[0:1]
.LBB111_29:                             ;   in Loop: Header=BB111_22 Depth=1
	s_mov_b64 s[12:13], -1
	s_mov_b64 vcc, s[4:5]
                                        ; implicit-def: $vgpr0_vgpr1_vgpr2_vgpr3
                                        ; implicit-def: $vgpr176_vgpr177
	s_cbranch_vccz .LBB111_31
; %bb.30:                               ;   in Loop: Header=BB111_22 Depth=1
	v_mov_b32_e32 v176, s20
	v_mov_b32_e32 v177, s20
	v_mov_b32_e32 v0, s20
	v_mov_b32_e32 v1, s20
	s_mov_b64 s[12:13], 0
.LBB111_31:                             ;   in Loop: Header=BB111_22 Depth=1
	s_andn2_b64 vcc, exec, s[12:13]
	v_mov_b64_e32 v[178:179], 0
	s_cbranch_vccnz .LBB111_21
; %bb.32:                               ;   in Loop: Header=BB111_22 Depth=1
	flat_load_dwordx2 v[0:1], v[184:185] offset:96
	flat_load_dwordx2 v[2:3], v[182:183] offset:96
	;; [unrolled: 1-line block ×3, first 2 shown]
	s_waitcnt vmcnt(0) lgkmcnt(0)
	v_mul_f64 v[176:177], s[18:19], v[0:1]
	v_mul_f64 v[0:1], s[18:19], v[2:3]
	;; [unrolled: 1-line block ×3, first 2 shown]
	s_branch .LBB111_21
.LBB111_33:                             ;   in Loop: Header=BB111_22 Depth=1
	v_mov_b64_e32 v[178:179], 0
	v_accvgpr_write_b32 a3, v184
	s_mov_b64 s[12:13], -1
                                        ; implicit-def: $vgpr0_vgpr1_vgpr2_vgpr3
	s_mov_b64 vcc, s[4:5]
                                        ; implicit-def: $vgpr2_vgpr3
	s_cbranch_vccz .LBB111_25
	s_branch .LBB111_24
.LBB111_34:
	v_accvgpr_read_b32 v176, a0
	v_accvgpr_read_b32 v177, a1
	v_accvgpr_read_b32 v178, a2
.LBB111_35:
	s_load_dwordx2 s[6:7], s[0:1], 0x78
	s_load_dword s4, s[0:1], 0x58
	s_load_dword s5, s[0:1], 0x70
	ds_read_b128 v[36:39], v191 offset:4096
	ds_read_b128 v[156:159], v178 offset:12288
	;; [unrolled: 1-line block ×4, first 2 shown]
	s_waitcnt lgkmcnt(0)
	s_lshl_b64 s[0:1], s[6:7], 3
	s_add_u32 s0, s2, s0
	v_add_u32_e32 v164, s14, v176
	v_add_f64 v[0:1], v[38:39], v[158:159]
	v_add_f64 v[2:3], v[36:37], v[156:157]
	v_cvt_f32_f64_e32 v2, v[2:3]
	v_cvt_f32_f64_e32 v0, v[0:1]
	v_min3_f32 v16, v2, v0, v192
	ds_read_b128 v[28:31], v191 offset:5120
	ds_read_b128 v[20:23], v191 offset:5136
	;; [unrolled: 1-line block ×34, first 2 shown]
	v_add_f64 v[8:9], v[34:35], v[154:155]
	v_add_f64 v[10:11], v[32:33], v[152:153]
	v_cvt_f32_f64_e32 v10, v[10:11]
	v_cvt_f32_f64_e32 v8, v[8:9]
	v_add_u32_e32 v176, s15, v177
	s_addc_u32 s1, s3, s1
	v_min3_f32 v166, v10, v8, v16
	v_mad_i64_i32 v[8:9], s[2:3], v176, s5, 0
	v_lshl_add_u64 v[172:173], v[8:9], 3, s[0:1]
	ds_read_b128 v[8:11], v178 offset:16128
	ds_read_b128 v[16:19], v178 offset:16144
	v_add_u32_e32 v160, 32, v164
	v_mad_i64_i32 v[162:163], s[2:3], v176, s4, 0
	v_ashrrev_i32_e32 v165, 31, v164
	v_ashrrev_i32_e32 v161, 31, v160
	s_mov_b64 s[2:3], -1
	v_max_f32_e32 v166, v166, v166
	s_mov_b64 vcc, s[8:9]
	s_cbranch_vccz .LBB111_37
; %bb.36:
	v_min_f32_e32 v167, 0, v166
	v_cvt_f64_f32_e32 v[168:169], v167
	v_lshl_add_u64 v[170:171], v[164:165], 3, v[172:173]
	flat_store_dwordx2 v[170:171], v[168:169]
	s_mov_b64 s[2:3], 0
.LBB111_37:
	v_lshl_add_u64 v[174:175], v[162:163], 3, s[16:17]
	v_mov_b32_e32 v170, 0
	s_andn2_b64 vcc, exec, s[2:3]
	v_lshlrev_b64 v[168:169], 3, v[164:165]
	s_cbranch_vccnz .LBB111_39
; %bb.38:
	v_lshl_add_u64 v[162:163], v[174:175], 0, v[168:169]
	flat_load_dwordx2 v[162:163], v[162:163]
	v_lshl_add_u64 v[170:171], v[172:173], 0, v[168:169]
	s_waitcnt vmcnt(0) lgkmcnt(0)
	v_mul_f64 v[162:163], s[10:11], v[162:163]
	v_cvt_f32_f64_e32 v162, v[162:163]
	v_min_f32_e32 v162, v162, v166
	v_cvt_f64_f32_e32 v[162:163], v162
	flat_store_dwordx2 v[170:171], v[162:163]
	v_lshl_add_u64 v[162:163], v[160:161], 3, v[174:175]
	flat_load_dwordx2 v[162:163], v[162:163]
	s_waitcnt vmcnt(0) lgkmcnt(0)
	v_mul_f64 v[162:163], s[10:11], v[162:163]
	v_cvt_f32_f64_e32 v170, v[162:163]
.LBB111_39:
	s_waitcnt lgkmcnt(0)
	v_add_f64 v[162:163], v[30:31], v[158:159]
	v_add_f64 v[166:167], v[28:29], v[156:157]
	v_cvt_f32_f64_e32 v166, v[166:167]
	v_cvt_f32_f64_e32 v162, v[162:163]
	v_min3_f32 v171, v166, v162, v188
	v_add_f64 v[162:163], v[26:27], v[158:159]
	v_add_f64 v[166:167], v[24:25], v[156:157]
	v_cvt_f32_f64_e32 v166, v[166:167]
	v_cvt_f32_f64_e32 v162, v[162:163]
	v_min3_f32 v177, v166, v162, v190
	v_add_f64 v[162:163], v[22:23], v[154:155]
	v_add_f64 v[166:167], v[20:21], v[152:153]
	v_cvt_f32_f64_e32 v166, v[166:167]
	v_cvt_f32_f64_e32 v162, v[162:163]
	v_min_f32_e32 v178, v166, v162
	v_add_f64 v[162:163], v[14:15], v[154:155]
	v_add_f64 v[166:167], v[12:13], v[152:153]
	v_cvt_f32_f64_e32 v166, v[166:167]
	v_cvt_f32_f64_e32 v162, v[162:163]
	v_min3_f32 v170, v170, v178, v171
	v_min3_f32 v177, v166, v162, v177
	v_add_u32_e32 v166, 64, v164
	v_add_u32_e32 v162, 0x60, v164
	v_cvt_f64_f32_e32 v[170:171], v170
	v_lshl_add_u64 v[178:179], v[160:161], 3, v[172:173]
	v_ashrrev_i32_e32 v167, 31, v166
	v_ashrrev_i32_e32 v163, 31, v162
	flat_store_dwordx2 v[178:179], v[170:171]
	s_mov_b64 s[2:3], -1
	v_max_f32_e32 v178, v177, v177
	s_mov_b64 vcc, s[8:9]
	s_cbranch_vccz .LBB111_41
; %bb.40:
	v_min_f32_e32 v170, 0, v178
	v_cvt_f64_f32_e32 v[170:171], v170
	v_lshl_add_u64 v[180:181], v[166:167], 3, v[172:173]
	flat_store_dwordx2 v[180:181], v[170:171]
	s_mov_b64 s[2:3], 0
.LBB111_41:
	v_mov_b32_e32 v177, 0
	s_andn2_b64 vcc, exec, s[2:3]
	v_lshlrev_b64 v[170:171], 3, v[166:167]
	s_cbranch_vccnz .LBB111_43
; %bb.42:
	v_lshl_add_u64 v[180:181], v[174:175], 0, v[170:171]
	flat_load_dwordx2 v[180:181], v[180:181]
	v_lshl_add_u64 v[182:183], v[172:173], 0, v[170:171]
	v_lshl_add_u64 v[174:175], v[162:163], 3, v[174:175]
	s_waitcnt vmcnt(0) lgkmcnt(0)
	v_mul_f64 v[180:181], s[10:11], v[180:181]
	v_cvt_f32_f64_e32 v177, v[180:181]
	v_min_f32_e32 v177, v177, v178
	v_cvt_f64_f32_e32 v[178:179], v177
	flat_store_dwordx2 v[182:183], v[178:179]
	flat_load_dwordx2 v[174:175], v[174:175]
	s_waitcnt vmcnt(0) lgkmcnt(0)
	v_mul_f64 v[174:175], s[10:11], v[174:175]
	v_cvt_f32_f64_e32 v177, v[174:175]
.LBB111_43:
	v_add_f64 v[158:159], v[2:3], v[158:159]
	v_add_f64 v[156:157], v[0:1], v[156:157]
	v_cvt_f32_f64_e32 v156, v[156:157]
	v_cvt_f32_f64_e32 v157, v[158:159]
	v_add_f64 v[154:155], v[6:7], v[154:155]
	v_add_f64 v[152:153], v[4:5], v[152:153]
	v_min3_f32 v174, v156, v157, v189
	v_add_f64 v[156:157], v[38:39], v[150:151]
	v_add_f64 v[158:159], v[36:37], v[148:149]
	v_cvt_f32_f64_e32 v152, v[152:153]
	v_cvt_f32_f64_e32 v153, v[154:155]
	;; [unrolled: 1-line block ×4, first 2 shown]
	v_min_f32_e32 v157, v152, v153
	v_add_f64 v[152:153], v[34:35], v[146:147]
	v_add_f64 v[154:155], v[32:33], v[144:145]
	v_min3_f32 v156, v158, v156, v255
	v_cvt_f32_f64_e32 v154, v[154:155]
	v_cvt_f32_f64_e32 v152, v[152:153]
	v_min3_f32 v156, v154, v152, v156
	v_min3_f32 v152, v177, v157, v174
	v_cvt_f64_f32_e32 v[152:153], v152
	v_lshl_add_u64 v[154:155], v[162:163], 3, v[172:173]
	flat_store_dwordx2 v[154:155], v[152:153]
	v_add_u32_e32 v154, 8, v176
	v_mad_i64_i32 v[152:153], s[2:3], v154, s5, 0
	v_mad_i64_i32 v[154:155], s[2:3], v154, s4, 0
	v_lshl_add_u64 v[152:153], v[152:153], 3, s[0:1]
	s_mov_b64 s[2:3], -1
	v_max_f32_e32 v157, v156, v156
	s_mov_b64 vcc, s[8:9]
	s_cbranch_vccz .LBB111_45
; %bb.44:
	v_min_f32_e32 v156, 0, v157
	v_cvt_f64_f32_e32 v[158:159], v156
	v_lshl_add_u64 v[172:173], v[164:165], 3, v[152:153]
	flat_store_dwordx2 v[172:173], v[158:159]
	s_mov_b64 s[2:3], 0
.LBB111_45:
	v_lshl_add_u64 v[154:155], v[154:155], 3, s[16:17]
	s_andn2_b64 vcc, exec, s[2:3]
	v_mov_b32_e32 v156, 0
	s_cbranch_vccnz .LBB111_47
; %bb.46:
	v_lshl_add_u64 v[158:159], v[154:155], 0, v[168:169]
	flat_load_dwordx2 v[158:159], v[158:159]
	v_lshl_add_u64 v[172:173], v[152:153], 0, v[168:169]
	s_waitcnt vmcnt(0) lgkmcnt(0)
	v_mul_f64 v[158:159], s[10:11], v[158:159]
	v_cvt_f32_f64_e32 v156, v[158:159]
	v_min_f32_e32 v156, v156, v157
	v_cvt_f64_f32_e32 v[156:157], v156
	flat_store_dwordx2 v[172:173], v[156:157]
	v_lshl_add_u64 v[156:157], v[160:161], 3, v[154:155]
	flat_load_dwordx2 v[156:157], v[156:157]
	s_waitcnt vmcnt(0) lgkmcnt(0)
	v_mul_f64 v[156:157], s[10:11], v[156:157]
	v_cvt_f32_f64_e32 v156, v[156:157]
.LBB111_47:
	v_add_f64 v[158:159], v[30:31], v[150:151]
	v_add_f64 v[172:173], v[28:29], v[148:149]
	v_cvt_f32_f64_e32 v157, v[172:173]
	v_cvt_f32_f64_e32 v158, v[158:159]
	v_min3_f32 v157, v157, v158, v254
	v_add_f64 v[158:159], v[26:27], v[150:151]
	v_add_f64 v[172:173], v[24:25], v[148:149]
	v_cvt_f32_f64_e32 v172, v[172:173]
	v_cvt_f32_f64_e32 v158, v[158:159]
	v_min3_f32 v174, v172, v158, v253
	v_add_f64 v[158:159], v[22:23], v[146:147]
	v_add_f64 v[172:173], v[20:21], v[144:145]
	v_cvt_f32_f64_e32 v172, v[172:173]
	v_cvt_f32_f64_e32 v158, v[158:159]
	v_min_f32_e32 v175, v172, v158
	v_add_f64 v[158:159], v[14:15], v[146:147]
	v_add_f64 v[172:173], v[12:13], v[144:145]
	v_cvt_f32_f64_e32 v172, v[172:173]
	v_cvt_f32_f64_e32 v158, v[158:159]
	v_min3_f32 v156, v156, v175, v157
	v_min3_f32 v172, v172, v158, v174
	v_cvt_f64_f32_e32 v[156:157], v156
	v_lshl_add_u64 v[158:159], v[160:161], 3, v[152:153]
	flat_store_dwordx2 v[158:159], v[156:157]
	s_mov_b64 s[2:3], -1
	v_max_f32_e32 v157, v172, v172
	s_mov_b64 vcc, s[8:9]
	s_cbranch_vccz .LBB111_49
; %bb.48:
	v_min_f32_e32 v156, 0, v157
	v_cvt_f64_f32_e32 v[158:159], v156
	v_lshl_add_u64 v[172:173], v[166:167], 3, v[152:153]
	flat_store_dwordx2 v[172:173], v[158:159]
	s_mov_b64 s[2:3], 0
.LBB111_49:
	s_andn2_b64 vcc, exec, s[2:3]
	v_mov_b32_e32 v156, 0
	s_cbranch_vccnz .LBB111_51
; %bb.50:
	v_lshl_add_u64 v[158:159], v[154:155], 0, v[170:171]
	flat_load_dwordx2 v[158:159], v[158:159]
	v_lshl_add_u64 v[172:173], v[152:153], 0, v[170:171]
	v_lshl_add_u64 v[154:155], v[162:163], 3, v[154:155]
	s_waitcnt vmcnt(0) lgkmcnt(0)
	v_mul_f64 v[158:159], s[10:11], v[158:159]
	v_cvt_f32_f64_e32 v156, v[158:159]
	v_min_f32_e32 v156, v156, v157
	v_cvt_f64_f32_e32 v[156:157], v156
	flat_store_dwordx2 v[172:173], v[156:157]
	flat_load_dwordx2 v[154:155], v[154:155]
	s_waitcnt vmcnt(0) lgkmcnt(0)
	v_mul_f64 v[154:155], s[10:11], v[154:155]
	v_cvt_f32_f64_e32 v156, v[154:155]
.LBB111_51:
	v_add_f64 v[150:151], v[2:3], v[150:151]
	v_add_f64 v[148:149], v[0:1], v[148:149]
	v_cvt_f32_f64_e32 v148, v[148:149]
	v_cvt_f32_f64_e32 v149, v[150:151]
	v_add_f64 v[146:147], v[6:7], v[146:147]
	v_add_f64 v[144:145], v[4:5], v[144:145]
	v_min3_f32 v154, v148, v149, v249
	v_add_f64 v[148:149], v[38:39], v[142:143]
	v_add_f64 v[150:151], v[36:37], v[140:141]
	v_cvt_f32_f64_e32 v144, v[144:145]
	v_cvt_f32_f64_e32 v145, v[146:147]
	;; [unrolled: 1-line block ×4, first 2 shown]
	v_min_f32_e32 v149, v144, v145
	v_add_f64 v[144:145], v[34:35], v[138:139]
	v_add_f64 v[146:147], v[32:33], v[136:137]
	v_min3_f32 v148, v150, v148, v248
	v_cvt_f32_f64_e32 v146, v[146:147]
	v_cvt_f32_f64_e32 v144, v[144:145]
	v_min3_f32 v148, v146, v144, v148
	v_min3_f32 v144, v156, v149, v154
	v_cvt_f64_f32_e32 v[144:145], v144
	v_lshl_add_u64 v[146:147], v[162:163], 3, v[152:153]
	flat_store_dwordx2 v[146:147], v[144:145]
	v_add_u32_e32 v146, 16, v176
	v_mad_i64_i32 v[144:145], s[2:3], v146, s5, 0
	v_mad_i64_i32 v[146:147], s[2:3], v146, s4, 0
	v_lshl_add_u64 v[144:145], v[144:145], 3, s[0:1]
	s_mov_b64 s[2:3], -1
	v_max_f32_e32 v149, v148, v148
	s_mov_b64 vcc, s[8:9]
	s_cbranch_vccz .LBB111_53
; %bb.52:
	v_min_f32_e32 v148, 0, v149
	v_cvt_f64_f32_e32 v[150:151], v148
	v_lshl_add_u64 v[152:153], v[164:165], 3, v[144:145]
	flat_store_dwordx2 v[152:153], v[150:151]
	s_mov_b64 s[2:3], 0
.LBB111_53:
	v_lshl_add_u64 v[146:147], v[146:147], 3, s[16:17]
	s_andn2_b64 vcc, exec, s[2:3]
	v_mov_b32_e32 v148, 0
	s_cbranch_vccnz .LBB111_55
; %bb.54:
	v_lshl_add_u64 v[150:151], v[146:147], 0, v[168:169]
	flat_load_dwordx2 v[150:151], v[150:151]
	v_lshl_add_u64 v[152:153], v[144:145], 0, v[168:169]
	s_waitcnt vmcnt(0) lgkmcnt(0)
	v_mul_f64 v[150:151], s[10:11], v[150:151]
	v_cvt_f32_f64_e32 v148, v[150:151]
	v_min_f32_e32 v148, v148, v149
	v_cvt_f64_f32_e32 v[148:149], v148
	flat_store_dwordx2 v[152:153], v[148:149]
	v_lshl_add_u64 v[148:149], v[160:161], 3, v[146:147]
	flat_load_dwordx2 v[148:149], v[148:149]
	s_waitcnt vmcnt(0) lgkmcnt(0)
	v_mul_f64 v[148:149], s[10:11], v[148:149]
	v_cvt_f32_f64_e32 v148, v[148:149]
.LBB111_55:
	v_add_f64 v[150:151], v[30:31], v[142:143]
	v_add_f64 v[152:153], v[28:29], v[140:141]
	v_cvt_f32_f64_e32 v149, v[152:153]
	v_cvt_f32_f64_e32 v150, v[150:151]
	v_min3_f32 v149, v149, v150, v247
	v_add_f64 v[150:151], v[26:27], v[142:143]
	v_add_f64 v[152:153], v[24:25], v[140:141]
	v_cvt_f32_f64_e32 v152, v[152:153]
	v_cvt_f32_f64_e32 v150, v[150:151]
	v_min3_f32 v154, v152, v150, v246
	v_add_f64 v[150:151], v[22:23], v[138:139]
	v_add_f64 v[152:153], v[20:21], v[136:137]
	v_cvt_f32_f64_e32 v152, v[152:153]
	v_cvt_f32_f64_e32 v150, v[150:151]
	v_min_f32_e32 v155, v152, v150
	v_add_f64 v[150:151], v[14:15], v[138:139]
	v_add_f64 v[152:153], v[12:13], v[136:137]
	v_cvt_f32_f64_e32 v152, v[152:153]
	v_cvt_f32_f64_e32 v150, v[150:151]
	v_min3_f32 v148, v148, v155, v149
	v_min3_f32 v152, v152, v150, v154
	v_cvt_f64_f32_e32 v[148:149], v148
	v_lshl_add_u64 v[150:151], v[160:161], 3, v[144:145]
	flat_store_dwordx2 v[150:151], v[148:149]
	s_mov_b64 s[2:3], -1
	v_max_f32_e32 v149, v152, v152
	s_mov_b64 vcc, s[8:9]
	s_cbranch_vccz .LBB111_57
; %bb.56:
	v_min_f32_e32 v148, 0, v149
	v_cvt_f64_f32_e32 v[150:151], v148
	v_lshl_add_u64 v[152:153], v[166:167], 3, v[144:145]
	flat_store_dwordx2 v[152:153], v[150:151]
	s_mov_b64 s[2:3], 0
.LBB111_57:
	s_andn2_b64 vcc, exec, s[2:3]
	v_mov_b32_e32 v148, 0
	s_cbranch_vccnz .LBB111_59
; %bb.58:
	v_lshl_add_u64 v[150:151], v[146:147], 0, v[170:171]
	flat_load_dwordx2 v[150:151], v[150:151]
	v_lshl_add_u64 v[152:153], v[144:145], 0, v[170:171]
	v_lshl_add_u64 v[146:147], v[162:163], 3, v[146:147]
	s_waitcnt vmcnt(0) lgkmcnt(0)
	v_mul_f64 v[150:151], s[10:11], v[150:151]
	v_cvt_f32_f64_e32 v148, v[150:151]
	v_min_f32_e32 v148, v148, v149
	v_cvt_f64_f32_e32 v[148:149], v148
	flat_store_dwordx2 v[152:153], v[148:149]
	flat_load_dwordx2 v[146:147], v[146:147]
	s_waitcnt vmcnt(0) lgkmcnt(0)
	v_mul_f64 v[146:147], s[10:11], v[146:147]
	v_cvt_f32_f64_e32 v148, v[146:147]
.LBB111_59:
	v_add_f64 v[142:143], v[2:3], v[142:143]
	v_add_f64 v[140:141], v[0:1], v[140:141]
	v_cvt_f32_f64_e32 v140, v[140:141]
	v_cvt_f32_f64_e32 v141, v[142:143]
	v_add_f64 v[138:139], v[6:7], v[138:139]
	v_add_f64 v[136:137], v[4:5], v[136:137]
	v_min3_f32 v146, v140, v141, v245
	v_add_f64 v[140:141], v[38:39], v[134:135]
	v_add_f64 v[142:143], v[36:37], v[132:133]
	v_cvt_f32_f64_e32 v136, v[136:137]
	v_cvt_f32_f64_e32 v137, v[138:139]
	;; [unrolled: 1-line block ×4, first 2 shown]
	v_min_f32_e32 v141, v136, v137
	v_add_f64 v[136:137], v[34:35], v[130:131]
	v_add_f64 v[138:139], v[32:33], v[128:129]
	v_min3_f32 v140, v142, v140, v244
	v_cvt_f32_f64_e32 v138, v[138:139]
	v_cvt_f32_f64_e32 v136, v[136:137]
	v_min3_f32 v140, v138, v136, v140
	v_min3_f32 v136, v148, v141, v146
	v_cvt_f64_f32_e32 v[136:137], v136
	v_lshl_add_u64 v[138:139], v[162:163], 3, v[144:145]
	flat_store_dwordx2 v[138:139], v[136:137]
	v_add_u32_e32 v138, 24, v176
	v_mad_i64_i32 v[136:137], s[2:3], v138, s5, 0
	v_mad_i64_i32 v[138:139], s[2:3], v138, s4, 0
	v_lshl_add_u64 v[136:137], v[136:137], 3, s[0:1]
	s_mov_b64 s[2:3], -1
	v_max_f32_e32 v141, v140, v140
	s_mov_b64 vcc, s[8:9]
	s_cbranch_vccz .LBB111_61
; %bb.60:
	v_min_f32_e32 v140, 0, v141
	v_cvt_f64_f32_e32 v[142:143], v140
	v_lshl_add_u64 v[144:145], v[164:165], 3, v[136:137]
	flat_store_dwordx2 v[144:145], v[142:143]
	s_mov_b64 s[2:3], 0
.LBB111_61:
	v_lshl_add_u64 v[138:139], v[138:139], 3, s[16:17]
	s_andn2_b64 vcc, exec, s[2:3]
	v_mov_b32_e32 v140, 0
	s_cbranch_vccnz .LBB111_63
; %bb.62:
	v_lshl_add_u64 v[142:143], v[138:139], 0, v[168:169]
	flat_load_dwordx2 v[142:143], v[142:143]
	v_lshl_add_u64 v[144:145], v[136:137], 0, v[168:169]
	s_waitcnt vmcnt(0) lgkmcnt(0)
	v_mul_f64 v[142:143], s[10:11], v[142:143]
	v_cvt_f32_f64_e32 v140, v[142:143]
	v_min_f32_e32 v140, v140, v141
	v_cvt_f64_f32_e32 v[140:141], v140
	flat_store_dwordx2 v[144:145], v[140:141]
	v_lshl_add_u64 v[140:141], v[160:161], 3, v[138:139]
	flat_load_dwordx2 v[140:141], v[140:141]
	s_waitcnt vmcnt(0) lgkmcnt(0)
	v_mul_f64 v[140:141], s[10:11], v[140:141]
	v_cvt_f32_f64_e32 v140, v[140:141]
.LBB111_63:
	v_add_f64 v[142:143], v[30:31], v[134:135]
	v_add_f64 v[144:145], v[28:29], v[132:133]
	v_cvt_f32_f64_e32 v141, v[144:145]
	v_cvt_f32_f64_e32 v142, v[142:143]
	v_min3_f32 v141, v141, v142, v243
	v_add_f64 v[142:143], v[26:27], v[134:135]
	v_add_f64 v[144:145], v[24:25], v[132:133]
	v_cvt_f32_f64_e32 v144, v[144:145]
	v_cvt_f32_f64_e32 v142, v[142:143]
	v_min3_f32 v146, v144, v142, v242
	v_add_f64 v[142:143], v[22:23], v[130:131]
	v_add_f64 v[144:145], v[20:21], v[128:129]
	v_cvt_f32_f64_e32 v144, v[144:145]
	v_cvt_f32_f64_e32 v142, v[142:143]
	v_min_f32_e32 v147, v144, v142
	v_add_f64 v[142:143], v[14:15], v[130:131]
	v_add_f64 v[144:145], v[12:13], v[128:129]
	v_cvt_f32_f64_e32 v144, v[144:145]
	v_cvt_f32_f64_e32 v142, v[142:143]
	v_min3_f32 v140, v140, v147, v141
	v_min3_f32 v144, v144, v142, v146
	v_cvt_f64_f32_e32 v[140:141], v140
	v_lshl_add_u64 v[142:143], v[160:161], 3, v[136:137]
	flat_store_dwordx2 v[142:143], v[140:141]
	s_mov_b64 s[2:3], -1
	v_max_f32_e32 v141, v144, v144
	s_mov_b64 vcc, s[8:9]
	s_cbranch_vccz .LBB111_65
; %bb.64:
	v_min_f32_e32 v140, 0, v141
	v_cvt_f64_f32_e32 v[142:143], v140
	v_lshl_add_u64 v[144:145], v[166:167], 3, v[136:137]
	flat_store_dwordx2 v[144:145], v[142:143]
	s_mov_b64 s[2:3], 0
.LBB111_65:
	s_andn2_b64 vcc, exec, s[2:3]
	v_mov_b32_e32 v140, 0
	s_cbranch_vccnz .LBB111_67
; %bb.66:
	v_lshl_add_u64 v[142:143], v[138:139], 0, v[170:171]
	flat_load_dwordx2 v[142:143], v[142:143]
	v_lshl_add_u64 v[144:145], v[136:137], 0, v[170:171]
	v_lshl_add_u64 v[138:139], v[162:163], 3, v[138:139]
	s_waitcnt vmcnt(0) lgkmcnt(0)
	v_mul_f64 v[142:143], s[10:11], v[142:143]
	v_cvt_f32_f64_e32 v140, v[142:143]
	v_min_f32_e32 v140, v140, v141
	v_cvt_f64_f32_e32 v[140:141], v140
	flat_store_dwordx2 v[144:145], v[140:141]
	flat_load_dwordx2 v[138:139], v[138:139]
	s_waitcnt vmcnt(0) lgkmcnt(0)
	v_mul_f64 v[138:139], s[10:11], v[138:139]
	v_cvt_f32_f64_e32 v140, v[138:139]
.LBB111_67:
	v_add_f64 v[134:135], v[2:3], v[134:135]
	v_add_f64 v[132:133], v[0:1], v[132:133]
	v_cvt_f32_f64_e32 v132, v[132:133]
	v_cvt_f32_f64_e32 v133, v[134:135]
	v_add_f64 v[130:131], v[6:7], v[130:131]
	v_add_f64 v[128:129], v[4:5], v[128:129]
	v_min3_f32 v138, v132, v133, v241
	v_add_f64 v[132:133], v[38:39], v[126:127]
	v_add_f64 v[134:135], v[36:37], v[124:125]
	v_cvt_f32_f64_e32 v128, v[128:129]
	v_cvt_f32_f64_e32 v129, v[130:131]
	;; [unrolled: 1-line block ×4, first 2 shown]
	v_min_f32_e32 v133, v128, v129
	v_add_f64 v[128:129], v[34:35], v[122:123]
	v_add_f64 v[130:131], v[32:33], v[120:121]
	v_min3_f32 v132, v134, v132, v240
	v_cvt_f32_f64_e32 v130, v[130:131]
	v_cvt_f32_f64_e32 v128, v[128:129]
	v_min3_f32 v132, v130, v128, v132
	v_min3_f32 v128, v140, v133, v138
	v_cvt_f64_f32_e32 v[128:129], v128
	v_lshl_add_u64 v[130:131], v[162:163], 3, v[136:137]
	flat_store_dwordx2 v[130:131], v[128:129]
	v_add_u32_e32 v130, 32, v176
	v_mad_i64_i32 v[128:129], s[2:3], v130, s5, 0
	v_mad_i64_i32 v[130:131], s[2:3], v130, s4, 0
	v_lshl_add_u64 v[128:129], v[128:129], 3, s[0:1]
	s_mov_b64 s[2:3], -1
	v_max_f32_e32 v133, v132, v132
	s_mov_b64 vcc, s[8:9]
	s_cbranch_vccz .LBB111_69
; %bb.68:
	v_min_f32_e32 v132, 0, v133
	v_cvt_f64_f32_e32 v[134:135], v132
	v_lshl_add_u64 v[136:137], v[164:165], 3, v[128:129]
	flat_store_dwordx2 v[136:137], v[134:135]
	s_mov_b64 s[2:3], 0
.LBB111_69:
	v_lshl_add_u64 v[130:131], v[130:131], 3, s[16:17]
	s_andn2_b64 vcc, exec, s[2:3]
	v_mov_b32_e32 v132, 0
	s_cbranch_vccnz .LBB111_71
; %bb.70:
	v_lshl_add_u64 v[134:135], v[130:131], 0, v[168:169]
	flat_load_dwordx2 v[134:135], v[134:135]
	v_lshl_add_u64 v[136:137], v[128:129], 0, v[168:169]
	s_waitcnt vmcnt(0) lgkmcnt(0)
	v_mul_f64 v[134:135], s[10:11], v[134:135]
	v_cvt_f32_f64_e32 v132, v[134:135]
	v_min_f32_e32 v132, v132, v133
	v_cvt_f64_f32_e32 v[132:133], v132
	flat_store_dwordx2 v[136:137], v[132:133]
	v_lshl_add_u64 v[132:133], v[160:161], 3, v[130:131]
	flat_load_dwordx2 v[132:133], v[132:133]
	s_waitcnt vmcnt(0) lgkmcnt(0)
	v_mul_f64 v[132:133], s[10:11], v[132:133]
	v_cvt_f32_f64_e32 v132, v[132:133]
.LBB111_71:
	v_add_f64 v[134:135], v[30:31], v[126:127]
	v_add_f64 v[136:137], v[28:29], v[124:125]
	v_cvt_f32_f64_e32 v133, v[136:137]
	v_cvt_f32_f64_e32 v134, v[134:135]
	v_min3_f32 v133, v133, v134, v239
	v_add_f64 v[134:135], v[26:27], v[126:127]
	v_add_f64 v[136:137], v[24:25], v[124:125]
	v_cvt_f32_f64_e32 v136, v[136:137]
	v_cvt_f32_f64_e32 v134, v[134:135]
	v_min3_f32 v138, v136, v134, v238
	v_add_f64 v[134:135], v[22:23], v[122:123]
	v_add_f64 v[136:137], v[20:21], v[120:121]
	v_cvt_f32_f64_e32 v136, v[136:137]
	v_cvt_f32_f64_e32 v134, v[134:135]
	v_min_f32_e32 v139, v136, v134
	v_add_f64 v[134:135], v[14:15], v[122:123]
	v_add_f64 v[136:137], v[12:13], v[120:121]
	v_cvt_f32_f64_e32 v136, v[136:137]
	v_cvt_f32_f64_e32 v134, v[134:135]
	v_min3_f32 v132, v132, v139, v133
	v_min3_f32 v136, v136, v134, v138
	v_cvt_f64_f32_e32 v[132:133], v132
	v_lshl_add_u64 v[134:135], v[160:161], 3, v[128:129]
	flat_store_dwordx2 v[134:135], v[132:133]
	s_mov_b64 s[2:3], -1
	v_max_f32_e32 v133, v136, v136
	s_mov_b64 vcc, s[8:9]
	s_cbranch_vccz .LBB111_73
; %bb.72:
	v_min_f32_e32 v132, 0, v133
	v_cvt_f64_f32_e32 v[134:135], v132
	v_lshl_add_u64 v[136:137], v[166:167], 3, v[128:129]
	flat_store_dwordx2 v[136:137], v[134:135]
	s_mov_b64 s[2:3], 0
.LBB111_73:
	s_andn2_b64 vcc, exec, s[2:3]
	v_mov_b32_e32 v132, 0
	s_cbranch_vccnz .LBB111_75
; %bb.74:
	v_lshl_add_u64 v[134:135], v[130:131], 0, v[170:171]
	flat_load_dwordx2 v[134:135], v[134:135]
	v_lshl_add_u64 v[136:137], v[128:129], 0, v[170:171]
	v_lshl_add_u64 v[130:131], v[162:163], 3, v[130:131]
	s_waitcnt vmcnt(0) lgkmcnt(0)
	v_mul_f64 v[134:135], s[10:11], v[134:135]
	v_cvt_f32_f64_e32 v132, v[134:135]
	v_min_f32_e32 v132, v132, v133
	v_cvt_f64_f32_e32 v[132:133], v132
	flat_store_dwordx2 v[136:137], v[132:133]
	flat_load_dwordx2 v[130:131], v[130:131]
	s_waitcnt vmcnt(0) lgkmcnt(0)
	v_mul_f64 v[130:131], s[10:11], v[130:131]
	v_cvt_f32_f64_e32 v132, v[130:131]
.LBB111_75:
	v_add_f64 v[126:127], v[2:3], v[126:127]
	v_add_f64 v[124:125], v[0:1], v[124:125]
	v_cvt_f32_f64_e32 v124, v[124:125]
	v_cvt_f32_f64_e32 v125, v[126:127]
	v_add_f64 v[122:123], v[6:7], v[122:123]
	v_add_f64 v[120:121], v[4:5], v[120:121]
	v_min3_f32 v130, v124, v125, v237
	v_add_f64 v[124:125], v[38:39], v[118:119]
	v_add_f64 v[126:127], v[36:37], v[116:117]
	v_cvt_f32_f64_e32 v120, v[120:121]
	v_cvt_f32_f64_e32 v121, v[122:123]
	;; [unrolled: 1-line block ×4, first 2 shown]
	v_min_f32_e32 v125, v120, v121
	v_add_f64 v[120:121], v[34:35], v[114:115]
	v_add_f64 v[122:123], v[32:33], v[112:113]
	v_min3_f32 v124, v126, v124, v236
	v_cvt_f32_f64_e32 v122, v[122:123]
	v_cvt_f32_f64_e32 v120, v[120:121]
	v_min3_f32 v124, v122, v120, v124
	v_min3_f32 v120, v132, v125, v130
	v_cvt_f64_f32_e32 v[120:121], v120
	v_lshl_add_u64 v[122:123], v[162:163], 3, v[128:129]
	flat_store_dwordx2 v[122:123], v[120:121]
	v_add_u32_e32 v122, 40, v176
	v_mad_i64_i32 v[120:121], s[2:3], v122, s5, 0
	v_mad_i64_i32 v[122:123], s[2:3], v122, s4, 0
	v_lshl_add_u64 v[120:121], v[120:121], 3, s[0:1]
	s_mov_b64 s[2:3], -1
	v_max_f32_e32 v125, v124, v124
	s_mov_b64 vcc, s[8:9]
	s_cbranch_vccz .LBB111_77
; %bb.76:
	v_min_f32_e32 v124, 0, v125
	v_cvt_f64_f32_e32 v[126:127], v124
	v_lshl_add_u64 v[128:129], v[164:165], 3, v[120:121]
	flat_store_dwordx2 v[128:129], v[126:127]
	s_mov_b64 s[2:3], 0
.LBB111_77:
	v_lshl_add_u64 v[122:123], v[122:123], 3, s[16:17]
	s_andn2_b64 vcc, exec, s[2:3]
	v_mov_b32_e32 v124, 0
	s_cbranch_vccnz .LBB111_79
; %bb.78:
	v_lshl_add_u64 v[126:127], v[122:123], 0, v[168:169]
	flat_load_dwordx2 v[126:127], v[126:127]
	v_lshl_add_u64 v[128:129], v[120:121], 0, v[168:169]
	s_waitcnt vmcnt(0) lgkmcnt(0)
	v_mul_f64 v[126:127], s[10:11], v[126:127]
	v_cvt_f32_f64_e32 v124, v[126:127]
	v_min_f32_e32 v124, v124, v125
	v_cvt_f64_f32_e32 v[124:125], v124
	flat_store_dwordx2 v[128:129], v[124:125]
	v_lshl_add_u64 v[124:125], v[160:161], 3, v[122:123]
	flat_load_dwordx2 v[124:125], v[124:125]
	s_waitcnt vmcnt(0) lgkmcnt(0)
	v_mul_f64 v[124:125], s[10:11], v[124:125]
	v_cvt_f32_f64_e32 v124, v[124:125]
.LBB111_79:
	v_add_f64 v[126:127], v[30:31], v[118:119]
	v_add_f64 v[128:129], v[28:29], v[116:117]
	v_cvt_f32_f64_e32 v125, v[128:129]
	v_cvt_f32_f64_e32 v126, v[126:127]
	v_min3_f32 v125, v125, v126, v235
	v_add_f64 v[126:127], v[26:27], v[118:119]
	v_add_f64 v[128:129], v[24:25], v[116:117]
	v_cvt_f32_f64_e32 v128, v[128:129]
	v_cvt_f32_f64_e32 v126, v[126:127]
	v_min3_f32 v130, v128, v126, v234
	v_add_f64 v[126:127], v[22:23], v[114:115]
	v_add_f64 v[128:129], v[20:21], v[112:113]
	v_cvt_f32_f64_e32 v128, v[128:129]
	v_cvt_f32_f64_e32 v126, v[126:127]
	v_min_f32_e32 v131, v128, v126
	v_add_f64 v[126:127], v[14:15], v[114:115]
	v_add_f64 v[128:129], v[12:13], v[112:113]
	v_cvt_f32_f64_e32 v128, v[128:129]
	v_cvt_f32_f64_e32 v126, v[126:127]
	v_min3_f32 v124, v124, v131, v125
	v_min3_f32 v128, v128, v126, v130
	v_cvt_f64_f32_e32 v[124:125], v124
	v_lshl_add_u64 v[126:127], v[160:161], 3, v[120:121]
	flat_store_dwordx2 v[126:127], v[124:125]
	s_mov_b64 s[2:3], -1
	v_max_f32_e32 v125, v128, v128
	s_mov_b64 vcc, s[8:9]
	s_cbranch_vccz .LBB111_81
; %bb.80:
	v_min_f32_e32 v124, 0, v125
	v_cvt_f64_f32_e32 v[126:127], v124
	v_lshl_add_u64 v[128:129], v[166:167], 3, v[120:121]
	flat_store_dwordx2 v[128:129], v[126:127]
	s_mov_b64 s[2:3], 0
.LBB111_81:
	s_andn2_b64 vcc, exec, s[2:3]
	v_mov_b32_e32 v124, 0
	s_cbranch_vccnz .LBB111_83
; %bb.82:
	v_lshl_add_u64 v[126:127], v[122:123], 0, v[170:171]
	flat_load_dwordx2 v[126:127], v[126:127]
	v_lshl_add_u64 v[128:129], v[120:121], 0, v[170:171]
	v_lshl_add_u64 v[122:123], v[162:163], 3, v[122:123]
	s_waitcnt vmcnt(0) lgkmcnt(0)
	v_mul_f64 v[126:127], s[10:11], v[126:127]
	v_cvt_f32_f64_e32 v124, v[126:127]
	v_min_f32_e32 v124, v124, v125
	v_cvt_f64_f32_e32 v[124:125], v124
	flat_store_dwordx2 v[128:129], v[124:125]
	flat_load_dwordx2 v[122:123], v[122:123]
	s_waitcnt vmcnt(0) lgkmcnt(0)
	v_mul_f64 v[122:123], s[10:11], v[122:123]
	v_cvt_f32_f64_e32 v124, v[122:123]
.LBB111_83:
	v_add_f64 v[118:119], v[2:3], v[118:119]
	v_add_f64 v[116:117], v[0:1], v[116:117]
	v_cvt_f32_f64_e32 v116, v[116:117]
	v_cvt_f32_f64_e32 v117, v[118:119]
	v_add_f64 v[114:115], v[6:7], v[114:115]
	v_add_f64 v[112:113], v[4:5], v[112:113]
	v_min3_f32 v122, v116, v117, v233
	v_add_f64 v[116:117], v[38:39], v[110:111]
	v_add_f64 v[118:119], v[36:37], v[108:109]
	v_cvt_f32_f64_e32 v112, v[112:113]
	v_cvt_f32_f64_e32 v113, v[114:115]
	;; [unrolled: 1-line block ×4, first 2 shown]
	v_min_f32_e32 v117, v112, v113
	v_add_f64 v[112:113], v[34:35], v[106:107]
	v_add_f64 v[114:115], v[32:33], v[104:105]
	v_min3_f32 v116, v118, v116, v232
	v_cvt_f32_f64_e32 v114, v[114:115]
	v_cvt_f32_f64_e32 v112, v[112:113]
	v_min3_f32 v116, v114, v112, v116
	v_min3_f32 v112, v124, v117, v122
	v_cvt_f64_f32_e32 v[112:113], v112
	v_lshl_add_u64 v[114:115], v[162:163], 3, v[120:121]
	flat_store_dwordx2 v[114:115], v[112:113]
	v_add_u32_e32 v114, 48, v176
	v_mad_i64_i32 v[112:113], s[2:3], v114, s5, 0
	v_mad_i64_i32 v[114:115], s[2:3], v114, s4, 0
	v_lshl_add_u64 v[112:113], v[112:113], 3, s[0:1]
	s_mov_b64 s[2:3], -1
	v_max_f32_e32 v117, v116, v116
	s_mov_b64 vcc, s[8:9]
	s_cbranch_vccz .LBB111_85
; %bb.84:
	v_min_f32_e32 v116, 0, v117
	v_cvt_f64_f32_e32 v[118:119], v116
	v_lshl_add_u64 v[120:121], v[164:165], 3, v[112:113]
	flat_store_dwordx2 v[120:121], v[118:119]
	s_mov_b64 s[2:3], 0
.LBB111_85:
	v_lshl_add_u64 v[114:115], v[114:115], 3, s[16:17]
	s_andn2_b64 vcc, exec, s[2:3]
	v_mov_b32_e32 v116, 0
	s_cbranch_vccnz .LBB111_87
; %bb.86:
	v_lshl_add_u64 v[118:119], v[114:115], 0, v[168:169]
	flat_load_dwordx2 v[118:119], v[118:119]
	v_lshl_add_u64 v[120:121], v[112:113], 0, v[168:169]
	s_waitcnt vmcnt(0) lgkmcnt(0)
	v_mul_f64 v[118:119], s[10:11], v[118:119]
	v_cvt_f32_f64_e32 v116, v[118:119]
	v_min_f32_e32 v116, v116, v117
	v_cvt_f64_f32_e32 v[116:117], v116
	flat_store_dwordx2 v[120:121], v[116:117]
	v_lshl_add_u64 v[116:117], v[160:161], 3, v[114:115]
	flat_load_dwordx2 v[116:117], v[116:117]
	s_waitcnt vmcnt(0) lgkmcnt(0)
	v_mul_f64 v[116:117], s[10:11], v[116:117]
	v_cvt_f32_f64_e32 v116, v[116:117]
.LBB111_87:
	v_add_f64 v[118:119], v[30:31], v[110:111]
	v_add_f64 v[120:121], v[28:29], v[108:109]
	v_cvt_f32_f64_e32 v117, v[120:121]
	v_cvt_f32_f64_e32 v118, v[118:119]
	v_min3_f32 v117, v117, v118, v231
	v_add_f64 v[118:119], v[26:27], v[110:111]
	v_add_f64 v[120:121], v[24:25], v[108:109]
	v_cvt_f32_f64_e32 v120, v[120:121]
	v_cvt_f32_f64_e32 v118, v[118:119]
	v_min3_f32 v122, v120, v118, v230
	v_add_f64 v[118:119], v[22:23], v[106:107]
	v_add_f64 v[120:121], v[20:21], v[104:105]
	v_cvt_f32_f64_e32 v120, v[120:121]
	v_cvt_f32_f64_e32 v118, v[118:119]
	v_min_f32_e32 v123, v120, v118
	v_add_f64 v[118:119], v[14:15], v[106:107]
	v_add_f64 v[120:121], v[12:13], v[104:105]
	v_cvt_f32_f64_e32 v120, v[120:121]
	v_cvt_f32_f64_e32 v118, v[118:119]
	v_min3_f32 v116, v116, v123, v117
	v_min3_f32 v120, v120, v118, v122
	v_cvt_f64_f32_e32 v[116:117], v116
	v_lshl_add_u64 v[118:119], v[160:161], 3, v[112:113]
	flat_store_dwordx2 v[118:119], v[116:117]
	s_mov_b64 s[2:3], -1
	v_max_f32_e32 v117, v120, v120
	s_mov_b64 vcc, s[8:9]
	s_cbranch_vccz .LBB111_89
; %bb.88:
	v_min_f32_e32 v116, 0, v117
	v_cvt_f64_f32_e32 v[118:119], v116
	v_lshl_add_u64 v[120:121], v[166:167], 3, v[112:113]
	flat_store_dwordx2 v[120:121], v[118:119]
	s_mov_b64 s[2:3], 0
.LBB111_89:
	s_andn2_b64 vcc, exec, s[2:3]
	v_mov_b32_e32 v116, 0
	s_cbranch_vccnz .LBB111_91
; %bb.90:
	v_lshl_add_u64 v[118:119], v[114:115], 0, v[170:171]
	flat_load_dwordx2 v[118:119], v[118:119]
	v_lshl_add_u64 v[120:121], v[112:113], 0, v[170:171]
	v_lshl_add_u64 v[114:115], v[162:163], 3, v[114:115]
	s_waitcnt vmcnt(0) lgkmcnt(0)
	v_mul_f64 v[118:119], s[10:11], v[118:119]
	v_cvt_f32_f64_e32 v116, v[118:119]
	v_min_f32_e32 v116, v116, v117
	v_cvt_f64_f32_e32 v[116:117], v116
	flat_store_dwordx2 v[120:121], v[116:117]
	flat_load_dwordx2 v[114:115], v[114:115]
	s_waitcnt vmcnt(0) lgkmcnt(0)
	v_mul_f64 v[114:115], s[10:11], v[114:115]
	v_cvt_f32_f64_e32 v116, v[114:115]
.LBB111_91:
	v_add_f64 v[110:111], v[2:3], v[110:111]
	v_add_f64 v[108:109], v[0:1], v[108:109]
	v_cvt_f32_f64_e32 v108, v[108:109]
	v_cvt_f32_f64_e32 v109, v[110:111]
	v_add_f64 v[106:107], v[6:7], v[106:107]
	v_add_f64 v[104:105], v[4:5], v[104:105]
	v_min3_f32 v114, v108, v109, v229
	v_add_f64 v[108:109], v[38:39], v[102:103]
	v_add_f64 v[110:111], v[36:37], v[100:101]
	v_cvt_f32_f64_e32 v104, v[104:105]
	v_cvt_f32_f64_e32 v105, v[106:107]
	;; [unrolled: 1-line block ×4, first 2 shown]
	v_min_f32_e32 v109, v104, v105
	v_add_f64 v[104:105], v[34:35], v[98:99]
	v_add_f64 v[106:107], v[32:33], v[96:97]
	v_min3_f32 v108, v110, v108, v228
	v_cvt_f32_f64_e32 v106, v[106:107]
	v_cvt_f32_f64_e32 v104, v[104:105]
	v_min3_f32 v108, v106, v104, v108
	v_min3_f32 v104, v116, v109, v114
	v_cvt_f64_f32_e32 v[104:105], v104
	v_lshl_add_u64 v[106:107], v[162:163], 3, v[112:113]
	flat_store_dwordx2 v[106:107], v[104:105]
	v_add_u32_e32 v106, 56, v176
	v_mad_i64_i32 v[104:105], s[2:3], v106, s5, 0
	v_mad_i64_i32 v[106:107], s[2:3], v106, s4, 0
	v_lshl_add_u64 v[104:105], v[104:105], 3, s[0:1]
	s_mov_b64 s[2:3], -1
	v_max_f32_e32 v109, v108, v108
	s_mov_b64 vcc, s[8:9]
	s_cbranch_vccz .LBB111_93
; %bb.92:
	v_min_f32_e32 v108, 0, v109
	v_cvt_f64_f32_e32 v[110:111], v108
	v_lshl_add_u64 v[112:113], v[164:165], 3, v[104:105]
	flat_store_dwordx2 v[112:113], v[110:111]
	s_mov_b64 s[2:3], 0
.LBB111_93:
	v_lshl_add_u64 v[106:107], v[106:107], 3, s[16:17]
	s_andn2_b64 vcc, exec, s[2:3]
	v_mov_b32_e32 v108, 0
	s_cbranch_vccnz .LBB111_95
; %bb.94:
	v_lshl_add_u64 v[110:111], v[106:107], 0, v[168:169]
	flat_load_dwordx2 v[110:111], v[110:111]
	v_lshl_add_u64 v[112:113], v[104:105], 0, v[168:169]
	s_waitcnt vmcnt(0) lgkmcnt(0)
	v_mul_f64 v[110:111], s[10:11], v[110:111]
	v_cvt_f32_f64_e32 v108, v[110:111]
	v_min_f32_e32 v108, v108, v109
	v_cvt_f64_f32_e32 v[108:109], v108
	flat_store_dwordx2 v[112:113], v[108:109]
	v_lshl_add_u64 v[108:109], v[160:161], 3, v[106:107]
	flat_load_dwordx2 v[108:109], v[108:109]
	s_waitcnt vmcnt(0) lgkmcnt(0)
	v_mul_f64 v[108:109], s[10:11], v[108:109]
	v_cvt_f32_f64_e32 v108, v[108:109]
.LBB111_95:
	v_add_f64 v[110:111], v[30:31], v[102:103]
	v_add_f64 v[112:113], v[28:29], v[100:101]
	v_cvt_f32_f64_e32 v109, v[112:113]
	v_cvt_f32_f64_e32 v110, v[110:111]
	v_min3_f32 v109, v109, v110, v227
	v_add_f64 v[110:111], v[26:27], v[102:103]
	v_add_f64 v[112:113], v[24:25], v[100:101]
	v_cvt_f32_f64_e32 v112, v[112:113]
	v_cvt_f32_f64_e32 v110, v[110:111]
	v_min3_f32 v114, v112, v110, v226
	v_add_f64 v[110:111], v[22:23], v[98:99]
	v_add_f64 v[112:113], v[20:21], v[96:97]
	v_cvt_f32_f64_e32 v112, v[112:113]
	v_cvt_f32_f64_e32 v110, v[110:111]
	v_min_f32_e32 v115, v112, v110
	v_add_f64 v[110:111], v[14:15], v[98:99]
	v_add_f64 v[112:113], v[12:13], v[96:97]
	v_cvt_f32_f64_e32 v112, v[112:113]
	v_cvt_f32_f64_e32 v110, v[110:111]
	v_min3_f32 v108, v108, v115, v109
	v_min3_f32 v112, v112, v110, v114
	v_cvt_f64_f32_e32 v[108:109], v108
	v_lshl_add_u64 v[110:111], v[160:161], 3, v[104:105]
	flat_store_dwordx2 v[110:111], v[108:109]
	s_mov_b64 s[2:3], -1
	v_max_f32_e32 v109, v112, v112
	s_mov_b64 vcc, s[8:9]
	s_cbranch_vccz .LBB111_97
; %bb.96:
	v_min_f32_e32 v108, 0, v109
	v_cvt_f64_f32_e32 v[110:111], v108
	v_lshl_add_u64 v[112:113], v[166:167], 3, v[104:105]
	flat_store_dwordx2 v[112:113], v[110:111]
	s_mov_b64 s[2:3], 0
.LBB111_97:
	s_andn2_b64 vcc, exec, s[2:3]
	v_mov_b32_e32 v108, 0
	s_cbranch_vccnz .LBB111_99
; %bb.98:
	v_lshl_add_u64 v[110:111], v[106:107], 0, v[170:171]
	flat_load_dwordx2 v[110:111], v[110:111]
	v_lshl_add_u64 v[112:113], v[104:105], 0, v[170:171]
	v_lshl_add_u64 v[106:107], v[162:163], 3, v[106:107]
	s_waitcnt vmcnt(0) lgkmcnt(0)
	v_mul_f64 v[110:111], s[10:11], v[110:111]
	v_cvt_f32_f64_e32 v108, v[110:111]
	v_min_f32_e32 v108, v108, v109
	v_cvt_f64_f32_e32 v[108:109], v108
	flat_store_dwordx2 v[112:113], v[108:109]
	flat_load_dwordx2 v[106:107], v[106:107]
	s_waitcnt vmcnt(0) lgkmcnt(0)
	v_mul_f64 v[106:107], s[10:11], v[106:107]
	v_cvt_f32_f64_e32 v108, v[106:107]
.LBB111_99:
	v_add_f64 v[102:103], v[2:3], v[102:103]
	v_add_f64 v[100:101], v[0:1], v[100:101]
	v_cvt_f32_f64_e32 v100, v[100:101]
	v_cvt_f32_f64_e32 v101, v[102:103]
	v_add_f64 v[98:99], v[6:7], v[98:99]
	v_add_f64 v[96:97], v[4:5], v[96:97]
	v_min3_f32 v106, v100, v101, v225
	v_add_f64 v[100:101], v[38:39], v[94:95]
	v_add_f64 v[102:103], v[36:37], v[92:93]
	v_cvt_f32_f64_e32 v96, v[96:97]
	v_cvt_f32_f64_e32 v97, v[98:99]
	;; [unrolled: 1-line block ×4, first 2 shown]
	v_min_f32_e32 v101, v96, v97
	v_add_f64 v[96:97], v[34:35], v[90:91]
	v_add_f64 v[98:99], v[32:33], v[88:89]
	v_min3_f32 v100, v102, v100, v224
	v_cvt_f32_f64_e32 v98, v[98:99]
	v_cvt_f32_f64_e32 v96, v[96:97]
	v_min3_f32 v100, v98, v96, v100
	v_min3_f32 v96, v108, v101, v106
	v_cvt_f64_f32_e32 v[96:97], v96
	v_lshl_add_u64 v[98:99], v[162:163], 3, v[104:105]
	flat_store_dwordx2 v[98:99], v[96:97]
	v_add_u32_e32 v98, 64, v176
	v_mad_i64_i32 v[96:97], s[2:3], v98, s5, 0
	v_mad_i64_i32 v[98:99], s[2:3], v98, s4, 0
	v_lshl_add_u64 v[96:97], v[96:97], 3, s[0:1]
	s_mov_b64 s[2:3], -1
	v_max_f32_e32 v101, v100, v100
	s_mov_b64 vcc, s[8:9]
	s_cbranch_vccz .LBB111_101
; %bb.100:
	v_min_f32_e32 v100, 0, v101
	v_cvt_f64_f32_e32 v[102:103], v100
	v_lshl_add_u64 v[104:105], v[164:165], 3, v[96:97]
	flat_store_dwordx2 v[104:105], v[102:103]
	s_mov_b64 s[2:3], 0
.LBB111_101:
	v_lshl_add_u64 v[98:99], v[98:99], 3, s[16:17]
	s_andn2_b64 vcc, exec, s[2:3]
	v_mov_b32_e32 v100, 0
	s_cbranch_vccnz .LBB111_103
; %bb.102:
	v_lshl_add_u64 v[102:103], v[98:99], 0, v[168:169]
	flat_load_dwordx2 v[102:103], v[102:103]
	v_lshl_add_u64 v[104:105], v[96:97], 0, v[168:169]
	s_waitcnt vmcnt(0) lgkmcnt(0)
	v_mul_f64 v[102:103], s[10:11], v[102:103]
	v_cvt_f32_f64_e32 v100, v[102:103]
	v_min_f32_e32 v100, v100, v101
	v_cvt_f64_f32_e32 v[100:101], v100
	flat_store_dwordx2 v[104:105], v[100:101]
	v_lshl_add_u64 v[100:101], v[160:161], 3, v[98:99]
	flat_load_dwordx2 v[100:101], v[100:101]
	s_waitcnt vmcnt(0) lgkmcnt(0)
	v_mul_f64 v[100:101], s[10:11], v[100:101]
	v_cvt_f32_f64_e32 v100, v[100:101]
.LBB111_103:
	v_add_f64 v[102:103], v[30:31], v[94:95]
	v_add_f64 v[104:105], v[28:29], v[92:93]
	v_cvt_f32_f64_e32 v101, v[104:105]
	v_cvt_f32_f64_e32 v102, v[102:103]
	v_min3_f32 v101, v101, v102, v223
	v_add_f64 v[102:103], v[26:27], v[94:95]
	v_add_f64 v[104:105], v[24:25], v[92:93]
	v_cvt_f32_f64_e32 v104, v[104:105]
	v_cvt_f32_f64_e32 v102, v[102:103]
	v_min3_f32 v106, v104, v102, v222
	v_add_f64 v[102:103], v[22:23], v[90:91]
	v_add_f64 v[104:105], v[20:21], v[88:89]
	v_cvt_f32_f64_e32 v104, v[104:105]
	v_cvt_f32_f64_e32 v102, v[102:103]
	v_min_f32_e32 v107, v104, v102
	v_add_f64 v[102:103], v[14:15], v[90:91]
	v_add_f64 v[104:105], v[12:13], v[88:89]
	v_cvt_f32_f64_e32 v104, v[104:105]
	v_cvt_f32_f64_e32 v102, v[102:103]
	v_min3_f32 v100, v100, v107, v101
	v_min3_f32 v104, v104, v102, v106
	v_cvt_f64_f32_e32 v[100:101], v100
	v_lshl_add_u64 v[102:103], v[160:161], 3, v[96:97]
	flat_store_dwordx2 v[102:103], v[100:101]
	s_mov_b64 s[2:3], -1
	v_max_f32_e32 v101, v104, v104
	s_mov_b64 vcc, s[8:9]
	s_cbranch_vccz .LBB111_105
; %bb.104:
	v_min_f32_e32 v100, 0, v101
	v_cvt_f64_f32_e32 v[102:103], v100
	v_lshl_add_u64 v[104:105], v[166:167], 3, v[96:97]
	flat_store_dwordx2 v[104:105], v[102:103]
	s_mov_b64 s[2:3], 0
.LBB111_105:
	s_andn2_b64 vcc, exec, s[2:3]
	v_mov_b32_e32 v100, 0
	s_cbranch_vccnz .LBB111_107
; %bb.106:
	v_lshl_add_u64 v[102:103], v[98:99], 0, v[170:171]
	flat_load_dwordx2 v[102:103], v[102:103]
	v_lshl_add_u64 v[104:105], v[96:97], 0, v[170:171]
	v_lshl_add_u64 v[98:99], v[162:163], 3, v[98:99]
	s_waitcnt vmcnt(0) lgkmcnt(0)
	v_mul_f64 v[102:103], s[10:11], v[102:103]
	v_cvt_f32_f64_e32 v100, v[102:103]
	v_min_f32_e32 v100, v100, v101
	v_cvt_f64_f32_e32 v[100:101], v100
	flat_store_dwordx2 v[104:105], v[100:101]
	flat_load_dwordx2 v[98:99], v[98:99]
	s_waitcnt vmcnt(0) lgkmcnt(0)
	v_mul_f64 v[98:99], s[10:11], v[98:99]
	v_cvt_f32_f64_e32 v100, v[98:99]
.LBB111_107:
	v_add_f64 v[94:95], v[2:3], v[94:95]
	v_add_f64 v[92:93], v[0:1], v[92:93]
	v_cvt_f32_f64_e32 v92, v[92:93]
	v_cvt_f32_f64_e32 v93, v[94:95]
	v_add_f64 v[90:91], v[6:7], v[90:91]
	v_add_f64 v[88:89], v[4:5], v[88:89]
	v_min3_f32 v98, v92, v93, v221
	v_add_f64 v[92:93], v[38:39], v[86:87]
	v_add_f64 v[94:95], v[36:37], v[84:85]
	v_cvt_f32_f64_e32 v88, v[88:89]
	v_cvt_f32_f64_e32 v89, v[90:91]
	v_cvt_f32_f64_e32 v94, v[94:95]
	v_cvt_f32_f64_e32 v92, v[92:93]
	v_min_f32_e32 v93, v88, v89
	v_add_f64 v[88:89], v[34:35], v[82:83]
	v_add_f64 v[90:91], v[32:33], v[80:81]
	v_min3_f32 v92, v94, v92, v220
	v_cvt_f32_f64_e32 v90, v[90:91]
	v_cvt_f32_f64_e32 v88, v[88:89]
	v_min3_f32 v92, v90, v88, v92
	v_min3_f32 v88, v100, v93, v98
	v_cvt_f64_f32_e32 v[88:89], v88
	v_lshl_add_u64 v[90:91], v[162:163], 3, v[96:97]
	flat_store_dwordx2 v[90:91], v[88:89]
	v_add_u32_e32 v90, 0x48, v176
	v_mad_i64_i32 v[88:89], s[2:3], v90, s5, 0
	v_mad_i64_i32 v[90:91], s[2:3], v90, s4, 0
	v_lshl_add_u64 v[88:89], v[88:89], 3, s[0:1]
	s_mov_b64 s[2:3], -1
	v_max_f32_e32 v93, v92, v92
	s_mov_b64 vcc, s[8:9]
	s_cbranch_vccz .LBB111_109
; %bb.108:
	v_min_f32_e32 v92, 0, v93
	v_cvt_f64_f32_e32 v[94:95], v92
	v_lshl_add_u64 v[96:97], v[164:165], 3, v[88:89]
	flat_store_dwordx2 v[96:97], v[94:95]
	s_mov_b64 s[2:3], 0
.LBB111_109:
	v_lshl_add_u64 v[90:91], v[90:91], 3, s[16:17]
	s_andn2_b64 vcc, exec, s[2:3]
	v_mov_b32_e32 v92, 0
	s_cbranch_vccnz .LBB111_111
; %bb.110:
	v_lshl_add_u64 v[94:95], v[90:91], 0, v[168:169]
	flat_load_dwordx2 v[94:95], v[94:95]
	v_lshl_add_u64 v[96:97], v[88:89], 0, v[168:169]
	s_waitcnt vmcnt(0) lgkmcnt(0)
	v_mul_f64 v[94:95], s[10:11], v[94:95]
	v_cvt_f32_f64_e32 v92, v[94:95]
	v_min_f32_e32 v92, v92, v93
	v_cvt_f64_f32_e32 v[92:93], v92
	flat_store_dwordx2 v[96:97], v[92:93]
	v_lshl_add_u64 v[92:93], v[160:161], 3, v[90:91]
	flat_load_dwordx2 v[92:93], v[92:93]
	s_waitcnt vmcnt(0) lgkmcnt(0)
	v_mul_f64 v[92:93], s[10:11], v[92:93]
	v_cvt_f32_f64_e32 v92, v[92:93]
.LBB111_111:
	v_add_f64 v[94:95], v[30:31], v[86:87]
	v_add_f64 v[96:97], v[28:29], v[84:85]
	v_cvt_f32_f64_e32 v93, v[96:97]
	v_cvt_f32_f64_e32 v94, v[94:95]
	v_min3_f32 v93, v93, v94, v219
	v_add_f64 v[94:95], v[26:27], v[86:87]
	v_add_f64 v[96:97], v[24:25], v[84:85]
	v_cvt_f32_f64_e32 v96, v[96:97]
	v_cvt_f32_f64_e32 v94, v[94:95]
	v_min3_f32 v98, v96, v94, v218
	v_add_f64 v[94:95], v[22:23], v[82:83]
	v_add_f64 v[96:97], v[20:21], v[80:81]
	v_cvt_f32_f64_e32 v96, v[96:97]
	v_cvt_f32_f64_e32 v94, v[94:95]
	v_min_f32_e32 v99, v96, v94
	v_add_f64 v[94:95], v[14:15], v[82:83]
	v_add_f64 v[96:97], v[12:13], v[80:81]
	v_cvt_f32_f64_e32 v96, v[96:97]
	v_cvt_f32_f64_e32 v94, v[94:95]
	v_min3_f32 v92, v92, v99, v93
	v_min3_f32 v96, v96, v94, v98
	v_cvt_f64_f32_e32 v[92:93], v92
	v_lshl_add_u64 v[94:95], v[160:161], 3, v[88:89]
	flat_store_dwordx2 v[94:95], v[92:93]
	s_mov_b64 s[2:3], -1
	v_max_f32_e32 v93, v96, v96
	s_mov_b64 vcc, s[8:9]
	s_cbranch_vccz .LBB111_113
; %bb.112:
	v_min_f32_e32 v92, 0, v93
	v_cvt_f64_f32_e32 v[94:95], v92
	v_lshl_add_u64 v[96:97], v[166:167], 3, v[88:89]
	flat_store_dwordx2 v[96:97], v[94:95]
	s_mov_b64 s[2:3], 0
.LBB111_113:
	s_andn2_b64 vcc, exec, s[2:3]
	v_mov_b32_e32 v92, 0
	s_cbranch_vccnz .LBB111_115
; %bb.114:
	v_lshl_add_u64 v[94:95], v[90:91], 0, v[170:171]
	flat_load_dwordx2 v[94:95], v[94:95]
	v_lshl_add_u64 v[96:97], v[88:89], 0, v[170:171]
	v_lshl_add_u64 v[90:91], v[162:163], 3, v[90:91]
	s_waitcnt vmcnt(0) lgkmcnt(0)
	v_mul_f64 v[94:95], s[10:11], v[94:95]
	v_cvt_f32_f64_e32 v92, v[94:95]
	v_min_f32_e32 v92, v92, v93
	v_cvt_f64_f32_e32 v[92:93], v92
	flat_store_dwordx2 v[96:97], v[92:93]
	flat_load_dwordx2 v[90:91], v[90:91]
	s_waitcnt vmcnt(0) lgkmcnt(0)
	v_mul_f64 v[90:91], s[10:11], v[90:91]
	v_cvt_f32_f64_e32 v92, v[90:91]
.LBB111_115:
	v_add_f64 v[86:87], v[2:3], v[86:87]
	v_add_f64 v[84:85], v[0:1], v[84:85]
	v_cvt_f32_f64_e32 v84, v[84:85]
	v_cvt_f32_f64_e32 v85, v[86:87]
	v_add_f64 v[82:83], v[6:7], v[82:83]
	v_add_f64 v[80:81], v[4:5], v[80:81]
	v_min3_f32 v90, v84, v85, v217
	v_add_f64 v[84:85], v[38:39], v[78:79]
	v_add_f64 v[86:87], v[36:37], v[76:77]
	v_cvt_f32_f64_e32 v80, v[80:81]
	v_cvt_f32_f64_e32 v81, v[82:83]
	;; [unrolled: 1-line block ×4, first 2 shown]
	v_min_f32_e32 v85, v80, v81
	v_add_f64 v[80:81], v[34:35], v[74:75]
	v_add_f64 v[82:83], v[32:33], v[72:73]
	v_min3_f32 v84, v86, v84, v216
	v_cvt_f32_f64_e32 v82, v[82:83]
	v_cvt_f32_f64_e32 v80, v[80:81]
	v_min3_f32 v84, v82, v80, v84
	v_min3_f32 v80, v92, v85, v90
	v_cvt_f64_f32_e32 v[80:81], v80
	v_lshl_add_u64 v[82:83], v[162:163], 3, v[88:89]
	flat_store_dwordx2 v[82:83], v[80:81]
	v_add_u32_e32 v82, 0x50, v176
	v_mad_i64_i32 v[80:81], s[2:3], v82, s5, 0
	v_mad_i64_i32 v[82:83], s[2:3], v82, s4, 0
	v_lshl_add_u64 v[80:81], v[80:81], 3, s[0:1]
	s_mov_b64 s[2:3], -1
	v_max_f32_e32 v85, v84, v84
	s_mov_b64 vcc, s[8:9]
	s_cbranch_vccz .LBB111_117
; %bb.116:
	v_min_f32_e32 v84, 0, v85
	v_cvt_f64_f32_e32 v[86:87], v84
	v_lshl_add_u64 v[88:89], v[164:165], 3, v[80:81]
	flat_store_dwordx2 v[88:89], v[86:87]
	s_mov_b64 s[2:3], 0
.LBB111_117:
	v_lshl_add_u64 v[82:83], v[82:83], 3, s[16:17]
	s_andn2_b64 vcc, exec, s[2:3]
	v_mov_b32_e32 v84, 0
	s_cbranch_vccnz .LBB111_119
; %bb.118:
	v_lshl_add_u64 v[86:87], v[82:83], 0, v[168:169]
	flat_load_dwordx2 v[86:87], v[86:87]
	v_lshl_add_u64 v[88:89], v[80:81], 0, v[168:169]
	s_waitcnt vmcnt(0) lgkmcnt(0)
	v_mul_f64 v[86:87], s[10:11], v[86:87]
	v_cvt_f32_f64_e32 v84, v[86:87]
	v_min_f32_e32 v84, v84, v85
	v_cvt_f64_f32_e32 v[84:85], v84
	flat_store_dwordx2 v[88:89], v[84:85]
	v_lshl_add_u64 v[84:85], v[160:161], 3, v[82:83]
	flat_load_dwordx2 v[84:85], v[84:85]
	s_waitcnt vmcnt(0) lgkmcnt(0)
	v_mul_f64 v[84:85], s[10:11], v[84:85]
	v_cvt_f32_f64_e32 v84, v[84:85]
.LBB111_119:
	v_add_f64 v[86:87], v[30:31], v[78:79]
	v_add_f64 v[88:89], v[28:29], v[76:77]
	v_cvt_f32_f64_e32 v85, v[88:89]
	v_cvt_f32_f64_e32 v86, v[86:87]
	v_min3_f32 v85, v85, v86, v215
	v_add_f64 v[86:87], v[26:27], v[78:79]
	v_add_f64 v[88:89], v[24:25], v[76:77]
	v_cvt_f32_f64_e32 v88, v[88:89]
	v_cvt_f32_f64_e32 v86, v[86:87]
	v_min3_f32 v90, v88, v86, v214
	v_add_f64 v[86:87], v[22:23], v[74:75]
	v_add_f64 v[88:89], v[20:21], v[72:73]
	v_cvt_f32_f64_e32 v88, v[88:89]
	v_cvt_f32_f64_e32 v86, v[86:87]
	v_min_f32_e32 v91, v88, v86
	v_add_f64 v[86:87], v[14:15], v[74:75]
	v_add_f64 v[88:89], v[12:13], v[72:73]
	v_cvt_f32_f64_e32 v88, v[88:89]
	v_cvt_f32_f64_e32 v86, v[86:87]
	v_min3_f32 v84, v84, v91, v85
	v_min3_f32 v88, v88, v86, v90
	v_cvt_f64_f32_e32 v[84:85], v84
	v_lshl_add_u64 v[86:87], v[160:161], 3, v[80:81]
	flat_store_dwordx2 v[86:87], v[84:85]
	s_mov_b64 s[2:3], -1
	v_max_f32_e32 v85, v88, v88
	s_mov_b64 vcc, s[8:9]
	s_cbranch_vccz .LBB111_121
; %bb.120:
	v_min_f32_e32 v84, 0, v85
	v_cvt_f64_f32_e32 v[86:87], v84
	v_lshl_add_u64 v[88:89], v[166:167], 3, v[80:81]
	flat_store_dwordx2 v[88:89], v[86:87]
	s_mov_b64 s[2:3], 0
.LBB111_121:
	s_andn2_b64 vcc, exec, s[2:3]
	v_mov_b32_e32 v84, 0
	s_cbranch_vccnz .LBB111_123
; %bb.122:
	v_lshl_add_u64 v[86:87], v[82:83], 0, v[170:171]
	flat_load_dwordx2 v[86:87], v[86:87]
	v_lshl_add_u64 v[88:89], v[80:81], 0, v[170:171]
	v_lshl_add_u64 v[82:83], v[162:163], 3, v[82:83]
	s_waitcnt vmcnt(0) lgkmcnt(0)
	v_mul_f64 v[86:87], s[10:11], v[86:87]
	v_cvt_f32_f64_e32 v84, v[86:87]
	v_min_f32_e32 v84, v84, v85
	v_cvt_f64_f32_e32 v[84:85], v84
	flat_store_dwordx2 v[88:89], v[84:85]
	flat_load_dwordx2 v[82:83], v[82:83]
	s_waitcnt vmcnt(0) lgkmcnt(0)
	v_mul_f64 v[82:83], s[10:11], v[82:83]
	v_cvt_f32_f64_e32 v84, v[82:83]
.LBB111_123:
	v_add_f64 v[78:79], v[2:3], v[78:79]
	v_add_f64 v[76:77], v[0:1], v[76:77]
	v_cvt_f32_f64_e32 v76, v[76:77]
	v_cvt_f32_f64_e32 v77, v[78:79]
	v_add_f64 v[74:75], v[6:7], v[74:75]
	v_add_f64 v[72:73], v[4:5], v[72:73]
	v_min3_f32 v82, v76, v77, v213
	v_add_f64 v[76:77], v[38:39], v[70:71]
	v_add_f64 v[78:79], v[36:37], v[68:69]
	v_cvt_f32_f64_e32 v72, v[72:73]
	v_cvt_f32_f64_e32 v73, v[74:75]
	;; [unrolled: 1-line block ×4, first 2 shown]
	v_min_f32_e32 v77, v72, v73
	v_add_f64 v[72:73], v[34:35], v[66:67]
	v_add_f64 v[74:75], v[32:33], v[64:65]
	v_min3_f32 v76, v78, v76, v212
	v_cvt_f32_f64_e32 v74, v[74:75]
	v_cvt_f32_f64_e32 v72, v[72:73]
	v_min3_f32 v76, v74, v72, v76
	v_min3_f32 v72, v84, v77, v82
	v_cvt_f64_f32_e32 v[72:73], v72
	v_lshl_add_u64 v[74:75], v[162:163], 3, v[80:81]
	flat_store_dwordx2 v[74:75], v[72:73]
	v_add_u32_e32 v74, 0x58, v176
	v_mad_i64_i32 v[72:73], s[2:3], v74, s5, 0
	v_mad_i64_i32 v[74:75], s[2:3], v74, s4, 0
	v_lshl_add_u64 v[72:73], v[72:73], 3, s[0:1]
	s_mov_b64 s[2:3], -1
	v_max_f32_e32 v77, v76, v76
	s_mov_b64 vcc, s[8:9]
	s_cbranch_vccz .LBB111_125
; %bb.124:
	v_min_f32_e32 v76, 0, v77
	v_cvt_f64_f32_e32 v[78:79], v76
	v_lshl_add_u64 v[80:81], v[164:165], 3, v[72:73]
	flat_store_dwordx2 v[80:81], v[78:79]
	s_mov_b64 s[2:3], 0
.LBB111_125:
	v_lshl_add_u64 v[74:75], v[74:75], 3, s[16:17]
	s_andn2_b64 vcc, exec, s[2:3]
	v_mov_b32_e32 v76, 0
	s_cbranch_vccnz .LBB111_127
; %bb.126:
	v_lshl_add_u64 v[78:79], v[74:75], 0, v[168:169]
	flat_load_dwordx2 v[78:79], v[78:79]
	v_lshl_add_u64 v[80:81], v[72:73], 0, v[168:169]
	s_waitcnt vmcnt(0) lgkmcnt(0)
	v_mul_f64 v[78:79], s[10:11], v[78:79]
	v_cvt_f32_f64_e32 v76, v[78:79]
	v_min_f32_e32 v76, v76, v77
	v_cvt_f64_f32_e32 v[76:77], v76
	flat_store_dwordx2 v[80:81], v[76:77]
	v_lshl_add_u64 v[76:77], v[160:161], 3, v[74:75]
	flat_load_dwordx2 v[76:77], v[76:77]
	s_waitcnt vmcnt(0) lgkmcnt(0)
	v_mul_f64 v[76:77], s[10:11], v[76:77]
	v_cvt_f32_f64_e32 v76, v[76:77]
.LBB111_127:
	v_add_f64 v[78:79], v[30:31], v[70:71]
	v_add_f64 v[80:81], v[28:29], v[68:69]
	v_cvt_f32_f64_e32 v77, v[80:81]
	v_cvt_f32_f64_e32 v78, v[78:79]
	v_min3_f32 v77, v77, v78, v211
	v_add_f64 v[78:79], v[26:27], v[70:71]
	v_add_f64 v[80:81], v[24:25], v[68:69]
	v_cvt_f32_f64_e32 v80, v[80:81]
	v_cvt_f32_f64_e32 v78, v[78:79]
	v_min3_f32 v82, v80, v78, v210
	v_add_f64 v[78:79], v[22:23], v[66:67]
	v_add_f64 v[80:81], v[20:21], v[64:65]
	v_cvt_f32_f64_e32 v80, v[80:81]
	v_cvt_f32_f64_e32 v78, v[78:79]
	v_min_f32_e32 v83, v80, v78
	v_add_f64 v[78:79], v[14:15], v[66:67]
	v_add_f64 v[80:81], v[12:13], v[64:65]
	v_cvt_f32_f64_e32 v80, v[80:81]
	v_cvt_f32_f64_e32 v78, v[78:79]
	v_min3_f32 v76, v76, v83, v77
	v_min3_f32 v80, v80, v78, v82
	v_cvt_f64_f32_e32 v[76:77], v76
	v_lshl_add_u64 v[78:79], v[160:161], 3, v[72:73]
	flat_store_dwordx2 v[78:79], v[76:77]
	s_mov_b64 s[2:3], -1
	v_max_f32_e32 v77, v80, v80
	s_mov_b64 vcc, s[8:9]
	s_cbranch_vccz .LBB111_129
; %bb.128:
	v_min_f32_e32 v76, 0, v77
	v_cvt_f64_f32_e32 v[78:79], v76
	v_lshl_add_u64 v[80:81], v[166:167], 3, v[72:73]
	flat_store_dwordx2 v[80:81], v[78:79]
	s_mov_b64 s[2:3], 0
.LBB111_129:
	s_andn2_b64 vcc, exec, s[2:3]
	v_mov_b32_e32 v76, 0
	s_cbranch_vccnz .LBB111_131
; %bb.130:
	v_lshl_add_u64 v[78:79], v[74:75], 0, v[170:171]
	flat_load_dwordx2 v[78:79], v[78:79]
	v_lshl_add_u64 v[80:81], v[72:73], 0, v[170:171]
	v_lshl_add_u64 v[74:75], v[162:163], 3, v[74:75]
	s_waitcnt vmcnt(0) lgkmcnt(0)
	v_mul_f64 v[78:79], s[10:11], v[78:79]
	v_cvt_f32_f64_e32 v76, v[78:79]
	v_min_f32_e32 v76, v76, v77
	v_cvt_f64_f32_e32 v[76:77], v76
	flat_store_dwordx2 v[80:81], v[76:77]
	flat_load_dwordx2 v[74:75], v[74:75]
	s_waitcnt vmcnt(0) lgkmcnt(0)
	v_mul_f64 v[74:75], s[10:11], v[74:75]
	v_cvt_f32_f64_e32 v76, v[74:75]
.LBB111_131:
	v_add_f64 v[70:71], v[2:3], v[70:71]
	v_add_f64 v[68:69], v[0:1], v[68:69]
	v_cvt_f32_f64_e32 v68, v[68:69]
	v_cvt_f32_f64_e32 v69, v[70:71]
	v_add_f64 v[66:67], v[6:7], v[66:67]
	v_add_f64 v[64:65], v[4:5], v[64:65]
	v_min3_f32 v74, v68, v69, v209
	v_add_f64 v[68:69], v[38:39], v[62:63]
	v_add_f64 v[70:71], v[36:37], v[60:61]
	v_cvt_f32_f64_e32 v64, v[64:65]
	v_cvt_f32_f64_e32 v65, v[66:67]
	;; [unrolled: 1-line block ×4, first 2 shown]
	v_min_f32_e32 v69, v64, v65
	v_add_f64 v[64:65], v[34:35], v[58:59]
	v_add_f64 v[66:67], v[32:33], v[56:57]
	v_min3_f32 v68, v70, v68, v208
	v_cvt_f32_f64_e32 v66, v[66:67]
	v_cvt_f32_f64_e32 v64, v[64:65]
	v_min3_f32 v68, v66, v64, v68
	v_min3_f32 v64, v76, v69, v74
	v_cvt_f64_f32_e32 v[64:65], v64
	v_lshl_add_u64 v[66:67], v[162:163], 3, v[72:73]
	flat_store_dwordx2 v[66:67], v[64:65]
	v_add_u32_e32 v66, 0x60, v176
	v_mad_i64_i32 v[64:65], s[2:3], v66, s5, 0
	v_mad_i64_i32 v[66:67], s[2:3], v66, s4, 0
	v_lshl_add_u64 v[64:65], v[64:65], 3, s[0:1]
	s_mov_b64 s[2:3], -1
	v_max_f32_e32 v69, v68, v68
	s_mov_b64 vcc, s[8:9]
	s_cbranch_vccz .LBB111_133
; %bb.132:
	v_min_f32_e32 v68, 0, v69
	v_cvt_f64_f32_e32 v[70:71], v68
	v_lshl_add_u64 v[72:73], v[164:165], 3, v[64:65]
	flat_store_dwordx2 v[72:73], v[70:71]
	s_mov_b64 s[2:3], 0
.LBB111_133:
	v_lshl_add_u64 v[66:67], v[66:67], 3, s[16:17]
	s_andn2_b64 vcc, exec, s[2:3]
	v_mov_b32_e32 v68, 0
	s_cbranch_vccnz .LBB111_135
; %bb.134:
	v_lshl_add_u64 v[70:71], v[66:67], 0, v[168:169]
	flat_load_dwordx2 v[70:71], v[70:71]
	v_lshl_add_u64 v[72:73], v[64:65], 0, v[168:169]
	s_waitcnt vmcnt(0) lgkmcnt(0)
	v_mul_f64 v[70:71], s[10:11], v[70:71]
	v_cvt_f32_f64_e32 v68, v[70:71]
	v_min_f32_e32 v68, v68, v69
	v_cvt_f64_f32_e32 v[68:69], v68
	flat_store_dwordx2 v[72:73], v[68:69]
	v_lshl_add_u64 v[68:69], v[160:161], 3, v[66:67]
	flat_load_dwordx2 v[68:69], v[68:69]
	s_waitcnt vmcnt(0) lgkmcnt(0)
	v_mul_f64 v[68:69], s[10:11], v[68:69]
	v_cvt_f32_f64_e32 v68, v[68:69]
.LBB111_135:
	v_add_f64 v[70:71], v[30:31], v[62:63]
	v_add_f64 v[72:73], v[28:29], v[60:61]
	v_cvt_f32_f64_e32 v69, v[72:73]
	v_cvt_f32_f64_e32 v70, v[70:71]
	v_min3_f32 v69, v69, v70, v207
	v_add_f64 v[70:71], v[26:27], v[62:63]
	v_add_f64 v[72:73], v[24:25], v[60:61]
	v_cvt_f32_f64_e32 v72, v[72:73]
	v_cvt_f32_f64_e32 v70, v[70:71]
	v_min3_f32 v74, v72, v70, v206
	v_add_f64 v[70:71], v[22:23], v[58:59]
	v_add_f64 v[72:73], v[20:21], v[56:57]
	v_cvt_f32_f64_e32 v72, v[72:73]
	v_cvt_f32_f64_e32 v70, v[70:71]
	v_min_f32_e32 v75, v72, v70
	v_add_f64 v[70:71], v[14:15], v[58:59]
	v_add_f64 v[72:73], v[12:13], v[56:57]
	v_cvt_f32_f64_e32 v72, v[72:73]
	v_cvt_f32_f64_e32 v70, v[70:71]
	v_min3_f32 v68, v68, v75, v69
	v_min3_f32 v72, v72, v70, v74
	v_cvt_f64_f32_e32 v[68:69], v68
	v_lshl_add_u64 v[70:71], v[160:161], 3, v[64:65]
	flat_store_dwordx2 v[70:71], v[68:69]
	s_mov_b64 s[2:3], -1
	v_max_f32_e32 v69, v72, v72
	s_mov_b64 vcc, s[8:9]
	s_cbranch_vccz .LBB111_137
; %bb.136:
	v_min_f32_e32 v68, 0, v69
	v_cvt_f64_f32_e32 v[70:71], v68
	v_lshl_add_u64 v[72:73], v[166:167], 3, v[64:65]
	flat_store_dwordx2 v[72:73], v[70:71]
	s_mov_b64 s[2:3], 0
.LBB111_137:
	s_andn2_b64 vcc, exec, s[2:3]
	v_mov_b32_e32 v68, 0
	s_cbranch_vccnz .LBB111_139
; %bb.138:
	v_lshl_add_u64 v[70:71], v[66:67], 0, v[170:171]
	flat_load_dwordx2 v[70:71], v[70:71]
	v_lshl_add_u64 v[72:73], v[64:65], 0, v[170:171]
	v_lshl_add_u64 v[66:67], v[162:163], 3, v[66:67]
	s_waitcnt vmcnt(0) lgkmcnt(0)
	v_mul_f64 v[70:71], s[10:11], v[70:71]
	v_cvt_f32_f64_e32 v68, v[70:71]
	v_min_f32_e32 v68, v68, v69
	v_cvt_f64_f32_e32 v[68:69], v68
	flat_store_dwordx2 v[72:73], v[68:69]
	flat_load_dwordx2 v[66:67], v[66:67]
	s_waitcnt vmcnt(0) lgkmcnt(0)
	v_mul_f64 v[66:67], s[10:11], v[66:67]
	v_cvt_f32_f64_e32 v68, v[66:67]
.LBB111_139:
	v_add_f64 v[62:63], v[2:3], v[62:63]
	v_add_f64 v[60:61], v[0:1], v[60:61]
	v_cvt_f32_f64_e32 v60, v[60:61]
	v_cvt_f32_f64_e32 v61, v[62:63]
	v_add_f64 v[58:59], v[6:7], v[58:59]
	v_add_f64 v[56:57], v[4:5], v[56:57]
	v_min3_f32 v66, v60, v61, v205
	v_add_f64 v[60:61], v[38:39], v[54:55]
	v_add_f64 v[62:63], v[36:37], v[52:53]
	v_cvt_f32_f64_e32 v56, v[56:57]
	v_cvt_f32_f64_e32 v57, v[58:59]
	;; [unrolled: 1-line block ×4, first 2 shown]
	v_min_f32_e32 v61, v56, v57
	v_add_f64 v[56:57], v[34:35], v[50:51]
	v_add_f64 v[58:59], v[32:33], v[48:49]
	v_min3_f32 v60, v62, v60, v204
	v_cvt_f32_f64_e32 v58, v[58:59]
	v_cvt_f32_f64_e32 v56, v[56:57]
	v_min3_f32 v60, v58, v56, v60
	v_min3_f32 v56, v68, v61, v66
	v_cvt_f64_f32_e32 v[56:57], v56
	v_lshl_add_u64 v[58:59], v[162:163], 3, v[64:65]
	flat_store_dwordx2 v[58:59], v[56:57]
	v_add_u32_e32 v58, 0x68, v176
	v_mad_i64_i32 v[56:57], s[2:3], v58, s5, 0
	v_mad_i64_i32 v[58:59], s[2:3], v58, s4, 0
	v_lshl_add_u64 v[56:57], v[56:57], 3, s[0:1]
	s_mov_b64 s[2:3], -1
	v_max_f32_e32 v61, v60, v60
	s_mov_b64 vcc, s[8:9]
	s_cbranch_vccz .LBB111_141
; %bb.140:
	v_min_f32_e32 v60, 0, v61
	v_cvt_f64_f32_e32 v[62:63], v60
	v_lshl_add_u64 v[64:65], v[164:165], 3, v[56:57]
	flat_store_dwordx2 v[64:65], v[62:63]
	s_mov_b64 s[2:3], 0
.LBB111_141:
	v_lshl_add_u64 v[58:59], v[58:59], 3, s[16:17]
	s_andn2_b64 vcc, exec, s[2:3]
	v_mov_b32_e32 v60, 0
	s_cbranch_vccnz .LBB111_143
; %bb.142:
	v_lshl_add_u64 v[62:63], v[58:59], 0, v[168:169]
	flat_load_dwordx2 v[62:63], v[62:63]
	v_lshl_add_u64 v[64:65], v[56:57], 0, v[168:169]
	s_waitcnt vmcnt(0) lgkmcnt(0)
	v_mul_f64 v[62:63], s[10:11], v[62:63]
	v_cvt_f32_f64_e32 v60, v[62:63]
	v_min_f32_e32 v60, v60, v61
	v_cvt_f64_f32_e32 v[60:61], v60
	flat_store_dwordx2 v[64:65], v[60:61]
	v_lshl_add_u64 v[60:61], v[160:161], 3, v[58:59]
	flat_load_dwordx2 v[60:61], v[60:61]
	s_waitcnt vmcnt(0) lgkmcnt(0)
	v_mul_f64 v[60:61], s[10:11], v[60:61]
	v_cvt_f32_f64_e32 v60, v[60:61]
.LBB111_143:
	v_add_f64 v[62:63], v[30:31], v[54:55]
	v_add_f64 v[64:65], v[28:29], v[52:53]
	v_cvt_f32_f64_e32 v61, v[64:65]
	v_cvt_f32_f64_e32 v62, v[62:63]
	v_min3_f32 v61, v61, v62, v203
	v_add_f64 v[62:63], v[26:27], v[54:55]
	v_add_f64 v[64:65], v[24:25], v[52:53]
	v_cvt_f32_f64_e32 v64, v[64:65]
	v_cvt_f32_f64_e32 v62, v[62:63]
	v_min3_f32 v66, v64, v62, v202
	v_add_f64 v[62:63], v[22:23], v[50:51]
	v_add_f64 v[64:65], v[20:21], v[48:49]
	v_cvt_f32_f64_e32 v64, v[64:65]
	v_cvt_f32_f64_e32 v62, v[62:63]
	v_min_f32_e32 v67, v64, v62
	v_add_f64 v[62:63], v[14:15], v[50:51]
	v_add_f64 v[64:65], v[12:13], v[48:49]
	v_cvt_f32_f64_e32 v64, v[64:65]
	v_cvt_f32_f64_e32 v62, v[62:63]
	v_min3_f32 v60, v60, v67, v61
	v_min3_f32 v64, v64, v62, v66
	v_cvt_f64_f32_e32 v[60:61], v60
	v_lshl_add_u64 v[62:63], v[160:161], 3, v[56:57]
	flat_store_dwordx2 v[62:63], v[60:61]
	s_mov_b64 s[2:3], -1
	v_max_f32_e32 v61, v64, v64
	s_mov_b64 vcc, s[8:9]
	s_cbranch_vccz .LBB111_145
; %bb.144:
	v_min_f32_e32 v60, 0, v61
	v_cvt_f64_f32_e32 v[62:63], v60
	v_lshl_add_u64 v[64:65], v[166:167], 3, v[56:57]
	flat_store_dwordx2 v[64:65], v[62:63]
	s_mov_b64 s[2:3], 0
.LBB111_145:
	s_andn2_b64 vcc, exec, s[2:3]
	v_mov_b32_e32 v60, 0
	s_cbranch_vccnz .LBB111_147
; %bb.146:
	v_lshl_add_u64 v[62:63], v[58:59], 0, v[170:171]
	flat_load_dwordx2 v[62:63], v[62:63]
	v_lshl_add_u64 v[64:65], v[56:57], 0, v[170:171]
	v_lshl_add_u64 v[58:59], v[162:163], 3, v[58:59]
	s_waitcnt vmcnt(0) lgkmcnt(0)
	v_mul_f64 v[62:63], s[10:11], v[62:63]
	v_cvt_f32_f64_e32 v60, v[62:63]
	v_min_f32_e32 v60, v60, v61
	v_cvt_f64_f32_e32 v[60:61], v60
	flat_store_dwordx2 v[64:65], v[60:61]
	flat_load_dwordx2 v[58:59], v[58:59]
	s_waitcnt vmcnt(0) lgkmcnt(0)
	v_mul_f64 v[58:59], s[10:11], v[58:59]
	v_cvt_f32_f64_e32 v60, v[58:59]
.LBB111_147:
	v_add_f64 v[54:55], v[2:3], v[54:55]
	v_add_f64 v[52:53], v[0:1], v[52:53]
	v_cvt_f32_f64_e32 v52, v[52:53]
	v_cvt_f32_f64_e32 v53, v[54:55]
	v_add_f64 v[50:51], v[6:7], v[50:51]
	v_add_f64 v[48:49], v[4:5], v[48:49]
	v_min3_f32 v58, v52, v53, v201
	v_add_f64 v[52:53], v[38:39], v[46:47]
	v_add_f64 v[54:55], v[36:37], v[44:45]
	v_cvt_f32_f64_e32 v48, v[48:49]
	v_cvt_f32_f64_e32 v49, v[50:51]
	v_cvt_f32_f64_e32 v54, v[54:55]
	v_cvt_f32_f64_e32 v52, v[52:53]
	v_min_f32_e32 v53, v48, v49
	v_add_f64 v[48:49], v[34:35], v[42:43]
	v_add_f64 v[50:51], v[32:33], v[40:41]
	v_min3_f32 v52, v54, v52, v200
	v_cvt_f32_f64_e32 v50, v[50:51]
	v_cvt_f32_f64_e32 v48, v[48:49]
	v_min3_f32 v52, v50, v48, v52
	v_min3_f32 v48, v60, v53, v58
	v_cvt_f64_f32_e32 v[48:49], v48
	v_lshl_add_u64 v[50:51], v[162:163], 3, v[56:57]
	flat_store_dwordx2 v[50:51], v[48:49]
	v_add_u32_e32 v50, 0x70, v176
	v_mad_i64_i32 v[48:49], s[2:3], v50, s5, 0
	v_mad_i64_i32 v[50:51], s[2:3], v50, s4, 0
	v_lshl_add_u64 v[48:49], v[48:49], 3, s[0:1]
	s_mov_b64 s[2:3], -1
	v_max_f32_e32 v53, v52, v52
	s_mov_b64 vcc, s[8:9]
	s_cbranch_vccz .LBB111_149
; %bb.148:
	v_min_f32_e32 v52, 0, v53
	v_cvt_f64_f32_e32 v[54:55], v52
	v_lshl_add_u64 v[56:57], v[164:165], 3, v[48:49]
	flat_store_dwordx2 v[56:57], v[54:55]
	s_mov_b64 s[2:3], 0
.LBB111_149:
	v_lshl_add_u64 v[50:51], v[50:51], 3, s[16:17]
	s_andn2_b64 vcc, exec, s[2:3]
	v_mov_b32_e32 v52, 0
	s_cbranch_vccnz .LBB111_151
; %bb.150:
	v_lshl_add_u64 v[54:55], v[50:51], 0, v[168:169]
	flat_load_dwordx2 v[54:55], v[54:55]
	v_lshl_add_u64 v[56:57], v[48:49], 0, v[168:169]
	s_waitcnt vmcnt(0) lgkmcnt(0)
	v_mul_f64 v[54:55], s[10:11], v[54:55]
	v_cvt_f32_f64_e32 v52, v[54:55]
	v_min_f32_e32 v52, v52, v53
	v_cvt_f64_f32_e32 v[52:53], v52
	flat_store_dwordx2 v[56:57], v[52:53]
	v_lshl_add_u64 v[52:53], v[160:161], 3, v[50:51]
	flat_load_dwordx2 v[52:53], v[52:53]
	s_waitcnt vmcnt(0) lgkmcnt(0)
	v_mul_f64 v[52:53], s[10:11], v[52:53]
	v_cvt_f32_f64_e32 v52, v[52:53]
.LBB111_151:
	v_add_f64 v[54:55], v[30:31], v[46:47]
	v_add_f64 v[56:57], v[28:29], v[44:45]
	v_cvt_f32_f64_e32 v53, v[56:57]
	v_cvt_f32_f64_e32 v54, v[54:55]
	v_min3_f32 v53, v53, v54, v199
	v_add_f64 v[54:55], v[26:27], v[46:47]
	v_add_f64 v[56:57], v[24:25], v[44:45]
	v_cvt_f32_f64_e32 v56, v[56:57]
	v_cvt_f32_f64_e32 v54, v[54:55]
	v_min3_f32 v58, v56, v54, v198
	v_add_f64 v[54:55], v[22:23], v[42:43]
	v_add_f64 v[56:57], v[20:21], v[40:41]
	v_cvt_f32_f64_e32 v56, v[56:57]
	v_cvt_f32_f64_e32 v54, v[54:55]
	v_min_f32_e32 v59, v56, v54
	v_add_f64 v[54:55], v[14:15], v[42:43]
	v_add_f64 v[56:57], v[12:13], v[40:41]
	v_cvt_f32_f64_e32 v56, v[56:57]
	v_cvt_f32_f64_e32 v54, v[54:55]
	v_min3_f32 v52, v52, v59, v53
	v_min3_f32 v56, v56, v54, v58
	v_cvt_f64_f32_e32 v[52:53], v52
	v_lshl_add_u64 v[54:55], v[160:161], 3, v[48:49]
	flat_store_dwordx2 v[54:55], v[52:53]
	s_mov_b64 s[2:3], -1
	v_max_f32_e32 v53, v56, v56
	s_mov_b64 vcc, s[8:9]
	s_cbranch_vccz .LBB111_153
; %bb.152:
	v_min_f32_e32 v52, 0, v53
	v_cvt_f64_f32_e32 v[54:55], v52
	v_lshl_add_u64 v[56:57], v[166:167], 3, v[48:49]
	flat_store_dwordx2 v[56:57], v[54:55]
	s_mov_b64 s[2:3], 0
.LBB111_153:
	s_andn2_b64 vcc, exec, s[2:3]
	v_mov_b32_e32 v52, 0
	s_cbranch_vccnz .LBB111_155
; %bb.154:
	v_lshl_add_u64 v[54:55], v[50:51], 0, v[170:171]
	flat_load_dwordx2 v[54:55], v[54:55]
	v_lshl_add_u64 v[56:57], v[48:49], 0, v[170:171]
	v_lshl_add_u64 v[50:51], v[162:163], 3, v[50:51]
	s_waitcnt vmcnt(0) lgkmcnt(0)
	v_mul_f64 v[54:55], s[10:11], v[54:55]
	v_cvt_f32_f64_e32 v52, v[54:55]
	v_min_f32_e32 v52, v52, v53
	v_cvt_f64_f32_e32 v[52:53], v52
	flat_store_dwordx2 v[56:57], v[52:53]
	flat_load_dwordx2 v[50:51], v[50:51]
	s_waitcnt vmcnt(0) lgkmcnt(0)
	v_mul_f64 v[50:51], s[10:11], v[50:51]
	v_cvt_f32_f64_e32 v52, v[50:51]
.LBB111_155:
	v_add_f64 v[46:47], v[2:3], v[46:47]
	v_add_f64 v[44:45], v[0:1], v[44:45]
	v_add_f64 v[38:39], v[38:39], v[10:11]
	v_add_f64 v[36:37], v[36:37], v[8:9]
	v_cvt_f32_f64_e32 v44, v[44:45]
	v_cvt_f32_f64_e32 v45, v[46:47]
	;; [unrolled: 1-line block ×4, first 2 shown]
	v_min3_f32 v44, v44, v45, v197
	v_min3_f32 v45, v36, v37, v196
	v_add_f64 v[36:37], v[6:7], v[42:43]
	v_add_f64 v[38:39], v[4:5], v[40:41]
	v_cvt_f32_f64_e32 v38, v[38:39]
	v_cvt_f32_f64_e32 v36, v[36:37]
	v_add_f64 v[34:35], v[34:35], v[18:19]
	v_add_f64 v[32:33], v[32:33], v[16:17]
	v_min_f32_e32 v36, v38, v36
	v_cvt_f32_f64_e32 v32, v[32:33]
	v_cvt_f32_f64_e32 v33, v[34:35]
	v_min3_f32 v37, v32, v33, v45
	v_min3_f32 v32, v52, v36, v44
	v_cvt_f64_f32_e32 v[32:33], v32
	v_lshl_add_u64 v[34:35], v[162:163], 3, v[48:49]
	flat_store_dwordx2 v[34:35], v[32:33]
	v_add_u32_e32 v34, 0x78, v176
	v_mad_i64_i32 v[32:33], s[2:3], v34, s5, 0
	v_lshl_add_u64 v[32:33], v[32:33], 3, s[0:1]
	v_mad_i64_i32 v[34:35], s[0:1], v34, s4, 0
	s_mov_b64 s[0:1], -1
	v_max_f32_e32 v37, v37, v37
	s_mov_b64 vcc, s[8:9]
	s_cbranch_vccz .LBB111_157
; %bb.156:
	v_min_f32_e32 v36, 0, v37
	v_cvt_f64_f32_e32 v[38:39], v36
	v_lshl_add_u64 v[40:41], v[164:165], 3, v[32:33]
	flat_store_dwordx2 v[40:41], v[38:39]
	s_mov_b64 s[0:1], 0
.LBB111_157:
	v_lshl_add_u64 v[34:35], v[34:35], 3, s[16:17]
	s_andn2_b64 vcc, exec, s[0:1]
	v_mov_b32_e32 v36, 0
	s_cbranch_vccnz .LBB111_159
; %bb.158:
	v_lshl_add_u64 v[38:39], v[34:35], 0, v[168:169]
	flat_load_dwordx2 v[38:39], v[38:39]
	v_lshl_add_u64 v[40:41], v[32:33], 0, v[168:169]
	s_waitcnt vmcnt(0) lgkmcnt(0)
	v_mul_f64 v[38:39], s[10:11], v[38:39]
	v_cvt_f32_f64_e32 v36, v[38:39]
	v_min_f32_e32 v36, v36, v37
	v_cvt_f64_f32_e32 v[36:37], v36
	flat_store_dwordx2 v[40:41], v[36:37]
	v_lshl_add_u64 v[36:37], v[160:161], 3, v[34:35]
	flat_load_dwordx2 v[36:37], v[36:37]
	s_waitcnt vmcnt(0) lgkmcnt(0)
	v_mul_f64 v[36:37], s[10:11], v[36:37]
	v_cvt_f32_f64_e32 v36, v[36:37]
.LBB111_159:
	v_add_f64 v[30:31], v[30:31], v[10:11]
	v_add_f64 v[28:29], v[28:29], v[8:9]
	;; [unrolled: 1-line block ×6, first 2 shown]
	v_cvt_f32_f64_e32 v28, v[28:29]
	v_cvt_f32_f64_e32 v29, v[30:31]
	;; [unrolled: 1-line block ×6, first 2 shown]
	v_add_f64 v[14:15], v[14:15], v[18:19]
	v_add_f64 v[12:13], v[12:13], v[16:17]
	v_min3_f32 v28, v28, v29, v194
	v_min3_f32 v24, v24, v25, v193
	v_min_f32_e32 v20, v20, v21
	v_cvt_f32_f64_e32 v12, v[12:13]
	v_cvt_f32_f64_e32 v13, v[14:15]
	v_min3_f32 v21, v12, v13, v24
	v_min3_f32 v12, v36, v20, v28
	v_cvt_f64_f32_e32 v[12:13], v12
	v_lshl_add_u64 v[14:15], v[160:161], 3, v[32:33]
	flat_store_dwordx2 v[14:15], v[12:13]
	s_mov_b64 s[0:1], -1
	v_max_f32_e32 v13, v21, v21
	s_mov_b64 vcc, s[8:9]
	s_cbranch_vccz .LBB111_161
; %bb.160:
	v_min_f32_e32 v12, 0, v13
	v_cvt_f64_f32_e32 v[14:15], v12
	v_lshl_add_u64 v[20:21], v[166:167], 3, v[32:33]
	flat_store_dwordx2 v[20:21], v[14:15]
	s_mov_b64 s[0:1], 0
.LBB111_161:
	s_andn2_b64 vcc, exec, s[0:1]
	v_mov_b32_e32 v12, 0
	s_cbranch_vccnz .LBB111_163
; %bb.162:
	v_lshl_add_u64 v[14:15], v[34:35], 0, v[170:171]
	flat_load_dwordx2 v[14:15], v[14:15]
	v_lshl_add_u64 v[20:21], v[32:33], 0, v[170:171]
	s_waitcnt vmcnt(0) lgkmcnt(0)
	v_mul_f64 v[14:15], s[10:11], v[14:15]
	v_cvt_f32_f64_e32 v12, v[14:15]
	v_min_f32_e32 v12, v12, v13
	v_cvt_f64_f32_e32 v[12:13], v12
	flat_store_dwordx2 v[20:21], v[12:13]
	v_lshl_add_u64 v[12:13], v[162:163], 3, v[34:35]
	flat_load_dwordx2 v[12:13], v[12:13]
	s_waitcnt vmcnt(0) lgkmcnt(0)
	v_mul_f64 v[12:13], s[10:11], v[12:13]
	v_cvt_f32_f64_e32 v12, v[12:13]
.LBB111_163:
	v_add_f64 v[6:7], v[6:7], v[18:19]
	v_add_f64 v[4:5], v[4:5], v[16:17]
	;; [unrolled: 1-line block ×4, first 2 shown]
	v_cvt_f32_f64_e32 v4, v[4:5]
	v_cvt_f32_f64_e32 v5, v[6:7]
	v_cvt_f32_f64_e32 v0, v[0:1]
	v_cvt_f32_f64_e32 v1, v[2:3]
	v_min_f32_e32 v4, v4, v5
	v_min3_f32 v0, v0, v1, v184
	v_min3_f32 v0, v12, v4, v0
	v_cvt_f64_f32_e32 v[0:1], v0
	v_lshl_add_u64 v[2:3], v[162:163], 3, v[32:33]
	flat_store_dwordx2 v[2:3], v[0:1]
	s_endpgm
	.section	.rodata,"a",@progbits
	.p2align	6, 0x0
	.amdhsa_kernel _ZN12_GLOBAL__N_120geam_min_plus_kernelId15HIP_vector_typeIdLj2EEdLi32ELi8ELi128ELi128ELi4ELi4ELi64ELi4ELi64ELc84ELc78ELb0ELb0ELb1EPKdKS4_KPdEEviiiT16_PT17_ilSA_ilS8_SA_ilPT18_ili26rocblas_geam_ex_operation_
		.amdhsa_group_segment_fixed_size 16384
		.amdhsa_private_segment_fixed_size 0
		.amdhsa_kernarg_size 136
		.amdhsa_user_sgpr_count 2
		.amdhsa_user_sgpr_dispatch_ptr 0
		.amdhsa_user_sgpr_queue_ptr 0
		.amdhsa_user_sgpr_kernarg_segment_ptr 1
		.amdhsa_user_sgpr_dispatch_id 0
		.amdhsa_user_sgpr_kernarg_preload_length 0
		.amdhsa_user_sgpr_kernarg_preload_offset 0
		.amdhsa_user_sgpr_private_segment_size 0
		.amdhsa_uses_dynamic_stack 0
		.amdhsa_enable_private_segment 0
		.amdhsa_system_sgpr_workgroup_id_x 1
		.amdhsa_system_sgpr_workgroup_id_y 0
		.amdhsa_system_sgpr_workgroup_id_z 1
		.amdhsa_system_sgpr_workgroup_info 0
		.amdhsa_system_vgpr_workitem_id 1
		.amdhsa_next_free_vgpr 260
		.amdhsa_next_free_sgpr 28
		.amdhsa_accum_offset 256
		.amdhsa_reserve_vcc 1
		.amdhsa_float_round_mode_32 0
		.amdhsa_float_round_mode_16_64 0
		.amdhsa_float_denorm_mode_32 3
		.amdhsa_float_denorm_mode_16_64 3
		.amdhsa_dx10_clamp 1
		.amdhsa_ieee_mode 1
		.amdhsa_fp16_overflow 0
		.amdhsa_tg_split 0
		.amdhsa_exception_fp_ieee_invalid_op 0
		.amdhsa_exception_fp_denorm_src 0
		.amdhsa_exception_fp_ieee_div_zero 0
		.amdhsa_exception_fp_ieee_overflow 0
		.amdhsa_exception_fp_ieee_underflow 0
		.amdhsa_exception_fp_ieee_inexact 0
		.amdhsa_exception_int_div_zero 0
	.end_amdhsa_kernel
	.section	.text._ZN12_GLOBAL__N_120geam_min_plus_kernelId15HIP_vector_typeIdLj2EEdLi32ELi8ELi128ELi128ELi4ELi4ELi64ELi4ELi64ELc84ELc78ELb0ELb0ELb1EPKdKS4_KPdEEviiiT16_PT17_ilSA_ilS8_SA_ilPT18_ili26rocblas_geam_ex_operation_,"axG",@progbits,_ZN12_GLOBAL__N_120geam_min_plus_kernelId15HIP_vector_typeIdLj2EEdLi32ELi8ELi128ELi128ELi4ELi4ELi64ELi4ELi64ELc84ELc78ELb0ELb0ELb1EPKdKS4_KPdEEviiiT16_PT17_ilSA_ilS8_SA_ilPT18_ili26rocblas_geam_ex_operation_,comdat
.Lfunc_end111:
	.size	_ZN12_GLOBAL__N_120geam_min_plus_kernelId15HIP_vector_typeIdLj2EEdLi32ELi8ELi128ELi128ELi4ELi4ELi64ELi4ELi64ELc84ELc78ELb0ELb0ELb1EPKdKS4_KPdEEviiiT16_PT17_ilSA_ilS8_SA_ilPT18_ili26rocblas_geam_ex_operation_, .Lfunc_end111-_ZN12_GLOBAL__N_120geam_min_plus_kernelId15HIP_vector_typeIdLj2EEdLi32ELi8ELi128ELi128ELi4ELi4ELi64ELi4ELi64ELc84ELc78ELb0ELb0ELb1EPKdKS4_KPdEEviiiT16_PT17_ilSA_ilS8_SA_ilPT18_ili26rocblas_geam_ex_operation_
                                        ; -- End function
	.set _ZN12_GLOBAL__N_120geam_min_plus_kernelId15HIP_vector_typeIdLj2EEdLi32ELi8ELi128ELi128ELi4ELi4ELi64ELi4ELi64ELc84ELc78ELb0ELb0ELb1EPKdKS4_KPdEEviiiT16_PT17_ilSA_ilS8_SA_ilPT18_ili26rocblas_geam_ex_operation_.num_vgpr, 256
	.set _ZN12_GLOBAL__N_120geam_min_plus_kernelId15HIP_vector_typeIdLj2EEdLi32ELi8ELi128ELi128ELi4ELi4ELi64ELi4ELi64ELc84ELc78ELb0ELb0ELb1EPKdKS4_KPdEEviiiT16_PT17_ilSA_ilS8_SA_ilPT18_ili26rocblas_geam_ex_operation_.num_agpr, 4
	.set _ZN12_GLOBAL__N_120geam_min_plus_kernelId15HIP_vector_typeIdLj2EEdLi32ELi8ELi128ELi128ELi4ELi4ELi64ELi4ELi64ELc84ELc78ELb0ELb0ELb1EPKdKS4_KPdEEviiiT16_PT17_ilSA_ilS8_SA_ilPT18_ili26rocblas_geam_ex_operation_.numbered_sgpr, 28
	.set _ZN12_GLOBAL__N_120geam_min_plus_kernelId15HIP_vector_typeIdLj2EEdLi32ELi8ELi128ELi128ELi4ELi4ELi64ELi4ELi64ELc84ELc78ELb0ELb0ELb1EPKdKS4_KPdEEviiiT16_PT17_ilSA_ilS8_SA_ilPT18_ili26rocblas_geam_ex_operation_.num_named_barrier, 0
	.set _ZN12_GLOBAL__N_120geam_min_plus_kernelId15HIP_vector_typeIdLj2EEdLi32ELi8ELi128ELi128ELi4ELi4ELi64ELi4ELi64ELc84ELc78ELb0ELb0ELb1EPKdKS4_KPdEEviiiT16_PT17_ilSA_ilS8_SA_ilPT18_ili26rocblas_geam_ex_operation_.private_seg_size, 0
	.set _ZN12_GLOBAL__N_120geam_min_plus_kernelId15HIP_vector_typeIdLj2EEdLi32ELi8ELi128ELi128ELi4ELi4ELi64ELi4ELi64ELc84ELc78ELb0ELb0ELb1EPKdKS4_KPdEEviiiT16_PT17_ilSA_ilS8_SA_ilPT18_ili26rocblas_geam_ex_operation_.uses_vcc, 1
	.set _ZN12_GLOBAL__N_120geam_min_plus_kernelId15HIP_vector_typeIdLj2EEdLi32ELi8ELi128ELi128ELi4ELi4ELi64ELi4ELi64ELc84ELc78ELb0ELb0ELb1EPKdKS4_KPdEEviiiT16_PT17_ilSA_ilS8_SA_ilPT18_ili26rocblas_geam_ex_operation_.uses_flat_scratch, 0
	.set _ZN12_GLOBAL__N_120geam_min_plus_kernelId15HIP_vector_typeIdLj2EEdLi32ELi8ELi128ELi128ELi4ELi4ELi64ELi4ELi64ELc84ELc78ELb0ELb0ELb1EPKdKS4_KPdEEviiiT16_PT17_ilSA_ilS8_SA_ilPT18_ili26rocblas_geam_ex_operation_.has_dyn_sized_stack, 0
	.set _ZN12_GLOBAL__N_120geam_min_plus_kernelId15HIP_vector_typeIdLj2EEdLi32ELi8ELi128ELi128ELi4ELi4ELi64ELi4ELi64ELc84ELc78ELb0ELb0ELb1EPKdKS4_KPdEEviiiT16_PT17_ilSA_ilS8_SA_ilPT18_ili26rocblas_geam_ex_operation_.has_recursion, 0
	.set _ZN12_GLOBAL__N_120geam_min_plus_kernelId15HIP_vector_typeIdLj2EEdLi32ELi8ELi128ELi128ELi4ELi4ELi64ELi4ELi64ELc84ELc78ELb0ELb0ELb1EPKdKS4_KPdEEviiiT16_PT17_ilSA_ilS8_SA_ilPT18_ili26rocblas_geam_ex_operation_.has_indirect_call, 0
	.section	.AMDGPU.csdata,"",@progbits
; Kernel info:
; codeLenInByte = 25592
; TotalNumSgprs: 34
; NumVgprs: 256
; NumAgprs: 4
; TotalNumVgprs: 260
; ScratchSize: 0
; MemoryBound: 0
; FloatMode: 240
; IeeeMode: 1
; LDSByteSize: 16384 bytes/workgroup (compile time only)
; SGPRBlocks: 4
; VGPRBlocks: 32
; NumSGPRsForWavesPerEU: 34
; NumVGPRsForWavesPerEU: 260
; AccumOffset: 256
; Occupancy: 1
; WaveLimiterHint : 1
; COMPUTE_PGM_RSRC2:SCRATCH_EN: 0
; COMPUTE_PGM_RSRC2:USER_SGPR: 2
; COMPUTE_PGM_RSRC2:TRAP_HANDLER: 0
; COMPUTE_PGM_RSRC2:TGID_X_EN: 1
; COMPUTE_PGM_RSRC2:TGID_Y_EN: 0
; COMPUTE_PGM_RSRC2:TGID_Z_EN: 1
; COMPUTE_PGM_RSRC2:TIDIG_COMP_CNT: 1
; COMPUTE_PGM_RSRC3_GFX90A:ACCUM_OFFSET: 63
; COMPUTE_PGM_RSRC3_GFX90A:TG_SPLIT: 0
	.section	.text._ZN12_GLOBAL__N_120geam_min_plus_kernelId15HIP_vector_typeIdLj2EEdLi32ELi8ELi128ELi128ELi4ELi4ELi64ELi4ELi64ELc84ELc78ELb1ELb0ELb1EdKPKdKPdEEviiiT16_PT17_ilSA_ilS8_SA_ilPT18_ili26rocblas_geam_ex_operation_,"axG",@progbits,_ZN12_GLOBAL__N_120geam_min_plus_kernelId15HIP_vector_typeIdLj2EEdLi32ELi8ELi128ELi128ELi4ELi4ELi64ELi4ELi64ELc84ELc78ELb1ELb0ELb1EdKPKdKPdEEviiiT16_PT17_ilSA_ilS8_SA_ilPT18_ili26rocblas_geam_ex_operation_,comdat
	.globl	_ZN12_GLOBAL__N_120geam_min_plus_kernelId15HIP_vector_typeIdLj2EEdLi32ELi8ELi128ELi128ELi4ELi4ELi64ELi4ELi64ELc84ELc78ELb1ELb0ELb1EdKPKdKPdEEviiiT16_PT17_ilSA_ilS8_SA_ilPT18_ili26rocblas_geam_ex_operation_ ; -- Begin function _ZN12_GLOBAL__N_120geam_min_plus_kernelId15HIP_vector_typeIdLj2EEdLi32ELi8ELi128ELi128ELi4ELi4ELi64ELi4ELi64ELc84ELc78ELb1ELb0ELb1EdKPKdKPdEEviiiT16_PT17_ilSA_ilS8_SA_ilPT18_ili26rocblas_geam_ex_operation_
	.p2align	8
	.type	_ZN12_GLOBAL__N_120geam_min_plus_kernelId15HIP_vector_typeIdLj2EEdLi32ELi8ELi128ELi128ELi4ELi4ELi64ELi4ELi64ELc84ELc78ELb1ELb0ELb1EdKPKdKPdEEviiiT16_PT17_ilSA_ilS8_SA_ilPT18_ili26rocblas_geam_ex_operation_,@function
_ZN12_GLOBAL__N_120geam_min_plus_kernelId15HIP_vector_typeIdLj2EEdLi32ELi8ELi128ELi128ELi4ELi4ELi64ELi4ELi64ELc84ELc78ELb1ELb0ELb1EdKPKdKPdEEviiiT16_PT17_ilSA_ilS8_SA_ilPT18_ili26rocblas_geam_ex_operation_: ; @_ZN12_GLOBAL__N_120geam_min_plus_kernelId15HIP_vector_typeIdLj2EEdLi32ELi8ELi128ELi128ELi4ELi4ELi64ELi4ELi64ELc84ELc78ELb1ELb0ELb1EdKPKdKPdEEviiiT16_PT17_ilSA_ilS8_SA_ilPT18_ili26rocblas_geam_ex_operation_
; %bb.0:
	s_load_dwordx4 s[4:7], s[0:1], 0x10
	s_load_dwordx4 s[8:11], s[0:1], 0x28
	s_mov_b32 s18, s3
	s_mov_b64 s[14:15], 0
	s_waitcnt lgkmcnt(0)
	v_cmp_eq_f64_e64 s[12:13], s[4:5], 0
	s_and_b64 vcc, exec, s[12:13]
	s_cbranch_vccnz .LBB112_2
; %bb.1:
	s_mov_b32 s19, 0
	s_lshl_b64 s[4:5], s[18:19], 3
	s_add_u32 s4, s6, s4
	s_addc_u32 s5, s7, s5
	s_load_dwordx2 s[4:5], s[4:5], 0x0
	s_lshl_b64 s[6:7], s[8:9], 3
	s_waitcnt lgkmcnt(0)
	s_add_u32 s14, s4, s6
	s_addc_u32 s15, s5, s7
.LBB112_2:
	s_load_dwordx4 s[4:7], s[0:1], 0x40
	s_load_dwordx2 s[20:21], s[0:1], 0x50
	s_andn2_b64 vcc, exec, s[12:13]
	s_mov_b32 s19, 0
	s_cbranch_vccnz .LBB112_4
; %bb.3:
	s_mov_b64 s[12:13], 0
	s_mov_b64 s[16:17], 0
	s_cbranch_execz .LBB112_5
	s_branch .LBB112_6
.LBB112_4:
	s_mov_b64 s[12:13], 0
	s_mov_b64 s[16:17], 0
.LBB112_5:
	s_lshl_b64 s[8:9], s[18:19], 3
	s_add_u32 s8, s10, s8
	s_addc_u32 s9, s11, s9
	s_load_dwordx2 s[8:9], s[8:9], 0x0
	s_waitcnt lgkmcnt(0)
	s_lshl_b64 s[4:5], s[4:5], 3
	s_add_u32 s16, s8, s4
	s_addc_u32 s17, s9, s5
.LBB112_6:
	s_load_dwordx4 s[8:11], s[0:1], 0x60
	s_waitcnt lgkmcnt(0)
	v_cmp_eq_f64_e64 s[4:5], s[6:7], 0
	s_and_b64 s[4:5], exec, s[4:5]
	s_mov_b64 vcc, s[4:5]
	s_cbranch_vccnz .LBB112_8
; %bb.7:
	s_lshl_b64 s[12:13], s[18:19], 3
	s_add_u32 s12, s20, s12
	s_addc_u32 s13, s21, s13
	s_load_dwordx2 s[12:13], s[12:13], 0x0
	s_lshl_b64 s[8:9], s[8:9], 3
	s_waitcnt lgkmcnt(0)
	s_add_u32 s12, s12, s8
	s_addc_u32 s13, s13, s9
.LBB112_8:
	s_load_dword s3, s[0:1], 0x0
	s_load_dword s20, s[0:1], 0x20
	s_lshl_b64 s[8:9], s[18:19], 3
	s_add_u32 s8, s10, s8
	s_addc_u32 s9, s11, s9
	s_waitcnt lgkmcnt(0)
	s_add_i32 s3, s3, -1
	s_ashr_i32 s10, s3, 31
	s_lshr_b32 s10, s10, 25
	s_add_i32 s3, s3, s10
	s_ashr_i32 s3, s3, 7
	s_add_i32 s10, s3, 1
	v_cvt_f32_u32_e32 v1, s10
	s_not_b32 s3, s3
	v_bfe_u32 v161, v0, 10, 10
	v_and_b32_e32 v160, 0x3ff, v0
	v_rcp_iflag_f32_e32 v1, v1
	v_lshlrev_b32_e32 v162, 5, v161
	s_load_dword s19, s[0:1], 0x38
	s_load_dword s18, s[0:1], 0x8
	v_add_u32_e32 v2, v162, v160
	v_mul_f32_e32 v1, 0x4f7ffffe, v1
	v_cvt_u32_f32_e32 v1, v1
	v_lshrrev_b32_e32 v16, 2, v2
	v_lshlrev_b32_e32 v0, 3, v0
	v_and_b32_e32 v100, 24, v0
	v_readfirstlane_b32 s11, v1
	s_mul_i32 s3, s3, s11
	s_mul_hi_u32 s3, s11, s3
	s_add_i32 s11, s11, s3
	s_mul_hi_u32 s3, s2, s11
	s_mul_i32 s11, s3, s10
	s_sub_i32 s11, s2, s11
	s_add_i32 s21, s3, 1
	s_sub_i32 s22, s11, s10
	s_cmp_ge_u32 s11, s10
	s_cselect_b32 s3, s21, s3
	s_cselect_b32 s11, s22, s11
	s_add_i32 s21, s3, 1
	s_cmp_ge_u32 s11, s10
	s_cselect_b32 s3, s21, s3
	s_mul_i32 s10, s3, s10
	s_sub_i32 s2, s2, s10
	s_lshl_b32 s10, s2, 7
	s_lshl_b32 s11, s3, 7
	v_add_u32_e32 v4, s10, v16
	v_mov_b32_e32 v101, 0
	v_mad_i64_i32 v[102:103], s[2:3], v4, s20, 0
	v_add_u32_e32 v4, 64, v4
	v_add_u32_e32 v8, s11, v16
	v_mad_i64_i32 v[104:105], s[2:3], v4, s20, 0
	v_lshl_add_u64 v[4:5], s[16:17], 0, v[100:101]
	s_waitcnt lgkmcnt(0)
	v_mad_i64_i32 v[106:107], s[2:3], v8, s19, 0
	v_add_u32_e32 v8, 64, v8
	v_lshl_add_u64 v[0:1], s[14:15], 0, v[100:101]
	v_lshl_add_u64 v[6:7], v[106:107], 3, v[4:5]
	v_mad_i64_i32 v[108:109], s[2:3], v8, s19, 0
	v_lshl_add_u64 v[2:3], v[102:103], 3, v[0:1]
	v_lshl_add_u64 v[0:1], v[104:105], 3, v[0:1]
	;; [unrolled: 1-line block ×3, first 2 shown]
	flat_load_dwordx2 v[8:9], v[6:7]
	flat_load_dwordx2 v[10:11], v[4:5]
	flat_load_dwordx2 v[12:13], v[2:3]
	flat_load_dwordx2 v[14:15], v[0:1]
	v_lshl_or_b32 v119, v16, 5, v100
	v_lshlrev_b32_e32 v118, 5, v160
	s_load_dwordx2 s[2:3], s[8:9], 0x0
	flat_load_dwordx2 v[110:111], v[4:5] offset:32
	flat_load_dwordx2 v[112:113], v[6:7] offset:32
	;; [unrolled: 1-line block ×4, first 2 shown]
	s_mov_b32 s19, 0x7f800000
	s_cmp_lt_i32 s18, 9
	s_waitcnt vmcnt(0) lgkmcnt(0)
	ds_write2st64_b64 v119, v[8:9], v[10:11] offset0:16 offset1:20
	ds_write2st64_b64 v119, v[12:13], v[14:15] offset1:4
	s_waitcnt lgkmcnt(0)
	s_barrier
	ds_read_b128 v[80:83], v162 offset:8704
	ds_read_b128 v[76:79], v162 offset:8960
	;; [unrolled: 1-line block ×14, first 2 shown]
	ds_read_b128 v[16:19], v118
	ds_read_b128 v[0:3], v118 offset:16
	ds_read_b128 v[84:87], v162 offset:8192
	ds_read_b128 v[4:7], v162 offset:8208
	ds_read_b128 v[12:15], v118 offset:1024
	ds_read_b128 v[40:43], v118 offset:1040
	ds_read_b128 v[92:95], v118 offset:2048
	ds_read_b128 v[36:39], v118 offset:2064
	ds_read_b128 v[96:99], v118 offset:3072
	ds_read_b128 v[32:35], v118 offset:3088
	ds_read_b128 v[122:125], v162 offset:8448
	ds_read_b128 v[88:91], v162 offset:8464
	s_waitcnt lgkmcnt(9)
	v_add_f64 v[120:121], v[18:19], v[86:87]
	v_add_f64 v[126:127], v[16:17], v[84:85]
	s_waitcnt lgkmcnt(7)
	v_add_f64 v[128:129], v[14:15], v[86:87]
	v_add_f64 v[130:131], v[12:13], v[84:85]
	;; [unrolled: 3-line block ×5, first 2 shown]
	v_cvt_f32_f64_e32 v84, v[84:85]
	v_cvt_f32_f64_e32 v85, v[86:87]
	;; [unrolled: 1-line block ×4, first 2 shown]
	v_min3_f32 v148, v84, v85, s19
	v_min3_f32 v145, v86, v87, s19
	v_add_f64 v[84:85], v[94:95], v[124:125]
	v_add_f64 v[86:87], v[92:93], v[122:123]
	;; [unrolled: 1-line block ×3, first 2 shown]
	v_cvt_f32_f64_e32 v86, v[86:87]
	v_cvt_f32_f64_e32 v84, v[84:85]
	v_add_f64 v[142:143], v[12:13], v[122:123]
	v_cvt_f32_f64_e32 v100, v[126:127]
	v_cvt_f32_f64_e32 v120, v[120:121]
	;; [unrolled: 1-line block ×5, first 2 shown]
	v_min3_f32 v141, v86, v84, s19
	v_add_f64 v[84:85], v[98:99], v[124:125]
	v_add_f64 v[86:87], v[96:97], v[122:123]
	;; [unrolled: 1-line block ×4, first 2 shown]
	v_min3_f32 v120, v100, v120, s19
	v_min3_f32 v163, v121, v126, s19
	v_cvt_f32_f64_e32 v100, v[124:125]
	v_cvt_f32_f64_e32 v121, v[122:123]
	v_add_f64 v[122:123], v[14:15], v[82:83]
	v_add_f64 v[124:125], v[12:13], v[80:81]
	v_min3_f32 v151, v100, v121, s19
	v_cvt_f32_f64_e32 v100, v[124:125]
	v_cvt_f32_f64_e32 v121, v[122:123]
	v_add_f64 v[122:123], v[94:95], v[82:83]
	v_add_f64 v[124:125], v[92:93], v[80:81]
	;; [unrolled: 5-line block ×15, first 2 shown]
	v_cvt_f32_f64_e32 v129, v[142:143]
	v_min3_f32 v143, v100, v121, s19
	v_cvt_f32_f64_e32 v100, v[124:125]
	v_cvt_f32_f64_e32 v121, v[122:123]
	v_add_f64 v[122:123], v[14:15], v[62:63]
	v_add_f64 v[124:125], v[12:13], v[60:61]
	v_min3_f32 v144, v100, v121, s19
	v_cvt_f32_f64_e32 v100, v[124:125]
	v_cvt_f32_f64_e32 v121, v[122:123]
	v_add_f64 v[122:123], v[94:95], v[62:63]
	v_add_f64 v[124:125], v[92:93], v[60:61]
	;; [unrolled: 5-line block ×5, first 2 shown]
	v_cvt_f32_f64_e32 v127, v[134:135]
	v_min3_f32 v135, v100, v121, s19
	v_cvt_f32_f64_e32 v100, v[124:125]
	v_cvt_f32_f64_e32 v121, v[122:123]
	v_add_f64 v[122:123], v[18:19], v[54:55]
	v_add_f64 v[124:125], v[16:17], v[52:53]
	v_cvt_f32_f64_e32 v128, v[132:133]
	v_min3_f32 v132, v100, v121, s19
	v_cvt_f32_f64_e32 v100, v[124:125]
	v_cvt_f32_f64_e32 v121, v[122:123]
	v_add_f64 v[122:123], v[14:15], v[54:55]
	v_add_f64 v[124:125], v[12:13], v[52:53]
	v_min3_f32 v133, v100, v121, s19
	v_cvt_f32_f64_e32 v100, v[124:125]
	v_cvt_f32_f64_e32 v121, v[122:123]
	v_add_f64 v[122:123], v[94:95], v[54:55]
	v_add_f64 v[124:125], v[92:93], v[52:53]
	;; [unrolled: 5-line block ×3, first 2 shown]
	v_min3_f32 v157, v127, v128, s19
	v_min3_f32 v128, v100, v121, s19
	v_cvt_f32_f64_e32 v100, v[124:125]
	v_cvt_f32_f64_e32 v121, v[122:123]
	v_add_f64 v[122:123], v[14:15], v[50:51]
	v_add_f64 v[124:125], v[12:13], v[48:49]
	v_min3_f32 v140, v129, v130, s19
	v_min3_f32 v129, v100, v121, s19
	v_cvt_f32_f64_e32 v100, v[124:125]
	v_cvt_f32_f64_e32 v121, v[122:123]
	v_add_f64 v[122:123], v[94:95], v[50:51]
	v_add_f64 v[124:125], v[92:93], v[48:49]
	v_min3_f32 v127, v100, v121, s19
	v_cvt_f32_f64_e32 v100, v[124:125]
	v_cvt_f32_f64_e32 v121, v[122:123]
	v_add_f64 v[166:167], v[18:19], v[46:47]
	v_add_f64 v[172:173], v[16:17], v[44:45]
	;; [unrolled: 5-line block ×5, first 2 shown]
	v_cvt_f32_f64_e32 v172, v[172:173]
	v_cvt_f32_f64_e32 v166, v[166:167]
	v_min3_f32 v175, v172, v166, s19
	v_add_f64 v[166:167], v[14:15], v[30:31]
	v_add_f64 v[172:173], v[12:13], v[28:29]
	v_cvt_f32_f64_e32 v172, v[172:173]
	v_cvt_f32_f64_e32 v166, v[166:167]
	v_min3_f32 v174, v172, v166, s19
	v_add_f64 v[166:167], v[94:95], v[30:31]
	v_add_f64 v[172:173], v[92:93], v[28:29]
	;; [unrolled: 5-line block ×7, first 2 shown]
	v_add_f64 v[18:19], v[18:19], v[10:11]
	v_add_f64 v[16:17], v[16:17], v[8:9]
	v_add_f64 v[14:15], v[14:15], v[10:11]
	v_add_f64 v[12:13], v[12:13], v[8:9]
	v_cvt_f32_f64_e32 v16, v[16:17]
	v_cvt_f32_f64_e32 v17, v[18:19]
	;; [unrolled: 1-line block ×4, first 2 shown]
	v_min3_f32 v16, v16, v17, s19
	v_min3_f32 v17, v12, v13, s19
	v_add_f64 v[12:13], v[94:95], v[10:11]
	v_add_f64 v[14:15], v[92:93], v[8:9]
	v_cvt_f32_f64_e32 v14, v[14:15]
	v_cvt_f32_f64_e32 v12, v[12:13]
	v_add_f64 v[10:11], v[98:99], v[10:11]
	v_add_f64 v[8:9], v[96:97], v[8:9]
	v_min3_f32 v14, v14, v12, s19
	v_cvt_f32_f64_e32 v8, v[8:9]
	v_cvt_f32_f64_e32 v9, v[10:11]
	v_add_f64 v[10:11], v[2:3], v[6:7]
	v_add_f64 v[12:13], v[0:1], v[4:5]
	v_cvt_f32_f64_e32 v180, v[180:181]
	v_cvt_f32_f64_e32 v166, v[166:167]
	v_min3_f32 v8, v8, v9, s19
	v_cvt_f32_f64_e32 v9, v[12:13]
	v_cvt_f32_f64_e32 v10, v[10:11]
	v_min3_f32 v180, v180, v166, s19
	v_add_f64 v[166:167], v[94:95], v[22:23]
	v_add_f64 v[184:185], v[92:93], v[20:21]
	v_min3_f32 v120, v9, v10, v120
	v_add_f64 v[10:11], v[42:43], v[6:7]
	v_add_f64 v[12:13], v[40:41], v[4:5]
	v_cvt_f32_f64_e32 v181, v[184:185]
	v_cvt_f32_f64_e32 v166, v[166:167]
	;; [unrolled: 1-line block ×4, first 2 shown]
	v_min3_f32 v181, v181, v166, s19
	v_min3_f32 v166, v9, v10, v163
	v_add_f64 v[10:11], v[38:39], v[6:7]
	v_add_f64 v[12:13], v[36:37], v[4:5]
	v_add_f64 v[6:7], v[34:35], v[6:7]
	v_add_f64 v[4:5], v[32:33], v[4:5]
	v_cvt_f32_f64_e32 v4, v[4:5]
	v_cvt_f32_f64_e32 v5, v[6:7]
	v_min3_f32 v235, v4, v5, v148
	s_waitcnt lgkmcnt(0)
	v_add_f64 v[4:5], v[2:3], v[90:91]
	v_add_f64 v[6:7], v[0:1], v[88:89]
	v_cvt_f32_f64_e32 v6, v[6:7]
	v_cvt_f32_f64_e32 v4, v[4:5]
	v_cvt_f32_f64_e32 v86, v[86:87]
	v_cvt_f32_f64_e32 v84, v[84:85]
	v_min3_f32 v236, v6, v4, v145
	v_add_f64 v[4:5], v[42:43], v[90:91]
	v_add_f64 v[6:7], v[40:41], v[88:89]
	v_min3_f32 v142, v86, v84, s19
	ds_read_b128 v[84:87], v162 offset:8720
	v_cvt_f32_f64_e32 v6, v[6:7]
	v_cvt_f32_f64_e32 v4, v[4:5]
	v_min3_f32 v233, v6, v4, v140
	v_add_f64 v[4:5], v[38:39], v[90:91]
	v_add_f64 v[6:7], v[36:37], v[88:89]
	v_cvt_f32_f64_e32 v6, v[6:7]
	v_cvt_f32_f64_e32 v4, v[4:5]
	v_add_f64 v[82:83], v[98:99], v[82:83]
	v_add_f64 v[80:81], v[96:97], v[80:81]
	v_min3_f32 v234, v6, v4, v141
	v_add_f64 v[4:5], v[34:35], v[90:91]
	v_add_f64 v[6:7], v[32:33], v[88:89]
	v_cvt_f32_f64_e32 v80, v[80:81]
	v_cvt_f32_f64_e32 v81, v[82:83]
	v_cvt_f32_f64_e32 v6, v[6:7]
	v_cvt_f32_f64_e32 v4, v[4:5]
	v_min3_f32 v154, v80, v81, s19
	ds_read_b128 v[80:83], v162 offset:8976
	v_min3_f32 v231, v6, v4, v142
	s_waitcnt lgkmcnt(1)
	v_add_f64 v[4:5], v[2:3], v[86:87]
	v_add_f64 v[6:7], v[0:1], v[84:85]
	v_cvt_f32_f64_e32 v6, v[6:7]
	v_cvt_f32_f64_e32 v4, v[4:5]
	v_min3_f32 v232, v6, v4, v151
	v_add_f64 v[4:5], v[42:43], v[86:87]
	v_add_f64 v[6:7], v[40:41], v[84:85]
	v_cvt_f32_f64_e32 v6, v[6:7]
	v_cvt_f32_f64_e32 v4, v[4:5]
	v_min3_f32 v229, v6, v4, v152
	v_add_f64 v[4:5], v[38:39], v[86:87]
	v_add_f64 v[6:7], v[36:37], v[84:85]
	v_cvt_f32_f64_e32 v6, v[6:7]
	v_cvt_f32_f64_e32 v4, v[4:5]
	v_min3_f32 v230, v6, v4, v153
	v_add_f64 v[4:5], v[34:35], v[86:87]
	v_add_f64 v[6:7], v[32:33], v[84:85]
	v_cvt_f32_f64_e32 v6, v[6:7]
	v_cvt_f32_f64_e32 v4, v[4:5]
	v_min3_f32 v227, v6, v4, v154
	s_waitcnt lgkmcnt(0)
	v_add_f64 v[4:5], v[2:3], v[82:83]
	v_add_f64 v[6:7], v[0:1], v[80:81]
	v_add_f64 v[78:79], v[98:99], v[78:79]
	v_add_f64 v[76:77], v[96:97], v[76:77]
	v_cvt_f32_f64_e32 v6, v[6:7]
	v_cvt_f32_f64_e32 v4, v[4:5]
	v_cvt_f32_f64_e32 v76, v[76:77]
	v_cvt_f32_f64_e32 v77, v[78:79]
	v_min3_f32 v228, v6, v4, v168
	v_add_f64 v[4:5], v[42:43], v[82:83]
	v_add_f64 v[6:7], v[40:41], v[80:81]
	v_min3_f32 v164, v76, v77, s19
	ds_read_b128 v[76:79], v162 offset:9232
	v_cvt_f32_f64_e32 v6, v[6:7]
	v_cvt_f32_f64_e32 v4, v[4:5]
	v_min3_f32 v225, v6, v4, v169
	v_add_f64 v[4:5], v[38:39], v[82:83]
	v_add_f64 v[6:7], v[36:37], v[80:81]
	v_cvt_f32_f64_e32 v6, v[6:7]
	v_cvt_f32_f64_e32 v4, v[4:5]
	v_add_f64 v[74:75], v[98:99], v[74:75]
	v_add_f64 v[72:73], v[96:97], v[72:73]
	v_min3_f32 v226, v6, v4, v170
	v_add_f64 v[4:5], v[34:35], v[82:83]
	v_add_f64 v[6:7], v[32:33], v[80:81]
	v_cvt_f32_f64_e32 v72, v[72:73]
	v_cvt_f32_f64_e32 v73, v[74:75]
	v_cvt_f32_f64_e32 v6, v[6:7]
	v_cvt_f32_f64_e32 v4, v[4:5]
	v_min3_f32 v155, v72, v73, s19
	ds_read_b128 v[72:75], v162 offset:9488
	v_min3_f32 v223, v6, v4, v164
	s_waitcnt lgkmcnt(1)
	v_add_f64 v[4:5], v[2:3], v[78:79]
	v_add_f64 v[6:7], v[0:1], v[76:77]
	v_cvt_f32_f64_e32 v6, v[6:7]
	v_cvt_f32_f64_e32 v4, v[4:5]
	v_min3_f32 v224, v6, v4, v171
	v_add_f64 v[4:5], v[42:43], v[78:79]
	v_add_f64 v[6:7], v[40:41], v[76:77]
	v_cvt_f32_f64_e32 v6, v[6:7]
	v_cvt_f32_f64_e32 v4, v[4:5]
	v_min3_f32 v221, v6, v4, v165
	v_add_f64 v[4:5], v[38:39], v[78:79]
	v_add_f64 v[6:7], v[36:37], v[76:77]
	v_cvt_f32_f64_e32 v6, v[6:7]
	v_cvt_f32_f64_e32 v4, v[4:5]
	v_min3_f32 v222, v6, v4, v158
	v_add_f64 v[4:5], v[34:35], v[78:79]
	v_add_f64 v[6:7], v[32:33], v[76:77]
	v_cvt_f32_f64_e32 v6, v[6:7]
	v_cvt_f32_f64_e32 v4, v[4:5]
	v_min3_f32 v219, v6, v4, v155
	s_waitcnt lgkmcnt(0)
	v_add_f64 v[4:5], v[2:3], v[74:75]
	v_add_f64 v[6:7], v[0:1], v[72:73]
	v_add_f64 v[70:71], v[98:99], v[70:71]
	v_add_f64 v[68:69], v[96:97], v[68:69]
	v_cvt_f32_f64_e32 v6, v[6:7]
	v_cvt_f32_f64_e32 v4, v[4:5]
	v_cvt_f32_f64_e32 v68, v[68:69]
	v_cvt_f32_f64_e32 v69, v[70:71]
	v_min3_f32 v220, v6, v4, v159
	v_add_f64 v[4:5], v[42:43], v[74:75]
	v_add_f64 v[6:7], v[40:41], v[72:73]
	v_min3_f32 v146, v68, v69, s19
	ds_read_b128 v[68:71], v162 offset:9744
	v_cvt_f32_f64_e32 v6, v[6:7]
	v_cvt_f32_f64_e32 v4, v[4:5]
	v_min3_f32 v217, v6, v4, v156
	v_add_f64 v[4:5], v[38:39], v[74:75]
	v_add_f64 v[6:7], v[36:37], v[72:73]
	v_cvt_f32_f64_e32 v6, v[6:7]
	v_cvt_f32_f64_e32 v4, v[4:5]
	v_add_f64 v[66:67], v[98:99], v[66:67]
	v_add_f64 v[64:65], v[96:97], v[64:65]
	v_min3_f32 v218, v6, v4, v149
	v_add_f64 v[4:5], v[34:35], v[74:75]
	v_add_f64 v[6:7], v[32:33], v[72:73]
	v_cvt_f32_f64_e32 v64, v[64:65]
	v_cvt_f32_f64_e32 v65, v[66:67]
	v_cvt_f32_f64_e32 v6, v[6:7]
	v_cvt_f32_f64_e32 v4, v[4:5]
	v_min3_f32 v138, v64, v65, s19
	ds_read_b128 v[64:67], v162 offset:10000
	v_min3_f32 v214, v6, v4, v146
	s_waitcnt lgkmcnt(1)
	v_add_f64 v[4:5], v[2:3], v[70:71]
	v_add_f64 v[6:7], v[0:1], v[68:69]
	v_cvt_f32_f64_e32 v6, v[6:7]
	v_cvt_f32_f64_e32 v4, v[4:5]
	v_min3_f32 v215, v6, v4, v150
	v_add_f64 v[4:5], v[42:43], v[70:71]
	v_add_f64 v[6:7], v[40:41], v[68:69]
	v_cvt_f32_f64_e32 v6, v[6:7]
	v_cvt_f32_f64_e32 v4, v[4:5]
	v_min3_f32 v212, v6, v4, v147
	v_add_f64 v[4:5], v[38:39], v[70:71]
	v_add_f64 v[6:7], v[36:37], v[68:69]
	v_cvt_f32_f64_e32 v6, v[6:7]
	v_cvt_f32_f64_e32 v4, v[4:5]
	v_min3_f32 v213, v6, v4, v143
	v_add_f64 v[4:5], v[34:35], v[70:71]
	v_add_f64 v[6:7], v[32:33], v[68:69]
	v_cvt_f32_f64_e32 v6, v[6:7]
	v_cvt_f32_f64_e32 v4, v[4:5]
	v_min3_f32 v210, v6, v4, v138
	s_waitcnt lgkmcnt(0)
	v_add_f64 v[4:5], v[2:3], v[66:67]
	v_add_f64 v[6:7], v[0:1], v[64:65]
	v_add_f64 v[62:63], v[98:99], v[62:63]
	v_add_f64 v[60:61], v[96:97], v[60:61]
	v_cvt_f32_f64_e32 v6, v[6:7]
	v_cvt_f32_f64_e32 v4, v[4:5]
	v_cvt_f32_f64_e32 v60, v[60:61]
	v_cvt_f32_f64_e32 v61, v[62:63]
	v_min3_f32 v211, v6, v4, v144
	v_add_f64 v[4:5], v[42:43], v[66:67]
	v_add_f64 v[6:7], v[40:41], v[64:65]
	v_min3_f32 v134, v60, v61, s19
	ds_read_b128 v[60:63], v162 offset:10256
	v_cvt_f32_f64_e32 v6, v[6:7]
	v_cvt_f32_f64_e32 v4, v[4:5]
	v_min3_f32 v208, v6, v4, v139
	v_add_f64 v[4:5], v[38:39], v[66:67]
	v_add_f64 v[6:7], v[36:37], v[64:65]
	v_cvt_f32_f64_e32 v6, v[6:7]
	v_cvt_f32_f64_e32 v4, v[4:5]
	v_add_f64 v[58:59], v[98:99], v[58:59]
	v_add_f64 v[56:57], v[96:97], v[56:57]
	v_min3_f32 v209, v6, v4, v136
	v_add_f64 v[4:5], v[34:35], v[66:67]
	v_add_f64 v[6:7], v[32:33], v[64:65]
	v_cvt_f32_f64_e32 v56, v[56:57]
	v_cvt_f32_f64_e32 v57, v[58:59]
	v_cvt_f32_f64_e32 v6, v[6:7]
	v_cvt_f32_f64_e32 v4, v[4:5]
	v_min3_f32 v130, v56, v57, s19
	ds_read_b128 v[56:59], v162 offset:10512
	v_min3_f32 v206, v6, v4, v134
	s_waitcnt lgkmcnt(1)
	v_add_f64 v[4:5], v[2:3], v[62:63]
	v_add_f64 v[6:7], v[0:1], v[60:61]
	v_cvt_f32_f64_e32 v6, v[6:7]
	v_cvt_f32_f64_e32 v4, v[4:5]
	v_min3_f32 v207, v6, v4, v137
	v_add_f64 v[4:5], v[42:43], v[62:63]
	v_add_f64 v[6:7], v[40:41], v[60:61]
	v_cvt_f32_f64_e32 v6, v[6:7]
	v_cvt_f32_f64_e32 v4, v[4:5]
	v_min3_f32 v204, v6, v4, v135
	v_add_f64 v[4:5], v[38:39], v[62:63]
	v_add_f64 v[6:7], v[36:37], v[60:61]
	v_cvt_f32_f64_e32 v6, v[6:7]
	v_cvt_f32_f64_e32 v4, v[4:5]
	v_min3_f32 v205, v6, v4, v132
	v_add_f64 v[4:5], v[34:35], v[62:63]
	v_add_f64 v[6:7], v[32:33], v[60:61]
	v_cvt_f32_f64_e32 v6, v[6:7]
	v_cvt_f32_f64_e32 v4, v[4:5]
	v_min3_f32 v202, v6, v4, v130
	s_waitcnt lgkmcnt(0)
	v_add_f64 v[4:5], v[2:3], v[58:59]
	v_add_f64 v[6:7], v[0:1], v[56:57]
	v_add_f64 v[54:55], v[98:99], v[54:55]
	v_add_f64 v[52:53], v[96:97], v[52:53]
	v_cvt_f32_f64_e32 v6, v[6:7]
	v_cvt_f32_f64_e32 v4, v[4:5]
	v_cvt_f32_f64_e32 v52, v[52:53]
	v_cvt_f32_f64_e32 v53, v[54:55]
	v_min3_f32 v203, v6, v4, v133
	v_add_f64 v[4:5], v[42:43], v[58:59]
	v_add_f64 v[6:7], v[40:41], v[56:57]
	v_min3_f32 v126, v52, v53, s19
	ds_read_b128 v[52:55], v162 offset:10768
	v_cvt_f32_f64_e32 v6, v[6:7]
	v_cvt_f32_f64_e32 v4, v[4:5]
	v_min3_f32 v200, v6, v4, v131
	v_add_f64 v[4:5], v[38:39], v[58:59]
	v_add_f64 v[6:7], v[36:37], v[56:57]
	v_cvt_f32_f64_e32 v6, v[6:7]
	v_cvt_f32_f64_e32 v4, v[4:5]
	v_add_f64 v[50:51], v[98:99], v[50:51]
	v_add_f64 v[48:49], v[96:97], v[48:49]
	v_min3_f32 v201, v6, v4, v128
	v_add_f64 v[4:5], v[34:35], v[58:59]
	v_add_f64 v[6:7], v[32:33], v[56:57]
	v_cvt_f32_f64_e32 v48, v[48:49]
	v_cvt_f32_f64_e32 v49, v[50:51]
	v_cvt_f32_f64_e32 v6, v[6:7]
	v_cvt_f32_f64_e32 v4, v[4:5]
	v_min3_f32 v122, v48, v49, s19
	ds_read_b128 v[48:51], v162 offset:11024
	v_min3_f32 v198, v6, v4, v126
	s_waitcnt lgkmcnt(1)
	v_add_f64 v[4:5], v[2:3], v[54:55]
	v_add_f64 v[6:7], v[0:1], v[52:53]
	v_cvt_f32_f64_e32 v6, v[6:7]
	v_cvt_f32_f64_e32 v4, v[4:5]
	v_min3_f32 v199, v6, v4, v129
	v_add_f64 v[4:5], v[42:43], v[54:55]
	v_add_f64 v[6:7], v[40:41], v[52:53]
	v_cvt_f32_f64_e32 v6, v[6:7]
	v_cvt_f32_f64_e32 v4, v[4:5]
	v_min3_f32 v196, v6, v4, v127
	v_add_f64 v[4:5], v[38:39], v[54:55]
	v_add_f64 v[6:7], v[36:37], v[52:53]
	v_cvt_f32_f64_e32 v6, v[6:7]
	v_cvt_f32_f64_e32 v4, v[4:5]
	v_min3_f32 v197, v6, v4, v124
	v_add_f64 v[4:5], v[34:35], v[54:55]
	v_add_f64 v[6:7], v[32:33], v[52:53]
	v_cvt_f32_f64_e32 v6, v[6:7]
	v_cvt_f32_f64_e32 v4, v[4:5]
	v_min3_f32 v194, v6, v4, v122
	s_waitcnt lgkmcnt(0)
	v_add_f64 v[4:5], v[2:3], v[50:51]
	v_add_f64 v[6:7], v[0:1], v[48:49]
	v_add_f64 v[46:47], v[98:99], v[46:47]
	v_add_f64 v[44:45], v[96:97], v[44:45]
	v_cvt_f32_f64_e32 v6, v[6:7]
	v_cvt_f32_f64_e32 v4, v[4:5]
	;; [unrolled: 1-line block ×4, first 2 shown]
	v_min3_f32 v195, v6, v4, v125
	v_add_f64 v[4:5], v[42:43], v[50:51]
	v_add_f64 v[6:7], v[40:41], v[48:49]
	v_min3_f32 v121, v100, v121, s19
	v_min3_f32 v100, v44, v45, s19
	ds_read_b128 v[44:47], v162 offset:11280
	v_cvt_f32_f64_e32 v6, v[6:7]
	v_cvt_f32_f64_e32 v4, v[4:5]
	v_min3_f32 v192, v6, v4, v123
	v_add_f64 v[4:5], v[38:39], v[50:51]
	v_add_f64 v[6:7], v[36:37], v[48:49]
	v_cvt_f32_f64_e32 v6, v[6:7]
	v_cvt_f32_f64_e32 v4, v[4:5]
	v_add_f64 v[30:31], v[98:99], v[30:31]
	v_add_f64 v[28:29], v[96:97], v[28:29]
	v_min3_f32 v193, v6, v4, v121
	v_add_f64 v[4:5], v[34:35], v[50:51]
	v_add_f64 v[6:7], v[32:33], v[48:49]
	v_cvt_f32_f64_e32 v28, v[28:29]
	v_cvt_f32_f64_e32 v29, v[30:31]
	v_cvt_f32_f64_e32 v6, v[6:7]
	v_cvt_f32_f64_e32 v4, v[4:5]
	v_min3_f32 v172, v28, v29, s19
	ds_read_b128 v[28:31], v162 offset:11536
	v_min3_f32 v190, v6, v4, v100
	s_waitcnt lgkmcnt(1)
	v_add_f64 v[4:5], v[2:3], v[46:47]
	v_add_f64 v[6:7], v[0:1], v[44:45]
	v_cvt_f32_f64_e32 v6, v[6:7]
	v_cvt_f32_f64_e32 v4, v[4:5]
	v_min3_f32 v191, v6, v4, v175
	v_add_f64 v[4:5], v[42:43], v[46:47]
	v_add_f64 v[6:7], v[40:41], v[44:45]
	v_cvt_f32_f64_e32 v6, v[6:7]
	v_cvt_f32_f64_e32 v4, v[4:5]
	v_min3_f32 v188, v6, v4, v174
	;; [unrolled: 5-line block ×4, first 2 shown]
	s_waitcnt lgkmcnt(0)
	v_add_f64 v[4:5], v[2:3], v[30:31]
	v_add_f64 v[6:7], v[0:1], v[28:29]
	;; [unrolled: 1-line block ×6, first 2 shown]
	v_cvt_f32_f64_e32 v6, v[6:7]
	v_cvt_f32_f64_e32 v4, v[4:5]
	v_cvt_f32_f64_e32 v24, v[24:25]
	v_cvt_f32_f64_e32 v25, v[26:27]
	v_cvt_f32_f64_e32 v20, v[20:21]
	v_cvt_f32_f64_e32 v21, v[22:23]
	v_min3_f32 v187, v6, v4, v179
	v_add_f64 v[4:5], v[42:43], v[30:31]
	v_add_f64 v[6:7], v[40:41], v[28:29]
	v_min3_f32 v176, v24, v25, s19
	ds_read_b128 v[24:27], v162 offset:11792
	v_min3_f32 v216, v20, v21, s19
	ds_read_b128 v[20:23], v162 offset:12048
	v_cvt_f32_f64_e32 v6, v[6:7]
	v_cvt_f32_f64_e32 v4, v[4:5]
	v_min3_f32 v184, v6, v4, v178
	v_add_f64 v[4:5], v[38:39], v[30:31]
	v_add_f64 v[6:7], v[36:37], v[28:29]
	v_cvt_f32_f64_e32 v6, v[6:7]
	v_cvt_f32_f64_e32 v4, v[4:5]
	v_min3_f32 v185, v6, v4, v177
	v_add_f64 v[4:5], v[34:35], v[30:31]
	v_add_f64 v[6:7], v[32:33], v[28:29]
	v_cvt_f32_f64_e32 v6, v[6:7]
	v_cvt_f32_f64_e32 v4, v[4:5]
	v_min3_f32 v182, v6, v4, v176
	s_waitcnt lgkmcnt(1)
	v_add_f64 v[4:5], v[2:3], v[26:27]
	v_add_f64 v[6:7], v[0:1], v[24:25]
	s_waitcnt lgkmcnt(0)
	v_add_f64 v[2:3], v[2:3], v[22:23]
	v_add_f64 v[0:1], v[0:1], v[20:21]
	v_cvt_f32_f64_e32 v6, v[6:7]
	v_cvt_f32_f64_e32 v4, v[4:5]
	v_cvt_f32_f64_e32 v0, v[0:1]
	v_cvt_f32_f64_e32 v1, v[2:3]
	v_min3_f32 v183, v6, v4, v183
	v_add_f64 v[4:5], v[42:43], v[26:27]
	v_add_f64 v[6:7], v[40:41], v[24:25]
	v_min3_f32 v179, v0, v1, v16
	v_add_f64 v[0:1], v[42:43], v[22:23]
	v_add_f64 v[2:3], v[40:41], v[20:21]
	v_cvt_f32_f64_e32 v6, v[6:7]
	v_cvt_f32_f64_e32 v4, v[4:5]
	v_cvt_f32_f64_e32 v2, v[2:3]
	v_cvt_f32_f64_e32 v0, v[0:1]
	v_min3_f32 v180, v6, v4, v180
	v_add_f64 v[4:5], v[38:39], v[26:27]
	v_add_f64 v[6:7], v[36:37], v[24:25]
	v_min3_f32 v176, v2, v0, v17
	;; [unrolled: 10-line block ×3, first 2 shown]
	v_add_f64 v[0:1], v[34:35], v[22:23]
	v_add_f64 v[2:3], v[32:33], v[20:21]
	v_cvt_f32_f64_e32 v9, v[12:13]
	v_cvt_f32_f64_e32 v10, v[10:11]
	;; [unrolled: 1-line block ×6, first 2 shown]
	v_min3_f32 v167, v9, v10, v157
	v_min3_f32 v178, v6, v4, v216
	;; [unrolled: 1-line block ×3, first 2 shown]
	ds_write2st64_b64 v119, v[116:117], v[114:115] offset0:8 offset1:12
	ds_write2st64_b64 v119, v[112:113], v[110:111] offset0:24 offset1:28
	s_waitcnt lgkmcnt(0)
	s_barrier
	s_cbranch_scc1 .LBB112_11
; %bb.9:
	v_mov_b32_e32 v0, 0x1000
	v_lshl_add_u32 v114, v160, 5, v0
	v_mov_b32_e32 v0, 0x3000
	v_lshl_add_u32 v115, v161, 5, v0
	v_and_b32_e32 v0, 3, v160
	v_add_u32_e32 v110, 0x2000, v119
	v_add_u32_e32 v111, 0x2000, v162
	;; [unrolled: 1-line block ×4, first 2 shown]
	s_add_i32 s8, s18, -8
	v_lshlrev_b32_e32 v100, 3, v0
	v_lshl_add_u64 v[80:81], v[108:109], 3, s[16:17]
	v_lshl_add_u64 v[82:83], v[106:107], 3, s[16:17]
	;; [unrolled: 1-line block ×4, first 2 shown]
	s_mov_b32 s9, 0
.LBB112_10:                             ; =>This Inner Loop Header: Depth=1
	v_lshl_add_u64 v[88:89], v[86:87], 0, v[100:101]
	v_lshl_add_u64 v[96:97], v[84:85], 0, v[100:101]
	;; [unrolled: 1-line block ×4, first 2 shown]
	flat_load_dwordx2 v[90:91], v[88:89] offset:64
	flat_load_dwordx2 v[94:95], v[96:97] offset:64
	flat_load_dwordx2 v[92:93], v[98:99] offset:64
	flat_load_dwordx2 v[104:105], v[102:103] offset:64
	ds_read_b128 v[12:15], v114 offset:1024
	ds_read_b128 v[8:11], v114 offset:2048
	;; [unrolled: 1-line block ×18, first 2 shown]
	ds_read_b128 v[122:125], v115
	ds_read_b128 v[16:19], v115 offset:16
	ds_read_b128 v[56:59], v114
	ds_read_b128 v[0:3], v114 offset:16
	s_add_i32 s9, s9, 8
	v_lshl_add_u64 v[80:81], v[80:81], 0, 64
	v_lshl_add_u64 v[82:83], v[82:83], 0, 64
	s_waitcnt lgkmcnt(0)
	v_add_f64 v[116:117], v[58:59], v[124:125]
	v_add_f64 v[126:127], v[56:57], v[122:123]
	v_cvt_f32_f64_e32 v121, v[126:127]
	v_cvt_f32_f64_e32 v116, v[116:117]
	v_min3_f32 v240, v121, v116, v120
	v_add_f64 v[116:117], v[14:15], v[124:125]
	v_add_f64 v[120:121], v[12:13], v[122:123]
	v_cvt_f32_f64_e32 v120, v[120:121]
	v_cvt_f32_f64_e32 v116, v[116:117]
	v_min3_f32 v239, v120, v116, v166
	;; [unrolled: 5-line block ×6, first 2 shown]
	v_add_f64 v[116:117], v[10:11], v[70:71]
	v_add_f64 v[120:121], v[8:9], v[68:69]
	;; [unrolled: 1-line block ×4, first 2 shown]
	v_cvt_f32_f64_e32 v68, v[68:69]
	v_cvt_f32_f64_e32 v69, v[70:71]
	v_min3_f32 v173, v68, v69, v231
	v_add_f64 v[68:69], v[58:59], v[74:75]
	v_add_f64 v[70:71], v[56:57], v[72:73]
	v_cvt_f32_f64_e32 v70, v[70:71]
	v_cvt_f32_f64_e32 v68, v[68:69]
	v_min3_f32 v172, v70, v68, v232
	v_add_f64 v[68:69], v[14:15], v[74:75]
	v_add_f64 v[70:71], v[12:13], v[72:73]
	;; [unrolled: 5-line block ×15, first 2 shown]
	v_add_f64 v[66:67], v[6:7], v[66:67]
	v_add_f64 v[64:65], v[4:5], v[64:65]
	v_cvt_f32_f64_e32 v64, v[64:65]
	v_cvt_f32_f64_e32 v65, v[66:67]
	v_min3_f32 v154, v64, v65, v214
	v_add_f64 v[64:65], v[58:59], v[62:63]
	v_add_f64 v[66:67], v[56:57], v[60:61]
	v_cvt_f32_f64_e32 v66, v[66:67]
	v_cvt_f32_f64_e32 v64, v[64:65]
	v_min3_f32 v153, v66, v64, v215
	v_add_f64 v[64:65], v[14:15], v[62:63]
	v_add_f64 v[66:67], v[12:13], v[60:61]
	v_cvt_f32_f64_e32 v66, v[66:67]
	v_cvt_f32_f64_e32 v64, v[64:65]
	v_min3_f32 v152, v66, v64, v212
	v_add_f64 v[64:65], v[10:11], v[62:63]
	v_add_f64 v[66:67], v[8:9], v[60:61]
	v_add_f64 v[62:63], v[6:7], v[62:63]
	v_add_f64 v[60:61], v[4:5], v[60:61]
	v_cvt_f32_f64_e32 v60, v[60:61]
	v_cvt_f32_f64_e32 v61, v[62:63]
	v_min3_f32 v150, v60, v61, v210
	v_add_f64 v[60:61], v[58:59], v[54:55]
	v_add_f64 v[62:63], v[56:57], v[52:53]
	v_cvt_f32_f64_e32 v62, v[62:63]
	v_cvt_f32_f64_e32 v60, v[60:61]
	v_min3_f32 v149, v62, v60, v211
	v_add_f64 v[60:61], v[14:15], v[54:55]
	v_add_f64 v[62:63], v[12:13], v[52:53]
	v_cvt_f32_f64_e32 v62, v[62:63]
	v_cvt_f32_f64_e32 v60, v[60:61]
	v_min3_f32 v148, v62, v60, v208
	v_add_f64 v[60:61], v[10:11], v[54:55]
	v_add_f64 v[62:63], v[8:9], v[52:53]
	;; [unrolled: 17-line block ×8, first 2 shown]
	v_add_f64 v[30:31], v[6:7], v[30:31]
	v_add_f64 v[28:29], v[4:5], v[28:29]
	v_cvt_f32_f64_e32 v28, v[28:29]
	v_cvt_f32_f64_e32 v29, v[30:31]
	v_min3_f32 v122, v28, v29, v182
	v_add_f64 v[28:29], v[58:59], v[26:27]
	v_add_f64 v[30:31], v[56:57], v[24:25]
	v_cvt_f32_f64_e32 v30, v[30:31]
	v_cvt_f32_f64_e32 v28, v[28:29]
	;; [unrolled: 1-line block ×3, first 2 shown]
	v_min3_f32 v121, v30, v28, v183
	v_add_f64 v[28:29], v[14:15], v[26:27]
	v_add_f64 v[30:31], v[12:13], v[24:25]
	v_cvt_f32_f64_e32 v116, v[116:117]
	v_cvt_f32_f64_e32 v30, v[30:31]
	;; [unrolled: 1-line block ×3, first 2 shown]
	v_min3_f32 v174, v120, v116, v234
	v_min3_f32 v120, v30, v28, v180
	v_add_f64 v[28:29], v[10:11], v[26:27]
	v_add_f64 v[30:31], v[8:9], v[24:25]
	v_add_f64 v[26:27], v[6:7], v[26:27]
	v_add_f64 v[24:25], v[4:5], v[24:25]
	v_cvt_f32_f64_e32 v24, v[24:25]
	v_cvt_f32_f64_e32 v25, v[26:27]
	v_min3_f32 v116, v24, v25, v178
	v_add_f64 v[24:25], v[58:59], v[22:23]
	v_add_f64 v[26:27], v[56:57], v[20:21]
	;; [unrolled: 1-line block ×6, first 2 shown]
	v_cvt_f32_f64_e32 v26, v[26:27]
	v_cvt_f32_f64_e32 v24, v[24:25]
	;; [unrolled: 1-line block ×6, first 2 shown]
	v_min3_f32 v109, v26, v24, v179
	v_min3_f32 v108, v12, v13, v176
	v_min3_f32 v107, v8, v9, v177
	v_add_f64 v[6:7], v[6:7], v[22:23]
	v_add_f64 v[4:5], v[4:5], v[20:21]
	;; [unrolled: 1-line block ×4, first 2 shown]
	v_cvt_f32_f64_e32 v70, v[70:71]
	v_cvt_f32_f64_e32 v68, v[68:69]
	;; [unrolled: 1-line block ×24, first 2 shown]
	v_min3_f32 v155, v70, v68, v218
	v_min3_f32 v151, v66, v64, v213
	;; [unrolled: 1-line block ×11, first 2 shown]
	ds_read_b128 v[12:15], v114 offset:1040
	ds_read_b128 v[8:11], v114 offset:2064
	;; [unrolled: 1-line block ×18, first 2 shown]
	v_min3_f32 v176, v178, v176, v240
	s_waitcnt lgkmcnt(0)
	v_add_f64 v[178:179], v[14:15], v[18:19]
	v_add_f64 v[180:181], v[12:13], v[16:17]
	v_cvt_f32_f64_e32 v177, v[180:181]
	v_cvt_f32_f64_e32 v178, v[178:179]
	v_min3_f32 v177, v177, v178, v239
	v_add_f64 v[178:179], v[10:11], v[18:19]
	v_add_f64 v[180:181], v[8:9], v[16:17]
	;; [unrolled: 1-line block ×4, first 2 shown]
	v_cvt_f32_f64_e32 v16, v[16:17]
	v_cvt_f32_f64_e32 v17, v[18:19]
	;; [unrolled: 1-line block ×3, first 2 shown]
	v_min3_f32 v179, v16, v17, v237
	v_add_f64 v[16:17], v[2:3], v[78:79]
	v_add_f64 v[18:19], v[0:1], v[76:77]
	v_cvt_f32_f64_e32 v180, v[180:181]
	v_cvt_f32_f64_e32 v18, v[18:19]
	v_cvt_f32_f64_e32 v16, v[16:17]
	v_min3_f32 v178, v180, v178, v238
	v_min3_f32 v180, v18, v16, v235
	v_add_f64 v[16:17], v[14:15], v[78:79]
	v_add_f64 v[18:19], v[12:13], v[76:77]
	v_cvt_f32_f64_e32 v18, v[18:19]
	v_cvt_f32_f64_e32 v16, v[16:17]
	v_min3_f32 v175, v18, v16, v175
	v_add_f64 v[16:17], v[10:11], v[78:79]
	v_add_f64 v[18:19], v[8:9], v[76:77]
	v_cvt_f32_f64_e32 v18, v[18:19]
	v_cvt_f32_f64_e32 v16, v[16:17]
	;; [unrolled: 5-line block ×51, first 2 shown]
	v_min3_f32 v204, v18, v16, v122
	v_add_f64 v[16:17], v[2:3], v[26:27]
	v_add_f64 v[18:19], v[0:1], v[24:25]
	;; [unrolled: 1-line block ×4, first 2 shown]
	v_cvt_f32_f64_e32 v18, v[18:19]
	v_cvt_f32_f64_e32 v16, v[16:17]
	v_cvt_f32_f64_e32 v0, v[0:1]
	v_cvt_f32_f64_e32 v1, v[2:3]
	v_min3_f32 v205, v18, v16, v121
	v_add_f64 v[16:17], v[14:15], v[26:27]
	v_add_f64 v[18:19], v[12:13], v[24:25]
	v_min3_f32 v209, v0, v1, v109
	v_add_f64 v[0:1], v[14:15], v[22:23]
	v_add_f64 v[2:3], v[12:13], v[20:21]
	v_cvt_f32_f64_e32 v18, v[18:19]
	v_cvt_f32_f64_e32 v16, v[16:17]
	v_cvt_f32_f64_e32 v2, v[2:3]
	v_cvt_f32_f64_e32 v0, v[0:1]
	v_min3_f32 v206, v18, v16, v120
	v_add_f64 v[16:17], v[10:11], v[26:27]
	v_add_f64 v[18:19], v[8:9], v[24:25]
	v_min3_f32 v210, v2, v0, v108
	v_add_f64 v[0:1], v[10:11], v[22:23]
	v_add_f64 v[2:3], v[8:9], v[20:21]
	;; [unrolled: 10-line block ×3, first 2 shown]
	v_cvt_f32_f64_e32 v18, v[18:19]
	v_cvt_f32_f64_e32 v16, v[16:17]
	;; [unrolled: 1-line block ×4, first 2 shown]
	v_min3_f32 v208, v18, v16, v116
	v_min3_f32 v212, v2, v0, v106
	s_waitcnt vmcnt(0)
	ds_write2st64_b64 v119, v[90:91], v[94:95] offset1:4
	ds_write2st64_b64 v110, v[92:93], v[104:105] offset1:4
	s_waitcnt lgkmcnt(0)
	s_barrier
	flat_load_dwordx2 v[88:89], v[88:89] offset:96
	s_nop 0
	flat_load_dwordx2 v[90:91], v[96:97] offset:96
	flat_load_dwordx2 v[92:93], v[98:99] offset:96
	;; [unrolled: 1-line block ×3, first 2 shown]
	ds_read_b128 v[12:15], v118 offset:1024
	ds_read_b128 v[8:11], v118 offset:2048
	;; [unrolled: 1-line block ×18, first 2 shown]
	ds_read_b128 v[20:23], v118
	ds_read_b128 v[0:3], v118 offset:16
	ds_read_b128 v[138:141], v111
	ds_read_b128 v[24:27], v111 offset:16
	v_lshl_add_u64 v[84:85], v[84:85], 0, 64
	v_lshl_add_u64 v[86:87], v[86:87], 0, 64
	s_cmp_ge_i32 s9, s8
	s_waitcnt lgkmcnt(0)
	v_add_f64 v[116:117], v[22:23], v[140:141]
	v_add_f64 v[120:121], v[20:21], v[138:139]
	v_cvt_f32_f64_e32 v120, v[120:121]
	v_cvt_f32_f64_e32 v116, v[116:117]
	v_min3_f32 v120, v120, v116, v176
	v_add_f64 v[116:117], v[14:15], v[140:141]
	v_add_f64 v[142:143], v[12:13], v[138:139]
	v_cvt_f32_f64_e32 v121, v[142:143]
	v_cvt_f32_f64_e32 v116, v[116:117]
	v_min3_f32 v166, v121, v116, v177
	;; [unrolled: 5-line block ×6, first 2 shown]
	v_add_f64 v[116:117], v[10:11], v[98:99]
	v_add_f64 v[138:139], v[8:9], v[96:97]
	;; [unrolled: 1-line block ×4, first 2 shown]
	v_cvt_f32_f64_e32 v96, v[96:97]
	v_cvt_f32_f64_e32 v97, v[98:99]
	v_min3_f32 v168, v96, v97, v76
	v_add_f64 v[96:97], v[22:23], v[104:105]
	v_add_f64 v[98:99], v[20:21], v[102:103]
	v_cvt_f32_f64_e32 v76, v[98:99]
	v_cvt_f32_f64_e32 v96, v[96:97]
	v_min3_f32 v165, v76, v96, v77
	v_add_f64 v[76:77], v[14:15], v[104:105]
	v_add_f64 v[96:97], v[12:13], v[102:103]
	;; [unrolled: 5-line block ×24, first 2 shown]
	v_cvt_f32_f64_e32 v58, v[58:59]
	v_cvt_f32_f64_e32 v56, v[56:57]
	;; [unrolled: 1-line block ×3, first 2 shown]
	v_min3_f32 v139, v58, v56, v173
	v_add_f64 v[56:57], v[22:23], v[54:55]
	v_add_f64 v[58:59], v[20:21], v[52:53]
	v_cvt_f32_f64_e32 v58, v[58:59]
	v_cvt_f32_f64_e32 v56, v[56:57]
	v_min3_f32 v138, v58, v56, v181
	v_add_f64 v[56:57], v[14:15], v[54:55]
	v_add_f64 v[58:59], v[12:13], v[52:53]
	v_cvt_f32_f64_e32 v58, v[58:59]
	v_cvt_f32_f64_e32 v56, v[56:57]
	v_min3_f32 v137, v58, v56, v182
	v_add_f64 v[56:57], v[10:11], v[54:55]
	v_add_f64 v[58:59], v[8:9], v[52:53]
	v_add_f64 v[54:55], v[6:7], v[54:55]
	v_add_f64 v[52:53], v[4:5], v[52:53]
	v_cvt_f32_f64_e32 v52, v[52:53]
	v_cvt_f32_f64_e32 v53, v[54:55]
	v_min3_f32 v135, v52, v53, v184
	v_add_f64 v[52:53], v[22:23], v[50:51]
	v_add_f64 v[54:55], v[20:21], v[48:49]
	v_cvt_f32_f64_e32 v54, v[54:55]
	v_cvt_f32_f64_e32 v52, v[52:53]
	v_min3_f32 v134, v54, v52, v185
	v_add_f64 v[52:53], v[14:15], v[50:51]
	v_add_f64 v[54:55], v[12:13], v[48:49]
	v_cvt_f32_f64_e32 v54, v[54:55]
	v_cvt_f32_f64_e32 v52, v[52:53]
	v_min3_f32 v133, v54, v52, v186
	v_add_f64 v[52:53], v[10:11], v[50:51]
	v_add_f64 v[54:55], v[8:9], v[48:49]
	v_add_f64 v[50:51], v[6:7], v[50:51]
	v_add_f64 v[48:49], v[4:5], v[48:49]
	v_cvt_f32_f64_e32 v48, v[48:49]
	v_cvt_f32_f64_e32 v49, v[50:51]
	;; [unrolled: 17-line block ×4, first 2 shown]
	v_min3_f32 v123, v40, v41, v196
	v_add_f64 v[40:41], v[22:23], v[38:39]
	v_add_f64 v[42:43], v[20:21], v[36:37]
	v_cvt_f32_f64_e32 v42, v[42:43]
	v_cvt_f32_f64_e32 v40, v[40:41]
	v_min3_f32 v122, v42, v40, v197
	v_add_f64 v[40:41], v[14:15], v[38:39]
	v_add_f64 v[42:43], v[12:13], v[36:37]
	v_cvt_f32_f64_e32 v116, v[116:117]
	v_cvt_f32_f64_e32 v42, v[42:43]
	;; [unrolled: 1-line block ×3, first 2 shown]
	v_min3_f32 v169, v121, v116, v174
	v_min3_f32 v121, v42, v40, v198
	v_add_f64 v[40:41], v[10:11], v[38:39]
	v_add_f64 v[42:43], v[8:9], v[36:37]
	;; [unrolled: 1-line block ×4, first 2 shown]
	v_cvt_f32_f64_e32 v36, v[36:37]
	v_cvt_f32_f64_e32 v37, v[38:39]
	v_min3_f32 v116, v36, v37, v200
	v_add_f64 v[36:37], v[22:23], v[34:35]
	v_add_f64 v[38:39], v[20:21], v[32:33]
	v_cvt_f32_f64_e32 v38, v[38:39]
	v_cvt_f32_f64_e32 v36, v[36:37]
	v_min3_f32 v109, v38, v36, v201
	v_add_f64 v[36:37], v[14:15], v[34:35]
	v_add_f64 v[38:39], v[12:13], v[32:33]
	;; [unrolled: 5-line block ×3, first 2 shown]
	v_add_f64 v[34:35], v[6:7], v[34:35]
	v_add_f64 v[32:33], v[4:5], v[32:33]
	v_cvt_f32_f64_e32 v32, v[32:33]
	v_cvt_f32_f64_e32 v33, v[34:35]
	v_min3_f32 v106, v32, v33, v204
	v_add_f64 v[32:33], v[22:23], v[30:31]
	v_add_f64 v[34:35], v[20:21], v[28:29]
	v_cvt_f32_f64_e32 v34, v[34:35]
	v_cvt_f32_f64_e32 v32, v[32:33]
	v_min3_f32 v105, v34, v32, v205
	;; [unrolled: 5-line block ×3, first 2 shown]
	v_add_f64 v[32:33], v[10:11], v[30:31]
	v_add_f64 v[34:35], v[8:9], v[28:29]
	;; [unrolled: 1-line block ×14, first 2 shown]
	v_cvt_f32_f64_e32 v58, v[58:59]
	v_cvt_f32_f64_e32 v56, v[56:57]
	;; [unrolled: 1-line block ×26, first 2 shown]
	v_min3_f32 v136, v58, v56, v183
	v_min3_f32 v132, v54, v52, v187
	v_min3_f32 v128, v50, v48, v191
	v_min3_f32 v124, v46, v44, v195
	v_min3_f32 v117, v42, v40, v199
	v_min3_f32 v107, v38, v36, v203
	v_min3_f32 v103, v34, v32, v207
	v_min3_f32 v102, v28, v29, v208
	v_min3_f32 v99, v20, v21, v209
	v_min3_f32 v98, v12, v13, v210
	v_min3_f32 v97, v8, v9, v211
	v_min3_f32 v96, v4, v5, v212
	ds_read_b128 v[12:15], v118 offset:1040
	ds_read_b128 v[8:11], v118 offset:2064
	;; [unrolled: 1-line block ×18, first 2 shown]
	v_min3_f32 v120, v173, v174, v120
	s_waitcnt lgkmcnt(0)
	v_add_f64 v[174:175], v[14:15], v[26:27]
	v_add_f64 v[176:177], v[12:13], v[24:25]
	v_cvt_f32_f64_e32 v173, v[176:177]
	v_cvt_f32_f64_e32 v174, v[174:175]
	v_min3_f32 v166, v173, v174, v166
	v_add_f64 v[174:175], v[10:11], v[26:27]
	v_add_f64 v[176:177], v[8:9], v[24:25]
	;; [unrolled: 1-line block ×4, first 2 shown]
	v_cvt_f32_f64_e32 v24, v[24:25]
	v_cvt_f32_f64_e32 v25, v[26:27]
	v_min3_f32 v235, v24, v25, v172
	v_add_f64 v[24:25], v[2:3], v[78:79]
	v_add_f64 v[26:27], v[0:1], v[76:77]
	v_cvt_f32_f64_e32 v26, v[26:27]
	v_cvt_f32_f64_e32 v24, v[24:25]
	v_min3_f32 v236, v26, v24, v171
	v_add_f64 v[24:25], v[14:15], v[78:79]
	v_add_f64 v[26:27], v[12:13], v[76:77]
	;; [unrolled: 5-line block ×53, first 2 shown]
	v_add_f64 v[2:3], v[2:3], v[18:19]
	v_add_f64 v[0:1], v[0:1], v[16:17]
	v_cvt_f32_f64_e32 v0, v[0:1]
	v_cvt_f32_f64_e32 v1, v[2:3]
	v_min3_f32 v179, v0, v1, v99
	v_add_f64 v[0:1], v[14:15], v[18:19]
	v_add_f64 v[2:3], v[12:13], v[16:17]
	v_cvt_f32_f64_e32 v26, v[26:27]
	v_cvt_f32_f64_e32 v24, v[24:25]
	;; [unrolled: 1-line block ×5, first 2 shown]
	v_min3_f32 v183, v26, v24, v105
	v_add_f64 v[24:25], v[14:15], v[22:23]
	v_add_f64 v[26:27], v[12:13], v[20:21]
	v_min3_f32 v176, v2, v0, v98
	v_add_f64 v[0:1], v[10:11], v[18:19]
	v_add_f64 v[2:3], v[8:9], v[16:17]
	v_cvt_f32_f64_e32 v26, v[26:27]
	v_cvt_f32_f64_e32 v24, v[24:25]
	;; [unrolled: 1-line block ×4, first 2 shown]
	v_min3_f32 v180, v26, v24, v104
	v_add_f64 v[24:25], v[10:11], v[22:23]
	v_add_f64 v[26:27], v[8:9], v[20:21]
	;; [unrolled: 1-line block ×4, first 2 shown]
	v_min3_f32 v177, v2, v0, v97
	v_add_f64 v[0:1], v[6:7], v[18:19]
	v_add_f64 v[2:3], v[4:5], v[16:17]
	v_cvt_f32_f64_e32 v174, v[174:175]
	v_cvt_f32_f64_e32 v26, v[26:27]
	;; [unrolled: 1-line block ×7, first 2 shown]
	v_min3_f32 v167, v173, v174, v167
	v_min3_f32 v181, v26, v24, v103
	;; [unrolled: 1-line block ×4, first 2 shown]
	s_waitcnt vmcnt(0)
	ds_write2st64_b64 v112, v[88:89], v[90:91] offset1:4
	ds_write2st64_b64 v113, v[92:93], v[94:95] offset1:4
	s_waitcnt lgkmcnt(0)
	s_barrier
	s_cbranch_scc0 .LBB112_10
.LBB112_11:
	s_load_dwordx2 s[14:15], s[0:1], 0x78
	s_load_dword s8, s[0:1], 0x58
	s_load_dword s9, s[0:1], 0x70
	ds_read_b128 v[36:39], v118 offset:4096
	ds_read_b128 v[156:159], v162 offset:12288
	;; [unrolled: 1-line block ×4, first 2 shown]
	s_waitcnt lgkmcnt(0)
	s_lshl_b64 s[0:1], s[14:15], 3
	s_add_u32 s0, s2, s0
	v_add_u32_e32 v237, s11, v161
	v_add_f64 v[0:1], v[38:39], v[158:159]
	v_add_f64 v[2:3], v[36:37], v[156:157]
	v_cvt_f32_f64_e32 v2, v[2:3]
	v_cvt_f32_f64_e32 v0, v[0:1]
	v_min3_f32 v16, v2, v0, v120
	ds_read_b128 v[28:31], v118 offset:5120
	ds_read_b128 v[20:23], v118 offset:5136
	;; [unrolled: 1-line block ×32, first 2 shown]
	v_add_f64 v[8:9], v[34:35], v[154:155]
	v_add_f64 v[10:11], v[32:33], v[152:153]
	v_cvt_f32_f64_e32 v10, v[10:11]
	v_cvt_f32_f64_e32 v8, v[8:9]
	s_addc_u32 s1, s3, s1
	v_min3_f32 v10, v10, v8, v16
	v_mad_i64_i32 v[8:9], s[2:3], v237, s9, 0
	v_lshl_add_u64 v[172:173], v[8:9], 3, s[0:1]
	v_max_f32_e32 v171, v10, v10
	ds_read_b128 v[44:47], v162 offset:15872
	ds_read_b128 v[40:43], v162 offset:15888
	;; [unrolled: 1-line block ×4, first 2 shown]
	v_add_u32_e32 v164, s10, v160
	v_add_u32_e32 v160, 32, v164
	v_ashrrev_i32_e32 v165, 31, v164
	v_ashrrev_i32_e32 v161, 31, v160
	s_mov_b64 s[2:3], -1
	v_mad_i64_i32 v[162:163], s[10:11], v237, s8, 0
	s_mov_b64 vcc, s[4:5]
	s_cbranch_vccz .LBB112_13
; %bb.12:
	v_min_f32_e32 v168, 0, v171
	v_cvt_f64_f32_e32 v[168:169], v168
	v_lshl_add_u64 v[174:175], v[164:165], 3, v[172:173]
	flat_store_dwordx2 v[174:175], v[168:169]
	s_mov_b64 s[2:3], 0
.LBB112_13:
	v_lshl_add_u64 v[174:175], v[162:163], 3, s[12:13]
	v_mov_b32_e32 v170, 0
	s_andn2_b64 vcc, exec, s[2:3]
	v_lshlrev_b64 v[168:169], 3, v[164:165]
	s_cbranch_vccnz .LBB112_15
; %bb.14:
	v_lshl_add_u64 v[162:163], v[174:175], 0, v[168:169]
	flat_load_dwordx2 v[162:163], v[162:163]
	v_lshl_add_u64 v[238:239], v[172:173], 0, v[168:169]
	s_waitcnt vmcnt(0) lgkmcnt(0)
	v_mul_f64 v[162:163], s[6:7], v[162:163]
	v_cvt_f32_f64_e32 v162, v[162:163]
	v_min_f32_e32 v162, v162, v171
	v_cvt_f64_f32_e32 v[162:163], v162
	flat_store_dwordx2 v[238:239], v[162:163]
	v_lshl_add_u64 v[162:163], v[160:161], 3, v[174:175]
	flat_load_dwordx2 v[162:163], v[162:163]
	s_waitcnt vmcnt(0) lgkmcnt(0)
	v_mul_f64 v[162:163], s[6:7], v[162:163]
	v_cvt_f32_f64_e32 v170, v[162:163]
.LBB112_15:
	s_waitcnt lgkmcnt(0)
	v_add_f64 v[162:163], v[30:31], v[158:159]
	v_add_f64 v[238:239], v[28:29], v[156:157]
	v_cvt_f32_f64_e32 v171, v[238:239]
	v_cvt_f32_f64_e32 v162, v[162:163]
	v_min3_f32 v171, v171, v162, v166
	v_add_f64 v[162:163], v[26:27], v[158:159]
	v_add_f64 v[238:239], v[24:25], v[156:157]
	v_cvt_f32_f64_e32 v166, v[238:239]
	v_cvt_f32_f64_e32 v162, v[162:163]
	v_min3_f32 v238, v166, v162, v167
	v_add_f64 v[162:163], v[22:23], v[154:155]
	v_add_f64 v[166:167], v[20:21], v[152:153]
	v_cvt_f32_f64_e32 v166, v[166:167]
	v_cvt_f32_f64_e32 v162, v[162:163]
	v_min_f32_e32 v239, v166, v162
	v_add_f64 v[162:163], v[14:15], v[154:155]
	v_add_f64 v[166:167], v[12:13], v[152:153]
	v_cvt_f32_f64_e32 v166, v[166:167]
	v_cvt_f32_f64_e32 v162, v[162:163]
	v_min3_f32 v170, v170, v239, v171
	v_min3_f32 v240, v166, v162, v238
	v_add_u32_e32 v166, 64, v164
	v_add_u32_e32 v162, 0x60, v164
	v_cvt_f64_f32_e32 v[170:171], v170
	v_lshl_add_u64 v[238:239], v[160:161], 3, v[172:173]
	v_ashrrev_i32_e32 v167, 31, v166
	v_ashrrev_i32_e32 v163, 31, v162
	flat_store_dwordx2 v[238:239], v[170:171]
	s_mov_b64 s[2:3], -1
	v_max_f32_e32 v239, v240, v240
	s_mov_b64 vcc, s[4:5]
	s_cbranch_vccz .LBB112_17
; %bb.16:
	v_min_f32_e32 v170, 0, v239
	v_cvt_f64_f32_e32 v[170:171], v170
	v_lshl_add_u64 v[240:241], v[166:167], 3, v[172:173]
	flat_store_dwordx2 v[240:241], v[170:171]
	s_mov_b64 s[2:3], 0
.LBB112_17:
	v_mov_b32_e32 v238, 0
	s_andn2_b64 vcc, exec, s[2:3]
	v_lshlrev_b64 v[170:171], 3, v[166:167]
	s_cbranch_vccnz .LBB112_19
; %bb.18:
	v_lshl_add_u64 v[240:241], v[174:175], 0, v[170:171]
	flat_load_dwordx2 v[240:241], v[240:241]
	v_lshl_add_u64 v[242:243], v[172:173], 0, v[170:171]
	v_lshl_add_u64 v[174:175], v[162:163], 3, v[174:175]
	s_waitcnt vmcnt(0) lgkmcnt(0)
	v_mul_f64 v[240:241], s[6:7], v[240:241]
	v_cvt_f32_f64_e32 v238, v[240:241]
	v_min_f32_e32 v238, v238, v239
	v_cvt_f64_f32_e32 v[238:239], v238
	flat_store_dwordx2 v[242:243], v[238:239]
	flat_load_dwordx2 v[174:175], v[174:175]
	s_waitcnt vmcnt(0) lgkmcnt(0)
	v_mul_f64 v[174:175], s[6:7], v[174:175]
	v_cvt_f32_f64_e32 v238, v[174:175]
.LBB112_19:
	v_add_f64 v[158:159], v[2:3], v[158:159]
	v_add_f64 v[156:157], v[0:1], v[156:157]
	v_cvt_f32_f64_e32 v156, v[156:157]
	v_cvt_f32_f64_e32 v157, v[158:159]
	v_add_f64 v[154:155], v[6:7], v[154:155]
	v_add_f64 v[152:153], v[4:5], v[152:153]
	v_min3_f32 v174, v156, v157, v235
	v_add_f64 v[156:157], v[38:39], v[150:151]
	v_add_f64 v[158:159], v[36:37], v[148:149]
	v_cvt_f32_f64_e32 v152, v[152:153]
	v_cvt_f32_f64_e32 v153, v[154:155]
	;; [unrolled: 1-line block ×4, first 2 shown]
	v_min_f32_e32 v157, v152, v153
	v_add_f64 v[152:153], v[34:35], v[146:147]
	v_add_f64 v[154:155], v[32:33], v[144:145]
	v_min3_f32 v156, v158, v156, v236
	v_cvt_f32_f64_e32 v154, v[154:155]
	v_cvt_f32_f64_e32 v152, v[152:153]
	v_min3_f32 v156, v154, v152, v156
	v_min3_f32 v152, v238, v157, v174
	v_cvt_f64_f32_e32 v[152:153], v152
	v_lshl_add_u64 v[154:155], v[162:163], 3, v[172:173]
	flat_store_dwordx2 v[154:155], v[152:153]
	v_add_u32_e32 v154, 8, v237
	v_mad_i64_i32 v[152:153], s[2:3], v154, s9, 0
	v_mad_i64_i32 v[154:155], s[2:3], v154, s8, 0
	v_lshl_add_u64 v[152:153], v[152:153], 3, s[0:1]
	s_mov_b64 s[2:3], -1
	v_max_f32_e32 v157, v156, v156
	s_mov_b64 vcc, s[4:5]
	s_cbranch_vccz .LBB112_21
; %bb.20:
	v_min_f32_e32 v156, 0, v157
	v_cvt_f64_f32_e32 v[158:159], v156
	v_lshl_add_u64 v[172:173], v[164:165], 3, v[152:153]
	flat_store_dwordx2 v[172:173], v[158:159]
	s_mov_b64 s[2:3], 0
.LBB112_21:
	v_lshl_add_u64 v[154:155], v[154:155], 3, s[12:13]
	s_andn2_b64 vcc, exec, s[2:3]
	v_mov_b32_e32 v156, 0
	s_cbranch_vccnz .LBB112_23
; %bb.22:
	v_lshl_add_u64 v[158:159], v[154:155], 0, v[168:169]
	flat_load_dwordx2 v[158:159], v[158:159]
	v_lshl_add_u64 v[172:173], v[152:153], 0, v[168:169]
	s_waitcnt vmcnt(0) lgkmcnt(0)
	v_mul_f64 v[158:159], s[6:7], v[158:159]
	v_cvt_f32_f64_e32 v156, v[158:159]
	v_min_f32_e32 v156, v156, v157
	v_cvt_f64_f32_e32 v[156:157], v156
	flat_store_dwordx2 v[172:173], v[156:157]
	v_lshl_add_u64 v[156:157], v[160:161], 3, v[154:155]
	flat_load_dwordx2 v[156:157], v[156:157]
	s_waitcnt vmcnt(0) lgkmcnt(0)
	v_mul_f64 v[156:157], s[6:7], v[156:157]
	v_cvt_f32_f64_e32 v156, v[156:157]
.LBB112_23:
	v_add_f64 v[158:159], v[30:31], v[150:151]
	v_add_f64 v[172:173], v[28:29], v[148:149]
	v_cvt_f32_f64_e32 v157, v[172:173]
	v_cvt_f32_f64_e32 v158, v[158:159]
	v_min3_f32 v157, v157, v158, v233
	v_add_f64 v[158:159], v[26:27], v[150:151]
	v_add_f64 v[172:173], v[24:25], v[148:149]
	v_cvt_f32_f64_e32 v172, v[172:173]
	v_cvt_f32_f64_e32 v158, v[158:159]
	v_min3_f32 v174, v172, v158, v234
	v_add_f64 v[158:159], v[22:23], v[146:147]
	v_add_f64 v[172:173], v[20:21], v[144:145]
	v_cvt_f32_f64_e32 v172, v[172:173]
	v_cvt_f32_f64_e32 v158, v[158:159]
	v_min_f32_e32 v175, v172, v158
	v_add_f64 v[158:159], v[14:15], v[146:147]
	v_add_f64 v[172:173], v[12:13], v[144:145]
	v_cvt_f32_f64_e32 v172, v[172:173]
	v_cvt_f32_f64_e32 v158, v[158:159]
	v_min3_f32 v156, v156, v175, v157
	v_min3_f32 v172, v172, v158, v174
	v_cvt_f64_f32_e32 v[156:157], v156
	v_lshl_add_u64 v[158:159], v[160:161], 3, v[152:153]
	flat_store_dwordx2 v[158:159], v[156:157]
	s_mov_b64 s[2:3], -1
	v_max_f32_e32 v157, v172, v172
	s_mov_b64 vcc, s[4:5]
	s_cbranch_vccz .LBB112_25
; %bb.24:
	v_min_f32_e32 v156, 0, v157
	v_cvt_f64_f32_e32 v[158:159], v156
	v_lshl_add_u64 v[172:173], v[166:167], 3, v[152:153]
	flat_store_dwordx2 v[172:173], v[158:159]
	s_mov_b64 s[2:3], 0
.LBB112_25:
	s_andn2_b64 vcc, exec, s[2:3]
	v_mov_b32_e32 v156, 0
	s_cbranch_vccnz .LBB112_27
; %bb.26:
	v_lshl_add_u64 v[158:159], v[154:155], 0, v[170:171]
	flat_load_dwordx2 v[158:159], v[158:159]
	v_lshl_add_u64 v[172:173], v[152:153], 0, v[170:171]
	v_lshl_add_u64 v[154:155], v[162:163], 3, v[154:155]
	s_waitcnt vmcnt(0) lgkmcnt(0)
	v_mul_f64 v[158:159], s[6:7], v[158:159]
	v_cvt_f32_f64_e32 v156, v[158:159]
	v_min_f32_e32 v156, v156, v157
	v_cvt_f64_f32_e32 v[156:157], v156
	flat_store_dwordx2 v[172:173], v[156:157]
	flat_load_dwordx2 v[154:155], v[154:155]
	s_waitcnt vmcnt(0) lgkmcnt(0)
	v_mul_f64 v[154:155], s[6:7], v[154:155]
	v_cvt_f32_f64_e32 v156, v[154:155]
.LBB112_27:
	v_add_f64 v[150:151], v[2:3], v[150:151]
	v_add_f64 v[148:149], v[0:1], v[148:149]
	v_cvt_f32_f64_e32 v148, v[148:149]
	v_cvt_f32_f64_e32 v149, v[150:151]
	v_add_f64 v[146:147], v[6:7], v[146:147]
	v_add_f64 v[144:145], v[4:5], v[144:145]
	v_min3_f32 v154, v148, v149, v231
	v_add_f64 v[148:149], v[38:39], v[142:143]
	v_add_f64 v[150:151], v[36:37], v[140:141]
	v_cvt_f32_f64_e32 v144, v[144:145]
	v_cvt_f32_f64_e32 v145, v[146:147]
	;; [unrolled: 1-line block ×4, first 2 shown]
	v_min_f32_e32 v149, v144, v145
	v_add_f64 v[144:145], v[34:35], v[138:139]
	v_add_f64 v[146:147], v[32:33], v[136:137]
	v_min3_f32 v148, v150, v148, v232
	v_cvt_f32_f64_e32 v146, v[146:147]
	v_cvt_f32_f64_e32 v144, v[144:145]
	v_min3_f32 v148, v146, v144, v148
	v_min3_f32 v144, v156, v149, v154
	v_cvt_f64_f32_e32 v[144:145], v144
	v_lshl_add_u64 v[146:147], v[162:163], 3, v[152:153]
	flat_store_dwordx2 v[146:147], v[144:145]
	v_add_u32_e32 v146, 16, v237
	v_mad_i64_i32 v[144:145], s[2:3], v146, s9, 0
	v_mad_i64_i32 v[146:147], s[2:3], v146, s8, 0
	v_lshl_add_u64 v[144:145], v[144:145], 3, s[0:1]
	s_mov_b64 s[2:3], -1
	v_max_f32_e32 v149, v148, v148
	s_mov_b64 vcc, s[4:5]
	s_cbranch_vccz .LBB112_29
; %bb.28:
	v_min_f32_e32 v148, 0, v149
	v_cvt_f64_f32_e32 v[150:151], v148
	v_lshl_add_u64 v[152:153], v[164:165], 3, v[144:145]
	flat_store_dwordx2 v[152:153], v[150:151]
	s_mov_b64 s[2:3], 0
.LBB112_29:
	v_lshl_add_u64 v[146:147], v[146:147], 3, s[12:13]
	s_andn2_b64 vcc, exec, s[2:3]
	v_mov_b32_e32 v148, 0
	s_cbranch_vccnz .LBB112_31
; %bb.30:
	v_lshl_add_u64 v[150:151], v[146:147], 0, v[168:169]
	flat_load_dwordx2 v[150:151], v[150:151]
	v_lshl_add_u64 v[152:153], v[144:145], 0, v[168:169]
	s_waitcnt vmcnt(0) lgkmcnt(0)
	v_mul_f64 v[150:151], s[6:7], v[150:151]
	v_cvt_f32_f64_e32 v148, v[150:151]
	v_min_f32_e32 v148, v148, v149
	v_cvt_f64_f32_e32 v[148:149], v148
	flat_store_dwordx2 v[152:153], v[148:149]
	v_lshl_add_u64 v[148:149], v[160:161], 3, v[146:147]
	flat_load_dwordx2 v[148:149], v[148:149]
	s_waitcnt vmcnt(0) lgkmcnt(0)
	v_mul_f64 v[148:149], s[6:7], v[148:149]
	v_cvt_f32_f64_e32 v148, v[148:149]
.LBB112_31:
	v_add_f64 v[150:151], v[30:31], v[142:143]
	v_add_f64 v[152:153], v[28:29], v[140:141]
	v_cvt_f32_f64_e32 v149, v[152:153]
	v_cvt_f32_f64_e32 v150, v[150:151]
	v_min3_f32 v149, v149, v150, v229
	v_add_f64 v[150:151], v[26:27], v[142:143]
	v_add_f64 v[152:153], v[24:25], v[140:141]
	v_cvt_f32_f64_e32 v152, v[152:153]
	v_cvt_f32_f64_e32 v150, v[150:151]
	v_min3_f32 v154, v152, v150, v230
	v_add_f64 v[150:151], v[22:23], v[138:139]
	v_add_f64 v[152:153], v[20:21], v[136:137]
	v_cvt_f32_f64_e32 v152, v[152:153]
	v_cvt_f32_f64_e32 v150, v[150:151]
	v_min_f32_e32 v155, v152, v150
	v_add_f64 v[150:151], v[14:15], v[138:139]
	v_add_f64 v[152:153], v[12:13], v[136:137]
	v_cvt_f32_f64_e32 v152, v[152:153]
	v_cvt_f32_f64_e32 v150, v[150:151]
	v_min3_f32 v148, v148, v155, v149
	v_min3_f32 v152, v152, v150, v154
	v_cvt_f64_f32_e32 v[148:149], v148
	v_lshl_add_u64 v[150:151], v[160:161], 3, v[144:145]
	flat_store_dwordx2 v[150:151], v[148:149]
	s_mov_b64 s[2:3], -1
	v_max_f32_e32 v149, v152, v152
	s_mov_b64 vcc, s[4:5]
	s_cbranch_vccz .LBB112_33
; %bb.32:
	v_min_f32_e32 v148, 0, v149
	v_cvt_f64_f32_e32 v[150:151], v148
	v_lshl_add_u64 v[152:153], v[166:167], 3, v[144:145]
	flat_store_dwordx2 v[152:153], v[150:151]
	s_mov_b64 s[2:3], 0
.LBB112_33:
	s_andn2_b64 vcc, exec, s[2:3]
	v_mov_b32_e32 v148, 0
	s_cbranch_vccnz .LBB112_35
; %bb.34:
	v_lshl_add_u64 v[150:151], v[146:147], 0, v[170:171]
	flat_load_dwordx2 v[150:151], v[150:151]
	v_lshl_add_u64 v[152:153], v[144:145], 0, v[170:171]
	v_lshl_add_u64 v[146:147], v[162:163], 3, v[146:147]
	s_waitcnt vmcnt(0) lgkmcnt(0)
	v_mul_f64 v[150:151], s[6:7], v[150:151]
	v_cvt_f32_f64_e32 v148, v[150:151]
	v_min_f32_e32 v148, v148, v149
	v_cvt_f64_f32_e32 v[148:149], v148
	flat_store_dwordx2 v[152:153], v[148:149]
	flat_load_dwordx2 v[146:147], v[146:147]
	s_waitcnt vmcnt(0) lgkmcnt(0)
	v_mul_f64 v[146:147], s[6:7], v[146:147]
	v_cvt_f32_f64_e32 v148, v[146:147]
.LBB112_35:
	v_add_f64 v[142:143], v[2:3], v[142:143]
	v_add_f64 v[140:141], v[0:1], v[140:141]
	v_cvt_f32_f64_e32 v140, v[140:141]
	v_cvt_f32_f64_e32 v141, v[142:143]
	v_add_f64 v[138:139], v[6:7], v[138:139]
	v_add_f64 v[136:137], v[4:5], v[136:137]
	v_min3_f32 v146, v140, v141, v227
	v_add_f64 v[140:141], v[38:39], v[134:135]
	v_add_f64 v[142:143], v[36:37], v[132:133]
	v_cvt_f32_f64_e32 v136, v[136:137]
	v_cvt_f32_f64_e32 v137, v[138:139]
	;; [unrolled: 1-line block ×4, first 2 shown]
	v_min_f32_e32 v141, v136, v137
	v_add_f64 v[136:137], v[34:35], v[130:131]
	v_add_f64 v[138:139], v[32:33], v[128:129]
	v_min3_f32 v140, v142, v140, v228
	v_cvt_f32_f64_e32 v138, v[138:139]
	v_cvt_f32_f64_e32 v136, v[136:137]
	v_min3_f32 v140, v138, v136, v140
	v_min3_f32 v136, v148, v141, v146
	v_cvt_f64_f32_e32 v[136:137], v136
	v_lshl_add_u64 v[138:139], v[162:163], 3, v[144:145]
	flat_store_dwordx2 v[138:139], v[136:137]
	v_add_u32_e32 v138, 24, v237
	v_mad_i64_i32 v[136:137], s[2:3], v138, s9, 0
	v_mad_i64_i32 v[138:139], s[2:3], v138, s8, 0
	v_lshl_add_u64 v[136:137], v[136:137], 3, s[0:1]
	s_mov_b64 s[2:3], -1
	v_max_f32_e32 v141, v140, v140
	s_mov_b64 vcc, s[4:5]
	s_cbranch_vccz .LBB112_37
; %bb.36:
	v_min_f32_e32 v140, 0, v141
	v_cvt_f64_f32_e32 v[142:143], v140
	v_lshl_add_u64 v[144:145], v[164:165], 3, v[136:137]
	flat_store_dwordx2 v[144:145], v[142:143]
	s_mov_b64 s[2:3], 0
.LBB112_37:
	v_lshl_add_u64 v[138:139], v[138:139], 3, s[12:13]
	s_andn2_b64 vcc, exec, s[2:3]
	v_mov_b32_e32 v140, 0
	s_cbranch_vccnz .LBB112_39
; %bb.38:
	v_lshl_add_u64 v[142:143], v[138:139], 0, v[168:169]
	flat_load_dwordx2 v[142:143], v[142:143]
	v_lshl_add_u64 v[144:145], v[136:137], 0, v[168:169]
	s_waitcnt vmcnt(0) lgkmcnt(0)
	v_mul_f64 v[142:143], s[6:7], v[142:143]
	v_cvt_f32_f64_e32 v140, v[142:143]
	v_min_f32_e32 v140, v140, v141
	v_cvt_f64_f32_e32 v[140:141], v140
	flat_store_dwordx2 v[144:145], v[140:141]
	v_lshl_add_u64 v[140:141], v[160:161], 3, v[138:139]
	flat_load_dwordx2 v[140:141], v[140:141]
	s_waitcnt vmcnt(0) lgkmcnt(0)
	v_mul_f64 v[140:141], s[6:7], v[140:141]
	v_cvt_f32_f64_e32 v140, v[140:141]
.LBB112_39:
	v_add_f64 v[142:143], v[30:31], v[134:135]
	v_add_f64 v[144:145], v[28:29], v[132:133]
	v_cvt_f32_f64_e32 v141, v[144:145]
	v_cvt_f32_f64_e32 v142, v[142:143]
	v_min3_f32 v141, v141, v142, v225
	v_add_f64 v[142:143], v[26:27], v[134:135]
	v_add_f64 v[144:145], v[24:25], v[132:133]
	v_cvt_f32_f64_e32 v144, v[144:145]
	v_cvt_f32_f64_e32 v142, v[142:143]
	v_min3_f32 v146, v144, v142, v226
	v_add_f64 v[142:143], v[22:23], v[130:131]
	v_add_f64 v[144:145], v[20:21], v[128:129]
	v_cvt_f32_f64_e32 v144, v[144:145]
	v_cvt_f32_f64_e32 v142, v[142:143]
	v_min_f32_e32 v147, v144, v142
	v_add_f64 v[142:143], v[14:15], v[130:131]
	v_add_f64 v[144:145], v[12:13], v[128:129]
	v_cvt_f32_f64_e32 v144, v[144:145]
	v_cvt_f32_f64_e32 v142, v[142:143]
	v_min3_f32 v140, v140, v147, v141
	v_min3_f32 v144, v144, v142, v146
	v_cvt_f64_f32_e32 v[140:141], v140
	v_lshl_add_u64 v[142:143], v[160:161], 3, v[136:137]
	flat_store_dwordx2 v[142:143], v[140:141]
	s_mov_b64 s[2:3], -1
	v_max_f32_e32 v141, v144, v144
	s_mov_b64 vcc, s[4:5]
	s_cbranch_vccz .LBB112_41
; %bb.40:
	v_min_f32_e32 v140, 0, v141
	v_cvt_f64_f32_e32 v[142:143], v140
	v_lshl_add_u64 v[144:145], v[166:167], 3, v[136:137]
	flat_store_dwordx2 v[144:145], v[142:143]
	s_mov_b64 s[2:3], 0
.LBB112_41:
	s_andn2_b64 vcc, exec, s[2:3]
	v_mov_b32_e32 v140, 0
	s_cbranch_vccnz .LBB112_43
; %bb.42:
	v_lshl_add_u64 v[142:143], v[138:139], 0, v[170:171]
	flat_load_dwordx2 v[142:143], v[142:143]
	v_lshl_add_u64 v[144:145], v[136:137], 0, v[170:171]
	v_lshl_add_u64 v[138:139], v[162:163], 3, v[138:139]
	s_waitcnt vmcnt(0) lgkmcnt(0)
	v_mul_f64 v[142:143], s[6:7], v[142:143]
	v_cvt_f32_f64_e32 v140, v[142:143]
	v_min_f32_e32 v140, v140, v141
	v_cvt_f64_f32_e32 v[140:141], v140
	flat_store_dwordx2 v[144:145], v[140:141]
	flat_load_dwordx2 v[138:139], v[138:139]
	s_waitcnt vmcnt(0) lgkmcnt(0)
	v_mul_f64 v[138:139], s[6:7], v[138:139]
	v_cvt_f32_f64_e32 v140, v[138:139]
.LBB112_43:
	v_add_f64 v[134:135], v[2:3], v[134:135]
	v_add_f64 v[132:133], v[0:1], v[132:133]
	v_cvt_f32_f64_e32 v132, v[132:133]
	v_cvt_f32_f64_e32 v133, v[134:135]
	v_add_f64 v[130:131], v[6:7], v[130:131]
	v_add_f64 v[128:129], v[4:5], v[128:129]
	v_min3_f32 v138, v132, v133, v223
	v_add_f64 v[132:133], v[38:39], v[126:127]
	v_add_f64 v[134:135], v[36:37], v[124:125]
	v_cvt_f32_f64_e32 v128, v[128:129]
	v_cvt_f32_f64_e32 v129, v[130:131]
	;; [unrolled: 1-line block ×4, first 2 shown]
	v_min_f32_e32 v133, v128, v129
	v_add_f64 v[128:129], v[34:35], v[122:123]
	v_add_f64 v[130:131], v[32:33], v[120:121]
	v_min3_f32 v132, v134, v132, v224
	v_cvt_f32_f64_e32 v130, v[130:131]
	v_cvt_f32_f64_e32 v128, v[128:129]
	v_min3_f32 v132, v130, v128, v132
	v_min3_f32 v128, v140, v133, v138
	v_cvt_f64_f32_e32 v[128:129], v128
	v_lshl_add_u64 v[130:131], v[162:163], 3, v[136:137]
	flat_store_dwordx2 v[130:131], v[128:129]
	v_add_u32_e32 v130, 32, v237
	v_mad_i64_i32 v[128:129], s[2:3], v130, s9, 0
	v_mad_i64_i32 v[130:131], s[2:3], v130, s8, 0
	v_lshl_add_u64 v[128:129], v[128:129], 3, s[0:1]
	s_mov_b64 s[2:3], -1
	v_max_f32_e32 v133, v132, v132
	s_mov_b64 vcc, s[4:5]
	s_cbranch_vccz .LBB112_45
; %bb.44:
	v_min_f32_e32 v132, 0, v133
	v_cvt_f64_f32_e32 v[134:135], v132
	v_lshl_add_u64 v[136:137], v[164:165], 3, v[128:129]
	flat_store_dwordx2 v[136:137], v[134:135]
	s_mov_b64 s[2:3], 0
.LBB112_45:
	v_lshl_add_u64 v[130:131], v[130:131], 3, s[12:13]
	s_andn2_b64 vcc, exec, s[2:3]
	v_mov_b32_e32 v132, 0
	s_cbranch_vccnz .LBB112_47
; %bb.46:
	v_lshl_add_u64 v[134:135], v[130:131], 0, v[168:169]
	flat_load_dwordx2 v[134:135], v[134:135]
	v_lshl_add_u64 v[136:137], v[128:129], 0, v[168:169]
	s_waitcnt vmcnt(0) lgkmcnt(0)
	v_mul_f64 v[134:135], s[6:7], v[134:135]
	v_cvt_f32_f64_e32 v132, v[134:135]
	v_min_f32_e32 v132, v132, v133
	v_cvt_f64_f32_e32 v[132:133], v132
	flat_store_dwordx2 v[136:137], v[132:133]
	v_lshl_add_u64 v[132:133], v[160:161], 3, v[130:131]
	flat_load_dwordx2 v[132:133], v[132:133]
	s_waitcnt vmcnt(0) lgkmcnt(0)
	v_mul_f64 v[132:133], s[6:7], v[132:133]
	v_cvt_f32_f64_e32 v132, v[132:133]
.LBB112_47:
	v_add_f64 v[134:135], v[30:31], v[126:127]
	v_add_f64 v[136:137], v[28:29], v[124:125]
	v_cvt_f32_f64_e32 v133, v[136:137]
	v_cvt_f32_f64_e32 v134, v[134:135]
	v_min3_f32 v133, v133, v134, v221
	v_add_f64 v[134:135], v[26:27], v[126:127]
	v_add_f64 v[136:137], v[24:25], v[124:125]
	v_cvt_f32_f64_e32 v136, v[136:137]
	v_cvt_f32_f64_e32 v134, v[134:135]
	v_min3_f32 v138, v136, v134, v222
	v_add_f64 v[134:135], v[22:23], v[122:123]
	v_add_f64 v[136:137], v[20:21], v[120:121]
	v_cvt_f32_f64_e32 v136, v[136:137]
	v_cvt_f32_f64_e32 v134, v[134:135]
	v_min_f32_e32 v139, v136, v134
	v_add_f64 v[134:135], v[14:15], v[122:123]
	v_add_f64 v[136:137], v[12:13], v[120:121]
	v_cvt_f32_f64_e32 v136, v[136:137]
	v_cvt_f32_f64_e32 v134, v[134:135]
	v_min3_f32 v132, v132, v139, v133
	v_min3_f32 v136, v136, v134, v138
	v_cvt_f64_f32_e32 v[132:133], v132
	v_lshl_add_u64 v[134:135], v[160:161], 3, v[128:129]
	flat_store_dwordx2 v[134:135], v[132:133]
	s_mov_b64 s[2:3], -1
	v_max_f32_e32 v133, v136, v136
	s_mov_b64 vcc, s[4:5]
	s_cbranch_vccz .LBB112_49
; %bb.48:
	v_min_f32_e32 v132, 0, v133
	v_cvt_f64_f32_e32 v[134:135], v132
	v_lshl_add_u64 v[136:137], v[166:167], 3, v[128:129]
	flat_store_dwordx2 v[136:137], v[134:135]
	s_mov_b64 s[2:3], 0
.LBB112_49:
	s_andn2_b64 vcc, exec, s[2:3]
	v_mov_b32_e32 v132, 0
	s_cbranch_vccnz .LBB112_51
; %bb.50:
	v_lshl_add_u64 v[134:135], v[130:131], 0, v[170:171]
	flat_load_dwordx2 v[134:135], v[134:135]
	v_lshl_add_u64 v[136:137], v[128:129], 0, v[170:171]
	v_lshl_add_u64 v[130:131], v[162:163], 3, v[130:131]
	s_waitcnt vmcnt(0) lgkmcnt(0)
	v_mul_f64 v[134:135], s[6:7], v[134:135]
	v_cvt_f32_f64_e32 v132, v[134:135]
	v_min_f32_e32 v132, v132, v133
	v_cvt_f64_f32_e32 v[132:133], v132
	flat_store_dwordx2 v[136:137], v[132:133]
	flat_load_dwordx2 v[130:131], v[130:131]
	s_waitcnt vmcnt(0) lgkmcnt(0)
	v_mul_f64 v[130:131], s[6:7], v[130:131]
	v_cvt_f32_f64_e32 v132, v[130:131]
.LBB112_51:
	v_add_f64 v[126:127], v[2:3], v[126:127]
	v_add_f64 v[124:125], v[0:1], v[124:125]
	v_cvt_f32_f64_e32 v124, v[124:125]
	v_cvt_f32_f64_e32 v125, v[126:127]
	v_add_f64 v[122:123], v[6:7], v[122:123]
	v_add_f64 v[120:121], v[4:5], v[120:121]
	v_min3_f32 v130, v124, v125, v219
	v_add_f64 v[124:125], v[38:39], v[118:119]
	v_add_f64 v[126:127], v[36:37], v[116:117]
	v_cvt_f32_f64_e32 v120, v[120:121]
	v_cvt_f32_f64_e32 v121, v[122:123]
	;; [unrolled: 1-line block ×4, first 2 shown]
	v_min_f32_e32 v125, v120, v121
	v_add_f64 v[120:121], v[34:35], v[114:115]
	v_add_f64 v[122:123], v[32:33], v[112:113]
	v_min3_f32 v124, v126, v124, v220
	v_cvt_f32_f64_e32 v122, v[122:123]
	v_cvt_f32_f64_e32 v120, v[120:121]
	v_min3_f32 v124, v122, v120, v124
	v_min3_f32 v120, v132, v125, v130
	v_cvt_f64_f32_e32 v[120:121], v120
	v_lshl_add_u64 v[122:123], v[162:163], 3, v[128:129]
	flat_store_dwordx2 v[122:123], v[120:121]
	v_add_u32_e32 v122, 40, v237
	v_mad_i64_i32 v[120:121], s[2:3], v122, s9, 0
	v_mad_i64_i32 v[122:123], s[2:3], v122, s8, 0
	v_lshl_add_u64 v[120:121], v[120:121], 3, s[0:1]
	s_mov_b64 s[2:3], -1
	v_max_f32_e32 v125, v124, v124
	s_mov_b64 vcc, s[4:5]
	s_cbranch_vccz .LBB112_53
; %bb.52:
	v_min_f32_e32 v124, 0, v125
	v_cvt_f64_f32_e32 v[126:127], v124
	v_lshl_add_u64 v[128:129], v[164:165], 3, v[120:121]
	flat_store_dwordx2 v[128:129], v[126:127]
	s_mov_b64 s[2:3], 0
.LBB112_53:
	v_lshl_add_u64 v[122:123], v[122:123], 3, s[12:13]
	s_andn2_b64 vcc, exec, s[2:3]
	v_mov_b32_e32 v124, 0
	s_cbranch_vccnz .LBB112_55
; %bb.54:
	v_lshl_add_u64 v[126:127], v[122:123], 0, v[168:169]
	flat_load_dwordx2 v[126:127], v[126:127]
	v_lshl_add_u64 v[128:129], v[120:121], 0, v[168:169]
	s_waitcnt vmcnt(0) lgkmcnt(0)
	v_mul_f64 v[126:127], s[6:7], v[126:127]
	v_cvt_f32_f64_e32 v124, v[126:127]
	v_min_f32_e32 v124, v124, v125
	v_cvt_f64_f32_e32 v[124:125], v124
	flat_store_dwordx2 v[128:129], v[124:125]
	v_lshl_add_u64 v[124:125], v[160:161], 3, v[122:123]
	flat_load_dwordx2 v[124:125], v[124:125]
	s_waitcnt vmcnt(0) lgkmcnt(0)
	v_mul_f64 v[124:125], s[6:7], v[124:125]
	v_cvt_f32_f64_e32 v124, v[124:125]
.LBB112_55:
	v_add_f64 v[126:127], v[30:31], v[118:119]
	v_add_f64 v[128:129], v[28:29], v[116:117]
	v_cvt_f32_f64_e32 v125, v[128:129]
	v_cvt_f32_f64_e32 v126, v[126:127]
	v_min3_f32 v125, v125, v126, v217
	v_add_f64 v[126:127], v[26:27], v[118:119]
	v_add_f64 v[128:129], v[24:25], v[116:117]
	v_cvt_f32_f64_e32 v128, v[128:129]
	v_cvt_f32_f64_e32 v126, v[126:127]
	v_min3_f32 v130, v128, v126, v218
	v_add_f64 v[126:127], v[22:23], v[114:115]
	v_add_f64 v[128:129], v[20:21], v[112:113]
	v_cvt_f32_f64_e32 v128, v[128:129]
	v_cvt_f32_f64_e32 v126, v[126:127]
	v_min_f32_e32 v131, v128, v126
	v_add_f64 v[126:127], v[14:15], v[114:115]
	v_add_f64 v[128:129], v[12:13], v[112:113]
	v_cvt_f32_f64_e32 v128, v[128:129]
	v_cvt_f32_f64_e32 v126, v[126:127]
	v_min3_f32 v124, v124, v131, v125
	v_min3_f32 v128, v128, v126, v130
	v_cvt_f64_f32_e32 v[124:125], v124
	v_lshl_add_u64 v[126:127], v[160:161], 3, v[120:121]
	flat_store_dwordx2 v[126:127], v[124:125]
	s_mov_b64 s[2:3], -1
	v_max_f32_e32 v125, v128, v128
	s_mov_b64 vcc, s[4:5]
	s_cbranch_vccz .LBB112_57
; %bb.56:
	v_min_f32_e32 v124, 0, v125
	v_cvt_f64_f32_e32 v[126:127], v124
	v_lshl_add_u64 v[128:129], v[166:167], 3, v[120:121]
	flat_store_dwordx2 v[128:129], v[126:127]
	s_mov_b64 s[2:3], 0
.LBB112_57:
	s_andn2_b64 vcc, exec, s[2:3]
	v_mov_b32_e32 v124, 0
	s_cbranch_vccnz .LBB112_59
; %bb.58:
	v_lshl_add_u64 v[126:127], v[122:123], 0, v[170:171]
	flat_load_dwordx2 v[126:127], v[126:127]
	v_lshl_add_u64 v[128:129], v[120:121], 0, v[170:171]
	v_lshl_add_u64 v[122:123], v[162:163], 3, v[122:123]
	s_waitcnt vmcnt(0) lgkmcnt(0)
	v_mul_f64 v[126:127], s[6:7], v[126:127]
	v_cvt_f32_f64_e32 v124, v[126:127]
	v_min_f32_e32 v124, v124, v125
	v_cvt_f64_f32_e32 v[124:125], v124
	flat_store_dwordx2 v[128:129], v[124:125]
	flat_load_dwordx2 v[122:123], v[122:123]
	s_waitcnt vmcnt(0) lgkmcnt(0)
	v_mul_f64 v[122:123], s[6:7], v[122:123]
	v_cvt_f32_f64_e32 v124, v[122:123]
.LBB112_59:
	v_add_f64 v[118:119], v[2:3], v[118:119]
	v_add_f64 v[116:117], v[0:1], v[116:117]
	v_cvt_f32_f64_e32 v116, v[116:117]
	v_cvt_f32_f64_e32 v117, v[118:119]
	v_add_f64 v[114:115], v[6:7], v[114:115]
	v_add_f64 v[112:113], v[4:5], v[112:113]
	v_min3_f32 v122, v116, v117, v214
	v_add_f64 v[116:117], v[38:39], v[110:111]
	v_add_f64 v[118:119], v[36:37], v[108:109]
	v_cvt_f32_f64_e32 v112, v[112:113]
	v_cvt_f32_f64_e32 v113, v[114:115]
	;; [unrolled: 1-line block ×4, first 2 shown]
	v_min_f32_e32 v117, v112, v113
	v_add_f64 v[112:113], v[34:35], v[106:107]
	v_add_f64 v[114:115], v[32:33], v[104:105]
	v_min3_f32 v116, v118, v116, v215
	v_cvt_f32_f64_e32 v114, v[114:115]
	v_cvt_f32_f64_e32 v112, v[112:113]
	v_min3_f32 v116, v114, v112, v116
	v_min3_f32 v112, v124, v117, v122
	v_cvt_f64_f32_e32 v[112:113], v112
	v_lshl_add_u64 v[114:115], v[162:163], 3, v[120:121]
	flat_store_dwordx2 v[114:115], v[112:113]
	v_add_u32_e32 v114, 48, v237
	v_mad_i64_i32 v[112:113], s[2:3], v114, s9, 0
	v_mad_i64_i32 v[114:115], s[2:3], v114, s8, 0
	v_lshl_add_u64 v[112:113], v[112:113], 3, s[0:1]
	s_mov_b64 s[2:3], -1
	v_max_f32_e32 v117, v116, v116
	s_mov_b64 vcc, s[4:5]
	s_cbranch_vccz .LBB112_61
; %bb.60:
	v_min_f32_e32 v116, 0, v117
	v_cvt_f64_f32_e32 v[118:119], v116
	v_lshl_add_u64 v[120:121], v[164:165], 3, v[112:113]
	flat_store_dwordx2 v[120:121], v[118:119]
	s_mov_b64 s[2:3], 0
.LBB112_61:
	v_lshl_add_u64 v[114:115], v[114:115], 3, s[12:13]
	s_andn2_b64 vcc, exec, s[2:3]
	v_mov_b32_e32 v116, 0
	s_cbranch_vccnz .LBB112_63
; %bb.62:
	v_lshl_add_u64 v[118:119], v[114:115], 0, v[168:169]
	flat_load_dwordx2 v[118:119], v[118:119]
	v_lshl_add_u64 v[120:121], v[112:113], 0, v[168:169]
	s_waitcnt vmcnt(0) lgkmcnt(0)
	v_mul_f64 v[118:119], s[6:7], v[118:119]
	v_cvt_f32_f64_e32 v116, v[118:119]
	v_min_f32_e32 v116, v116, v117
	v_cvt_f64_f32_e32 v[116:117], v116
	flat_store_dwordx2 v[120:121], v[116:117]
	v_lshl_add_u64 v[116:117], v[160:161], 3, v[114:115]
	flat_load_dwordx2 v[116:117], v[116:117]
	s_waitcnt vmcnt(0) lgkmcnt(0)
	v_mul_f64 v[116:117], s[6:7], v[116:117]
	v_cvt_f32_f64_e32 v116, v[116:117]
.LBB112_63:
	v_add_f64 v[118:119], v[30:31], v[110:111]
	v_add_f64 v[120:121], v[28:29], v[108:109]
	v_cvt_f32_f64_e32 v117, v[120:121]
	v_cvt_f32_f64_e32 v118, v[118:119]
	v_min3_f32 v117, v117, v118, v212
	v_add_f64 v[118:119], v[26:27], v[110:111]
	v_add_f64 v[120:121], v[24:25], v[108:109]
	v_cvt_f32_f64_e32 v120, v[120:121]
	v_cvt_f32_f64_e32 v118, v[118:119]
	v_min3_f32 v122, v120, v118, v213
	v_add_f64 v[118:119], v[22:23], v[106:107]
	v_add_f64 v[120:121], v[20:21], v[104:105]
	v_cvt_f32_f64_e32 v120, v[120:121]
	v_cvt_f32_f64_e32 v118, v[118:119]
	v_min_f32_e32 v123, v120, v118
	v_add_f64 v[118:119], v[14:15], v[106:107]
	v_add_f64 v[120:121], v[12:13], v[104:105]
	v_cvt_f32_f64_e32 v120, v[120:121]
	v_cvt_f32_f64_e32 v118, v[118:119]
	v_min3_f32 v116, v116, v123, v117
	v_min3_f32 v120, v120, v118, v122
	v_cvt_f64_f32_e32 v[116:117], v116
	v_lshl_add_u64 v[118:119], v[160:161], 3, v[112:113]
	flat_store_dwordx2 v[118:119], v[116:117]
	s_mov_b64 s[2:3], -1
	v_max_f32_e32 v117, v120, v120
	s_mov_b64 vcc, s[4:5]
	s_cbranch_vccz .LBB112_65
; %bb.64:
	v_min_f32_e32 v116, 0, v117
	v_cvt_f64_f32_e32 v[118:119], v116
	v_lshl_add_u64 v[120:121], v[166:167], 3, v[112:113]
	flat_store_dwordx2 v[120:121], v[118:119]
	s_mov_b64 s[2:3], 0
.LBB112_65:
	s_andn2_b64 vcc, exec, s[2:3]
	v_mov_b32_e32 v116, 0
	s_cbranch_vccnz .LBB112_67
; %bb.66:
	v_lshl_add_u64 v[118:119], v[114:115], 0, v[170:171]
	flat_load_dwordx2 v[118:119], v[118:119]
	v_lshl_add_u64 v[120:121], v[112:113], 0, v[170:171]
	v_lshl_add_u64 v[114:115], v[162:163], 3, v[114:115]
	s_waitcnt vmcnt(0) lgkmcnt(0)
	v_mul_f64 v[118:119], s[6:7], v[118:119]
	v_cvt_f32_f64_e32 v116, v[118:119]
	v_min_f32_e32 v116, v116, v117
	v_cvt_f64_f32_e32 v[116:117], v116
	flat_store_dwordx2 v[120:121], v[116:117]
	flat_load_dwordx2 v[114:115], v[114:115]
	s_waitcnt vmcnt(0) lgkmcnt(0)
	v_mul_f64 v[114:115], s[6:7], v[114:115]
	v_cvt_f32_f64_e32 v116, v[114:115]
.LBB112_67:
	v_add_f64 v[110:111], v[2:3], v[110:111]
	v_add_f64 v[108:109], v[0:1], v[108:109]
	v_cvt_f32_f64_e32 v108, v[108:109]
	v_cvt_f32_f64_e32 v109, v[110:111]
	v_add_f64 v[106:107], v[6:7], v[106:107]
	v_add_f64 v[104:105], v[4:5], v[104:105]
	v_min3_f32 v114, v108, v109, v210
	v_add_f64 v[108:109], v[38:39], v[102:103]
	v_add_f64 v[110:111], v[36:37], v[100:101]
	v_cvt_f32_f64_e32 v104, v[104:105]
	v_cvt_f32_f64_e32 v105, v[106:107]
	;; [unrolled: 1-line block ×4, first 2 shown]
	v_min_f32_e32 v109, v104, v105
	v_add_f64 v[104:105], v[34:35], v[98:99]
	v_add_f64 v[106:107], v[32:33], v[96:97]
	v_min3_f32 v108, v110, v108, v211
	v_cvt_f32_f64_e32 v106, v[106:107]
	v_cvt_f32_f64_e32 v104, v[104:105]
	v_min3_f32 v108, v106, v104, v108
	v_min3_f32 v104, v116, v109, v114
	v_cvt_f64_f32_e32 v[104:105], v104
	v_lshl_add_u64 v[106:107], v[162:163], 3, v[112:113]
	flat_store_dwordx2 v[106:107], v[104:105]
	v_add_u32_e32 v106, 56, v237
	v_mad_i64_i32 v[104:105], s[2:3], v106, s9, 0
	v_mad_i64_i32 v[106:107], s[2:3], v106, s8, 0
	v_lshl_add_u64 v[104:105], v[104:105], 3, s[0:1]
	s_mov_b64 s[2:3], -1
	v_max_f32_e32 v109, v108, v108
	s_mov_b64 vcc, s[4:5]
	s_cbranch_vccz .LBB112_69
; %bb.68:
	v_min_f32_e32 v108, 0, v109
	v_cvt_f64_f32_e32 v[110:111], v108
	v_lshl_add_u64 v[112:113], v[164:165], 3, v[104:105]
	flat_store_dwordx2 v[112:113], v[110:111]
	s_mov_b64 s[2:3], 0
.LBB112_69:
	v_lshl_add_u64 v[106:107], v[106:107], 3, s[12:13]
	s_andn2_b64 vcc, exec, s[2:3]
	v_mov_b32_e32 v108, 0
	s_cbranch_vccnz .LBB112_71
; %bb.70:
	v_lshl_add_u64 v[110:111], v[106:107], 0, v[168:169]
	flat_load_dwordx2 v[110:111], v[110:111]
	v_lshl_add_u64 v[112:113], v[104:105], 0, v[168:169]
	s_waitcnt vmcnt(0) lgkmcnt(0)
	v_mul_f64 v[110:111], s[6:7], v[110:111]
	v_cvt_f32_f64_e32 v108, v[110:111]
	v_min_f32_e32 v108, v108, v109
	v_cvt_f64_f32_e32 v[108:109], v108
	flat_store_dwordx2 v[112:113], v[108:109]
	v_lshl_add_u64 v[108:109], v[160:161], 3, v[106:107]
	flat_load_dwordx2 v[108:109], v[108:109]
	s_waitcnt vmcnt(0) lgkmcnt(0)
	v_mul_f64 v[108:109], s[6:7], v[108:109]
	v_cvt_f32_f64_e32 v108, v[108:109]
.LBB112_71:
	v_add_f64 v[110:111], v[30:31], v[102:103]
	v_add_f64 v[112:113], v[28:29], v[100:101]
	v_cvt_f32_f64_e32 v109, v[112:113]
	v_cvt_f32_f64_e32 v110, v[110:111]
	v_min3_f32 v109, v109, v110, v208
	v_add_f64 v[110:111], v[26:27], v[102:103]
	v_add_f64 v[112:113], v[24:25], v[100:101]
	v_cvt_f32_f64_e32 v112, v[112:113]
	v_cvt_f32_f64_e32 v110, v[110:111]
	v_min3_f32 v114, v112, v110, v209
	v_add_f64 v[110:111], v[22:23], v[98:99]
	v_add_f64 v[112:113], v[20:21], v[96:97]
	v_cvt_f32_f64_e32 v112, v[112:113]
	v_cvt_f32_f64_e32 v110, v[110:111]
	v_min_f32_e32 v115, v112, v110
	v_add_f64 v[110:111], v[14:15], v[98:99]
	v_add_f64 v[112:113], v[12:13], v[96:97]
	v_cvt_f32_f64_e32 v112, v[112:113]
	v_cvt_f32_f64_e32 v110, v[110:111]
	v_min3_f32 v108, v108, v115, v109
	v_min3_f32 v112, v112, v110, v114
	v_cvt_f64_f32_e32 v[108:109], v108
	v_lshl_add_u64 v[110:111], v[160:161], 3, v[104:105]
	flat_store_dwordx2 v[110:111], v[108:109]
	s_mov_b64 s[2:3], -1
	v_max_f32_e32 v109, v112, v112
	s_mov_b64 vcc, s[4:5]
	s_cbranch_vccz .LBB112_73
; %bb.72:
	v_min_f32_e32 v108, 0, v109
	v_cvt_f64_f32_e32 v[110:111], v108
	v_lshl_add_u64 v[112:113], v[166:167], 3, v[104:105]
	flat_store_dwordx2 v[112:113], v[110:111]
	s_mov_b64 s[2:3], 0
.LBB112_73:
	s_andn2_b64 vcc, exec, s[2:3]
	v_mov_b32_e32 v108, 0
	s_cbranch_vccnz .LBB112_75
; %bb.74:
	v_lshl_add_u64 v[110:111], v[106:107], 0, v[170:171]
	flat_load_dwordx2 v[110:111], v[110:111]
	v_lshl_add_u64 v[112:113], v[104:105], 0, v[170:171]
	v_lshl_add_u64 v[106:107], v[162:163], 3, v[106:107]
	s_waitcnt vmcnt(0) lgkmcnt(0)
	v_mul_f64 v[110:111], s[6:7], v[110:111]
	v_cvt_f32_f64_e32 v108, v[110:111]
	v_min_f32_e32 v108, v108, v109
	v_cvt_f64_f32_e32 v[108:109], v108
	flat_store_dwordx2 v[112:113], v[108:109]
	flat_load_dwordx2 v[106:107], v[106:107]
	s_waitcnt vmcnt(0) lgkmcnt(0)
	v_mul_f64 v[106:107], s[6:7], v[106:107]
	v_cvt_f32_f64_e32 v108, v[106:107]
.LBB112_75:
	v_add_f64 v[102:103], v[2:3], v[102:103]
	v_add_f64 v[100:101], v[0:1], v[100:101]
	v_cvt_f32_f64_e32 v100, v[100:101]
	v_cvt_f32_f64_e32 v101, v[102:103]
	v_add_f64 v[98:99], v[6:7], v[98:99]
	v_add_f64 v[96:97], v[4:5], v[96:97]
	v_min3_f32 v106, v100, v101, v206
	v_add_f64 v[100:101], v[38:39], v[94:95]
	v_add_f64 v[102:103], v[36:37], v[92:93]
	v_cvt_f32_f64_e32 v96, v[96:97]
	v_cvt_f32_f64_e32 v97, v[98:99]
	v_cvt_f32_f64_e32 v102, v[102:103]
	v_cvt_f32_f64_e32 v100, v[100:101]
	v_min_f32_e32 v101, v96, v97
	v_add_f64 v[96:97], v[34:35], v[90:91]
	v_add_f64 v[98:99], v[32:33], v[88:89]
	v_min3_f32 v100, v102, v100, v207
	v_cvt_f32_f64_e32 v98, v[98:99]
	v_cvt_f32_f64_e32 v96, v[96:97]
	v_min3_f32 v100, v98, v96, v100
	v_min3_f32 v96, v108, v101, v106
	v_cvt_f64_f32_e32 v[96:97], v96
	v_lshl_add_u64 v[98:99], v[162:163], 3, v[104:105]
	flat_store_dwordx2 v[98:99], v[96:97]
	v_add_u32_e32 v98, 64, v237
	v_mad_i64_i32 v[96:97], s[2:3], v98, s9, 0
	v_mad_i64_i32 v[98:99], s[2:3], v98, s8, 0
	v_lshl_add_u64 v[96:97], v[96:97], 3, s[0:1]
	s_mov_b64 s[2:3], -1
	v_max_f32_e32 v101, v100, v100
	s_mov_b64 vcc, s[4:5]
	s_cbranch_vccz .LBB112_77
; %bb.76:
	v_min_f32_e32 v100, 0, v101
	v_cvt_f64_f32_e32 v[102:103], v100
	v_lshl_add_u64 v[104:105], v[164:165], 3, v[96:97]
	flat_store_dwordx2 v[104:105], v[102:103]
	s_mov_b64 s[2:3], 0
.LBB112_77:
	v_lshl_add_u64 v[98:99], v[98:99], 3, s[12:13]
	s_andn2_b64 vcc, exec, s[2:3]
	v_mov_b32_e32 v100, 0
	s_cbranch_vccnz .LBB112_79
; %bb.78:
	v_lshl_add_u64 v[102:103], v[98:99], 0, v[168:169]
	flat_load_dwordx2 v[102:103], v[102:103]
	v_lshl_add_u64 v[104:105], v[96:97], 0, v[168:169]
	s_waitcnt vmcnt(0) lgkmcnt(0)
	v_mul_f64 v[102:103], s[6:7], v[102:103]
	v_cvt_f32_f64_e32 v100, v[102:103]
	v_min_f32_e32 v100, v100, v101
	v_cvt_f64_f32_e32 v[100:101], v100
	flat_store_dwordx2 v[104:105], v[100:101]
	v_lshl_add_u64 v[100:101], v[160:161], 3, v[98:99]
	flat_load_dwordx2 v[100:101], v[100:101]
	s_waitcnt vmcnt(0) lgkmcnt(0)
	v_mul_f64 v[100:101], s[6:7], v[100:101]
	v_cvt_f32_f64_e32 v100, v[100:101]
.LBB112_79:
	v_add_f64 v[102:103], v[30:31], v[94:95]
	v_add_f64 v[104:105], v[28:29], v[92:93]
	v_cvt_f32_f64_e32 v101, v[104:105]
	v_cvt_f32_f64_e32 v102, v[102:103]
	v_min3_f32 v101, v101, v102, v204
	v_add_f64 v[102:103], v[26:27], v[94:95]
	v_add_f64 v[104:105], v[24:25], v[92:93]
	v_cvt_f32_f64_e32 v104, v[104:105]
	v_cvt_f32_f64_e32 v102, v[102:103]
	v_min3_f32 v106, v104, v102, v205
	v_add_f64 v[102:103], v[22:23], v[90:91]
	v_add_f64 v[104:105], v[20:21], v[88:89]
	v_cvt_f32_f64_e32 v104, v[104:105]
	v_cvt_f32_f64_e32 v102, v[102:103]
	v_min_f32_e32 v107, v104, v102
	v_add_f64 v[102:103], v[14:15], v[90:91]
	v_add_f64 v[104:105], v[12:13], v[88:89]
	v_cvt_f32_f64_e32 v104, v[104:105]
	v_cvt_f32_f64_e32 v102, v[102:103]
	v_min3_f32 v100, v100, v107, v101
	v_min3_f32 v104, v104, v102, v106
	v_cvt_f64_f32_e32 v[100:101], v100
	v_lshl_add_u64 v[102:103], v[160:161], 3, v[96:97]
	flat_store_dwordx2 v[102:103], v[100:101]
	s_mov_b64 s[2:3], -1
	v_max_f32_e32 v101, v104, v104
	s_mov_b64 vcc, s[4:5]
	s_cbranch_vccz .LBB112_81
; %bb.80:
	v_min_f32_e32 v100, 0, v101
	v_cvt_f64_f32_e32 v[102:103], v100
	v_lshl_add_u64 v[104:105], v[166:167], 3, v[96:97]
	flat_store_dwordx2 v[104:105], v[102:103]
	s_mov_b64 s[2:3], 0
.LBB112_81:
	s_andn2_b64 vcc, exec, s[2:3]
	v_mov_b32_e32 v100, 0
	s_cbranch_vccnz .LBB112_83
; %bb.82:
	v_lshl_add_u64 v[102:103], v[98:99], 0, v[170:171]
	flat_load_dwordx2 v[102:103], v[102:103]
	v_lshl_add_u64 v[104:105], v[96:97], 0, v[170:171]
	v_lshl_add_u64 v[98:99], v[162:163], 3, v[98:99]
	s_waitcnt vmcnt(0) lgkmcnt(0)
	v_mul_f64 v[102:103], s[6:7], v[102:103]
	v_cvt_f32_f64_e32 v100, v[102:103]
	v_min_f32_e32 v100, v100, v101
	v_cvt_f64_f32_e32 v[100:101], v100
	flat_store_dwordx2 v[104:105], v[100:101]
	flat_load_dwordx2 v[98:99], v[98:99]
	s_waitcnt vmcnt(0) lgkmcnt(0)
	v_mul_f64 v[98:99], s[6:7], v[98:99]
	v_cvt_f32_f64_e32 v100, v[98:99]
.LBB112_83:
	v_add_f64 v[94:95], v[2:3], v[94:95]
	v_add_f64 v[92:93], v[0:1], v[92:93]
	v_cvt_f32_f64_e32 v92, v[92:93]
	v_cvt_f32_f64_e32 v93, v[94:95]
	v_add_f64 v[90:91], v[6:7], v[90:91]
	v_add_f64 v[88:89], v[4:5], v[88:89]
	v_min3_f32 v98, v92, v93, v202
	v_add_f64 v[92:93], v[38:39], v[86:87]
	v_add_f64 v[94:95], v[36:37], v[84:85]
	v_cvt_f32_f64_e32 v88, v[88:89]
	v_cvt_f32_f64_e32 v89, v[90:91]
	;; [unrolled: 1-line block ×4, first 2 shown]
	v_min_f32_e32 v93, v88, v89
	v_add_f64 v[88:89], v[34:35], v[82:83]
	v_add_f64 v[90:91], v[32:33], v[80:81]
	v_min3_f32 v92, v94, v92, v203
	v_cvt_f32_f64_e32 v90, v[90:91]
	v_cvt_f32_f64_e32 v88, v[88:89]
	v_min3_f32 v92, v90, v88, v92
	v_min3_f32 v88, v100, v93, v98
	v_cvt_f64_f32_e32 v[88:89], v88
	v_lshl_add_u64 v[90:91], v[162:163], 3, v[96:97]
	flat_store_dwordx2 v[90:91], v[88:89]
	v_add_u32_e32 v90, 0x48, v237
	v_mad_i64_i32 v[88:89], s[2:3], v90, s9, 0
	v_mad_i64_i32 v[90:91], s[2:3], v90, s8, 0
	v_lshl_add_u64 v[88:89], v[88:89], 3, s[0:1]
	s_mov_b64 s[2:3], -1
	v_max_f32_e32 v93, v92, v92
	s_mov_b64 vcc, s[4:5]
	s_cbranch_vccz .LBB112_85
; %bb.84:
	v_min_f32_e32 v92, 0, v93
	v_cvt_f64_f32_e32 v[94:95], v92
	v_lshl_add_u64 v[96:97], v[164:165], 3, v[88:89]
	flat_store_dwordx2 v[96:97], v[94:95]
	s_mov_b64 s[2:3], 0
.LBB112_85:
	v_lshl_add_u64 v[90:91], v[90:91], 3, s[12:13]
	s_andn2_b64 vcc, exec, s[2:3]
	v_mov_b32_e32 v92, 0
	s_cbranch_vccnz .LBB112_87
; %bb.86:
	v_lshl_add_u64 v[94:95], v[90:91], 0, v[168:169]
	flat_load_dwordx2 v[94:95], v[94:95]
	v_lshl_add_u64 v[96:97], v[88:89], 0, v[168:169]
	s_waitcnt vmcnt(0) lgkmcnt(0)
	v_mul_f64 v[94:95], s[6:7], v[94:95]
	v_cvt_f32_f64_e32 v92, v[94:95]
	v_min_f32_e32 v92, v92, v93
	v_cvt_f64_f32_e32 v[92:93], v92
	flat_store_dwordx2 v[96:97], v[92:93]
	v_lshl_add_u64 v[92:93], v[160:161], 3, v[90:91]
	flat_load_dwordx2 v[92:93], v[92:93]
	s_waitcnt vmcnt(0) lgkmcnt(0)
	v_mul_f64 v[92:93], s[6:7], v[92:93]
	v_cvt_f32_f64_e32 v92, v[92:93]
.LBB112_87:
	v_add_f64 v[94:95], v[30:31], v[86:87]
	v_add_f64 v[96:97], v[28:29], v[84:85]
	v_cvt_f32_f64_e32 v93, v[96:97]
	v_cvt_f32_f64_e32 v94, v[94:95]
	v_min3_f32 v93, v93, v94, v200
	v_add_f64 v[94:95], v[26:27], v[86:87]
	v_add_f64 v[96:97], v[24:25], v[84:85]
	v_cvt_f32_f64_e32 v96, v[96:97]
	v_cvt_f32_f64_e32 v94, v[94:95]
	v_min3_f32 v98, v96, v94, v201
	v_add_f64 v[94:95], v[22:23], v[82:83]
	v_add_f64 v[96:97], v[20:21], v[80:81]
	v_cvt_f32_f64_e32 v96, v[96:97]
	v_cvt_f32_f64_e32 v94, v[94:95]
	v_min_f32_e32 v99, v96, v94
	v_add_f64 v[94:95], v[14:15], v[82:83]
	v_add_f64 v[96:97], v[12:13], v[80:81]
	v_cvt_f32_f64_e32 v96, v[96:97]
	v_cvt_f32_f64_e32 v94, v[94:95]
	v_min3_f32 v92, v92, v99, v93
	v_min3_f32 v96, v96, v94, v98
	v_cvt_f64_f32_e32 v[92:93], v92
	v_lshl_add_u64 v[94:95], v[160:161], 3, v[88:89]
	flat_store_dwordx2 v[94:95], v[92:93]
	s_mov_b64 s[2:3], -1
	v_max_f32_e32 v93, v96, v96
	s_mov_b64 vcc, s[4:5]
	s_cbranch_vccz .LBB112_89
; %bb.88:
	v_min_f32_e32 v92, 0, v93
	v_cvt_f64_f32_e32 v[94:95], v92
	v_lshl_add_u64 v[96:97], v[166:167], 3, v[88:89]
	flat_store_dwordx2 v[96:97], v[94:95]
	s_mov_b64 s[2:3], 0
.LBB112_89:
	s_andn2_b64 vcc, exec, s[2:3]
	v_mov_b32_e32 v92, 0
	s_cbranch_vccnz .LBB112_91
; %bb.90:
	v_lshl_add_u64 v[94:95], v[90:91], 0, v[170:171]
	flat_load_dwordx2 v[94:95], v[94:95]
	v_lshl_add_u64 v[96:97], v[88:89], 0, v[170:171]
	v_lshl_add_u64 v[90:91], v[162:163], 3, v[90:91]
	s_waitcnt vmcnt(0) lgkmcnt(0)
	v_mul_f64 v[94:95], s[6:7], v[94:95]
	v_cvt_f32_f64_e32 v92, v[94:95]
	v_min_f32_e32 v92, v92, v93
	v_cvt_f64_f32_e32 v[92:93], v92
	flat_store_dwordx2 v[96:97], v[92:93]
	flat_load_dwordx2 v[90:91], v[90:91]
	s_waitcnt vmcnt(0) lgkmcnt(0)
	v_mul_f64 v[90:91], s[6:7], v[90:91]
	v_cvt_f32_f64_e32 v92, v[90:91]
.LBB112_91:
	v_add_f64 v[86:87], v[2:3], v[86:87]
	v_add_f64 v[84:85], v[0:1], v[84:85]
	v_cvt_f32_f64_e32 v84, v[84:85]
	v_cvt_f32_f64_e32 v85, v[86:87]
	v_add_f64 v[82:83], v[6:7], v[82:83]
	v_add_f64 v[80:81], v[4:5], v[80:81]
	v_min3_f32 v90, v84, v85, v198
	v_add_f64 v[84:85], v[38:39], v[78:79]
	v_add_f64 v[86:87], v[36:37], v[76:77]
	v_cvt_f32_f64_e32 v80, v[80:81]
	v_cvt_f32_f64_e32 v81, v[82:83]
	;; [unrolled: 1-line block ×4, first 2 shown]
	v_min_f32_e32 v85, v80, v81
	v_add_f64 v[80:81], v[34:35], v[74:75]
	v_add_f64 v[82:83], v[32:33], v[72:73]
	v_min3_f32 v84, v86, v84, v199
	v_cvt_f32_f64_e32 v82, v[82:83]
	v_cvt_f32_f64_e32 v80, v[80:81]
	v_min3_f32 v84, v82, v80, v84
	v_min3_f32 v80, v92, v85, v90
	v_cvt_f64_f32_e32 v[80:81], v80
	v_lshl_add_u64 v[82:83], v[162:163], 3, v[88:89]
	flat_store_dwordx2 v[82:83], v[80:81]
	v_add_u32_e32 v82, 0x50, v237
	v_mad_i64_i32 v[80:81], s[2:3], v82, s9, 0
	v_mad_i64_i32 v[82:83], s[2:3], v82, s8, 0
	v_lshl_add_u64 v[80:81], v[80:81], 3, s[0:1]
	s_mov_b64 s[2:3], -1
	v_max_f32_e32 v85, v84, v84
	s_mov_b64 vcc, s[4:5]
	s_cbranch_vccz .LBB112_93
; %bb.92:
	v_min_f32_e32 v84, 0, v85
	v_cvt_f64_f32_e32 v[86:87], v84
	v_lshl_add_u64 v[88:89], v[164:165], 3, v[80:81]
	flat_store_dwordx2 v[88:89], v[86:87]
	s_mov_b64 s[2:3], 0
.LBB112_93:
	v_lshl_add_u64 v[82:83], v[82:83], 3, s[12:13]
	s_andn2_b64 vcc, exec, s[2:3]
	v_mov_b32_e32 v84, 0
	s_cbranch_vccnz .LBB112_95
; %bb.94:
	v_lshl_add_u64 v[86:87], v[82:83], 0, v[168:169]
	flat_load_dwordx2 v[86:87], v[86:87]
	v_lshl_add_u64 v[88:89], v[80:81], 0, v[168:169]
	s_waitcnt vmcnt(0) lgkmcnt(0)
	v_mul_f64 v[86:87], s[6:7], v[86:87]
	v_cvt_f32_f64_e32 v84, v[86:87]
	v_min_f32_e32 v84, v84, v85
	v_cvt_f64_f32_e32 v[84:85], v84
	flat_store_dwordx2 v[88:89], v[84:85]
	v_lshl_add_u64 v[84:85], v[160:161], 3, v[82:83]
	flat_load_dwordx2 v[84:85], v[84:85]
	s_waitcnt vmcnt(0) lgkmcnt(0)
	v_mul_f64 v[84:85], s[6:7], v[84:85]
	v_cvt_f32_f64_e32 v84, v[84:85]
.LBB112_95:
	v_add_f64 v[86:87], v[30:31], v[78:79]
	v_add_f64 v[88:89], v[28:29], v[76:77]
	v_cvt_f32_f64_e32 v85, v[88:89]
	v_cvt_f32_f64_e32 v86, v[86:87]
	v_min3_f32 v85, v85, v86, v196
	v_add_f64 v[86:87], v[26:27], v[78:79]
	v_add_f64 v[88:89], v[24:25], v[76:77]
	v_cvt_f32_f64_e32 v88, v[88:89]
	v_cvt_f32_f64_e32 v86, v[86:87]
	v_min3_f32 v90, v88, v86, v197
	v_add_f64 v[86:87], v[22:23], v[74:75]
	v_add_f64 v[88:89], v[20:21], v[72:73]
	v_cvt_f32_f64_e32 v88, v[88:89]
	v_cvt_f32_f64_e32 v86, v[86:87]
	v_min_f32_e32 v91, v88, v86
	v_add_f64 v[86:87], v[14:15], v[74:75]
	v_add_f64 v[88:89], v[12:13], v[72:73]
	v_cvt_f32_f64_e32 v88, v[88:89]
	v_cvt_f32_f64_e32 v86, v[86:87]
	v_min3_f32 v84, v84, v91, v85
	v_min3_f32 v88, v88, v86, v90
	v_cvt_f64_f32_e32 v[84:85], v84
	v_lshl_add_u64 v[86:87], v[160:161], 3, v[80:81]
	flat_store_dwordx2 v[86:87], v[84:85]
	s_mov_b64 s[2:3], -1
	v_max_f32_e32 v85, v88, v88
	s_mov_b64 vcc, s[4:5]
	s_cbranch_vccz .LBB112_97
; %bb.96:
	v_min_f32_e32 v84, 0, v85
	v_cvt_f64_f32_e32 v[86:87], v84
	v_lshl_add_u64 v[88:89], v[166:167], 3, v[80:81]
	flat_store_dwordx2 v[88:89], v[86:87]
	s_mov_b64 s[2:3], 0
.LBB112_97:
	s_andn2_b64 vcc, exec, s[2:3]
	v_mov_b32_e32 v84, 0
	s_cbranch_vccnz .LBB112_99
; %bb.98:
	v_lshl_add_u64 v[86:87], v[82:83], 0, v[170:171]
	flat_load_dwordx2 v[86:87], v[86:87]
	v_lshl_add_u64 v[88:89], v[80:81], 0, v[170:171]
	v_lshl_add_u64 v[82:83], v[162:163], 3, v[82:83]
	s_waitcnt vmcnt(0) lgkmcnt(0)
	v_mul_f64 v[86:87], s[6:7], v[86:87]
	v_cvt_f32_f64_e32 v84, v[86:87]
	v_min_f32_e32 v84, v84, v85
	v_cvt_f64_f32_e32 v[84:85], v84
	flat_store_dwordx2 v[88:89], v[84:85]
	flat_load_dwordx2 v[82:83], v[82:83]
	s_waitcnt vmcnt(0) lgkmcnt(0)
	v_mul_f64 v[82:83], s[6:7], v[82:83]
	v_cvt_f32_f64_e32 v84, v[82:83]
.LBB112_99:
	v_add_f64 v[78:79], v[2:3], v[78:79]
	v_add_f64 v[76:77], v[0:1], v[76:77]
	v_cvt_f32_f64_e32 v76, v[76:77]
	v_cvt_f32_f64_e32 v77, v[78:79]
	v_add_f64 v[74:75], v[6:7], v[74:75]
	v_add_f64 v[72:73], v[4:5], v[72:73]
	v_min3_f32 v82, v76, v77, v194
	v_add_f64 v[76:77], v[38:39], v[70:71]
	v_add_f64 v[78:79], v[36:37], v[68:69]
	v_cvt_f32_f64_e32 v72, v[72:73]
	v_cvt_f32_f64_e32 v73, v[74:75]
	;; [unrolled: 1-line block ×4, first 2 shown]
	v_min_f32_e32 v77, v72, v73
	v_add_f64 v[72:73], v[34:35], v[66:67]
	v_add_f64 v[74:75], v[32:33], v[64:65]
	v_min3_f32 v76, v78, v76, v195
	v_cvt_f32_f64_e32 v74, v[74:75]
	v_cvt_f32_f64_e32 v72, v[72:73]
	v_min3_f32 v76, v74, v72, v76
	v_min3_f32 v72, v84, v77, v82
	v_cvt_f64_f32_e32 v[72:73], v72
	v_lshl_add_u64 v[74:75], v[162:163], 3, v[80:81]
	flat_store_dwordx2 v[74:75], v[72:73]
	v_add_u32_e32 v74, 0x58, v237
	v_mad_i64_i32 v[72:73], s[2:3], v74, s9, 0
	v_mad_i64_i32 v[74:75], s[2:3], v74, s8, 0
	v_lshl_add_u64 v[72:73], v[72:73], 3, s[0:1]
	s_mov_b64 s[2:3], -1
	v_max_f32_e32 v77, v76, v76
	s_mov_b64 vcc, s[4:5]
	s_cbranch_vccz .LBB112_101
; %bb.100:
	v_min_f32_e32 v76, 0, v77
	v_cvt_f64_f32_e32 v[78:79], v76
	v_lshl_add_u64 v[80:81], v[164:165], 3, v[72:73]
	flat_store_dwordx2 v[80:81], v[78:79]
	s_mov_b64 s[2:3], 0
.LBB112_101:
	v_lshl_add_u64 v[74:75], v[74:75], 3, s[12:13]
	s_andn2_b64 vcc, exec, s[2:3]
	v_mov_b32_e32 v76, 0
	s_cbranch_vccnz .LBB112_103
; %bb.102:
	v_lshl_add_u64 v[78:79], v[74:75], 0, v[168:169]
	flat_load_dwordx2 v[78:79], v[78:79]
	v_lshl_add_u64 v[80:81], v[72:73], 0, v[168:169]
	s_waitcnt vmcnt(0) lgkmcnt(0)
	v_mul_f64 v[78:79], s[6:7], v[78:79]
	v_cvt_f32_f64_e32 v76, v[78:79]
	v_min_f32_e32 v76, v76, v77
	v_cvt_f64_f32_e32 v[76:77], v76
	flat_store_dwordx2 v[80:81], v[76:77]
	v_lshl_add_u64 v[76:77], v[160:161], 3, v[74:75]
	flat_load_dwordx2 v[76:77], v[76:77]
	s_waitcnt vmcnt(0) lgkmcnt(0)
	v_mul_f64 v[76:77], s[6:7], v[76:77]
	v_cvt_f32_f64_e32 v76, v[76:77]
.LBB112_103:
	v_add_f64 v[78:79], v[30:31], v[70:71]
	v_add_f64 v[80:81], v[28:29], v[68:69]
	v_cvt_f32_f64_e32 v77, v[80:81]
	v_cvt_f32_f64_e32 v78, v[78:79]
	v_min3_f32 v77, v77, v78, v192
	v_add_f64 v[78:79], v[26:27], v[70:71]
	v_add_f64 v[80:81], v[24:25], v[68:69]
	v_cvt_f32_f64_e32 v80, v[80:81]
	v_cvt_f32_f64_e32 v78, v[78:79]
	v_min3_f32 v82, v80, v78, v193
	v_add_f64 v[78:79], v[22:23], v[66:67]
	v_add_f64 v[80:81], v[20:21], v[64:65]
	v_cvt_f32_f64_e32 v80, v[80:81]
	v_cvt_f32_f64_e32 v78, v[78:79]
	v_min_f32_e32 v83, v80, v78
	v_add_f64 v[78:79], v[14:15], v[66:67]
	v_add_f64 v[80:81], v[12:13], v[64:65]
	v_cvt_f32_f64_e32 v80, v[80:81]
	v_cvt_f32_f64_e32 v78, v[78:79]
	v_min3_f32 v76, v76, v83, v77
	v_min3_f32 v80, v80, v78, v82
	v_cvt_f64_f32_e32 v[76:77], v76
	v_lshl_add_u64 v[78:79], v[160:161], 3, v[72:73]
	flat_store_dwordx2 v[78:79], v[76:77]
	s_mov_b64 s[2:3], -1
	v_max_f32_e32 v77, v80, v80
	s_mov_b64 vcc, s[4:5]
	s_cbranch_vccz .LBB112_105
; %bb.104:
	v_min_f32_e32 v76, 0, v77
	v_cvt_f64_f32_e32 v[78:79], v76
	v_lshl_add_u64 v[80:81], v[166:167], 3, v[72:73]
	flat_store_dwordx2 v[80:81], v[78:79]
	s_mov_b64 s[2:3], 0
.LBB112_105:
	s_andn2_b64 vcc, exec, s[2:3]
	v_mov_b32_e32 v76, 0
	s_cbranch_vccnz .LBB112_107
; %bb.106:
	v_lshl_add_u64 v[78:79], v[74:75], 0, v[170:171]
	flat_load_dwordx2 v[78:79], v[78:79]
	v_lshl_add_u64 v[80:81], v[72:73], 0, v[170:171]
	v_lshl_add_u64 v[74:75], v[162:163], 3, v[74:75]
	s_waitcnt vmcnt(0) lgkmcnt(0)
	v_mul_f64 v[78:79], s[6:7], v[78:79]
	v_cvt_f32_f64_e32 v76, v[78:79]
	v_min_f32_e32 v76, v76, v77
	v_cvt_f64_f32_e32 v[76:77], v76
	flat_store_dwordx2 v[80:81], v[76:77]
	flat_load_dwordx2 v[74:75], v[74:75]
	s_waitcnt vmcnt(0) lgkmcnt(0)
	v_mul_f64 v[74:75], s[6:7], v[74:75]
	v_cvt_f32_f64_e32 v76, v[74:75]
.LBB112_107:
	v_add_f64 v[70:71], v[2:3], v[70:71]
	v_add_f64 v[68:69], v[0:1], v[68:69]
	v_cvt_f32_f64_e32 v68, v[68:69]
	v_cvt_f32_f64_e32 v69, v[70:71]
	v_add_f64 v[66:67], v[6:7], v[66:67]
	v_add_f64 v[64:65], v[4:5], v[64:65]
	v_min3_f32 v74, v68, v69, v190
	v_add_f64 v[68:69], v[38:39], v[62:63]
	v_add_f64 v[70:71], v[36:37], v[60:61]
	v_cvt_f32_f64_e32 v64, v[64:65]
	v_cvt_f32_f64_e32 v65, v[66:67]
	;; [unrolled: 1-line block ×4, first 2 shown]
	v_min_f32_e32 v69, v64, v65
	v_add_f64 v[64:65], v[34:35], v[58:59]
	v_add_f64 v[66:67], v[32:33], v[56:57]
	v_min3_f32 v68, v70, v68, v191
	v_cvt_f32_f64_e32 v66, v[66:67]
	v_cvt_f32_f64_e32 v64, v[64:65]
	v_min3_f32 v68, v66, v64, v68
	v_min3_f32 v64, v76, v69, v74
	v_cvt_f64_f32_e32 v[64:65], v64
	v_lshl_add_u64 v[66:67], v[162:163], 3, v[72:73]
	flat_store_dwordx2 v[66:67], v[64:65]
	v_add_u32_e32 v66, 0x60, v237
	v_mad_i64_i32 v[64:65], s[2:3], v66, s9, 0
	v_mad_i64_i32 v[66:67], s[2:3], v66, s8, 0
	v_lshl_add_u64 v[64:65], v[64:65], 3, s[0:1]
	s_mov_b64 s[2:3], -1
	v_max_f32_e32 v69, v68, v68
	s_mov_b64 vcc, s[4:5]
	s_cbranch_vccz .LBB112_109
; %bb.108:
	v_min_f32_e32 v68, 0, v69
	v_cvt_f64_f32_e32 v[70:71], v68
	v_lshl_add_u64 v[72:73], v[164:165], 3, v[64:65]
	flat_store_dwordx2 v[72:73], v[70:71]
	s_mov_b64 s[2:3], 0
.LBB112_109:
	v_lshl_add_u64 v[66:67], v[66:67], 3, s[12:13]
	s_andn2_b64 vcc, exec, s[2:3]
	v_mov_b32_e32 v68, 0
	s_cbranch_vccnz .LBB112_111
; %bb.110:
	v_lshl_add_u64 v[70:71], v[66:67], 0, v[168:169]
	flat_load_dwordx2 v[70:71], v[70:71]
	v_lshl_add_u64 v[72:73], v[64:65], 0, v[168:169]
	s_waitcnt vmcnt(0) lgkmcnt(0)
	v_mul_f64 v[70:71], s[6:7], v[70:71]
	v_cvt_f32_f64_e32 v68, v[70:71]
	v_min_f32_e32 v68, v68, v69
	v_cvt_f64_f32_e32 v[68:69], v68
	flat_store_dwordx2 v[72:73], v[68:69]
	v_lshl_add_u64 v[68:69], v[160:161], 3, v[66:67]
	flat_load_dwordx2 v[68:69], v[68:69]
	s_waitcnt vmcnt(0) lgkmcnt(0)
	v_mul_f64 v[68:69], s[6:7], v[68:69]
	v_cvt_f32_f64_e32 v68, v[68:69]
.LBB112_111:
	v_add_f64 v[70:71], v[30:31], v[62:63]
	v_add_f64 v[72:73], v[28:29], v[60:61]
	v_cvt_f32_f64_e32 v69, v[72:73]
	v_cvt_f32_f64_e32 v70, v[70:71]
	v_min3_f32 v69, v69, v70, v188
	v_add_f64 v[70:71], v[26:27], v[62:63]
	v_add_f64 v[72:73], v[24:25], v[60:61]
	v_cvt_f32_f64_e32 v72, v[72:73]
	v_cvt_f32_f64_e32 v70, v[70:71]
	v_min3_f32 v74, v72, v70, v189
	v_add_f64 v[70:71], v[22:23], v[58:59]
	v_add_f64 v[72:73], v[20:21], v[56:57]
	v_cvt_f32_f64_e32 v72, v[72:73]
	v_cvt_f32_f64_e32 v70, v[70:71]
	v_min_f32_e32 v75, v72, v70
	v_add_f64 v[70:71], v[14:15], v[58:59]
	v_add_f64 v[72:73], v[12:13], v[56:57]
	v_cvt_f32_f64_e32 v72, v[72:73]
	v_cvt_f32_f64_e32 v70, v[70:71]
	v_min3_f32 v68, v68, v75, v69
	v_min3_f32 v72, v72, v70, v74
	v_cvt_f64_f32_e32 v[68:69], v68
	v_lshl_add_u64 v[70:71], v[160:161], 3, v[64:65]
	flat_store_dwordx2 v[70:71], v[68:69]
	s_mov_b64 s[2:3], -1
	v_max_f32_e32 v69, v72, v72
	s_mov_b64 vcc, s[4:5]
	s_cbranch_vccz .LBB112_113
; %bb.112:
	v_min_f32_e32 v68, 0, v69
	v_cvt_f64_f32_e32 v[70:71], v68
	v_lshl_add_u64 v[72:73], v[166:167], 3, v[64:65]
	flat_store_dwordx2 v[72:73], v[70:71]
	s_mov_b64 s[2:3], 0
.LBB112_113:
	s_andn2_b64 vcc, exec, s[2:3]
	v_mov_b32_e32 v68, 0
	s_cbranch_vccnz .LBB112_115
; %bb.114:
	v_lshl_add_u64 v[70:71], v[66:67], 0, v[170:171]
	flat_load_dwordx2 v[70:71], v[70:71]
	v_lshl_add_u64 v[72:73], v[64:65], 0, v[170:171]
	v_lshl_add_u64 v[66:67], v[162:163], 3, v[66:67]
	s_waitcnt vmcnt(0) lgkmcnt(0)
	v_mul_f64 v[70:71], s[6:7], v[70:71]
	v_cvt_f32_f64_e32 v68, v[70:71]
	v_min_f32_e32 v68, v68, v69
	v_cvt_f64_f32_e32 v[68:69], v68
	flat_store_dwordx2 v[72:73], v[68:69]
	flat_load_dwordx2 v[66:67], v[66:67]
	s_waitcnt vmcnt(0) lgkmcnt(0)
	v_mul_f64 v[66:67], s[6:7], v[66:67]
	v_cvt_f32_f64_e32 v68, v[66:67]
.LBB112_115:
	v_add_f64 v[62:63], v[2:3], v[62:63]
	v_add_f64 v[60:61], v[0:1], v[60:61]
	v_cvt_f32_f64_e32 v60, v[60:61]
	v_cvt_f32_f64_e32 v61, v[62:63]
	v_add_f64 v[58:59], v[6:7], v[58:59]
	v_add_f64 v[56:57], v[4:5], v[56:57]
	v_min3_f32 v66, v60, v61, v186
	v_add_f64 v[60:61], v[38:39], v[54:55]
	v_add_f64 v[62:63], v[36:37], v[52:53]
	v_cvt_f32_f64_e32 v56, v[56:57]
	v_cvt_f32_f64_e32 v57, v[58:59]
	;; [unrolled: 1-line block ×4, first 2 shown]
	v_min_f32_e32 v61, v56, v57
	v_add_f64 v[56:57], v[34:35], v[50:51]
	v_add_f64 v[58:59], v[32:33], v[48:49]
	v_min3_f32 v60, v62, v60, v187
	v_cvt_f32_f64_e32 v58, v[58:59]
	v_cvt_f32_f64_e32 v56, v[56:57]
	v_min3_f32 v60, v58, v56, v60
	v_min3_f32 v56, v68, v61, v66
	v_cvt_f64_f32_e32 v[56:57], v56
	v_lshl_add_u64 v[58:59], v[162:163], 3, v[64:65]
	flat_store_dwordx2 v[58:59], v[56:57]
	v_add_u32_e32 v58, 0x68, v237
	v_mad_i64_i32 v[56:57], s[2:3], v58, s9, 0
	v_mad_i64_i32 v[58:59], s[2:3], v58, s8, 0
	v_lshl_add_u64 v[56:57], v[56:57], 3, s[0:1]
	s_mov_b64 s[2:3], -1
	v_max_f32_e32 v61, v60, v60
	s_mov_b64 vcc, s[4:5]
	s_cbranch_vccz .LBB112_117
; %bb.116:
	v_min_f32_e32 v60, 0, v61
	v_cvt_f64_f32_e32 v[62:63], v60
	v_lshl_add_u64 v[64:65], v[164:165], 3, v[56:57]
	flat_store_dwordx2 v[64:65], v[62:63]
	s_mov_b64 s[2:3], 0
.LBB112_117:
	v_lshl_add_u64 v[58:59], v[58:59], 3, s[12:13]
	s_andn2_b64 vcc, exec, s[2:3]
	v_mov_b32_e32 v60, 0
	s_cbranch_vccnz .LBB112_119
; %bb.118:
	v_lshl_add_u64 v[62:63], v[58:59], 0, v[168:169]
	flat_load_dwordx2 v[62:63], v[62:63]
	v_lshl_add_u64 v[64:65], v[56:57], 0, v[168:169]
	s_waitcnt vmcnt(0) lgkmcnt(0)
	v_mul_f64 v[62:63], s[6:7], v[62:63]
	v_cvt_f32_f64_e32 v60, v[62:63]
	v_min_f32_e32 v60, v60, v61
	v_cvt_f64_f32_e32 v[60:61], v60
	flat_store_dwordx2 v[64:65], v[60:61]
	v_lshl_add_u64 v[60:61], v[160:161], 3, v[58:59]
	flat_load_dwordx2 v[60:61], v[60:61]
	s_waitcnt vmcnt(0) lgkmcnt(0)
	v_mul_f64 v[60:61], s[6:7], v[60:61]
	v_cvt_f32_f64_e32 v60, v[60:61]
.LBB112_119:
	v_add_f64 v[62:63], v[30:31], v[54:55]
	v_add_f64 v[64:65], v[28:29], v[52:53]
	v_cvt_f32_f64_e32 v61, v[64:65]
	v_cvt_f32_f64_e32 v62, v[62:63]
	v_min3_f32 v61, v61, v62, v184
	v_add_f64 v[62:63], v[26:27], v[54:55]
	v_add_f64 v[64:65], v[24:25], v[52:53]
	v_cvt_f32_f64_e32 v64, v[64:65]
	v_cvt_f32_f64_e32 v62, v[62:63]
	v_min3_f32 v66, v64, v62, v185
	v_add_f64 v[62:63], v[22:23], v[50:51]
	v_add_f64 v[64:65], v[20:21], v[48:49]
	v_cvt_f32_f64_e32 v64, v[64:65]
	v_cvt_f32_f64_e32 v62, v[62:63]
	v_min_f32_e32 v67, v64, v62
	v_add_f64 v[62:63], v[14:15], v[50:51]
	v_add_f64 v[64:65], v[12:13], v[48:49]
	v_cvt_f32_f64_e32 v64, v[64:65]
	v_cvt_f32_f64_e32 v62, v[62:63]
	v_min3_f32 v60, v60, v67, v61
	v_min3_f32 v64, v64, v62, v66
	v_cvt_f64_f32_e32 v[60:61], v60
	v_lshl_add_u64 v[62:63], v[160:161], 3, v[56:57]
	flat_store_dwordx2 v[62:63], v[60:61]
	s_mov_b64 s[2:3], -1
	v_max_f32_e32 v61, v64, v64
	s_mov_b64 vcc, s[4:5]
	s_cbranch_vccz .LBB112_121
; %bb.120:
	v_min_f32_e32 v60, 0, v61
	v_cvt_f64_f32_e32 v[62:63], v60
	v_lshl_add_u64 v[64:65], v[166:167], 3, v[56:57]
	flat_store_dwordx2 v[64:65], v[62:63]
	s_mov_b64 s[2:3], 0
.LBB112_121:
	s_andn2_b64 vcc, exec, s[2:3]
	v_mov_b32_e32 v60, 0
	s_cbranch_vccnz .LBB112_123
; %bb.122:
	v_lshl_add_u64 v[62:63], v[58:59], 0, v[170:171]
	flat_load_dwordx2 v[62:63], v[62:63]
	v_lshl_add_u64 v[64:65], v[56:57], 0, v[170:171]
	v_lshl_add_u64 v[58:59], v[162:163], 3, v[58:59]
	s_waitcnt vmcnt(0) lgkmcnt(0)
	v_mul_f64 v[62:63], s[6:7], v[62:63]
	v_cvt_f32_f64_e32 v60, v[62:63]
	v_min_f32_e32 v60, v60, v61
	v_cvt_f64_f32_e32 v[60:61], v60
	flat_store_dwordx2 v[64:65], v[60:61]
	flat_load_dwordx2 v[58:59], v[58:59]
	s_waitcnt vmcnt(0) lgkmcnt(0)
	v_mul_f64 v[58:59], s[6:7], v[58:59]
	v_cvt_f32_f64_e32 v60, v[58:59]
.LBB112_123:
	v_add_f64 v[54:55], v[2:3], v[54:55]
	v_add_f64 v[52:53], v[0:1], v[52:53]
	v_cvt_f32_f64_e32 v52, v[52:53]
	v_cvt_f32_f64_e32 v53, v[54:55]
	v_add_f64 v[50:51], v[6:7], v[50:51]
	v_add_f64 v[48:49], v[4:5], v[48:49]
	v_min3_f32 v58, v52, v53, v182
	v_add_f64 v[52:53], v[38:39], v[46:47]
	v_add_f64 v[54:55], v[36:37], v[44:45]
	v_cvt_f32_f64_e32 v48, v[48:49]
	v_cvt_f32_f64_e32 v49, v[50:51]
	;; [unrolled: 1-line block ×4, first 2 shown]
	v_min_f32_e32 v53, v48, v49
	v_add_f64 v[48:49], v[34:35], v[42:43]
	v_add_f64 v[50:51], v[32:33], v[40:41]
	v_min3_f32 v52, v54, v52, v183
	v_cvt_f32_f64_e32 v50, v[50:51]
	v_cvt_f32_f64_e32 v48, v[48:49]
	v_min3_f32 v52, v50, v48, v52
	v_min3_f32 v48, v60, v53, v58
	v_cvt_f64_f32_e32 v[48:49], v48
	v_lshl_add_u64 v[50:51], v[162:163], 3, v[56:57]
	flat_store_dwordx2 v[50:51], v[48:49]
	v_add_u32_e32 v50, 0x70, v237
	v_mad_i64_i32 v[48:49], s[2:3], v50, s9, 0
	v_mad_i64_i32 v[50:51], s[2:3], v50, s8, 0
	v_lshl_add_u64 v[48:49], v[48:49], 3, s[0:1]
	s_mov_b64 s[2:3], -1
	v_max_f32_e32 v53, v52, v52
	s_mov_b64 vcc, s[4:5]
	s_cbranch_vccz .LBB112_125
; %bb.124:
	v_min_f32_e32 v52, 0, v53
	v_cvt_f64_f32_e32 v[54:55], v52
	v_lshl_add_u64 v[56:57], v[164:165], 3, v[48:49]
	flat_store_dwordx2 v[56:57], v[54:55]
	s_mov_b64 s[2:3], 0
.LBB112_125:
	v_lshl_add_u64 v[50:51], v[50:51], 3, s[12:13]
	s_andn2_b64 vcc, exec, s[2:3]
	v_mov_b32_e32 v52, 0
	s_cbranch_vccnz .LBB112_127
; %bb.126:
	v_lshl_add_u64 v[54:55], v[50:51], 0, v[168:169]
	flat_load_dwordx2 v[54:55], v[54:55]
	v_lshl_add_u64 v[56:57], v[48:49], 0, v[168:169]
	s_waitcnt vmcnt(0) lgkmcnt(0)
	v_mul_f64 v[54:55], s[6:7], v[54:55]
	v_cvt_f32_f64_e32 v52, v[54:55]
	v_min_f32_e32 v52, v52, v53
	v_cvt_f64_f32_e32 v[52:53], v52
	flat_store_dwordx2 v[56:57], v[52:53]
	v_lshl_add_u64 v[52:53], v[160:161], 3, v[50:51]
	flat_load_dwordx2 v[52:53], v[52:53]
	s_waitcnt vmcnt(0) lgkmcnt(0)
	v_mul_f64 v[52:53], s[6:7], v[52:53]
	v_cvt_f32_f64_e32 v52, v[52:53]
.LBB112_127:
	v_add_f64 v[54:55], v[30:31], v[46:47]
	v_add_f64 v[56:57], v[28:29], v[44:45]
	v_cvt_f32_f64_e32 v53, v[56:57]
	v_cvt_f32_f64_e32 v54, v[54:55]
	v_min3_f32 v53, v53, v54, v180
	v_add_f64 v[54:55], v[26:27], v[46:47]
	v_add_f64 v[56:57], v[24:25], v[44:45]
	v_cvt_f32_f64_e32 v56, v[56:57]
	v_cvt_f32_f64_e32 v54, v[54:55]
	v_min3_f32 v58, v56, v54, v181
	v_add_f64 v[54:55], v[22:23], v[42:43]
	v_add_f64 v[56:57], v[20:21], v[40:41]
	v_cvt_f32_f64_e32 v56, v[56:57]
	v_cvt_f32_f64_e32 v54, v[54:55]
	v_min_f32_e32 v59, v56, v54
	v_add_f64 v[54:55], v[14:15], v[42:43]
	v_add_f64 v[56:57], v[12:13], v[40:41]
	v_cvt_f32_f64_e32 v56, v[56:57]
	v_cvt_f32_f64_e32 v54, v[54:55]
	v_min3_f32 v52, v52, v59, v53
	v_min3_f32 v56, v56, v54, v58
	v_cvt_f64_f32_e32 v[52:53], v52
	v_lshl_add_u64 v[54:55], v[160:161], 3, v[48:49]
	flat_store_dwordx2 v[54:55], v[52:53]
	s_mov_b64 s[2:3], -1
	v_max_f32_e32 v53, v56, v56
	s_mov_b64 vcc, s[4:5]
	s_cbranch_vccz .LBB112_129
; %bb.128:
	v_min_f32_e32 v52, 0, v53
	v_cvt_f64_f32_e32 v[54:55], v52
	v_lshl_add_u64 v[56:57], v[166:167], 3, v[48:49]
	flat_store_dwordx2 v[56:57], v[54:55]
	s_mov_b64 s[2:3], 0
.LBB112_129:
	s_andn2_b64 vcc, exec, s[2:3]
	v_mov_b32_e32 v52, 0
	s_cbranch_vccnz .LBB112_131
; %bb.130:
	v_lshl_add_u64 v[54:55], v[50:51], 0, v[170:171]
	flat_load_dwordx2 v[54:55], v[54:55]
	v_lshl_add_u64 v[56:57], v[48:49], 0, v[170:171]
	v_lshl_add_u64 v[50:51], v[162:163], 3, v[50:51]
	s_waitcnt vmcnt(0) lgkmcnt(0)
	v_mul_f64 v[54:55], s[6:7], v[54:55]
	v_cvt_f32_f64_e32 v52, v[54:55]
	v_min_f32_e32 v52, v52, v53
	v_cvt_f64_f32_e32 v[52:53], v52
	flat_store_dwordx2 v[56:57], v[52:53]
	flat_load_dwordx2 v[50:51], v[50:51]
	s_waitcnt vmcnt(0) lgkmcnt(0)
	v_mul_f64 v[50:51], s[6:7], v[50:51]
	v_cvt_f32_f64_e32 v52, v[50:51]
.LBB112_131:
	v_add_f64 v[46:47], v[2:3], v[46:47]
	v_add_f64 v[44:45], v[0:1], v[44:45]
	;; [unrolled: 1-line block ×4, first 2 shown]
	v_cvt_f32_f64_e32 v44, v[44:45]
	v_cvt_f32_f64_e32 v45, v[46:47]
	;; [unrolled: 1-line block ×4, first 2 shown]
	v_min3_f32 v44, v44, v45, v178
	v_min3_f32 v45, v36, v37, v179
	v_add_f64 v[36:37], v[6:7], v[42:43]
	v_add_f64 v[38:39], v[4:5], v[40:41]
	v_cvt_f32_f64_e32 v38, v[38:39]
	v_cvt_f32_f64_e32 v36, v[36:37]
	v_add_f64 v[34:35], v[34:35], v[18:19]
	v_add_f64 v[32:33], v[32:33], v[16:17]
	v_min_f32_e32 v36, v38, v36
	v_cvt_f32_f64_e32 v32, v[32:33]
	v_cvt_f32_f64_e32 v33, v[34:35]
	v_min3_f32 v37, v32, v33, v45
	v_min3_f32 v32, v52, v36, v44
	v_cvt_f64_f32_e32 v[32:33], v32
	v_lshl_add_u64 v[34:35], v[162:163], 3, v[48:49]
	flat_store_dwordx2 v[34:35], v[32:33]
	v_add_u32_e32 v34, 0x78, v237
	v_mad_i64_i32 v[32:33], s[2:3], v34, s9, 0
	v_lshl_add_u64 v[32:33], v[32:33], 3, s[0:1]
	v_mad_i64_i32 v[34:35], s[0:1], v34, s8, 0
	s_mov_b64 s[0:1], -1
	v_max_f32_e32 v37, v37, v37
	s_mov_b64 vcc, s[4:5]
	s_cbranch_vccz .LBB112_133
; %bb.132:
	v_min_f32_e32 v36, 0, v37
	v_cvt_f64_f32_e32 v[38:39], v36
	v_lshl_add_u64 v[40:41], v[164:165], 3, v[32:33]
	flat_store_dwordx2 v[40:41], v[38:39]
	s_mov_b64 s[0:1], 0
.LBB112_133:
	v_lshl_add_u64 v[34:35], v[34:35], 3, s[12:13]
	s_andn2_b64 vcc, exec, s[0:1]
	v_mov_b32_e32 v36, 0
	s_cbranch_vccnz .LBB112_135
; %bb.134:
	v_lshl_add_u64 v[38:39], v[34:35], 0, v[168:169]
	flat_load_dwordx2 v[38:39], v[38:39]
	v_lshl_add_u64 v[40:41], v[32:33], 0, v[168:169]
	s_waitcnt vmcnt(0) lgkmcnt(0)
	v_mul_f64 v[38:39], s[6:7], v[38:39]
	v_cvt_f32_f64_e32 v36, v[38:39]
	v_min_f32_e32 v36, v36, v37
	v_cvt_f64_f32_e32 v[36:37], v36
	flat_store_dwordx2 v[40:41], v[36:37]
	v_lshl_add_u64 v[36:37], v[160:161], 3, v[34:35]
	flat_load_dwordx2 v[36:37], v[36:37]
	s_waitcnt vmcnt(0) lgkmcnt(0)
	v_mul_f64 v[36:37], s[6:7], v[36:37]
	v_cvt_f32_f64_e32 v36, v[36:37]
.LBB112_135:
	v_add_f64 v[30:31], v[30:31], v[10:11]
	v_add_f64 v[28:29], v[28:29], v[8:9]
	;; [unrolled: 1-line block ×6, first 2 shown]
	v_cvt_f32_f64_e32 v28, v[28:29]
	v_cvt_f32_f64_e32 v29, v[30:31]
	;; [unrolled: 1-line block ×6, first 2 shown]
	v_add_f64 v[14:15], v[14:15], v[18:19]
	v_add_f64 v[12:13], v[12:13], v[16:17]
	v_min3_f32 v28, v28, v29, v176
	v_min3_f32 v24, v24, v25, v177
	v_min_f32_e32 v20, v20, v21
	v_cvt_f32_f64_e32 v12, v[12:13]
	v_cvt_f32_f64_e32 v13, v[14:15]
	v_min3_f32 v21, v12, v13, v24
	v_min3_f32 v12, v36, v20, v28
	v_cvt_f64_f32_e32 v[12:13], v12
	v_lshl_add_u64 v[14:15], v[160:161], 3, v[32:33]
	flat_store_dwordx2 v[14:15], v[12:13]
	s_mov_b64 s[0:1], -1
	v_max_f32_e32 v13, v21, v21
	s_mov_b64 vcc, s[4:5]
	s_cbranch_vccz .LBB112_137
; %bb.136:
	v_min_f32_e32 v12, 0, v13
	v_cvt_f64_f32_e32 v[14:15], v12
	v_lshl_add_u64 v[20:21], v[166:167], 3, v[32:33]
	flat_store_dwordx2 v[20:21], v[14:15]
	s_mov_b64 s[0:1], 0
.LBB112_137:
	s_andn2_b64 vcc, exec, s[0:1]
	v_mov_b32_e32 v12, 0
	s_cbranch_vccnz .LBB112_139
; %bb.138:
	v_lshl_add_u64 v[14:15], v[34:35], 0, v[170:171]
	flat_load_dwordx2 v[14:15], v[14:15]
	v_lshl_add_u64 v[20:21], v[32:33], 0, v[170:171]
	s_waitcnt vmcnt(0) lgkmcnt(0)
	v_mul_f64 v[14:15], s[6:7], v[14:15]
	v_cvt_f32_f64_e32 v12, v[14:15]
	v_min_f32_e32 v12, v12, v13
	v_cvt_f64_f32_e32 v[12:13], v12
	flat_store_dwordx2 v[20:21], v[12:13]
	v_lshl_add_u64 v[12:13], v[162:163], 3, v[34:35]
	flat_load_dwordx2 v[12:13], v[12:13]
	s_waitcnt vmcnt(0) lgkmcnt(0)
	v_mul_f64 v[12:13], s[6:7], v[12:13]
	v_cvt_f32_f64_e32 v12, v[12:13]
.LBB112_139:
	v_add_f64 v[6:7], v[6:7], v[18:19]
	v_add_f64 v[4:5], v[4:5], v[16:17]
	;; [unrolled: 1-line block ×4, first 2 shown]
	v_cvt_f32_f64_e32 v4, v[4:5]
	v_cvt_f32_f64_e32 v5, v[6:7]
	;; [unrolled: 1-line block ×4, first 2 shown]
	v_min_f32_e32 v4, v4, v5
	v_min3_f32 v0, v0, v1, v216
	v_min3_f32 v0, v12, v4, v0
	v_cvt_f64_f32_e32 v[0:1], v0
	v_lshl_add_u64 v[2:3], v[162:163], 3, v[32:33]
	flat_store_dwordx2 v[2:3], v[0:1]
	s_endpgm
	.section	.rodata,"a",@progbits
	.p2align	6, 0x0
	.amdhsa_kernel _ZN12_GLOBAL__N_120geam_min_plus_kernelId15HIP_vector_typeIdLj2EEdLi32ELi8ELi128ELi128ELi4ELi4ELi64ELi4ELi64ELc84ELc78ELb1ELb0ELb1EdKPKdKPdEEviiiT16_PT17_ilSA_ilS8_SA_ilPT18_ili26rocblas_geam_ex_operation_
		.amdhsa_group_segment_fixed_size 16384
		.amdhsa_private_segment_fixed_size 0
		.amdhsa_kernarg_size 136
		.amdhsa_user_sgpr_count 2
		.amdhsa_user_sgpr_dispatch_ptr 0
		.amdhsa_user_sgpr_queue_ptr 0
		.amdhsa_user_sgpr_kernarg_segment_ptr 1
		.amdhsa_user_sgpr_dispatch_id 0
		.amdhsa_user_sgpr_kernarg_preload_length 0
		.amdhsa_user_sgpr_kernarg_preload_offset 0
		.amdhsa_user_sgpr_private_segment_size 0
		.amdhsa_uses_dynamic_stack 0
		.amdhsa_enable_private_segment 0
		.amdhsa_system_sgpr_workgroup_id_x 1
		.amdhsa_system_sgpr_workgroup_id_y 0
		.amdhsa_system_sgpr_workgroup_id_z 1
		.amdhsa_system_sgpr_workgroup_info 0
		.amdhsa_system_vgpr_workitem_id 1
		.amdhsa_next_free_vgpr 244
		.amdhsa_next_free_sgpr 23
		.amdhsa_accum_offset 244
		.amdhsa_reserve_vcc 1
		.amdhsa_float_round_mode_32 0
		.amdhsa_float_round_mode_16_64 0
		.amdhsa_float_denorm_mode_32 3
		.amdhsa_float_denorm_mode_16_64 3
		.amdhsa_dx10_clamp 1
		.amdhsa_ieee_mode 1
		.amdhsa_fp16_overflow 0
		.amdhsa_tg_split 0
		.amdhsa_exception_fp_ieee_invalid_op 0
		.amdhsa_exception_fp_denorm_src 0
		.amdhsa_exception_fp_ieee_div_zero 0
		.amdhsa_exception_fp_ieee_overflow 0
		.amdhsa_exception_fp_ieee_underflow 0
		.amdhsa_exception_fp_ieee_inexact 0
		.amdhsa_exception_int_div_zero 0
	.end_amdhsa_kernel
	.section	.text._ZN12_GLOBAL__N_120geam_min_plus_kernelId15HIP_vector_typeIdLj2EEdLi32ELi8ELi128ELi128ELi4ELi4ELi64ELi4ELi64ELc84ELc78ELb1ELb0ELb1EdKPKdKPdEEviiiT16_PT17_ilSA_ilS8_SA_ilPT18_ili26rocblas_geam_ex_operation_,"axG",@progbits,_ZN12_GLOBAL__N_120geam_min_plus_kernelId15HIP_vector_typeIdLj2EEdLi32ELi8ELi128ELi128ELi4ELi4ELi64ELi4ELi64ELc84ELc78ELb1ELb0ELb1EdKPKdKPdEEviiiT16_PT17_ilSA_ilS8_SA_ilPT18_ili26rocblas_geam_ex_operation_,comdat
.Lfunc_end112:
	.size	_ZN12_GLOBAL__N_120geam_min_plus_kernelId15HIP_vector_typeIdLj2EEdLi32ELi8ELi128ELi128ELi4ELi4ELi64ELi4ELi64ELc84ELc78ELb1ELb0ELb1EdKPKdKPdEEviiiT16_PT17_ilSA_ilS8_SA_ilPT18_ili26rocblas_geam_ex_operation_, .Lfunc_end112-_ZN12_GLOBAL__N_120geam_min_plus_kernelId15HIP_vector_typeIdLj2EEdLi32ELi8ELi128ELi128ELi4ELi4ELi64ELi4ELi64ELc84ELc78ELb1ELb0ELb1EdKPKdKPdEEviiiT16_PT17_ilSA_ilS8_SA_ilPT18_ili26rocblas_geam_ex_operation_
                                        ; -- End function
	.set _ZN12_GLOBAL__N_120geam_min_plus_kernelId15HIP_vector_typeIdLj2EEdLi32ELi8ELi128ELi128ELi4ELi4ELi64ELi4ELi64ELc84ELc78ELb1ELb0ELb1EdKPKdKPdEEviiiT16_PT17_ilSA_ilS8_SA_ilPT18_ili26rocblas_geam_ex_operation_.num_vgpr, 244
	.set _ZN12_GLOBAL__N_120geam_min_plus_kernelId15HIP_vector_typeIdLj2EEdLi32ELi8ELi128ELi128ELi4ELi4ELi64ELi4ELi64ELc84ELc78ELb1ELb0ELb1EdKPKdKPdEEviiiT16_PT17_ilSA_ilS8_SA_ilPT18_ili26rocblas_geam_ex_operation_.num_agpr, 0
	.set _ZN12_GLOBAL__N_120geam_min_plus_kernelId15HIP_vector_typeIdLj2EEdLi32ELi8ELi128ELi128ELi4ELi4ELi64ELi4ELi64ELc84ELc78ELb1ELb0ELb1EdKPKdKPdEEviiiT16_PT17_ilSA_ilS8_SA_ilPT18_ili26rocblas_geam_ex_operation_.numbered_sgpr, 23
	.set _ZN12_GLOBAL__N_120geam_min_plus_kernelId15HIP_vector_typeIdLj2EEdLi32ELi8ELi128ELi128ELi4ELi4ELi64ELi4ELi64ELc84ELc78ELb1ELb0ELb1EdKPKdKPdEEviiiT16_PT17_ilSA_ilS8_SA_ilPT18_ili26rocblas_geam_ex_operation_.num_named_barrier, 0
	.set _ZN12_GLOBAL__N_120geam_min_plus_kernelId15HIP_vector_typeIdLj2EEdLi32ELi8ELi128ELi128ELi4ELi4ELi64ELi4ELi64ELc84ELc78ELb1ELb0ELb1EdKPKdKPdEEviiiT16_PT17_ilSA_ilS8_SA_ilPT18_ili26rocblas_geam_ex_operation_.private_seg_size, 0
	.set _ZN12_GLOBAL__N_120geam_min_plus_kernelId15HIP_vector_typeIdLj2EEdLi32ELi8ELi128ELi128ELi4ELi4ELi64ELi4ELi64ELc84ELc78ELb1ELb0ELb1EdKPKdKPdEEviiiT16_PT17_ilSA_ilS8_SA_ilPT18_ili26rocblas_geam_ex_operation_.uses_vcc, 1
	.set _ZN12_GLOBAL__N_120geam_min_plus_kernelId15HIP_vector_typeIdLj2EEdLi32ELi8ELi128ELi128ELi4ELi4ELi64ELi4ELi64ELc84ELc78ELb1ELb0ELb1EdKPKdKPdEEviiiT16_PT17_ilSA_ilS8_SA_ilPT18_ili26rocblas_geam_ex_operation_.uses_flat_scratch, 0
	.set _ZN12_GLOBAL__N_120geam_min_plus_kernelId15HIP_vector_typeIdLj2EEdLi32ELi8ELi128ELi128ELi4ELi4ELi64ELi4ELi64ELc84ELc78ELb1ELb0ELb1EdKPKdKPdEEviiiT16_PT17_ilSA_ilS8_SA_ilPT18_ili26rocblas_geam_ex_operation_.has_dyn_sized_stack, 0
	.set _ZN12_GLOBAL__N_120geam_min_plus_kernelId15HIP_vector_typeIdLj2EEdLi32ELi8ELi128ELi128ELi4ELi4ELi64ELi4ELi64ELc84ELc78ELb1ELb0ELb1EdKPKdKPdEEviiiT16_PT17_ilSA_ilS8_SA_ilPT18_ili26rocblas_geam_ex_operation_.has_recursion, 0
	.set _ZN12_GLOBAL__N_120geam_min_plus_kernelId15HIP_vector_typeIdLj2EEdLi32ELi8ELi128ELi128ELi4ELi4ELi64ELi4ELi64ELc84ELc78ELb1ELb0ELb1EdKPKdKPdEEviiiT16_PT17_ilSA_ilS8_SA_ilPT18_ili26rocblas_geam_ex_operation_.has_indirect_call, 0
	.section	.AMDGPU.csdata,"",@progbits
; Kernel info:
; codeLenInByte = 24856
; TotalNumSgprs: 29
; NumVgprs: 244
; NumAgprs: 0
; TotalNumVgprs: 244
; ScratchSize: 0
; MemoryBound: 0
; FloatMode: 240
; IeeeMode: 1
; LDSByteSize: 16384 bytes/workgroup (compile time only)
; SGPRBlocks: 3
; VGPRBlocks: 30
; NumSGPRsForWavesPerEU: 29
; NumVGPRsForWavesPerEU: 244
; AccumOffset: 244
; Occupancy: 2
; WaveLimiterHint : 1
; COMPUTE_PGM_RSRC2:SCRATCH_EN: 0
; COMPUTE_PGM_RSRC2:USER_SGPR: 2
; COMPUTE_PGM_RSRC2:TRAP_HANDLER: 0
; COMPUTE_PGM_RSRC2:TGID_X_EN: 1
; COMPUTE_PGM_RSRC2:TGID_Y_EN: 0
; COMPUTE_PGM_RSRC2:TGID_Z_EN: 1
; COMPUTE_PGM_RSRC2:TIDIG_COMP_CNT: 1
; COMPUTE_PGM_RSRC3_GFX90A:ACCUM_OFFSET: 60
; COMPUTE_PGM_RSRC3_GFX90A:TG_SPLIT: 0
	.section	.text._ZN12_GLOBAL__N_120geam_min_plus_kernelId15HIP_vector_typeIdLj2EEdLi32ELi8ELi128ELi128ELi4ELi4ELi64ELi4ELi64ELc84ELc78ELb0ELb0ELb1EdKPKdKPdEEviiiT16_PT17_ilSA_ilS8_SA_ilPT18_ili26rocblas_geam_ex_operation_,"axG",@progbits,_ZN12_GLOBAL__N_120geam_min_plus_kernelId15HIP_vector_typeIdLj2EEdLi32ELi8ELi128ELi128ELi4ELi4ELi64ELi4ELi64ELc84ELc78ELb0ELb0ELb1EdKPKdKPdEEviiiT16_PT17_ilSA_ilS8_SA_ilPT18_ili26rocblas_geam_ex_operation_,comdat
	.globl	_ZN12_GLOBAL__N_120geam_min_plus_kernelId15HIP_vector_typeIdLj2EEdLi32ELi8ELi128ELi128ELi4ELi4ELi64ELi4ELi64ELc84ELc78ELb0ELb0ELb1EdKPKdKPdEEviiiT16_PT17_ilSA_ilS8_SA_ilPT18_ili26rocblas_geam_ex_operation_ ; -- Begin function _ZN12_GLOBAL__N_120geam_min_plus_kernelId15HIP_vector_typeIdLj2EEdLi32ELi8ELi128ELi128ELi4ELi4ELi64ELi4ELi64ELc84ELc78ELb0ELb0ELb1EdKPKdKPdEEviiiT16_PT17_ilSA_ilS8_SA_ilPT18_ili26rocblas_geam_ex_operation_
	.p2align	8
	.type	_ZN12_GLOBAL__N_120geam_min_plus_kernelId15HIP_vector_typeIdLj2EEdLi32ELi8ELi128ELi128ELi4ELi4ELi64ELi4ELi64ELc84ELc78ELb0ELb0ELb1EdKPKdKPdEEviiiT16_PT17_ilSA_ilS8_SA_ilPT18_ili26rocblas_geam_ex_operation_,@function
_ZN12_GLOBAL__N_120geam_min_plus_kernelId15HIP_vector_typeIdLj2EEdLi32ELi8ELi128ELi128ELi4ELi4ELi64ELi4ELi64ELc84ELc78ELb0ELb0ELb1EdKPKdKPdEEviiiT16_PT17_ilSA_ilS8_SA_ilPT18_ili26rocblas_geam_ex_operation_: ; @_ZN12_GLOBAL__N_120geam_min_plus_kernelId15HIP_vector_typeIdLj2EEdLi32ELi8ELi128ELi128ELi4ELi4ELi64ELi4ELi64ELc84ELc78ELb0ELb0ELb1EdKPKdKPdEEviiiT16_PT17_ilSA_ilS8_SA_ilPT18_ili26rocblas_geam_ex_operation_
; %bb.0:
	s_load_dwordx4 s[12:15], s[0:1], 0x10
	s_load_dwordx4 s[16:19], s[0:1], 0x28
	s_mov_b32 s6, s3
	s_mov_b64 s[20:21], 0
	s_waitcnt lgkmcnt(0)
	v_cmp_eq_f64_e64 s[22:23], s[12:13], 0
	s_and_b64 s[4:5], exec, s[22:23]
	s_mov_b64 vcc, s[4:5]
	s_cbranch_vccnz .LBB113_2
; %bb.1:
	s_mov_b32 s7, 0
	s_lshl_b64 s[8:9], s[6:7], 3
	s_add_u32 s8, s14, s8
	s_addc_u32 s9, s15, s9
	s_load_dwordx2 s[8:9], s[8:9], 0x0
	s_lshl_b64 s[10:11], s[16:17], 3
	s_waitcnt lgkmcnt(0)
	s_add_u32 s20, s8, s10
	s_addc_u32 s21, s9, s11
.LBB113_2:
	s_load_dwordx4 s[8:11], s[0:1], 0x40
	s_load_dwordx2 s[26:27], s[0:1], 0x50
	s_andn2_b64 vcc, exec, s[22:23]
	s_mov_b32 s7, 0
	s_cbranch_vccnz .LBB113_4
; %bb.3:
	s_mov_b64 s[14:15], 0
	s_mov_b64 s[22:23], 0
	s_cbranch_execz .LBB113_5
	s_branch .LBB113_6
.LBB113_4:
	s_mov_b64 s[14:15], 0
	s_mov_b64 s[22:23], 0
.LBB113_5:
	s_lshl_b64 s[16:17], s[6:7], 3
	s_add_u32 s16, s18, s16
	s_addc_u32 s17, s19, s17
	s_load_dwordx2 s[16:17], s[16:17], 0x0
	s_waitcnt lgkmcnt(0)
	s_lshl_b64 s[8:9], s[8:9], 3
	s_add_u32 s22, s16, s8
	s_addc_u32 s23, s17, s9
.LBB113_6:
	s_load_dwordx4 s[16:19], s[0:1], 0x60
	s_waitcnt lgkmcnt(0)
	v_cmp_eq_f64_e64 s[8:9], s[10:11], 0
	s_and_b64 s[8:9], exec, s[8:9]
	v_cmp_neq_f64_e64 s[24:25], s[12:13], 0
	s_mov_b64 vcc, s[8:9]
	s_cbranch_vccnz .LBB113_8
; %bb.7:
	s_lshl_b64 s[14:15], s[6:7], 3
	s_add_u32 s14, s26, s14
	s_addc_u32 s15, s27, s15
	s_load_dwordx2 s[14:15], s[14:15], 0x0
	s_lshl_b64 s[16:17], s[16:17], 3
	s_waitcnt lgkmcnt(0)
	s_add_u32 s14, s14, s16
	s_addc_u32 s15, s15, s17
.LBB113_8:
	s_load_dword s3, s[0:1], 0x0
	s_load_dword s26, s[0:1], 0x20
	s_lshl_b64 s[6:7], s[6:7], 3
	s_add_u32 s16, s18, s6
	s_addc_u32 s17, s19, s7
	s_waitcnt lgkmcnt(0)
	s_add_i32 s3, s3, -1
	s_ashr_i32 s6, s3, 31
	s_lshr_b32 s6, s6, 25
	s_add_i32 s3, s3, s6
	s_ashr_i32 s3, s3, 7
	s_add_i32 s6, s3, 1
	v_cvt_f32_u32_e32 v1, s6
	v_and_b32_e32 v176, 0x3ff, v0
	v_bfe_u32 v177, v0, 10, 10
	v_and_b32_e32 v12, 3, v0
	v_rcp_iflag_f32_e32 v2, v1
	s_not_b32 s3, s3
	v_mov_b32_e32 v1, 0
	v_mul_f32_e32 v0, 0x4f7ffffe, v2
	v_cvt_u32_f32_e32 v0, v0
	v_lshl_add_u32 v2, v177, 5, v176
	v_lshrrev_b32_e32 v13, 2, v2
	v_cndmask_b32_e64 v2, 0, 1, s[24:25]
	v_readfirstlane_b32 s7, v0
	s_mul_i32 s3, s3, s7
	s_mul_hi_u32 s3, s7, s3
	s_add_i32 s7, s7, s3
	s_mul_hi_u32 s3, s2, s7
	s_mul_i32 s7, s3, s6
	s_sub_i32 s7, s2, s7
	s_add_i32 s18, s3, 1
	s_sub_i32 s19, s7, s6
	s_cmp_ge_u32 s7, s6
	s_cselect_b32 s3, s18, s3
	s_cselect_b32 s7, s19, s7
	s_add_i32 s18, s3, 1
	s_cmp_ge_u32 s7, s6
	s_cselect_b32 s3, s18, s3
	s_mul_i32 s6, s3, s6
	s_sub_i32 s2, s2, s6
	s_lshl_b32 s18, s2, 7
	v_lshlrev_b32_e32 v0, 3, v12
	v_add_u32_e32 v108, s18, v13
	v_cmp_ne_u32_e64 s[6:7], 1, v2
	s_andn2_b64 vcc, exec, s[24:25]
	v_lshl_add_u64 v[4:5], s[20:21], 0, v[0:1]
	s_cbranch_vccnz .LBB113_11
; %bb.9:
	v_mad_i64_i32 v[2:3], s[24:25], v108, s26, 0
	v_lshl_add_u64 v[2:3], v[2:3], 3, v[4:5]
	flat_load_dwordx2 v[2:3], v[2:3]
	s_waitcnt vmcnt(0) lgkmcnt(0)
	v_mul_f64 v[2:3], s[12:13], v[2:3]
	s_load_dword s25, s[0:1], 0x38
	s_lshl_b32 s19, s3, 7
	s_mov_b64 vcc, s[4:5]
	s_cbranch_vccz .LBB113_12
.LBB113_10:
	s_mov_b32 s2, 0
	v_mov_b32_e32 v6, s2
	v_mov_b32_e32 v7, s2
	s_mov_b64 s[2:3], 0
	s_branch .LBB113_13
.LBB113_11:
	v_mov_b64_e32 v[2:3], 0
	s_load_dword s25, s[0:1], 0x38
	s_lshl_b32 s19, s3, 7
	s_mov_b64 vcc, s[4:5]
	s_cbranch_vccnz .LBB113_10
.LBB113_12:
	s_mov_b64 s[2:3], -1
                                        ; implicit-def: $vgpr6_vgpr7
.LBB113_13:
	v_add_u32_e32 v110, s19, v13
	v_mov_b64_e32 v[100:101], 0
	s_andn2_b64 vcc, exec, s[2:3]
	v_add_u32_e32 v109, 64, v108
	v_add_u32_e32 v111, 64, v110
	v_mov_b64_e32 v[8:9], 0
	v_mov_b64_e32 v[10:11], 0
	s_cbranch_vccnz .LBB113_15
; %bb.14:
	v_mov_b32_e32 v1, 0
	v_mad_i64_i32 v[6:7], s[2:3], v109, s26, 0
	v_lshl_add_u64 v[8:9], s[22:23], 0, v[0:1]
	s_waitcnt lgkmcnt(0)
	v_mad_i64_i32 v[10:11], s[2:3], v110, s25, 0
	v_lshl_add_u64 v[6:7], v[6:7], 3, v[4:5]
	v_lshl_add_u64 v[10:11], v[10:11], 3, v[8:9]
	v_mad_i64_i32 v[14:15], s[2:3], v111, s25, 0
	flat_load_dwordx2 v[6:7], v[6:7]
	v_lshl_add_u64 v[8:9], v[14:15], 3, v[8:9]
	flat_load_dwordx2 v[14:15], v[10:11]
	flat_load_dwordx2 v[16:17], v[8:9]
	s_waitcnt vmcnt(0) lgkmcnt(0)
	v_mul_f64 v[6:7], s[12:13], v[6:7]
	v_mul_f64 v[10:11], s[12:13], v[14:15]
	;; [unrolled: 1-line block ×3, first 2 shown]
.LBB113_15:
	s_and_b64 vcc, exec, s[6:7]
	s_cbranch_vccnz .LBB113_17
; %bb.16:
	v_mad_i64_i32 v[14:15], s[2:3], v108, s26, 0
	v_lshl_add_u64 v[14:15], v[14:15], 3, v[4:5]
	flat_load_dwordx2 v[14:15], v[14:15] offset:32
	s_waitcnt vmcnt(0) lgkmcnt(0)
	v_mul_f64 v[100:101], s[12:13], v[14:15]
.LBB113_17:
	s_mov_b64 vcc, s[4:5]
	s_cbranch_vccz .LBB113_19
; %bb.18:
	s_mov_b32 s2, 0
	v_mov_b32_e32 v102, s2
	v_mov_b32_e32 v103, s2
	v_mov_b64_e32 v[104:105], 0
	v_mov_b64_e32 v[106:107], 0
	s_cbranch_execz .LBB113_20
	s_branch .LBB113_21
.LBB113_19:
                                        ; implicit-def: $vgpr102_vgpr103
	v_mov_b64_e32 v[104:105], 0
	v_mov_b64_e32 v[106:107], 0
.LBB113_20:
	v_mad_i64_i32 v[14:15], s[2:3], v109, s26, 0
	v_mov_b32_e32 v1, 0
	v_lshl_add_u64 v[4:5], v[14:15], 3, v[4:5]
	v_lshl_add_u64 v[0:1], s[22:23], 0, v[0:1]
	s_waitcnt lgkmcnt(0)
	v_mad_i64_i32 v[14:15], s[2:3], v110, s25, 0
	v_lshl_add_u64 v[14:15], v[14:15], 3, v[0:1]
	v_mad_i64_i32 v[16:17], s[2:3], v111, s25, 0
	flat_load_dwordx2 v[4:5], v[4:5] offset:32
	v_lshl_add_u64 v[0:1], v[16:17], 3, v[0:1]
	flat_load_dwordx2 v[16:17], v[14:15] offset:32
	flat_load_dwordx2 v[18:19], v[0:1] offset:32
	s_waitcnt vmcnt(0) lgkmcnt(0)
	v_mul_f64 v[102:103], s[12:13], v[4:5]
	v_mul_f64 v[106:107], s[12:13], v[16:17]
	;; [unrolled: 1-line block ×3, first 2 shown]
.LBB113_21:
	v_lshlrev_b32_e32 v0, 5, v13
	v_lshl_or_b32 v195, v12, 3, v0
	v_lshlrev_b32_e32 v191, 5, v176
	s_load_dwordx2 s[2:3], s[16:17], 0x0
	s_load_dword s24, s[0:1], 0x8
	ds_write2st64_b64 v195, v[2:3], v[6:7] offset1:4
	ds_write2st64_b64 v195, v[10:11], v[8:9] offset0:16 offset1:20
	s_waitcnt lgkmcnt(0)
	s_barrier
	v_lshlrev_b32_e32 v178, 5, v177
	ds_read_b128 v[16:19], v191 offset:1024
	ds_read_b128 v[12:15], v191 offset:2048
	;; [unrolled: 1-line block ×16, first 2 shown]
	ds_read_b128 v[24:27], v191
	ds_read_b128 v[96:99], v178 offset:8192
	ds_read_b128 v[28:31], v178 offset:11776
	;; [unrolled: 1-line block ×5, first 2 shown]
	s_waitcnt lgkmcnt(5)
	v_add_f64 v[114:115], v[26:27], v[94:95]
	v_add_f64 v[116:117], v[24:25], v[92:93]
	s_mov_b32 s16, 0x7f800000
	v_cvt_f32_f64_e32 v113, v[116:117]
	v_cvt_f32_f64_e32 v114, v[114:115]
	v_min3_f32 v172, v113, v114, s16
	v_add_f64 v[114:115], v[18:19], v[94:95]
	v_add_f64 v[116:117], v[16:17], v[92:93]
	v_cvt_f32_f64_e32 v113, v[116:117]
	v_cvt_f32_f64_e32 v114, v[114:115]
	v_min3_f32 v173, v113, v114, s16
	v_add_f64 v[114:115], v[14:15], v[94:95]
	v_add_f64 v[116:117], v[12:13], v[92:93]
	;; [unrolled: 5-line block ×36, first 2 shown]
	s_waitcnt lgkmcnt(4)
	v_add_f64 v[48:49], v[26:27], v[98:99]
	v_add_f64 v[50:51], v[24:25], v[96:97]
	v_cvt_f32_f64_e32 v113, v[116:117]
	v_cvt_f32_f64_e32 v114, v[114:115]
	;; [unrolled: 1-line block ×4, first 2 shown]
	v_min3_f32 v122, v113, v114, s16
	v_add_f64 v[114:115], v[18:19], v[34:35]
	v_add_f64 v[116:117], v[16:17], v[32:33]
	v_min3_f32 v112, v50, v48, s16
	v_add_f64 v[48:49], v[18:19], v[98:99]
	v_add_f64 v[50:51], v[16:17], v[96:97]
	v_cvt_f32_f64_e32 v113, v[116:117]
	v_cvt_f32_f64_e32 v114, v[114:115]
	;; [unrolled: 1-line block ×4, first 2 shown]
	v_min3_f32 v120, v113, v114, s16
	v_add_f64 v[114:115], v[14:15], v[34:35]
	v_add_f64 v[116:117], v[12:13], v[32:33]
	ds_read_b128 v[52:55], v191 offset:1040
	v_min3_f32 v165, v50, v48, s16
	v_add_f64 v[48:49], v[14:15], v[98:99]
	v_add_f64 v[50:51], v[12:13], v[96:97]
	v_cvt_f32_f64_e32 v113, v[116:117]
	v_cvt_f32_f64_e32 v114, v[114:115]
	s_waitcnt lgkmcnt(4)
	v_add_f64 v[166:167], v[26:27], v[30:31]
	v_add_f64 v[168:169], v[24:25], v[28:29]
	v_cvt_f32_f64_e32 v50, v[50:51]
	v_cvt_f32_f64_e32 v48, v[48:49]
	v_min3_f32 v117, v113, v114, s16
	v_cvt_f32_f64_e32 v113, v[168:169]
	v_cvt_f32_f64_e32 v114, v[166:167]
	v_add_f64 v[166:167], v[18:19], v[30:31]
	v_add_f64 v[168:169], v[16:17], v[28:29]
	ds_read_b128 v[56:59], v191 offset:2064
	v_min3_f32 v170, v50, v48, s16
	ds_read_b128 v[48:51], v191 offset:3088
	v_add_f64 v[98:99], v[10:11], v[98:99]
	v_add_f64 v[96:97], v[8:9], v[96:97]
	;; [unrolled: 1-line block ×28, first 2 shown]
	v_min3_f32 v118, v113, v114, s16
	v_cvt_f32_f64_e32 v113, v[168:169]
	v_cvt_f32_f64_e32 v114, v[166:167]
	v_add_f64 v[166:167], v[14:15], v[30:31]
	v_add_f64 v[168:169], v[12:13], v[28:29]
	v_add_f64 v[30:31], v[10:11], v[30:31]
	v_add_f64 v[28:29], v[8:9], v[28:29]
	s_waitcnt lgkmcnt(5)
	v_add_f64 v[14:15], v[14:15], v[22:23]
	v_add_f64 v[12:13], v[12:13], v[20:21]
	;; [unrolled: 1-line block ×4, first 2 shown]
	v_cvt_f32_f64_e32 v96, v[96:97]
	v_cvt_f32_f64_e32 v97, v[98:99]
	;; [unrolled: 1-line block ×6, first 2 shown]
	s_waitcnt lgkmcnt(3)
	v_add_f64 v[10:11], v[2:3], v[6:7]
	v_add_f64 v[14:15], v[0:1], v[4:5]
	v_min3_f32 v171, v96, v97, s16
	ds_read_b128 v[96:99], v178 offset:8464
	v_min3_f32 v116, v113, v114, s16
	v_cvt_f32_f64_e32 v113, v[168:169]
	v_cvt_f32_f64_e32 v114, v[166:167]
	v_cvt_f32_f64_e32 v28, v[28:29]
	v_cvt_f32_f64_e32 v29, v[30:31]
	v_min3_f32 v8, v8, v9, s16
	v_cvt_f32_f64_e32 v9, v[14:15]
	v_cvt_f32_f64_e32 v10, v[10:11]
	v_min3_f32 v114, v113, v114, s16
	v_min3_f32 v113, v28, v29, s16
	ds_read_b128 v[28:31], v178 offset:12048
	v_min3_f32 v192, v9, v10, v112
	s_waitcnt lgkmcnt(4)
	v_add_f64 v[10:11], v[54:55], v[6:7]
	v_add_f64 v[14:15], v[52:53], v[4:5]
	v_cvt_f32_f64_e32 v9, v[14:15]
	v_cvt_f32_f64_e32 v10, v[10:11]
	v_min3_f32 v188, v9, v10, v165
	s_waitcnt lgkmcnt(3)
	v_add_f64 v[10:11], v[58:59], v[6:7]
	v_add_f64 v[14:15], v[56:57], v[4:5]
	s_waitcnt lgkmcnt(2)
	v_add_f64 v[6:7], v[50:51], v[6:7]
	v_add_f64 v[4:5], v[48:49], v[4:5]
	v_cvt_f32_f64_e32 v92, v[92:93]
	v_cvt_f32_f64_e32 v93, v[94:95]
	v_cvt_f32_f64_e32 v4, v[4:5]
	v_cvt_f32_f64_e32 v5, v[6:7]
	v_min3_f32 v163, v92, v93, s16
	ds_read_b128 v[92:95], v178 offset:8720
	v_min3_f32 v189, v4, v5, v171
	s_waitcnt lgkmcnt(2)
	v_add_f64 v[4:5], v[2:3], v[98:99]
	v_add_f64 v[6:7], v[0:1], v[96:97]
	v_cvt_f32_f64_e32 v6, v[6:7]
	v_cvt_f32_f64_e32 v4, v[4:5]
	v_min3_f32 v255, v6, v4, v172
	v_add_f64 v[4:5], v[54:55], v[98:99]
	v_add_f64 v[6:7], v[52:53], v[96:97]
	v_cvt_f32_f64_e32 v6, v[6:7]
	v_cvt_f32_f64_e32 v4, v[4:5]
	v_min3_f32 v254, v6, v4, v173
	v_add_f64 v[4:5], v[58:59], v[98:99]
	v_add_f64 v[6:7], v[56:57], v[96:97]
	v_cvt_f32_f64_e32 v6, v[6:7]
	v_cvt_f32_f64_e32 v4, v[4:5]
	v_min3_f32 v253, v6, v4, v174
	v_add_f64 v[4:5], v[50:51], v[98:99]
	v_add_f64 v[6:7], v[48:49], v[96:97]
	v_cvt_f32_f64_e32 v6, v[6:7]
	v_cvt_f32_f64_e32 v4, v[4:5]
	v_min3_f32 v249, v6, v4, v163
	s_waitcnt lgkmcnt(0)
	v_add_f64 v[4:5], v[2:3], v[94:95]
	v_add_f64 v[6:7], v[0:1], v[92:93]
	v_cvt_f32_f64_e32 v6, v[6:7]
	v_cvt_f32_f64_e32 v4, v[4:5]
	v_cvt_f32_f64_e32 v88, v[88:89]
	v_cvt_f32_f64_e32 v89, v[90:91]
	v_min3_f32 v248, v6, v4, v175
	v_add_f64 v[4:5], v[54:55], v[94:95]
	v_add_f64 v[6:7], v[52:53], v[92:93]
	v_min3_f32 v159, v88, v89, s16
	ds_read_b128 v[88:91], v178 offset:8976
	v_cvt_f32_f64_e32 v6, v[6:7]
	v_cvt_f32_f64_e32 v4, v[4:5]
	v_min3_f32 v247, v6, v4, v164
	v_add_f64 v[4:5], v[58:59], v[94:95]
	v_add_f64 v[6:7], v[56:57], v[92:93]
	v_cvt_f32_f64_e32 v6, v[6:7]
	v_cvt_f32_f64_e32 v4, v[4:5]
	v_min3_f32 v246, v6, v4, v161
	v_add_f64 v[4:5], v[50:51], v[94:95]
	v_add_f64 v[6:7], v[48:49], v[92:93]
	v_cvt_f32_f64_e32 v84, v[84:85]
	v_cvt_f32_f64_e32 v85, v[86:87]
	v_cvt_f32_f64_e32 v6, v[6:7]
	v_cvt_f32_f64_e32 v4, v[4:5]
	v_min3_f32 v155, v84, v85, s16
	ds_read_b128 v[84:87], v178 offset:9232
	v_min3_f32 v245, v6, v4, v159
	s_waitcnt lgkmcnt(1)
	v_add_f64 v[4:5], v[2:3], v[90:91]
	v_add_f64 v[6:7], v[0:1], v[88:89]
	v_cvt_f32_f64_e32 v6, v[6:7]
	v_cvt_f32_f64_e32 v4, v[4:5]
	v_min3_f32 v244, v6, v4, v162
	v_add_f64 v[4:5], v[54:55], v[90:91]
	v_add_f64 v[6:7], v[52:53], v[88:89]
	v_cvt_f32_f64_e32 v6, v[6:7]
	v_cvt_f32_f64_e32 v4, v[4:5]
	v_min3_f32 v243, v6, v4, v160
	v_add_f64 v[4:5], v[58:59], v[90:91]
	v_add_f64 v[6:7], v[56:57], v[88:89]
	v_cvt_f32_f64_e32 v6, v[6:7]
	v_cvt_f32_f64_e32 v4, v[4:5]
	v_min3_f32 v242, v6, v4, v157
	v_add_f64 v[4:5], v[50:51], v[90:91]
	v_add_f64 v[6:7], v[48:49], v[88:89]
	v_cvt_f32_f64_e32 v6, v[6:7]
	v_cvt_f32_f64_e32 v4, v[4:5]
	v_min3_f32 v241, v6, v4, v155
	s_waitcnt lgkmcnt(0)
	v_add_f64 v[4:5], v[2:3], v[86:87]
	v_add_f64 v[6:7], v[0:1], v[84:85]
	v_cvt_f32_f64_e32 v6, v[6:7]
	v_cvt_f32_f64_e32 v4, v[4:5]
	v_cvt_f32_f64_e32 v80, v[80:81]
	v_cvt_f32_f64_e32 v81, v[82:83]
	v_min3_f32 v240, v6, v4, v158
	v_add_f64 v[4:5], v[54:55], v[86:87]
	v_add_f64 v[6:7], v[52:53], v[84:85]
	v_min3_f32 v151, v80, v81, s16
	ds_read_b128 v[80:83], v178 offset:9488
	v_cvt_f32_f64_e32 v6, v[6:7]
	v_cvt_f32_f64_e32 v4, v[4:5]
	v_min3_f32 v239, v6, v4, v156
	v_add_f64 v[4:5], v[58:59], v[86:87]
	v_add_f64 v[6:7], v[56:57], v[84:85]
	v_cvt_f32_f64_e32 v6, v[6:7]
	v_cvt_f32_f64_e32 v4, v[4:5]
	v_min3_f32 v238, v6, v4, v153
	;; [unrolled: 50-line block ×6, first 2 shown]
	v_add_f64 v[4:5], v[50:51], v[42:43]
	v_add_f64 v[6:7], v[48:49], v[40:41]
	v_cvt_f32_f64_e32 v32, v[32:33]
	v_cvt_f32_f64_e32 v33, v[34:35]
	;; [unrolled: 1-line block ×4, first 2 shown]
	v_min3_f32 v115, v32, v33, s16
	ds_read_b128 v[32:35], v178 offset:11792
	v_min3_f32 v205, v6, v4, v119
	s_waitcnt lgkmcnt(1)
	v_add_f64 v[4:5], v[2:3], v[38:39]
	v_add_f64 v[6:7], v[0:1], v[36:37]
	v_cvt_f32_f64_e32 v6, v[6:7]
	v_cvt_f32_f64_e32 v4, v[4:5]
	v_min3_f32 v204, v6, v4, v122
	v_add_f64 v[4:5], v[54:55], v[38:39]
	v_add_f64 v[6:7], v[52:53], v[36:37]
	v_cvt_f32_f64_e32 v6, v[6:7]
	v_cvt_f32_f64_e32 v4, v[4:5]
	v_min3_f32 v203, v6, v4, v120
	;; [unrolled: 5-line block ×3, first 2 shown]
	v_add_f64 v[4:5], v[50:51], v[38:39]
	v_add_f64 v[6:7], v[48:49], v[36:37]
	;; [unrolled: 1-line block ×4, first 2 shown]
	v_cvt_f32_f64_e32 v6, v[6:7]
	v_cvt_f32_f64_e32 v4, v[4:5]
	;; [unrolled: 1-line block ×4, first 2 shown]
	v_min3_f32 v201, v6, v4, v115
	s_waitcnt lgkmcnt(0)
	v_add_f64 v[4:5], v[2:3], v[34:35]
	v_add_f64 v[6:7], v[0:1], v[32:33]
	;; [unrolled: 1-line block ×4, first 2 shown]
	v_min3_f32 v24, v24, v25, s16
	v_add_f64 v[18:19], v[18:19], v[22:23]
	v_add_f64 v[16:17], v[16:17], v[20:21]
	v_cvt_f32_f64_e32 v6, v[6:7]
	v_cvt_f32_f64_e32 v4, v[4:5]
	;; [unrolled: 1-line block ×6, first 2 shown]
	v_min3_f32 v200, v6, v4, v118
	v_add_f64 v[4:5], v[54:55], v[34:35]
	v_add_f64 v[6:7], v[52:53], v[32:33]
	v_min3_f32 v196, v0, v1, v24
	v_add_f64 v[0:1], v[54:55], v[30:31]
	v_add_f64 v[2:3], v[52:53], v[28:29]
	v_min3_f32 v16, v16, v17, s16
	v_cvt_f32_f64_e32 v6, v[6:7]
	v_cvt_f32_f64_e32 v4, v[4:5]
	;; [unrolled: 1-line block ×4, first 2 shown]
	v_min3_f32 v199, v6, v4, v116
	v_add_f64 v[4:5], v[58:59], v[34:35]
	v_add_f64 v[6:7], v[56:57], v[32:33]
	v_min3_f32 v194, v2, v0, v16
	v_add_f64 v[0:1], v[58:59], v[30:31]
	v_add_f64 v[2:3], v[56:57], v[28:29]
	v_min3_f32 v12, v12, v13, s16
	v_cvt_f32_f64_e32 v6, v[6:7]
	v_cvt_f32_f64_e32 v4, v[4:5]
	;; [unrolled: 1-line block ×4, first 2 shown]
	v_min3_f32 v198, v6, v4, v114
	v_add_f64 v[4:5], v[50:51], v[34:35]
	v_add_f64 v[6:7], v[48:49], v[32:33]
	v_min3_f32 v193, v2, v0, v12
	v_add_f64 v[0:1], v[50:51], v[30:31]
	v_add_f64 v[2:3], v[48:49], v[28:29]
	v_cvt_f32_f64_e32 v9, v[14:15]
	v_cvt_f32_f64_e32 v10, v[10:11]
	;; [unrolled: 1-line block ×6, first 2 shown]
	v_min3_f32 v190, v9, v10, v170
	v_min3_f32 v197, v6, v4, v113
	;; [unrolled: 1-line block ×3, first 2 shown]
	s_cmp_lt_i32 s24, 9
	ds_write2st64_b64 v195, v[100:101], v[102:103] offset0:8 offset1:12
	ds_write2st64_b64 v195, v[106:107], v[104:105] offset0:24 offset1:28
	s_waitcnt lgkmcnt(0)
	s_barrier
	s_cbranch_scc1 .LBB113_37
; %bb.22:
	v_mov_b32_e32 v0, 0x1000
	v_lshl_add_u32 v251, v176, 5, v0
	v_mov_b32_e32 v0, 0x3000
	v_lshl_add_u32 v252, v177, 5, v0
	v_and_b32_e32 v0, 3, v176
	v_lshlrev_b32_e32 v164, 3, v0
	v_mad_i64_i32 v[0:1], s[16:17], s25, v111, 0
	v_lshl_add_u64 v[166:167], v[0:1], 3, s[22:23]
	v_mad_i64_i32 v[0:1], s[16:17], s25, v110, 0
	v_lshl_add_u64 v[168:169], v[0:1], 3, s[22:23]
	;; [unrolled: 2-line block ×3, first 2 shown]
	v_mad_i64_i32 v[0:1], s[16:17], s26, v108, 0
	v_accvgpr_write_b32 a2, v178
	v_add_u32_e32 v250, 0x2000, v178
	s_add_i32 s24, s24, -8
	v_accvgpr_write_b32 a1, v177
	v_accvgpr_write_b32 a0, v176
	v_mov_b32_e32 v165, 0
	v_lshl_add_u64 v[172:173], v[0:1], 3, s[20:21]
	s_mov_b32 s20, 0
	s_mov_b32 s21, 0
	s_branch .LBB113_24
.LBB113_23:                             ;   in Loop: Header=BB113_24 Depth=1
	v_add_f64 v[2:3], v[96:97], v[160:161]
	v_cvt_f32_f64_e32 v180, v[2:3]
	v_add_f64 v[2:3], v[98:99], v[162:163]
	v_cvt_f32_f64_e32 v2, v[2:3]
	v_min3_f32 v180, v180, v2, v192
	v_add_f64 v[2:3], v[92:93], v[160:161]
	v_cvt_f32_f64_e32 v181, v[2:3]
	v_add_f64 v[2:3], v[94:95], v[162:163]
	v_cvt_f32_f64_e32 v2, v[2:3]
	v_min3_f32 v181, v181, v2, v188
	;; [unrolled: 5-line block ×3, first 2 shown]
	v_add_f64 v[2:3], v[86:87], v[162:163]
	v_add_f64 v[160:161], v[84:85], v[160:161]
	v_cvt_f32_f64_e32 v160, v[160:161]
	v_cvt_f32_f64_e32 v2, v[2:3]
	v_min3_f32 v160, v160, v2, v189
	v_add_f64 v[2:3], v[96:97], v[156:157]
	v_cvt_f32_f64_e32 v161, v[2:3]
	v_add_f64 v[2:3], v[98:99], v[158:159]
	v_cvt_f32_f64_e32 v2, v[2:3]
	v_min3_f32 v161, v161, v2, v255
	v_add_f64 v[2:3], v[92:93], v[156:157]
	v_cvt_f32_f64_e32 v162, v[2:3]
	v_add_f64 v[2:3], v[94:95], v[158:159]
	;; [unrolled: 5-line block ×3, first 2 shown]
	v_cvt_f32_f64_e32 v2, v[2:3]
	v_min3_f32 v163, v163, v2, v253
	v_add_f64 v[2:3], v[86:87], v[158:159]
	v_add_f64 v[156:157], v[84:85], v[156:157]
	v_cvt_f32_f64_e32 v156, v[156:157]
	v_cvt_f32_f64_e32 v2, v[2:3]
	v_min3_f32 v158, v156, v2, v249
	v_add_f64 v[2:3], v[98:99], v[154:155]
	v_add_f64 v[156:157], v[96:97], v[152:153]
	v_cvt_f32_f64_e32 v156, v[156:157]
	;; [unrolled: 5-line block ×57, first 2 shown]
	v_cvt_f32_f64_e32 v2, v[2:3]
	v_accvgpr_read_b32 v3, a3
	v_min3_f32 v86, v84, v2, v3
	v_add_f64 v[2:3], v[18:19], v[82:83]
	v_add_f64 v[84:85], v[16:17], v[80:81]
	v_cvt_f32_f64_e32 v84, v[84:85]
	v_cvt_f32_f64_e32 v2, v[2:3]
	v_min3_f32 v193, v84, v2, v180
	v_add_f64 v[2:3], v[14:15], v[82:83]
	v_add_f64 v[84:85], v[12:13], v[80:81]
	v_cvt_f32_f64_e32 v84, v[84:85]
	v_cvt_f32_f64_e32 v2, v[2:3]
	;; [unrolled: 5-line block ×64, first 2 shown]
	v_min3_f32 v180, v4, v2, v86
	ds_read_b128 v[18:21], v191 offset:1024
	ds_read_b128 v[14:17], v191 offset:2048
	;; [unrolled: 1-line block ×16, first 2 shown]
	ds_read_b128 v[98:101], v250
	ds_read_b128 v[34:37], v191
	ds_read_b128 v[42:45], v250 offset:3584
	ds_read_b128 v[22:25], v250 offset:3840
	;; [unrolled: 1-line block ×4, first 2 shown]
	s_waitcnt lgkmcnt(5)
	v_add_f64 v[30:31], v[20:21], v[100:101]
	v_add_f64 v[32:33], v[18:19], v[98:99]
	;; [unrolled: 1-line block ×4, first 2 shown]
	s_waitcnt lgkmcnt(4)
	v_add_f64 v[26:27], v[36:37], v[100:101]
	v_add_f64 v[28:29], v[34:35], v[98:99]
	v_cvt_f32_f64_e32 v32, v[32:33]
	v_cvt_f32_f64_e32 v30, v[30:31]
	;; [unrolled: 1-line block ×4, first 2 shown]
	v_add_f64 v[100:101], v[12:13], v[100:101]
	v_add_f64 v[98:99], v[10:11], v[98:99]
	v_min3_f32 v184, v32, v30, v102
	v_min3_f32 v185, v40, v38, v103
	v_cvt_f32_f64_e32 v98, v[98:99]
	v_cvt_f32_f64_e32 v99, v[100:101]
	v_add_f64 v[102:103], v[36:37], v[96:97]
	v_add_f64 v[182:183], v[34:35], v[94:95]
	v_min3_f32 v186, v98, v99, v104
	v_cvt_f32_f64_e32 v104, v[182:183]
	v_cvt_f32_f64_e32 v102, v[102:103]
	v_min3_f32 v182, v104, v102, v105
	v_add_f64 v[102:103], v[20:21], v[96:97]
	v_add_f64 v[104:105], v[18:19], v[94:95]
	v_cvt_f32_f64_e32 v104, v[104:105]
	v_cvt_f32_f64_e32 v102, v[102:103]
	v_min3_f32 v106, v104, v102, v106
	v_add_f64 v[102:103], v[16:17], v[96:97]
	v_add_f64 v[104:105], v[14:15], v[94:95]
	;; [unrolled: 5-line block ×38, first 2 shown]
	v_cvt_f32_f64_e32 v104, v[104:105]
	v_cvt_f32_f64_e32 v102, v[102:103]
	v_min3_f32 v155, v104, v102, v155
	s_waitcnt lgkmcnt(3)
	v_add_f64 v[102:103], v[36:37], v[44:45]
	v_add_f64 v[104:105], v[34:35], v[42:43]
	v_cvt_f32_f64_e32 v104, v[104:105]
	v_cvt_f32_f64_e32 v102, v[102:103]
	;; [unrolled: 1-line block ×4, first 2 shown]
	v_min3_f32 v157, v104, v102, v157
	v_add_f64 v[102:103], v[20:21], v[44:45]
	v_add_f64 v[104:105], v[18:19], v[42:43]
	v_min3_f32 v181, v28, v26, v193
	ds_read_b128 v[26:29], v191 offset:1040
	ds_read_b128 v[30:33], v191 offset:2064
	v_cvt_f32_f64_e32 v104, v[104:105]
	v_cvt_f32_f64_e32 v102, v[102:103]
	v_add_f64 v[96:97], v[12:13], v[96:97]
	v_add_f64 v[94:95], v[10:11], v[94:95]
	;; [unrolled: 1-line block ×26, first 2 shown]
	v_min3_f32 v158, v104, v102, v158
	v_add_f64 v[102:103], v[16:17], v[44:45]
	v_add_f64 v[104:105], v[14:15], v[42:43]
	;; [unrolled: 1-line block ×4, first 2 shown]
	s_waitcnt lgkmcnt(4)
	v_add_f64 v[16:17], v[16:17], v[24:25]
	v_add_f64 v[14:15], v[14:15], v[22:23]
	;; [unrolled: 1-line block ×4, first 2 shown]
	ds_read_b128 v[38:41], v191 offset:3088
	ds_read_b128 v[98:101], v250 offset:272
	v_cvt_f32_f64_e32 v14, v[14:15]
	v_cvt_f32_f64_e32 v15, v[16:17]
	;; [unrolled: 1-line block ×4, first 2 shown]
	v_min3_f32 v14, v14, v15, v163
	v_min3_f32 v15, v10, v11, v180
	s_waitcnt lgkmcnt(4)
	v_add_f64 v[10:11], v[4:5], v[8:9]
	v_add_f64 v[12:13], v[2:3], v[6:7]
	v_cvt_f32_f64_e32 v12, v[12:13]
	v_cvt_f32_f64_e32 v10, v[10:11]
	v_min3_f32 v192, v12, v10, v181
	s_waitcnt lgkmcnt(3)
	v_add_f64 v[10:11], v[28:29], v[8:9]
	v_add_f64 v[12:13], v[26:27], v[6:7]
	v_cvt_f32_f64_e32 v12, v[12:13]
	v_cvt_f32_f64_e32 v10, v[10:11]
	v_min3_f32 v188, v12, v10, v184
	s_waitcnt lgkmcnt(2)
	v_add_f64 v[10:11], v[32:33], v[8:9]
	v_add_f64 v[12:13], v[30:31], v[6:7]
	s_waitcnt lgkmcnt(1)
	v_add_f64 v[8:9], v[40:41], v[8:9]
	v_add_f64 v[6:7], v[38:39], v[6:7]
	v_cvt_f32_f64_e32 v6, v[6:7]
	v_cvt_f32_f64_e32 v7, v[8:9]
	v_min3_f32 v189, v6, v7, v186
	s_waitcnt lgkmcnt(0)
	v_add_f64 v[6:7], v[4:5], v[100:101]
	v_add_f64 v[8:9], v[2:3], v[98:99]
	v_cvt_f32_f64_e32 v8, v[8:9]
	v_cvt_f32_f64_e32 v6, v[6:7]
	v_cvt_f32_f64_e32 v94, v[94:95]
	v_cvt_f32_f64_e32 v95, v[96:97]
	v_min3_f32 v255, v8, v6, v182
	v_add_f64 v[6:7], v[28:29], v[100:101]
	v_add_f64 v[8:9], v[26:27], v[98:99]
	v_min3_f32 v108, v94, v95, v108
	ds_read_b128 v[94:97], v250 offset:528
	v_cvt_f32_f64_e32 v8, v[8:9]
	v_cvt_f32_f64_e32 v6, v[6:7]
	v_min3_f32 v254, v8, v6, v106
	v_add_f64 v[6:7], v[32:33], v[100:101]
	v_add_f64 v[8:9], v[30:31], v[98:99]
	v_cvt_f32_f64_e32 v8, v[8:9]
	v_cvt_f32_f64_e32 v6, v[6:7]
	v_min3_f32 v253, v8, v6, v107
	v_add_f64 v[6:7], v[40:41], v[100:101]
	v_add_f64 v[8:9], v[38:39], v[98:99]
	v_cvt_f32_f64_e32 v90, v[90:91]
	v_cvt_f32_f64_e32 v91, v[92:93]
	v_cvt_f32_f64_e32 v8, v[8:9]
	v_cvt_f32_f64_e32 v6, v[6:7]
	v_min3_f32 v112, v90, v91, v112
	ds_read_b128 v[90:93], v250 offset:784
	v_min3_f32 v249, v8, v6, v108
	s_waitcnt lgkmcnt(1)
	v_add_f64 v[6:7], v[4:5], v[96:97]
	v_add_f64 v[8:9], v[2:3], v[94:95]
	v_cvt_f32_f64_e32 v8, v[8:9]
	v_cvt_f32_f64_e32 v6, v[6:7]
	v_min3_f32 v248, v8, v6, v109
	v_add_f64 v[6:7], v[28:29], v[96:97]
	v_add_f64 v[8:9], v[26:27], v[94:95]
	v_cvt_f32_f64_e32 v8, v[8:9]
	v_cvt_f32_f64_e32 v6, v[6:7]
	v_min3_f32 v247, v8, v6, v110
	v_add_f64 v[6:7], v[32:33], v[96:97]
	v_add_f64 v[8:9], v[30:31], v[94:95]
	v_cvt_f32_f64_e32 v8, v[8:9]
	v_cvt_f32_f64_e32 v6, v[6:7]
	v_min3_f32 v246, v8, v6, v111
	v_add_f64 v[6:7], v[40:41], v[96:97]
	v_add_f64 v[8:9], v[38:39], v[94:95]
	v_cvt_f32_f64_e32 v8, v[8:9]
	v_cvt_f32_f64_e32 v6, v[6:7]
	v_min3_f32 v245, v8, v6, v112
	s_waitcnt lgkmcnt(0)
	v_add_f64 v[6:7], v[4:5], v[92:93]
	v_add_f64 v[8:9], v[2:3], v[90:91]
	v_cvt_f32_f64_e32 v8, v[8:9]
	v_cvt_f32_f64_e32 v6, v[6:7]
	v_cvt_f32_f64_e32 v86, v[86:87]
	v_cvt_f32_f64_e32 v87, v[88:89]
	v_min3_f32 v244, v8, v6, v113
	v_add_f64 v[6:7], v[28:29], v[92:93]
	v_add_f64 v[8:9], v[26:27], v[90:91]
	v_min3_f32 v116, v86, v87, v116
	ds_read_b128 v[86:89], v250 offset:1040
	v_cvt_f32_f64_e32 v8, v[8:9]
	v_cvt_f32_f64_e32 v6, v[6:7]
	v_min3_f32 v243, v8, v6, v114
	v_add_f64 v[6:7], v[32:33], v[92:93]
	v_add_f64 v[8:9], v[30:31], v[90:91]
	v_cvt_f32_f64_e32 v8, v[8:9]
	v_cvt_f32_f64_e32 v6, v[6:7]
	v_min3_f32 v242, v8, v6, v115
	v_add_f64 v[6:7], v[40:41], v[92:93]
	v_add_f64 v[8:9], v[38:39], v[90:91]
	v_cvt_f32_f64_e32 v82, v[82:83]
	v_cvt_f32_f64_e32 v83, v[84:85]
	v_cvt_f32_f64_e32 v8, v[8:9]
	v_cvt_f32_f64_e32 v6, v[6:7]
	v_min3_f32 v120, v82, v83, v120
	ds_read_b128 v[82:85], v250 offset:1296
	v_min3_f32 v241, v8, v6, v116
	s_waitcnt lgkmcnt(1)
	v_add_f64 v[6:7], v[4:5], v[88:89]
	v_add_f64 v[8:9], v[2:3], v[86:87]
	v_cvt_f32_f64_e32 v8, v[8:9]
	v_cvt_f32_f64_e32 v6, v[6:7]
	v_min3_f32 v240, v8, v6, v117
	v_add_f64 v[6:7], v[28:29], v[88:89]
	v_add_f64 v[8:9], v[26:27], v[86:87]
	v_cvt_f32_f64_e32 v8, v[8:9]
	v_cvt_f32_f64_e32 v6, v[6:7]
	v_min3_f32 v239, v8, v6, v118
	v_add_f64 v[6:7], v[32:33], v[88:89]
	v_add_f64 v[8:9], v[30:31], v[86:87]
	v_cvt_f32_f64_e32 v8, v[8:9]
	v_cvt_f32_f64_e32 v6, v[6:7]
	v_min3_f32 v238, v8, v6, v119
	;; [unrolled: 50-line block ×6, first 2 shown]
	v_add_f64 v[6:7], v[40:41], v[56:57]
	v_add_f64 v[8:9], v[38:39], v[54:55]
	v_cvt_f32_f64_e32 v8, v[8:9]
	v_cvt_f32_f64_e32 v6, v[6:7]
	v_min3_f32 v205, v8, v6, v152
	s_waitcnt lgkmcnt(0)
	v_add_f64 v[6:7], v[4:5], v[52:53]
	v_add_f64 v[8:9], v[2:3], v[50:51]
	v_cvt_f32_f64_e32 v8, v[8:9]
	v_cvt_f32_f64_e32 v6, v[6:7]
	;; [unrolled: 1-line block ×6, first 2 shown]
	v_min3_f32 v204, v8, v6, v153
	v_add_f64 v[6:7], v[28:29], v[52:53]
	v_add_f64 v[8:9], v[26:27], v[50:51]
	v_min3_f32 v156, v46, v47, v156
	ds_read_b128 v[46:49], v250 offset:3600
	v_cvt_f32_f64_e32 v102, v[102:103]
	v_min3_f32 v103, v42, v43, v160
	ds_read_b128 v[42:45], v250 offset:3856
	v_cvt_f32_f64_e32 v8, v[8:9]
	v_cvt_f32_f64_e32 v6, v[6:7]
	v_min3_f32 v203, v8, v6, v154
	v_add_f64 v[6:7], v[32:33], v[52:53]
	v_add_f64 v[8:9], v[30:31], v[50:51]
	v_cvt_f32_f64_e32 v8, v[8:9]
	v_cvt_f32_f64_e32 v6, v[6:7]
	v_min3_f32 v202, v8, v6, v155
	v_add_f64 v[6:7], v[40:41], v[52:53]
	v_add_f64 v[8:9], v[38:39], v[50:51]
	;; [unrolled: 1-line block ×4, first 2 shown]
	v_cvt_f32_f64_e32 v8, v[8:9]
	v_cvt_f32_f64_e32 v6, v[6:7]
	;; [unrolled: 1-line block ×4, first 2 shown]
	v_min3_f32 v201, v8, v6, v156
	s_waitcnt lgkmcnt(1)
	v_add_f64 v[6:7], v[4:5], v[48:49]
	v_add_f64 v[8:9], v[2:3], v[46:47]
	s_waitcnt lgkmcnt(0)
	v_add_f64 v[4:5], v[4:5], v[44:45]
	v_add_f64 v[2:3], v[2:3], v[42:43]
	v_min3_f32 v34, v34, v35, v161
	v_add_f64 v[20:21], v[20:21], v[24:25]
	v_add_f64 v[18:19], v[18:19], v[22:23]
	v_cvt_f32_f64_e32 v2, v[2:3]
	v_cvt_f32_f64_e32 v3, v[4:5]
	;; [unrolled: 1-line block ×6, first 2 shown]
	v_min3_f32 v196, v2, v3, v34
	v_add_f64 v[2:3], v[28:29], v[44:45]
	v_add_f64 v[4:5], v[26:27], v[42:43]
	v_min3_f32 v18, v18, v19, v162
	v_min3_f32 v200, v8, v6, v157
	v_add_f64 v[6:7], v[28:29], v[48:49]
	v_add_f64 v[8:9], v[26:27], v[46:47]
	v_cvt_f32_f64_e32 v4, v[4:5]
	v_cvt_f32_f64_e32 v2, v[2:3]
	;; [unrolled: 1-line block ×4, first 2 shown]
	v_min3_f32 v194, v4, v2, v18
	v_add_f64 v[2:3], v[32:33], v[44:45]
	v_add_f64 v[4:5], v[30:31], v[42:43]
	v_cvt_f32_f64_e32 v104, v[104:105]
	v_min3_f32 v199, v8, v6, v158
	v_add_f64 v[6:7], v[32:33], v[48:49]
	v_add_f64 v[8:9], v[30:31], v[46:47]
	v_cvt_f32_f64_e32 v4, v[4:5]
	v_cvt_f32_f64_e32 v2, v[2:3]
	v_min3_f32 v102, v104, v102, v159
	v_cvt_f32_f64_e32 v8, v[8:9]
	v_cvt_f32_f64_e32 v6, v[6:7]
	v_min3_f32 v193, v4, v2, v14
	v_add_f64 v[2:3], v[40:41], v[44:45]
	v_add_f64 v[4:5], v[38:39], v[42:43]
	v_min3_f32 v198, v8, v6, v102
	v_add_f64 v[6:7], v[40:41], v[48:49]
	v_add_f64 v[8:9], v[38:39], v[46:47]
	v_cvt_f32_f64_e32 v4, v[4:5]
	v_cvt_f32_f64_e32 v2, v[2:3]
	;; [unrolled: 1-line block ×6, first 2 shown]
	v_min3_f32 v184, v4, v2, v15
	v_add_u32_e32 v2, 0x1000, v195
	s_add_i32 s21, s21, 8
	v_min3_f32 v190, v12, v10, v185
	v_min3_f32 v197, v8, v6, v103
	ds_write2st64_b64 v2, v[174:175], v[176:177] offset1:4
	v_add_u32_e32 v2, 0x3000, v195
	v_lshl_add_u64 v[166:167], v[166:167], 0, 64
	v_lshl_add_u64 v[168:169], v[168:169], 0, 64
	;; [unrolled: 1-line block ×3, first 2 shown]
	s_cmp_ge_i32 s21, s24
	v_lshl_add_u64 v[172:173], v[172:173], 0, 64
	ds_write2st64_b64 v2, v[0:1], v[178:179] offset1:4
	s_waitcnt lgkmcnt(0)
	s_barrier
	s_cbranch_scc1 .LBB113_36
.LBB113_24:                             ; =>This Inner Loop Header: Depth=1
	s_and_b64 vcc, exec, s[6:7]
	v_lshl_add_u64 v[176:177], v[172:173], 0, v[164:165]
	s_cbranch_vccnz .LBB113_35
; %bb.25:                               ;   in Loop: Header=BB113_24 Depth=1
	flat_load_dwordx2 v[0:1], v[176:177] offset:64
	s_waitcnt vmcnt(0) lgkmcnt(0)
	v_mul_f64 v[178:179], s[12:13], v[0:1]
	v_accvgpr_write_b32 a3, v184
	s_mov_b64 s[16:17], -1
                                        ; implicit-def: $vgpr0_vgpr1_vgpr2_vgpr3
	s_mov_b64 vcc, s[4:5]
                                        ; implicit-def: $vgpr2_vgpr3
	s_cbranch_vccz .LBB113_27
.LBB113_26:                             ;   in Loop: Header=BB113_24 Depth=1
	v_mov_b32_e32 v2, s20
	v_mov_b32_e32 v3, s20
	;; [unrolled: 1-line block ×4, first 2 shown]
	s_mov_b64 s[16:17], 0
.LBB113_27:                             ;   in Loop: Header=BB113_24 Depth=1
	v_mov_b64_e32 v[174:175], 0
	s_andn2_b64 vcc, exec, s[16:17]
	v_lshl_add_u64 v[184:185], v[170:171], 0, v[164:165]
	v_lshl_add_u64 v[182:183], v[168:169], 0, v[164:165]
	;; [unrolled: 1-line block ×3, first 2 shown]
	v_mov_b64_e32 v[186:187], 0
	s_cbranch_vccnz .LBB113_29
; %bb.28:                               ;   in Loop: Header=BB113_24 Depth=1
	flat_load_dwordx2 v[0:1], v[184:185] offset:64
	flat_load_dwordx2 v[4:5], v[182:183] offset:64
	flat_load_dwordx2 v[6:7], v[180:181] offset:64
	s_waitcnt vmcnt(0) lgkmcnt(0)
	v_mul_f64 v[2:3], s[12:13], v[0:1]
	v_mul_f64 v[0:1], s[12:13], v[4:5]
	;; [unrolled: 1-line block ×3, first 2 shown]
.LBB113_29:                             ;   in Loop: Header=BB113_24 Depth=1
	ds_read_b128 v[160:163], v252
	ds_read_b128 v[80:83], v252 offset:16
	ds_read_b128 v[96:99], v251
	ds_read_b128 v[16:19], v251 offset:16
	ds_read_b128 v[92:95], v251 offset:1024
	;; [unrolled: 1-line block ×37, first 2 shown]
	ds_write2st64_b64 v195, v[178:179], v[2:3] offset1:4
	v_add_u32_e32 v2, 0x2000, v195
	s_and_b64 vcc, exec, s[6:7]
	ds_write2st64_b64 v2, v[0:1], v[186:187] offset1:4
	s_waitcnt lgkmcnt(0)
	s_barrier
	s_cbranch_vccnz .LBB113_31
; %bb.30:                               ;   in Loop: Header=BB113_24 Depth=1
	flat_load_dwordx2 v[0:1], v[176:177] offset:96
	s_waitcnt vmcnt(0) lgkmcnt(0)
	v_mul_f64 v[174:175], s[12:13], v[0:1]
.LBB113_31:                             ;   in Loop: Header=BB113_24 Depth=1
	s_mov_b64 s[16:17], -1
	s_mov_b64 vcc, s[4:5]
                                        ; implicit-def: $vgpr0_vgpr1_vgpr2_vgpr3
                                        ; implicit-def: $vgpr176_vgpr177
	s_cbranch_vccz .LBB113_33
; %bb.32:                               ;   in Loop: Header=BB113_24 Depth=1
	v_mov_b32_e32 v176, s20
	v_mov_b32_e32 v177, s20
	;; [unrolled: 1-line block ×4, first 2 shown]
	s_mov_b64 s[16:17], 0
.LBB113_33:                             ;   in Loop: Header=BB113_24 Depth=1
	s_andn2_b64 vcc, exec, s[16:17]
	v_mov_b64_e32 v[178:179], 0
	s_cbranch_vccnz .LBB113_23
; %bb.34:                               ;   in Loop: Header=BB113_24 Depth=1
	flat_load_dwordx2 v[0:1], v[184:185] offset:96
	flat_load_dwordx2 v[2:3], v[182:183] offset:96
	;; [unrolled: 1-line block ×3, first 2 shown]
	s_waitcnt vmcnt(0) lgkmcnt(0)
	v_mul_f64 v[176:177], s[12:13], v[0:1]
	v_mul_f64 v[0:1], s[12:13], v[2:3]
	;; [unrolled: 1-line block ×3, first 2 shown]
	s_branch .LBB113_23
.LBB113_35:                             ;   in Loop: Header=BB113_24 Depth=1
	v_mov_b64_e32 v[178:179], 0
	v_accvgpr_write_b32 a3, v184
	s_mov_b64 s[16:17], -1
                                        ; implicit-def: $vgpr0_vgpr1_vgpr2_vgpr3
	s_mov_b64 vcc, s[4:5]
                                        ; implicit-def: $vgpr2_vgpr3
	s_cbranch_vccz .LBB113_27
	s_branch .LBB113_26
.LBB113_36:
	v_accvgpr_read_b32 v176, a0
	v_accvgpr_read_b32 v177, a1
	;; [unrolled: 1-line block ×3, first 2 shown]
.LBB113_37:
	s_load_dwordx2 s[6:7], s[0:1], 0x78
	s_load_dword s4, s[0:1], 0x58
	s_load_dword s5, s[0:1], 0x70
	ds_read_b128 v[36:39], v191 offset:4096
	ds_read_b128 v[156:159], v178 offset:12288
	;; [unrolled: 1-line block ×4, first 2 shown]
	s_waitcnt lgkmcnt(0)
	s_lshl_b64 s[0:1], s[6:7], 3
	s_add_u32 s0, s2, s0
	v_add_u32_e32 v164, s18, v176
	v_add_f64 v[0:1], v[38:39], v[158:159]
	v_add_f64 v[2:3], v[36:37], v[156:157]
	v_cvt_f32_f64_e32 v2, v[2:3]
	v_cvt_f32_f64_e32 v0, v[0:1]
	v_min3_f32 v16, v2, v0, v192
	ds_read_b128 v[28:31], v191 offset:5120
	ds_read_b128 v[20:23], v191 offset:5136
	ds_read_b128 v[24:27], v191 offset:6144
	ds_read_b128 v[12:15], v191 offset:6160
	ds_read_b128 v[0:3], v191 offset:7168
	ds_read_b128 v[4:7], v191 offset:7184
	ds_read_b128 v[148:151], v178 offset:12544
	ds_read_b128 v[144:147], v178 offset:12560
	ds_read_b128 v[140:143], v178 offset:12800
	ds_read_b128 v[136:139], v178 offset:12816
	ds_read_b128 v[132:135], v178 offset:13056
	ds_read_b128 v[128:131], v178 offset:13072
	ds_read_b128 v[124:127], v178 offset:13312
	ds_read_b128 v[120:123], v178 offset:13328
	ds_read_b128 v[116:119], v178 offset:13568
	ds_read_b128 v[112:115], v178 offset:13584
	ds_read_b128 v[108:111], v178 offset:13824
	ds_read_b128 v[104:107], v178 offset:13840
	ds_read_b128 v[100:103], v178 offset:14080
	ds_read_b128 v[96:99], v178 offset:14096
	ds_read_b128 v[92:95], v178 offset:14336
	ds_read_b128 v[88:91], v178 offset:14352
	ds_read_b128 v[84:87], v178 offset:14592
	ds_read_b128 v[80:83], v178 offset:14608
	ds_read_b128 v[76:79], v178 offset:14848
	ds_read_b128 v[72:75], v178 offset:14864
	ds_read_b128 v[68:71], v178 offset:15104
	ds_read_b128 v[64:67], v178 offset:15120
	ds_read_b128 v[60:63], v178 offset:15360
	ds_read_b128 v[56:59], v178 offset:15376
	ds_read_b128 v[52:55], v178 offset:15616
	ds_read_b128 v[48:51], v178 offset:15632
	ds_read_b128 v[44:47], v178 offset:15872
	ds_read_b128 v[40:43], v178 offset:15888
	v_add_f64 v[8:9], v[34:35], v[154:155]
	v_add_f64 v[10:11], v[32:33], v[152:153]
	v_cvt_f32_f64_e32 v10, v[10:11]
	v_cvt_f32_f64_e32 v8, v[8:9]
	v_add_u32_e32 v176, s19, v177
	s_addc_u32 s1, s3, s1
	v_min3_f32 v166, v10, v8, v16
	v_mad_i64_i32 v[8:9], s[2:3], v176, s5, 0
	v_lshl_add_u64 v[172:173], v[8:9], 3, s[0:1]
	ds_read_b128 v[8:11], v178 offset:16128
	ds_read_b128 v[16:19], v178 offset:16144
	v_add_u32_e32 v160, 32, v164
	v_mad_i64_i32 v[162:163], s[2:3], v176, s4, 0
	v_ashrrev_i32_e32 v165, 31, v164
	v_ashrrev_i32_e32 v161, 31, v160
	s_mov_b64 s[2:3], -1
	v_max_f32_e32 v166, v166, v166
	s_mov_b64 vcc, s[8:9]
	s_cbranch_vccz .LBB113_39
; %bb.38:
	v_min_f32_e32 v167, 0, v166
	v_cvt_f64_f32_e32 v[168:169], v167
	v_lshl_add_u64 v[170:171], v[164:165], 3, v[172:173]
	flat_store_dwordx2 v[170:171], v[168:169]
	s_mov_b64 s[2:3], 0
.LBB113_39:
	v_lshl_add_u64 v[174:175], v[162:163], 3, s[14:15]
	v_mov_b32_e32 v170, 0
	s_andn2_b64 vcc, exec, s[2:3]
	v_lshlrev_b64 v[168:169], 3, v[164:165]
	s_cbranch_vccnz .LBB113_41
; %bb.40:
	v_lshl_add_u64 v[162:163], v[174:175], 0, v[168:169]
	flat_load_dwordx2 v[162:163], v[162:163]
	v_lshl_add_u64 v[170:171], v[172:173], 0, v[168:169]
	s_waitcnt vmcnt(0) lgkmcnt(0)
	v_mul_f64 v[162:163], s[10:11], v[162:163]
	v_cvt_f32_f64_e32 v162, v[162:163]
	v_min_f32_e32 v162, v162, v166
	v_cvt_f64_f32_e32 v[162:163], v162
	flat_store_dwordx2 v[170:171], v[162:163]
	v_lshl_add_u64 v[162:163], v[160:161], 3, v[174:175]
	flat_load_dwordx2 v[162:163], v[162:163]
	s_waitcnt vmcnt(0) lgkmcnt(0)
	v_mul_f64 v[162:163], s[10:11], v[162:163]
	v_cvt_f32_f64_e32 v170, v[162:163]
.LBB113_41:
	s_waitcnt lgkmcnt(0)
	v_add_f64 v[162:163], v[30:31], v[158:159]
	v_add_f64 v[166:167], v[28:29], v[156:157]
	v_cvt_f32_f64_e32 v166, v[166:167]
	v_cvt_f32_f64_e32 v162, v[162:163]
	v_min3_f32 v171, v166, v162, v188
	v_add_f64 v[162:163], v[26:27], v[158:159]
	v_add_f64 v[166:167], v[24:25], v[156:157]
	v_cvt_f32_f64_e32 v166, v[166:167]
	v_cvt_f32_f64_e32 v162, v[162:163]
	v_min3_f32 v177, v166, v162, v190
	v_add_f64 v[162:163], v[22:23], v[154:155]
	v_add_f64 v[166:167], v[20:21], v[152:153]
	v_cvt_f32_f64_e32 v166, v[166:167]
	v_cvt_f32_f64_e32 v162, v[162:163]
	v_min_f32_e32 v178, v166, v162
	v_add_f64 v[162:163], v[14:15], v[154:155]
	v_add_f64 v[166:167], v[12:13], v[152:153]
	v_cvt_f32_f64_e32 v166, v[166:167]
	v_cvt_f32_f64_e32 v162, v[162:163]
	v_min3_f32 v170, v170, v178, v171
	v_min3_f32 v177, v166, v162, v177
	v_add_u32_e32 v166, 64, v164
	v_add_u32_e32 v162, 0x60, v164
	v_cvt_f64_f32_e32 v[170:171], v170
	v_lshl_add_u64 v[178:179], v[160:161], 3, v[172:173]
	v_ashrrev_i32_e32 v167, 31, v166
	v_ashrrev_i32_e32 v163, 31, v162
	flat_store_dwordx2 v[178:179], v[170:171]
	s_mov_b64 s[2:3], -1
	v_max_f32_e32 v178, v177, v177
	s_mov_b64 vcc, s[8:9]
	s_cbranch_vccz .LBB113_43
; %bb.42:
	v_min_f32_e32 v170, 0, v178
	v_cvt_f64_f32_e32 v[170:171], v170
	v_lshl_add_u64 v[180:181], v[166:167], 3, v[172:173]
	flat_store_dwordx2 v[180:181], v[170:171]
	s_mov_b64 s[2:3], 0
.LBB113_43:
	v_mov_b32_e32 v177, 0
	s_andn2_b64 vcc, exec, s[2:3]
	v_lshlrev_b64 v[170:171], 3, v[166:167]
	s_cbranch_vccnz .LBB113_45
; %bb.44:
	v_lshl_add_u64 v[180:181], v[174:175], 0, v[170:171]
	flat_load_dwordx2 v[180:181], v[180:181]
	v_lshl_add_u64 v[182:183], v[172:173], 0, v[170:171]
	v_lshl_add_u64 v[174:175], v[162:163], 3, v[174:175]
	s_waitcnt vmcnt(0) lgkmcnt(0)
	v_mul_f64 v[180:181], s[10:11], v[180:181]
	v_cvt_f32_f64_e32 v177, v[180:181]
	v_min_f32_e32 v177, v177, v178
	v_cvt_f64_f32_e32 v[178:179], v177
	flat_store_dwordx2 v[182:183], v[178:179]
	flat_load_dwordx2 v[174:175], v[174:175]
	s_waitcnt vmcnt(0) lgkmcnt(0)
	v_mul_f64 v[174:175], s[10:11], v[174:175]
	v_cvt_f32_f64_e32 v177, v[174:175]
.LBB113_45:
	v_add_f64 v[158:159], v[2:3], v[158:159]
	v_add_f64 v[156:157], v[0:1], v[156:157]
	v_cvt_f32_f64_e32 v156, v[156:157]
	v_cvt_f32_f64_e32 v157, v[158:159]
	v_add_f64 v[154:155], v[6:7], v[154:155]
	v_add_f64 v[152:153], v[4:5], v[152:153]
	v_min3_f32 v174, v156, v157, v189
	v_add_f64 v[156:157], v[38:39], v[150:151]
	v_add_f64 v[158:159], v[36:37], v[148:149]
	v_cvt_f32_f64_e32 v152, v[152:153]
	v_cvt_f32_f64_e32 v153, v[154:155]
	;; [unrolled: 1-line block ×4, first 2 shown]
	v_min_f32_e32 v157, v152, v153
	v_add_f64 v[152:153], v[34:35], v[146:147]
	v_add_f64 v[154:155], v[32:33], v[144:145]
	v_min3_f32 v156, v158, v156, v255
	v_cvt_f32_f64_e32 v154, v[154:155]
	v_cvt_f32_f64_e32 v152, v[152:153]
	v_min3_f32 v156, v154, v152, v156
	v_min3_f32 v152, v177, v157, v174
	v_cvt_f64_f32_e32 v[152:153], v152
	v_lshl_add_u64 v[154:155], v[162:163], 3, v[172:173]
	flat_store_dwordx2 v[154:155], v[152:153]
	v_add_u32_e32 v154, 8, v176
	v_mad_i64_i32 v[152:153], s[2:3], v154, s5, 0
	v_mad_i64_i32 v[154:155], s[2:3], v154, s4, 0
	v_lshl_add_u64 v[152:153], v[152:153], 3, s[0:1]
	s_mov_b64 s[2:3], -1
	v_max_f32_e32 v157, v156, v156
	s_mov_b64 vcc, s[8:9]
	s_cbranch_vccz .LBB113_47
; %bb.46:
	v_min_f32_e32 v156, 0, v157
	v_cvt_f64_f32_e32 v[158:159], v156
	v_lshl_add_u64 v[172:173], v[164:165], 3, v[152:153]
	flat_store_dwordx2 v[172:173], v[158:159]
	s_mov_b64 s[2:3], 0
.LBB113_47:
	v_lshl_add_u64 v[154:155], v[154:155], 3, s[14:15]
	s_andn2_b64 vcc, exec, s[2:3]
	v_mov_b32_e32 v156, 0
	s_cbranch_vccnz .LBB113_49
; %bb.48:
	v_lshl_add_u64 v[158:159], v[154:155], 0, v[168:169]
	flat_load_dwordx2 v[158:159], v[158:159]
	v_lshl_add_u64 v[172:173], v[152:153], 0, v[168:169]
	s_waitcnt vmcnt(0) lgkmcnt(0)
	v_mul_f64 v[158:159], s[10:11], v[158:159]
	v_cvt_f32_f64_e32 v156, v[158:159]
	v_min_f32_e32 v156, v156, v157
	v_cvt_f64_f32_e32 v[156:157], v156
	flat_store_dwordx2 v[172:173], v[156:157]
	v_lshl_add_u64 v[156:157], v[160:161], 3, v[154:155]
	flat_load_dwordx2 v[156:157], v[156:157]
	s_waitcnt vmcnt(0) lgkmcnt(0)
	v_mul_f64 v[156:157], s[10:11], v[156:157]
	v_cvt_f32_f64_e32 v156, v[156:157]
.LBB113_49:
	v_add_f64 v[158:159], v[30:31], v[150:151]
	v_add_f64 v[172:173], v[28:29], v[148:149]
	v_cvt_f32_f64_e32 v157, v[172:173]
	v_cvt_f32_f64_e32 v158, v[158:159]
	v_min3_f32 v157, v157, v158, v254
	v_add_f64 v[158:159], v[26:27], v[150:151]
	v_add_f64 v[172:173], v[24:25], v[148:149]
	v_cvt_f32_f64_e32 v172, v[172:173]
	v_cvt_f32_f64_e32 v158, v[158:159]
	v_min3_f32 v174, v172, v158, v253
	v_add_f64 v[158:159], v[22:23], v[146:147]
	v_add_f64 v[172:173], v[20:21], v[144:145]
	v_cvt_f32_f64_e32 v172, v[172:173]
	v_cvt_f32_f64_e32 v158, v[158:159]
	v_min_f32_e32 v175, v172, v158
	v_add_f64 v[158:159], v[14:15], v[146:147]
	v_add_f64 v[172:173], v[12:13], v[144:145]
	v_cvt_f32_f64_e32 v172, v[172:173]
	v_cvt_f32_f64_e32 v158, v[158:159]
	v_min3_f32 v156, v156, v175, v157
	v_min3_f32 v172, v172, v158, v174
	v_cvt_f64_f32_e32 v[156:157], v156
	v_lshl_add_u64 v[158:159], v[160:161], 3, v[152:153]
	flat_store_dwordx2 v[158:159], v[156:157]
	s_mov_b64 s[2:3], -1
	v_max_f32_e32 v157, v172, v172
	s_mov_b64 vcc, s[8:9]
	s_cbranch_vccz .LBB113_51
; %bb.50:
	v_min_f32_e32 v156, 0, v157
	v_cvt_f64_f32_e32 v[158:159], v156
	v_lshl_add_u64 v[172:173], v[166:167], 3, v[152:153]
	flat_store_dwordx2 v[172:173], v[158:159]
	s_mov_b64 s[2:3], 0
.LBB113_51:
	s_andn2_b64 vcc, exec, s[2:3]
	v_mov_b32_e32 v156, 0
	s_cbranch_vccnz .LBB113_53
; %bb.52:
	v_lshl_add_u64 v[158:159], v[154:155], 0, v[170:171]
	flat_load_dwordx2 v[158:159], v[158:159]
	v_lshl_add_u64 v[172:173], v[152:153], 0, v[170:171]
	v_lshl_add_u64 v[154:155], v[162:163], 3, v[154:155]
	s_waitcnt vmcnt(0) lgkmcnt(0)
	v_mul_f64 v[158:159], s[10:11], v[158:159]
	v_cvt_f32_f64_e32 v156, v[158:159]
	v_min_f32_e32 v156, v156, v157
	v_cvt_f64_f32_e32 v[156:157], v156
	flat_store_dwordx2 v[172:173], v[156:157]
	flat_load_dwordx2 v[154:155], v[154:155]
	s_waitcnt vmcnt(0) lgkmcnt(0)
	v_mul_f64 v[154:155], s[10:11], v[154:155]
	v_cvt_f32_f64_e32 v156, v[154:155]
.LBB113_53:
	v_add_f64 v[150:151], v[2:3], v[150:151]
	v_add_f64 v[148:149], v[0:1], v[148:149]
	v_cvt_f32_f64_e32 v148, v[148:149]
	v_cvt_f32_f64_e32 v149, v[150:151]
	v_add_f64 v[146:147], v[6:7], v[146:147]
	v_add_f64 v[144:145], v[4:5], v[144:145]
	v_min3_f32 v154, v148, v149, v249
	v_add_f64 v[148:149], v[38:39], v[142:143]
	v_add_f64 v[150:151], v[36:37], v[140:141]
	v_cvt_f32_f64_e32 v144, v[144:145]
	v_cvt_f32_f64_e32 v145, v[146:147]
	;; [unrolled: 1-line block ×4, first 2 shown]
	v_min_f32_e32 v149, v144, v145
	v_add_f64 v[144:145], v[34:35], v[138:139]
	v_add_f64 v[146:147], v[32:33], v[136:137]
	v_min3_f32 v148, v150, v148, v248
	v_cvt_f32_f64_e32 v146, v[146:147]
	v_cvt_f32_f64_e32 v144, v[144:145]
	v_min3_f32 v148, v146, v144, v148
	v_min3_f32 v144, v156, v149, v154
	v_cvt_f64_f32_e32 v[144:145], v144
	v_lshl_add_u64 v[146:147], v[162:163], 3, v[152:153]
	flat_store_dwordx2 v[146:147], v[144:145]
	v_add_u32_e32 v146, 16, v176
	v_mad_i64_i32 v[144:145], s[2:3], v146, s5, 0
	v_mad_i64_i32 v[146:147], s[2:3], v146, s4, 0
	v_lshl_add_u64 v[144:145], v[144:145], 3, s[0:1]
	s_mov_b64 s[2:3], -1
	v_max_f32_e32 v149, v148, v148
	s_mov_b64 vcc, s[8:9]
	s_cbranch_vccz .LBB113_55
; %bb.54:
	v_min_f32_e32 v148, 0, v149
	v_cvt_f64_f32_e32 v[150:151], v148
	v_lshl_add_u64 v[152:153], v[164:165], 3, v[144:145]
	flat_store_dwordx2 v[152:153], v[150:151]
	s_mov_b64 s[2:3], 0
.LBB113_55:
	v_lshl_add_u64 v[146:147], v[146:147], 3, s[14:15]
	s_andn2_b64 vcc, exec, s[2:3]
	v_mov_b32_e32 v148, 0
	s_cbranch_vccnz .LBB113_57
; %bb.56:
	v_lshl_add_u64 v[150:151], v[146:147], 0, v[168:169]
	flat_load_dwordx2 v[150:151], v[150:151]
	v_lshl_add_u64 v[152:153], v[144:145], 0, v[168:169]
	s_waitcnt vmcnt(0) lgkmcnt(0)
	v_mul_f64 v[150:151], s[10:11], v[150:151]
	v_cvt_f32_f64_e32 v148, v[150:151]
	v_min_f32_e32 v148, v148, v149
	v_cvt_f64_f32_e32 v[148:149], v148
	flat_store_dwordx2 v[152:153], v[148:149]
	v_lshl_add_u64 v[148:149], v[160:161], 3, v[146:147]
	flat_load_dwordx2 v[148:149], v[148:149]
	s_waitcnt vmcnt(0) lgkmcnt(0)
	v_mul_f64 v[148:149], s[10:11], v[148:149]
	v_cvt_f32_f64_e32 v148, v[148:149]
.LBB113_57:
	v_add_f64 v[150:151], v[30:31], v[142:143]
	v_add_f64 v[152:153], v[28:29], v[140:141]
	v_cvt_f32_f64_e32 v149, v[152:153]
	v_cvt_f32_f64_e32 v150, v[150:151]
	v_min3_f32 v149, v149, v150, v247
	v_add_f64 v[150:151], v[26:27], v[142:143]
	v_add_f64 v[152:153], v[24:25], v[140:141]
	v_cvt_f32_f64_e32 v152, v[152:153]
	v_cvt_f32_f64_e32 v150, v[150:151]
	v_min3_f32 v154, v152, v150, v246
	v_add_f64 v[150:151], v[22:23], v[138:139]
	v_add_f64 v[152:153], v[20:21], v[136:137]
	v_cvt_f32_f64_e32 v152, v[152:153]
	v_cvt_f32_f64_e32 v150, v[150:151]
	v_min_f32_e32 v155, v152, v150
	v_add_f64 v[150:151], v[14:15], v[138:139]
	v_add_f64 v[152:153], v[12:13], v[136:137]
	v_cvt_f32_f64_e32 v152, v[152:153]
	v_cvt_f32_f64_e32 v150, v[150:151]
	v_min3_f32 v148, v148, v155, v149
	v_min3_f32 v152, v152, v150, v154
	v_cvt_f64_f32_e32 v[148:149], v148
	v_lshl_add_u64 v[150:151], v[160:161], 3, v[144:145]
	flat_store_dwordx2 v[150:151], v[148:149]
	s_mov_b64 s[2:3], -1
	v_max_f32_e32 v149, v152, v152
	s_mov_b64 vcc, s[8:9]
	s_cbranch_vccz .LBB113_59
; %bb.58:
	v_min_f32_e32 v148, 0, v149
	v_cvt_f64_f32_e32 v[150:151], v148
	v_lshl_add_u64 v[152:153], v[166:167], 3, v[144:145]
	flat_store_dwordx2 v[152:153], v[150:151]
	s_mov_b64 s[2:3], 0
.LBB113_59:
	s_andn2_b64 vcc, exec, s[2:3]
	v_mov_b32_e32 v148, 0
	s_cbranch_vccnz .LBB113_61
; %bb.60:
	v_lshl_add_u64 v[150:151], v[146:147], 0, v[170:171]
	flat_load_dwordx2 v[150:151], v[150:151]
	v_lshl_add_u64 v[152:153], v[144:145], 0, v[170:171]
	v_lshl_add_u64 v[146:147], v[162:163], 3, v[146:147]
	s_waitcnt vmcnt(0) lgkmcnt(0)
	v_mul_f64 v[150:151], s[10:11], v[150:151]
	v_cvt_f32_f64_e32 v148, v[150:151]
	v_min_f32_e32 v148, v148, v149
	v_cvt_f64_f32_e32 v[148:149], v148
	flat_store_dwordx2 v[152:153], v[148:149]
	flat_load_dwordx2 v[146:147], v[146:147]
	s_waitcnt vmcnt(0) lgkmcnt(0)
	v_mul_f64 v[146:147], s[10:11], v[146:147]
	v_cvt_f32_f64_e32 v148, v[146:147]
.LBB113_61:
	v_add_f64 v[142:143], v[2:3], v[142:143]
	v_add_f64 v[140:141], v[0:1], v[140:141]
	v_cvt_f32_f64_e32 v140, v[140:141]
	v_cvt_f32_f64_e32 v141, v[142:143]
	v_add_f64 v[138:139], v[6:7], v[138:139]
	v_add_f64 v[136:137], v[4:5], v[136:137]
	v_min3_f32 v146, v140, v141, v245
	v_add_f64 v[140:141], v[38:39], v[134:135]
	v_add_f64 v[142:143], v[36:37], v[132:133]
	v_cvt_f32_f64_e32 v136, v[136:137]
	v_cvt_f32_f64_e32 v137, v[138:139]
	;; [unrolled: 1-line block ×4, first 2 shown]
	v_min_f32_e32 v141, v136, v137
	v_add_f64 v[136:137], v[34:35], v[130:131]
	v_add_f64 v[138:139], v[32:33], v[128:129]
	v_min3_f32 v140, v142, v140, v244
	v_cvt_f32_f64_e32 v138, v[138:139]
	v_cvt_f32_f64_e32 v136, v[136:137]
	v_min3_f32 v140, v138, v136, v140
	v_min3_f32 v136, v148, v141, v146
	v_cvt_f64_f32_e32 v[136:137], v136
	v_lshl_add_u64 v[138:139], v[162:163], 3, v[144:145]
	flat_store_dwordx2 v[138:139], v[136:137]
	v_add_u32_e32 v138, 24, v176
	v_mad_i64_i32 v[136:137], s[2:3], v138, s5, 0
	v_mad_i64_i32 v[138:139], s[2:3], v138, s4, 0
	v_lshl_add_u64 v[136:137], v[136:137], 3, s[0:1]
	s_mov_b64 s[2:3], -1
	v_max_f32_e32 v141, v140, v140
	s_mov_b64 vcc, s[8:9]
	s_cbranch_vccz .LBB113_63
; %bb.62:
	v_min_f32_e32 v140, 0, v141
	v_cvt_f64_f32_e32 v[142:143], v140
	v_lshl_add_u64 v[144:145], v[164:165], 3, v[136:137]
	flat_store_dwordx2 v[144:145], v[142:143]
	s_mov_b64 s[2:3], 0
.LBB113_63:
	v_lshl_add_u64 v[138:139], v[138:139], 3, s[14:15]
	s_andn2_b64 vcc, exec, s[2:3]
	v_mov_b32_e32 v140, 0
	s_cbranch_vccnz .LBB113_65
; %bb.64:
	v_lshl_add_u64 v[142:143], v[138:139], 0, v[168:169]
	flat_load_dwordx2 v[142:143], v[142:143]
	v_lshl_add_u64 v[144:145], v[136:137], 0, v[168:169]
	s_waitcnt vmcnt(0) lgkmcnt(0)
	v_mul_f64 v[142:143], s[10:11], v[142:143]
	v_cvt_f32_f64_e32 v140, v[142:143]
	v_min_f32_e32 v140, v140, v141
	v_cvt_f64_f32_e32 v[140:141], v140
	flat_store_dwordx2 v[144:145], v[140:141]
	v_lshl_add_u64 v[140:141], v[160:161], 3, v[138:139]
	flat_load_dwordx2 v[140:141], v[140:141]
	s_waitcnt vmcnt(0) lgkmcnt(0)
	v_mul_f64 v[140:141], s[10:11], v[140:141]
	v_cvt_f32_f64_e32 v140, v[140:141]
.LBB113_65:
	v_add_f64 v[142:143], v[30:31], v[134:135]
	v_add_f64 v[144:145], v[28:29], v[132:133]
	v_cvt_f32_f64_e32 v141, v[144:145]
	v_cvt_f32_f64_e32 v142, v[142:143]
	v_min3_f32 v141, v141, v142, v243
	v_add_f64 v[142:143], v[26:27], v[134:135]
	v_add_f64 v[144:145], v[24:25], v[132:133]
	v_cvt_f32_f64_e32 v144, v[144:145]
	v_cvt_f32_f64_e32 v142, v[142:143]
	v_min3_f32 v146, v144, v142, v242
	v_add_f64 v[142:143], v[22:23], v[130:131]
	v_add_f64 v[144:145], v[20:21], v[128:129]
	v_cvt_f32_f64_e32 v144, v[144:145]
	v_cvt_f32_f64_e32 v142, v[142:143]
	v_min_f32_e32 v147, v144, v142
	v_add_f64 v[142:143], v[14:15], v[130:131]
	v_add_f64 v[144:145], v[12:13], v[128:129]
	v_cvt_f32_f64_e32 v144, v[144:145]
	v_cvt_f32_f64_e32 v142, v[142:143]
	v_min3_f32 v140, v140, v147, v141
	v_min3_f32 v144, v144, v142, v146
	v_cvt_f64_f32_e32 v[140:141], v140
	v_lshl_add_u64 v[142:143], v[160:161], 3, v[136:137]
	flat_store_dwordx2 v[142:143], v[140:141]
	s_mov_b64 s[2:3], -1
	v_max_f32_e32 v141, v144, v144
	s_mov_b64 vcc, s[8:9]
	s_cbranch_vccz .LBB113_67
; %bb.66:
	v_min_f32_e32 v140, 0, v141
	v_cvt_f64_f32_e32 v[142:143], v140
	v_lshl_add_u64 v[144:145], v[166:167], 3, v[136:137]
	flat_store_dwordx2 v[144:145], v[142:143]
	s_mov_b64 s[2:3], 0
.LBB113_67:
	s_andn2_b64 vcc, exec, s[2:3]
	v_mov_b32_e32 v140, 0
	s_cbranch_vccnz .LBB113_69
; %bb.68:
	v_lshl_add_u64 v[142:143], v[138:139], 0, v[170:171]
	flat_load_dwordx2 v[142:143], v[142:143]
	v_lshl_add_u64 v[144:145], v[136:137], 0, v[170:171]
	v_lshl_add_u64 v[138:139], v[162:163], 3, v[138:139]
	s_waitcnt vmcnt(0) lgkmcnt(0)
	v_mul_f64 v[142:143], s[10:11], v[142:143]
	v_cvt_f32_f64_e32 v140, v[142:143]
	v_min_f32_e32 v140, v140, v141
	v_cvt_f64_f32_e32 v[140:141], v140
	flat_store_dwordx2 v[144:145], v[140:141]
	flat_load_dwordx2 v[138:139], v[138:139]
	s_waitcnt vmcnt(0) lgkmcnt(0)
	v_mul_f64 v[138:139], s[10:11], v[138:139]
	v_cvt_f32_f64_e32 v140, v[138:139]
.LBB113_69:
	v_add_f64 v[134:135], v[2:3], v[134:135]
	v_add_f64 v[132:133], v[0:1], v[132:133]
	v_cvt_f32_f64_e32 v132, v[132:133]
	v_cvt_f32_f64_e32 v133, v[134:135]
	v_add_f64 v[130:131], v[6:7], v[130:131]
	v_add_f64 v[128:129], v[4:5], v[128:129]
	v_min3_f32 v138, v132, v133, v241
	v_add_f64 v[132:133], v[38:39], v[126:127]
	v_add_f64 v[134:135], v[36:37], v[124:125]
	v_cvt_f32_f64_e32 v128, v[128:129]
	v_cvt_f32_f64_e32 v129, v[130:131]
	;; [unrolled: 1-line block ×4, first 2 shown]
	v_min_f32_e32 v133, v128, v129
	v_add_f64 v[128:129], v[34:35], v[122:123]
	v_add_f64 v[130:131], v[32:33], v[120:121]
	v_min3_f32 v132, v134, v132, v240
	v_cvt_f32_f64_e32 v130, v[130:131]
	v_cvt_f32_f64_e32 v128, v[128:129]
	v_min3_f32 v132, v130, v128, v132
	v_min3_f32 v128, v140, v133, v138
	v_cvt_f64_f32_e32 v[128:129], v128
	v_lshl_add_u64 v[130:131], v[162:163], 3, v[136:137]
	flat_store_dwordx2 v[130:131], v[128:129]
	v_add_u32_e32 v130, 32, v176
	v_mad_i64_i32 v[128:129], s[2:3], v130, s5, 0
	v_mad_i64_i32 v[130:131], s[2:3], v130, s4, 0
	v_lshl_add_u64 v[128:129], v[128:129], 3, s[0:1]
	s_mov_b64 s[2:3], -1
	v_max_f32_e32 v133, v132, v132
	s_mov_b64 vcc, s[8:9]
	s_cbranch_vccz .LBB113_71
; %bb.70:
	v_min_f32_e32 v132, 0, v133
	v_cvt_f64_f32_e32 v[134:135], v132
	v_lshl_add_u64 v[136:137], v[164:165], 3, v[128:129]
	flat_store_dwordx2 v[136:137], v[134:135]
	s_mov_b64 s[2:3], 0
.LBB113_71:
	v_lshl_add_u64 v[130:131], v[130:131], 3, s[14:15]
	s_andn2_b64 vcc, exec, s[2:3]
	v_mov_b32_e32 v132, 0
	s_cbranch_vccnz .LBB113_73
; %bb.72:
	v_lshl_add_u64 v[134:135], v[130:131], 0, v[168:169]
	flat_load_dwordx2 v[134:135], v[134:135]
	v_lshl_add_u64 v[136:137], v[128:129], 0, v[168:169]
	s_waitcnt vmcnt(0) lgkmcnt(0)
	v_mul_f64 v[134:135], s[10:11], v[134:135]
	v_cvt_f32_f64_e32 v132, v[134:135]
	v_min_f32_e32 v132, v132, v133
	v_cvt_f64_f32_e32 v[132:133], v132
	flat_store_dwordx2 v[136:137], v[132:133]
	v_lshl_add_u64 v[132:133], v[160:161], 3, v[130:131]
	flat_load_dwordx2 v[132:133], v[132:133]
	s_waitcnt vmcnt(0) lgkmcnt(0)
	v_mul_f64 v[132:133], s[10:11], v[132:133]
	v_cvt_f32_f64_e32 v132, v[132:133]
.LBB113_73:
	v_add_f64 v[134:135], v[30:31], v[126:127]
	v_add_f64 v[136:137], v[28:29], v[124:125]
	v_cvt_f32_f64_e32 v133, v[136:137]
	v_cvt_f32_f64_e32 v134, v[134:135]
	v_min3_f32 v133, v133, v134, v239
	v_add_f64 v[134:135], v[26:27], v[126:127]
	v_add_f64 v[136:137], v[24:25], v[124:125]
	v_cvt_f32_f64_e32 v136, v[136:137]
	v_cvt_f32_f64_e32 v134, v[134:135]
	v_min3_f32 v138, v136, v134, v238
	v_add_f64 v[134:135], v[22:23], v[122:123]
	v_add_f64 v[136:137], v[20:21], v[120:121]
	v_cvt_f32_f64_e32 v136, v[136:137]
	v_cvt_f32_f64_e32 v134, v[134:135]
	v_min_f32_e32 v139, v136, v134
	v_add_f64 v[134:135], v[14:15], v[122:123]
	v_add_f64 v[136:137], v[12:13], v[120:121]
	v_cvt_f32_f64_e32 v136, v[136:137]
	v_cvt_f32_f64_e32 v134, v[134:135]
	v_min3_f32 v132, v132, v139, v133
	v_min3_f32 v136, v136, v134, v138
	v_cvt_f64_f32_e32 v[132:133], v132
	v_lshl_add_u64 v[134:135], v[160:161], 3, v[128:129]
	flat_store_dwordx2 v[134:135], v[132:133]
	s_mov_b64 s[2:3], -1
	v_max_f32_e32 v133, v136, v136
	s_mov_b64 vcc, s[8:9]
	s_cbranch_vccz .LBB113_75
; %bb.74:
	v_min_f32_e32 v132, 0, v133
	v_cvt_f64_f32_e32 v[134:135], v132
	v_lshl_add_u64 v[136:137], v[166:167], 3, v[128:129]
	flat_store_dwordx2 v[136:137], v[134:135]
	s_mov_b64 s[2:3], 0
.LBB113_75:
	s_andn2_b64 vcc, exec, s[2:3]
	v_mov_b32_e32 v132, 0
	s_cbranch_vccnz .LBB113_77
; %bb.76:
	v_lshl_add_u64 v[134:135], v[130:131], 0, v[170:171]
	flat_load_dwordx2 v[134:135], v[134:135]
	v_lshl_add_u64 v[136:137], v[128:129], 0, v[170:171]
	v_lshl_add_u64 v[130:131], v[162:163], 3, v[130:131]
	s_waitcnt vmcnt(0) lgkmcnt(0)
	v_mul_f64 v[134:135], s[10:11], v[134:135]
	v_cvt_f32_f64_e32 v132, v[134:135]
	v_min_f32_e32 v132, v132, v133
	v_cvt_f64_f32_e32 v[132:133], v132
	flat_store_dwordx2 v[136:137], v[132:133]
	flat_load_dwordx2 v[130:131], v[130:131]
	s_waitcnt vmcnt(0) lgkmcnt(0)
	v_mul_f64 v[130:131], s[10:11], v[130:131]
	v_cvt_f32_f64_e32 v132, v[130:131]
.LBB113_77:
	v_add_f64 v[126:127], v[2:3], v[126:127]
	v_add_f64 v[124:125], v[0:1], v[124:125]
	v_cvt_f32_f64_e32 v124, v[124:125]
	v_cvt_f32_f64_e32 v125, v[126:127]
	v_add_f64 v[122:123], v[6:7], v[122:123]
	v_add_f64 v[120:121], v[4:5], v[120:121]
	v_min3_f32 v130, v124, v125, v237
	v_add_f64 v[124:125], v[38:39], v[118:119]
	v_add_f64 v[126:127], v[36:37], v[116:117]
	v_cvt_f32_f64_e32 v120, v[120:121]
	v_cvt_f32_f64_e32 v121, v[122:123]
	;; [unrolled: 1-line block ×4, first 2 shown]
	v_min_f32_e32 v125, v120, v121
	v_add_f64 v[120:121], v[34:35], v[114:115]
	v_add_f64 v[122:123], v[32:33], v[112:113]
	v_min3_f32 v124, v126, v124, v236
	v_cvt_f32_f64_e32 v122, v[122:123]
	v_cvt_f32_f64_e32 v120, v[120:121]
	v_min3_f32 v124, v122, v120, v124
	v_min3_f32 v120, v132, v125, v130
	v_cvt_f64_f32_e32 v[120:121], v120
	v_lshl_add_u64 v[122:123], v[162:163], 3, v[128:129]
	flat_store_dwordx2 v[122:123], v[120:121]
	v_add_u32_e32 v122, 40, v176
	v_mad_i64_i32 v[120:121], s[2:3], v122, s5, 0
	v_mad_i64_i32 v[122:123], s[2:3], v122, s4, 0
	v_lshl_add_u64 v[120:121], v[120:121], 3, s[0:1]
	s_mov_b64 s[2:3], -1
	v_max_f32_e32 v125, v124, v124
	s_mov_b64 vcc, s[8:9]
	s_cbranch_vccz .LBB113_79
; %bb.78:
	v_min_f32_e32 v124, 0, v125
	v_cvt_f64_f32_e32 v[126:127], v124
	v_lshl_add_u64 v[128:129], v[164:165], 3, v[120:121]
	flat_store_dwordx2 v[128:129], v[126:127]
	s_mov_b64 s[2:3], 0
.LBB113_79:
	v_lshl_add_u64 v[122:123], v[122:123], 3, s[14:15]
	s_andn2_b64 vcc, exec, s[2:3]
	v_mov_b32_e32 v124, 0
	s_cbranch_vccnz .LBB113_81
; %bb.80:
	v_lshl_add_u64 v[126:127], v[122:123], 0, v[168:169]
	flat_load_dwordx2 v[126:127], v[126:127]
	v_lshl_add_u64 v[128:129], v[120:121], 0, v[168:169]
	s_waitcnt vmcnt(0) lgkmcnt(0)
	v_mul_f64 v[126:127], s[10:11], v[126:127]
	v_cvt_f32_f64_e32 v124, v[126:127]
	v_min_f32_e32 v124, v124, v125
	v_cvt_f64_f32_e32 v[124:125], v124
	flat_store_dwordx2 v[128:129], v[124:125]
	v_lshl_add_u64 v[124:125], v[160:161], 3, v[122:123]
	flat_load_dwordx2 v[124:125], v[124:125]
	s_waitcnt vmcnt(0) lgkmcnt(0)
	v_mul_f64 v[124:125], s[10:11], v[124:125]
	v_cvt_f32_f64_e32 v124, v[124:125]
.LBB113_81:
	v_add_f64 v[126:127], v[30:31], v[118:119]
	v_add_f64 v[128:129], v[28:29], v[116:117]
	v_cvt_f32_f64_e32 v125, v[128:129]
	v_cvt_f32_f64_e32 v126, v[126:127]
	v_min3_f32 v125, v125, v126, v235
	v_add_f64 v[126:127], v[26:27], v[118:119]
	v_add_f64 v[128:129], v[24:25], v[116:117]
	v_cvt_f32_f64_e32 v128, v[128:129]
	v_cvt_f32_f64_e32 v126, v[126:127]
	v_min3_f32 v130, v128, v126, v234
	v_add_f64 v[126:127], v[22:23], v[114:115]
	v_add_f64 v[128:129], v[20:21], v[112:113]
	v_cvt_f32_f64_e32 v128, v[128:129]
	v_cvt_f32_f64_e32 v126, v[126:127]
	v_min_f32_e32 v131, v128, v126
	v_add_f64 v[126:127], v[14:15], v[114:115]
	v_add_f64 v[128:129], v[12:13], v[112:113]
	v_cvt_f32_f64_e32 v128, v[128:129]
	v_cvt_f32_f64_e32 v126, v[126:127]
	v_min3_f32 v124, v124, v131, v125
	v_min3_f32 v128, v128, v126, v130
	v_cvt_f64_f32_e32 v[124:125], v124
	v_lshl_add_u64 v[126:127], v[160:161], 3, v[120:121]
	flat_store_dwordx2 v[126:127], v[124:125]
	s_mov_b64 s[2:3], -1
	v_max_f32_e32 v125, v128, v128
	s_mov_b64 vcc, s[8:9]
	s_cbranch_vccz .LBB113_83
; %bb.82:
	v_min_f32_e32 v124, 0, v125
	v_cvt_f64_f32_e32 v[126:127], v124
	v_lshl_add_u64 v[128:129], v[166:167], 3, v[120:121]
	flat_store_dwordx2 v[128:129], v[126:127]
	s_mov_b64 s[2:3], 0
.LBB113_83:
	s_andn2_b64 vcc, exec, s[2:3]
	v_mov_b32_e32 v124, 0
	s_cbranch_vccnz .LBB113_85
; %bb.84:
	v_lshl_add_u64 v[126:127], v[122:123], 0, v[170:171]
	flat_load_dwordx2 v[126:127], v[126:127]
	v_lshl_add_u64 v[128:129], v[120:121], 0, v[170:171]
	v_lshl_add_u64 v[122:123], v[162:163], 3, v[122:123]
	s_waitcnt vmcnt(0) lgkmcnt(0)
	v_mul_f64 v[126:127], s[10:11], v[126:127]
	v_cvt_f32_f64_e32 v124, v[126:127]
	v_min_f32_e32 v124, v124, v125
	v_cvt_f64_f32_e32 v[124:125], v124
	flat_store_dwordx2 v[128:129], v[124:125]
	flat_load_dwordx2 v[122:123], v[122:123]
	s_waitcnt vmcnt(0) lgkmcnt(0)
	v_mul_f64 v[122:123], s[10:11], v[122:123]
	v_cvt_f32_f64_e32 v124, v[122:123]
.LBB113_85:
	v_add_f64 v[118:119], v[2:3], v[118:119]
	v_add_f64 v[116:117], v[0:1], v[116:117]
	v_cvt_f32_f64_e32 v116, v[116:117]
	v_cvt_f32_f64_e32 v117, v[118:119]
	v_add_f64 v[114:115], v[6:7], v[114:115]
	v_add_f64 v[112:113], v[4:5], v[112:113]
	v_min3_f32 v122, v116, v117, v233
	v_add_f64 v[116:117], v[38:39], v[110:111]
	v_add_f64 v[118:119], v[36:37], v[108:109]
	v_cvt_f32_f64_e32 v112, v[112:113]
	v_cvt_f32_f64_e32 v113, v[114:115]
	;; [unrolled: 1-line block ×4, first 2 shown]
	v_min_f32_e32 v117, v112, v113
	v_add_f64 v[112:113], v[34:35], v[106:107]
	v_add_f64 v[114:115], v[32:33], v[104:105]
	v_min3_f32 v116, v118, v116, v232
	v_cvt_f32_f64_e32 v114, v[114:115]
	v_cvt_f32_f64_e32 v112, v[112:113]
	v_min3_f32 v116, v114, v112, v116
	v_min3_f32 v112, v124, v117, v122
	v_cvt_f64_f32_e32 v[112:113], v112
	v_lshl_add_u64 v[114:115], v[162:163], 3, v[120:121]
	flat_store_dwordx2 v[114:115], v[112:113]
	v_add_u32_e32 v114, 48, v176
	v_mad_i64_i32 v[112:113], s[2:3], v114, s5, 0
	v_mad_i64_i32 v[114:115], s[2:3], v114, s4, 0
	v_lshl_add_u64 v[112:113], v[112:113], 3, s[0:1]
	s_mov_b64 s[2:3], -1
	v_max_f32_e32 v117, v116, v116
	s_mov_b64 vcc, s[8:9]
	s_cbranch_vccz .LBB113_87
; %bb.86:
	v_min_f32_e32 v116, 0, v117
	v_cvt_f64_f32_e32 v[118:119], v116
	v_lshl_add_u64 v[120:121], v[164:165], 3, v[112:113]
	flat_store_dwordx2 v[120:121], v[118:119]
	s_mov_b64 s[2:3], 0
.LBB113_87:
	v_lshl_add_u64 v[114:115], v[114:115], 3, s[14:15]
	s_andn2_b64 vcc, exec, s[2:3]
	v_mov_b32_e32 v116, 0
	s_cbranch_vccnz .LBB113_89
; %bb.88:
	v_lshl_add_u64 v[118:119], v[114:115], 0, v[168:169]
	flat_load_dwordx2 v[118:119], v[118:119]
	v_lshl_add_u64 v[120:121], v[112:113], 0, v[168:169]
	s_waitcnt vmcnt(0) lgkmcnt(0)
	v_mul_f64 v[118:119], s[10:11], v[118:119]
	v_cvt_f32_f64_e32 v116, v[118:119]
	v_min_f32_e32 v116, v116, v117
	v_cvt_f64_f32_e32 v[116:117], v116
	flat_store_dwordx2 v[120:121], v[116:117]
	v_lshl_add_u64 v[116:117], v[160:161], 3, v[114:115]
	flat_load_dwordx2 v[116:117], v[116:117]
	s_waitcnt vmcnt(0) lgkmcnt(0)
	v_mul_f64 v[116:117], s[10:11], v[116:117]
	v_cvt_f32_f64_e32 v116, v[116:117]
.LBB113_89:
	v_add_f64 v[118:119], v[30:31], v[110:111]
	v_add_f64 v[120:121], v[28:29], v[108:109]
	v_cvt_f32_f64_e32 v117, v[120:121]
	v_cvt_f32_f64_e32 v118, v[118:119]
	v_min3_f32 v117, v117, v118, v231
	v_add_f64 v[118:119], v[26:27], v[110:111]
	v_add_f64 v[120:121], v[24:25], v[108:109]
	v_cvt_f32_f64_e32 v120, v[120:121]
	v_cvt_f32_f64_e32 v118, v[118:119]
	v_min3_f32 v122, v120, v118, v230
	v_add_f64 v[118:119], v[22:23], v[106:107]
	v_add_f64 v[120:121], v[20:21], v[104:105]
	v_cvt_f32_f64_e32 v120, v[120:121]
	v_cvt_f32_f64_e32 v118, v[118:119]
	v_min_f32_e32 v123, v120, v118
	v_add_f64 v[118:119], v[14:15], v[106:107]
	v_add_f64 v[120:121], v[12:13], v[104:105]
	v_cvt_f32_f64_e32 v120, v[120:121]
	v_cvt_f32_f64_e32 v118, v[118:119]
	v_min3_f32 v116, v116, v123, v117
	v_min3_f32 v120, v120, v118, v122
	v_cvt_f64_f32_e32 v[116:117], v116
	v_lshl_add_u64 v[118:119], v[160:161], 3, v[112:113]
	flat_store_dwordx2 v[118:119], v[116:117]
	s_mov_b64 s[2:3], -1
	v_max_f32_e32 v117, v120, v120
	s_mov_b64 vcc, s[8:9]
	s_cbranch_vccz .LBB113_91
; %bb.90:
	v_min_f32_e32 v116, 0, v117
	v_cvt_f64_f32_e32 v[118:119], v116
	v_lshl_add_u64 v[120:121], v[166:167], 3, v[112:113]
	flat_store_dwordx2 v[120:121], v[118:119]
	s_mov_b64 s[2:3], 0
.LBB113_91:
	s_andn2_b64 vcc, exec, s[2:3]
	v_mov_b32_e32 v116, 0
	s_cbranch_vccnz .LBB113_93
; %bb.92:
	v_lshl_add_u64 v[118:119], v[114:115], 0, v[170:171]
	flat_load_dwordx2 v[118:119], v[118:119]
	v_lshl_add_u64 v[120:121], v[112:113], 0, v[170:171]
	v_lshl_add_u64 v[114:115], v[162:163], 3, v[114:115]
	s_waitcnt vmcnt(0) lgkmcnt(0)
	v_mul_f64 v[118:119], s[10:11], v[118:119]
	v_cvt_f32_f64_e32 v116, v[118:119]
	v_min_f32_e32 v116, v116, v117
	v_cvt_f64_f32_e32 v[116:117], v116
	flat_store_dwordx2 v[120:121], v[116:117]
	flat_load_dwordx2 v[114:115], v[114:115]
	s_waitcnt vmcnt(0) lgkmcnt(0)
	v_mul_f64 v[114:115], s[10:11], v[114:115]
	v_cvt_f32_f64_e32 v116, v[114:115]
.LBB113_93:
	v_add_f64 v[110:111], v[2:3], v[110:111]
	v_add_f64 v[108:109], v[0:1], v[108:109]
	v_cvt_f32_f64_e32 v108, v[108:109]
	v_cvt_f32_f64_e32 v109, v[110:111]
	v_add_f64 v[106:107], v[6:7], v[106:107]
	v_add_f64 v[104:105], v[4:5], v[104:105]
	v_min3_f32 v114, v108, v109, v229
	v_add_f64 v[108:109], v[38:39], v[102:103]
	v_add_f64 v[110:111], v[36:37], v[100:101]
	v_cvt_f32_f64_e32 v104, v[104:105]
	v_cvt_f32_f64_e32 v105, v[106:107]
	;; [unrolled: 1-line block ×4, first 2 shown]
	v_min_f32_e32 v109, v104, v105
	v_add_f64 v[104:105], v[34:35], v[98:99]
	v_add_f64 v[106:107], v[32:33], v[96:97]
	v_min3_f32 v108, v110, v108, v228
	v_cvt_f32_f64_e32 v106, v[106:107]
	v_cvt_f32_f64_e32 v104, v[104:105]
	v_min3_f32 v108, v106, v104, v108
	v_min3_f32 v104, v116, v109, v114
	v_cvt_f64_f32_e32 v[104:105], v104
	v_lshl_add_u64 v[106:107], v[162:163], 3, v[112:113]
	flat_store_dwordx2 v[106:107], v[104:105]
	v_add_u32_e32 v106, 56, v176
	v_mad_i64_i32 v[104:105], s[2:3], v106, s5, 0
	v_mad_i64_i32 v[106:107], s[2:3], v106, s4, 0
	v_lshl_add_u64 v[104:105], v[104:105], 3, s[0:1]
	s_mov_b64 s[2:3], -1
	v_max_f32_e32 v109, v108, v108
	s_mov_b64 vcc, s[8:9]
	s_cbranch_vccz .LBB113_95
; %bb.94:
	v_min_f32_e32 v108, 0, v109
	v_cvt_f64_f32_e32 v[110:111], v108
	v_lshl_add_u64 v[112:113], v[164:165], 3, v[104:105]
	flat_store_dwordx2 v[112:113], v[110:111]
	s_mov_b64 s[2:3], 0
.LBB113_95:
	v_lshl_add_u64 v[106:107], v[106:107], 3, s[14:15]
	s_andn2_b64 vcc, exec, s[2:3]
	v_mov_b32_e32 v108, 0
	s_cbranch_vccnz .LBB113_97
; %bb.96:
	v_lshl_add_u64 v[110:111], v[106:107], 0, v[168:169]
	flat_load_dwordx2 v[110:111], v[110:111]
	v_lshl_add_u64 v[112:113], v[104:105], 0, v[168:169]
	s_waitcnt vmcnt(0) lgkmcnt(0)
	v_mul_f64 v[110:111], s[10:11], v[110:111]
	v_cvt_f32_f64_e32 v108, v[110:111]
	v_min_f32_e32 v108, v108, v109
	v_cvt_f64_f32_e32 v[108:109], v108
	flat_store_dwordx2 v[112:113], v[108:109]
	v_lshl_add_u64 v[108:109], v[160:161], 3, v[106:107]
	flat_load_dwordx2 v[108:109], v[108:109]
	s_waitcnt vmcnt(0) lgkmcnt(0)
	v_mul_f64 v[108:109], s[10:11], v[108:109]
	v_cvt_f32_f64_e32 v108, v[108:109]
.LBB113_97:
	v_add_f64 v[110:111], v[30:31], v[102:103]
	v_add_f64 v[112:113], v[28:29], v[100:101]
	v_cvt_f32_f64_e32 v109, v[112:113]
	v_cvt_f32_f64_e32 v110, v[110:111]
	v_min3_f32 v109, v109, v110, v227
	v_add_f64 v[110:111], v[26:27], v[102:103]
	v_add_f64 v[112:113], v[24:25], v[100:101]
	v_cvt_f32_f64_e32 v112, v[112:113]
	v_cvt_f32_f64_e32 v110, v[110:111]
	v_min3_f32 v114, v112, v110, v226
	v_add_f64 v[110:111], v[22:23], v[98:99]
	v_add_f64 v[112:113], v[20:21], v[96:97]
	v_cvt_f32_f64_e32 v112, v[112:113]
	v_cvt_f32_f64_e32 v110, v[110:111]
	v_min_f32_e32 v115, v112, v110
	v_add_f64 v[110:111], v[14:15], v[98:99]
	v_add_f64 v[112:113], v[12:13], v[96:97]
	v_cvt_f32_f64_e32 v112, v[112:113]
	v_cvt_f32_f64_e32 v110, v[110:111]
	v_min3_f32 v108, v108, v115, v109
	v_min3_f32 v112, v112, v110, v114
	v_cvt_f64_f32_e32 v[108:109], v108
	v_lshl_add_u64 v[110:111], v[160:161], 3, v[104:105]
	flat_store_dwordx2 v[110:111], v[108:109]
	s_mov_b64 s[2:3], -1
	v_max_f32_e32 v109, v112, v112
	s_mov_b64 vcc, s[8:9]
	s_cbranch_vccz .LBB113_99
; %bb.98:
	v_min_f32_e32 v108, 0, v109
	v_cvt_f64_f32_e32 v[110:111], v108
	v_lshl_add_u64 v[112:113], v[166:167], 3, v[104:105]
	flat_store_dwordx2 v[112:113], v[110:111]
	s_mov_b64 s[2:3], 0
.LBB113_99:
	s_andn2_b64 vcc, exec, s[2:3]
	v_mov_b32_e32 v108, 0
	s_cbranch_vccnz .LBB113_101
; %bb.100:
	v_lshl_add_u64 v[110:111], v[106:107], 0, v[170:171]
	flat_load_dwordx2 v[110:111], v[110:111]
	v_lshl_add_u64 v[112:113], v[104:105], 0, v[170:171]
	v_lshl_add_u64 v[106:107], v[162:163], 3, v[106:107]
	s_waitcnt vmcnt(0) lgkmcnt(0)
	v_mul_f64 v[110:111], s[10:11], v[110:111]
	v_cvt_f32_f64_e32 v108, v[110:111]
	v_min_f32_e32 v108, v108, v109
	v_cvt_f64_f32_e32 v[108:109], v108
	flat_store_dwordx2 v[112:113], v[108:109]
	flat_load_dwordx2 v[106:107], v[106:107]
	s_waitcnt vmcnt(0) lgkmcnt(0)
	v_mul_f64 v[106:107], s[10:11], v[106:107]
	v_cvt_f32_f64_e32 v108, v[106:107]
.LBB113_101:
	v_add_f64 v[102:103], v[2:3], v[102:103]
	v_add_f64 v[100:101], v[0:1], v[100:101]
	v_cvt_f32_f64_e32 v100, v[100:101]
	v_cvt_f32_f64_e32 v101, v[102:103]
	v_add_f64 v[98:99], v[6:7], v[98:99]
	v_add_f64 v[96:97], v[4:5], v[96:97]
	v_min3_f32 v106, v100, v101, v225
	v_add_f64 v[100:101], v[38:39], v[94:95]
	v_add_f64 v[102:103], v[36:37], v[92:93]
	v_cvt_f32_f64_e32 v96, v[96:97]
	v_cvt_f32_f64_e32 v97, v[98:99]
	v_cvt_f32_f64_e32 v102, v[102:103]
	v_cvt_f32_f64_e32 v100, v[100:101]
	v_min_f32_e32 v101, v96, v97
	v_add_f64 v[96:97], v[34:35], v[90:91]
	v_add_f64 v[98:99], v[32:33], v[88:89]
	v_min3_f32 v100, v102, v100, v224
	v_cvt_f32_f64_e32 v98, v[98:99]
	v_cvt_f32_f64_e32 v96, v[96:97]
	v_min3_f32 v100, v98, v96, v100
	v_min3_f32 v96, v108, v101, v106
	v_cvt_f64_f32_e32 v[96:97], v96
	v_lshl_add_u64 v[98:99], v[162:163], 3, v[104:105]
	flat_store_dwordx2 v[98:99], v[96:97]
	v_add_u32_e32 v98, 64, v176
	v_mad_i64_i32 v[96:97], s[2:3], v98, s5, 0
	v_mad_i64_i32 v[98:99], s[2:3], v98, s4, 0
	v_lshl_add_u64 v[96:97], v[96:97], 3, s[0:1]
	s_mov_b64 s[2:3], -1
	v_max_f32_e32 v101, v100, v100
	s_mov_b64 vcc, s[8:9]
	s_cbranch_vccz .LBB113_103
; %bb.102:
	v_min_f32_e32 v100, 0, v101
	v_cvt_f64_f32_e32 v[102:103], v100
	v_lshl_add_u64 v[104:105], v[164:165], 3, v[96:97]
	flat_store_dwordx2 v[104:105], v[102:103]
	s_mov_b64 s[2:3], 0
.LBB113_103:
	v_lshl_add_u64 v[98:99], v[98:99], 3, s[14:15]
	s_andn2_b64 vcc, exec, s[2:3]
	v_mov_b32_e32 v100, 0
	s_cbranch_vccnz .LBB113_105
; %bb.104:
	v_lshl_add_u64 v[102:103], v[98:99], 0, v[168:169]
	flat_load_dwordx2 v[102:103], v[102:103]
	v_lshl_add_u64 v[104:105], v[96:97], 0, v[168:169]
	s_waitcnt vmcnt(0) lgkmcnt(0)
	v_mul_f64 v[102:103], s[10:11], v[102:103]
	v_cvt_f32_f64_e32 v100, v[102:103]
	v_min_f32_e32 v100, v100, v101
	v_cvt_f64_f32_e32 v[100:101], v100
	flat_store_dwordx2 v[104:105], v[100:101]
	v_lshl_add_u64 v[100:101], v[160:161], 3, v[98:99]
	flat_load_dwordx2 v[100:101], v[100:101]
	s_waitcnt vmcnt(0) lgkmcnt(0)
	v_mul_f64 v[100:101], s[10:11], v[100:101]
	v_cvt_f32_f64_e32 v100, v[100:101]
.LBB113_105:
	v_add_f64 v[102:103], v[30:31], v[94:95]
	v_add_f64 v[104:105], v[28:29], v[92:93]
	v_cvt_f32_f64_e32 v101, v[104:105]
	v_cvt_f32_f64_e32 v102, v[102:103]
	v_min3_f32 v101, v101, v102, v223
	v_add_f64 v[102:103], v[26:27], v[94:95]
	v_add_f64 v[104:105], v[24:25], v[92:93]
	v_cvt_f32_f64_e32 v104, v[104:105]
	v_cvt_f32_f64_e32 v102, v[102:103]
	v_min3_f32 v106, v104, v102, v222
	v_add_f64 v[102:103], v[22:23], v[90:91]
	v_add_f64 v[104:105], v[20:21], v[88:89]
	v_cvt_f32_f64_e32 v104, v[104:105]
	v_cvt_f32_f64_e32 v102, v[102:103]
	v_min_f32_e32 v107, v104, v102
	v_add_f64 v[102:103], v[14:15], v[90:91]
	v_add_f64 v[104:105], v[12:13], v[88:89]
	v_cvt_f32_f64_e32 v104, v[104:105]
	v_cvt_f32_f64_e32 v102, v[102:103]
	v_min3_f32 v100, v100, v107, v101
	v_min3_f32 v104, v104, v102, v106
	v_cvt_f64_f32_e32 v[100:101], v100
	v_lshl_add_u64 v[102:103], v[160:161], 3, v[96:97]
	flat_store_dwordx2 v[102:103], v[100:101]
	s_mov_b64 s[2:3], -1
	v_max_f32_e32 v101, v104, v104
	s_mov_b64 vcc, s[8:9]
	s_cbranch_vccz .LBB113_107
; %bb.106:
	v_min_f32_e32 v100, 0, v101
	v_cvt_f64_f32_e32 v[102:103], v100
	v_lshl_add_u64 v[104:105], v[166:167], 3, v[96:97]
	flat_store_dwordx2 v[104:105], v[102:103]
	s_mov_b64 s[2:3], 0
.LBB113_107:
	s_andn2_b64 vcc, exec, s[2:3]
	v_mov_b32_e32 v100, 0
	s_cbranch_vccnz .LBB113_109
; %bb.108:
	v_lshl_add_u64 v[102:103], v[98:99], 0, v[170:171]
	flat_load_dwordx2 v[102:103], v[102:103]
	v_lshl_add_u64 v[104:105], v[96:97], 0, v[170:171]
	v_lshl_add_u64 v[98:99], v[162:163], 3, v[98:99]
	s_waitcnt vmcnt(0) lgkmcnt(0)
	v_mul_f64 v[102:103], s[10:11], v[102:103]
	v_cvt_f32_f64_e32 v100, v[102:103]
	v_min_f32_e32 v100, v100, v101
	v_cvt_f64_f32_e32 v[100:101], v100
	flat_store_dwordx2 v[104:105], v[100:101]
	flat_load_dwordx2 v[98:99], v[98:99]
	s_waitcnt vmcnt(0) lgkmcnt(0)
	v_mul_f64 v[98:99], s[10:11], v[98:99]
	v_cvt_f32_f64_e32 v100, v[98:99]
.LBB113_109:
	v_add_f64 v[94:95], v[2:3], v[94:95]
	v_add_f64 v[92:93], v[0:1], v[92:93]
	v_cvt_f32_f64_e32 v92, v[92:93]
	v_cvt_f32_f64_e32 v93, v[94:95]
	v_add_f64 v[90:91], v[6:7], v[90:91]
	v_add_f64 v[88:89], v[4:5], v[88:89]
	v_min3_f32 v98, v92, v93, v221
	v_add_f64 v[92:93], v[38:39], v[86:87]
	v_add_f64 v[94:95], v[36:37], v[84:85]
	v_cvt_f32_f64_e32 v88, v[88:89]
	v_cvt_f32_f64_e32 v89, v[90:91]
	;; [unrolled: 1-line block ×4, first 2 shown]
	v_min_f32_e32 v93, v88, v89
	v_add_f64 v[88:89], v[34:35], v[82:83]
	v_add_f64 v[90:91], v[32:33], v[80:81]
	v_min3_f32 v92, v94, v92, v220
	v_cvt_f32_f64_e32 v90, v[90:91]
	v_cvt_f32_f64_e32 v88, v[88:89]
	v_min3_f32 v92, v90, v88, v92
	v_min3_f32 v88, v100, v93, v98
	v_cvt_f64_f32_e32 v[88:89], v88
	v_lshl_add_u64 v[90:91], v[162:163], 3, v[96:97]
	flat_store_dwordx2 v[90:91], v[88:89]
	v_add_u32_e32 v90, 0x48, v176
	v_mad_i64_i32 v[88:89], s[2:3], v90, s5, 0
	v_mad_i64_i32 v[90:91], s[2:3], v90, s4, 0
	v_lshl_add_u64 v[88:89], v[88:89], 3, s[0:1]
	s_mov_b64 s[2:3], -1
	v_max_f32_e32 v93, v92, v92
	s_mov_b64 vcc, s[8:9]
	s_cbranch_vccz .LBB113_111
; %bb.110:
	v_min_f32_e32 v92, 0, v93
	v_cvt_f64_f32_e32 v[94:95], v92
	v_lshl_add_u64 v[96:97], v[164:165], 3, v[88:89]
	flat_store_dwordx2 v[96:97], v[94:95]
	s_mov_b64 s[2:3], 0
.LBB113_111:
	v_lshl_add_u64 v[90:91], v[90:91], 3, s[14:15]
	s_andn2_b64 vcc, exec, s[2:3]
	v_mov_b32_e32 v92, 0
	s_cbranch_vccnz .LBB113_113
; %bb.112:
	v_lshl_add_u64 v[94:95], v[90:91], 0, v[168:169]
	flat_load_dwordx2 v[94:95], v[94:95]
	v_lshl_add_u64 v[96:97], v[88:89], 0, v[168:169]
	s_waitcnt vmcnt(0) lgkmcnt(0)
	v_mul_f64 v[94:95], s[10:11], v[94:95]
	v_cvt_f32_f64_e32 v92, v[94:95]
	v_min_f32_e32 v92, v92, v93
	v_cvt_f64_f32_e32 v[92:93], v92
	flat_store_dwordx2 v[96:97], v[92:93]
	v_lshl_add_u64 v[92:93], v[160:161], 3, v[90:91]
	flat_load_dwordx2 v[92:93], v[92:93]
	s_waitcnt vmcnt(0) lgkmcnt(0)
	v_mul_f64 v[92:93], s[10:11], v[92:93]
	v_cvt_f32_f64_e32 v92, v[92:93]
.LBB113_113:
	v_add_f64 v[94:95], v[30:31], v[86:87]
	v_add_f64 v[96:97], v[28:29], v[84:85]
	v_cvt_f32_f64_e32 v93, v[96:97]
	v_cvt_f32_f64_e32 v94, v[94:95]
	v_min3_f32 v93, v93, v94, v219
	v_add_f64 v[94:95], v[26:27], v[86:87]
	v_add_f64 v[96:97], v[24:25], v[84:85]
	v_cvt_f32_f64_e32 v96, v[96:97]
	v_cvt_f32_f64_e32 v94, v[94:95]
	v_min3_f32 v98, v96, v94, v218
	v_add_f64 v[94:95], v[22:23], v[82:83]
	v_add_f64 v[96:97], v[20:21], v[80:81]
	v_cvt_f32_f64_e32 v96, v[96:97]
	v_cvt_f32_f64_e32 v94, v[94:95]
	v_min_f32_e32 v99, v96, v94
	v_add_f64 v[94:95], v[14:15], v[82:83]
	v_add_f64 v[96:97], v[12:13], v[80:81]
	v_cvt_f32_f64_e32 v96, v[96:97]
	v_cvt_f32_f64_e32 v94, v[94:95]
	v_min3_f32 v92, v92, v99, v93
	v_min3_f32 v96, v96, v94, v98
	v_cvt_f64_f32_e32 v[92:93], v92
	v_lshl_add_u64 v[94:95], v[160:161], 3, v[88:89]
	flat_store_dwordx2 v[94:95], v[92:93]
	s_mov_b64 s[2:3], -1
	v_max_f32_e32 v93, v96, v96
	s_mov_b64 vcc, s[8:9]
	s_cbranch_vccz .LBB113_115
; %bb.114:
	v_min_f32_e32 v92, 0, v93
	v_cvt_f64_f32_e32 v[94:95], v92
	v_lshl_add_u64 v[96:97], v[166:167], 3, v[88:89]
	flat_store_dwordx2 v[96:97], v[94:95]
	s_mov_b64 s[2:3], 0
.LBB113_115:
	s_andn2_b64 vcc, exec, s[2:3]
	v_mov_b32_e32 v92, 0
	s_cbranch_vccnz .LBB113_117
; %bb.116:
	v_lshl_add_u64 v[94:95], v[90:91], 0, v[170:171]
	flat_load_dwordx2 v[94:95], v[94:95]
	v_lshl_add_u64 v[96:97], v[88:89], 0, v[170:171]
	v_lshl_add_u64 v[90:91], v[162:163], 3, v[90:91]
	s_waitcnt vmcnt(0) lgkmcnt(0)
	v_mul_f64 v[94:95], s[10:11], v[94:95]
	v_cvt_f32_f64_e32 v92, v[94:95]
	v_min_f32_e32 v92, v92, v93
	v_cvt_f64_f32_e32 v[92:93], v92
	flat_store_dwordx2 v[96:97], v[92:93]
	flat_load_dwordx2 v[90:91], v[90:91]
	s_waitcnt vmcnt(0) lgkmcnt(0)
	v_mul_f64 v[90:91], s[10:11], v[90:91]
	v_cvt_f32_f64_e32 v92, v[90:91]
.LBB113_117:
	v_add_f64 v[86:87], v[2:3], v[86:87]
	v_add_f64 v[84:85], v[0:1], v[84:85]
	v_cvt_f32_f64_e32 v84, v[84:85]
	v_cvt_f32_f64_e32 v85, v[86:87]
	v_add_f64 v[82:83], v[6:7], v[82:83]
	v_add_f64 v[80:81], v[4:5], v[80:81]
	v_min3_f32 v90, v84, v85, v217
	v_add_f64 v[84:85], v[38:39], v[78:79]
	v_add_f64 v[86:87], v[36:37], v[76:77]
	v_cvt_f32_f64_e32 v80, v[80:81]
	v_cvt_f32_f64_e32 v81, v[82:83]
	;; [unrolled: 1-line block ×4, first 2 shown]
	v_min_f32_e32 v85, v80, v81
	v_add_f64 v[80:81], v[34:35], v[74:75]
	v_add_f64 v[82:83], v[32:33], v[72:73]
	v_min3_f32 v84, v86, v84, v216
	v_cvt_f32_f64_e32 v82, v[82:83]
	v_cvt_f32_f64_e32 v80, v[80:81]
	v_min3_f32 v84, v82, v80, v84
	v_min3_f32 v80, v92, v85, v90
	v_cvt_f64_f32_e32 v[80:81], v80
	v_lshl_add_u64 v[82:83], v[162:163], 3, v[88:89]
	flat_store_dwordx2 v[82:83], v[80:81]
	v_add_u32_e32 v82, 0x50, v176
	v_mad_i64_i32 v[80:81], s[2:3], v82, s5, 0
	v_mad_i64_i32 v[82:83], s[2:3], v82, s4, 0
	v_lshl_add_u64 v[80:81], v[80:81], 3, s[0:1]
	s_mov_b64 s[2:3], -1
	v_max_f32_e32 v85, v84, v84
	s_mov_b64 vcc, s[8:9]
	s_cbranch_vccz .LBB113_119
; %bb.118:
	v_min_f32_e32 v84, 0, v85
	v_cvt_f64_f32_e32 v[86:87], v84
	v_lshl_add_u64 v[88:89], v[164:165], 3, v[80:81]
	flat_store_dwordx2 v[88:89], v[86:87]
	s_mov_b64 s[2:3], 0
.LBB113_119:
	v_lshl_add_u64 v[82:83], v[82:83], 3, s[14:15]
	s_andn2_b64 vcc, exec, s[2:3]
	v_mov_b32_e32 v84, 0
	s_cbranch_vccnz .LBB113_121
; %bb.120:
	v_lshl_add_u64 v[86:87], v[82:83], 0, v[168:169]
	flat_load_dwordx2 v[86:87], v[86:87]
	v_lshl_add_u64 v[88:89], v[80:81], 0, v[168:169]
	s_waitcnt vmcnt(0) lgkmcnt(0)
	v_mul_f64 v[86:87], s[10:11], v[86:87]
	v_cvt_f32_f64_e32 v84, v[86:87]
	v_min_f32_e32 v84, v84, v85
	v_cvt_f64_f32_e32 v[84:85], v84
	flat_store_dwordx2 v[88:89], v[84:85]
	v_lshl_add_u64 v[84:85], v[160:161], 3, v[82:83]
	flat_load_dwordx2 v[84:85], v[84:85]
	s_waitcnt vmcnt(0) lgkmcnt(0)
	v_mul_f64 v[84:85], s[10:11], v[84:85]
	v_cvt_f32_f64_e32 v84, v[84:85]
.LBB113_121:
	v_add_f64 v[86:87], v[30:31], v[78:79]
	v_add_f64 v[88:89], v[28:29], v[76:77]
	v_cvt_f32_f64_e32 v85, v[88:89]
	v_cvt_f32_f64_e32 v86, v[86:87]
	v_min3_f32 v85, v85, v86, v215
	v_add_f64 v[86:87], v[26:27], v[78:79]
	v_add_f64 v[88:89], v[24:25], v[76:77]
	v_cvt_f32_f64_e32 v88, v[88:89]
	v_cvt_f32_f64_e32 v86, v[86:87]
	v_min3_f32 v90, v88, v86, v214
	v_add_f64 v[86:87], v[22:23], v[74:75]
	v_add_f64 v[88:89], v[20:21], v[72:73]
	v_cvt_f32_f64_e32 v88, v[88:89]
	v_cvt_f32_f64_e32 v86, v[86:87]
	v_min_f32_e32 v91, v88, v86
	v_add_f64 v[86:87], v[14:15], v[74:75]
	v_add_f64 v[88:89], v[12:13], v[72:73]
	v_cvt_f32_f64_e32 v88, v[88:89]
	v_cvt_f32_f64_e32 v86, v[86:87]
	v_min3_f32 v84, v84, v91, v85
	v_min3_f32 v88, v88, v86, v90
	v_cvt_f64_f32_e32 v[84:85], v84
	v_lshl_add_u64 v[86:87], v[160:161], 3, v[80:81]
	flat_store_dwordx2 v[86:87], v[84:85]
	s_mov_b64 s[2:3], -1
	v_max_f32_e32 v85, v88, v88
	s_mov_b64 vcc, s[8:9]
	s_cbranch_vccz .LBB113_123
; %bb.122:
	v_min_f32_e32 v84, 0, v85
	v_cvt_f64_f32_e32 v[86:87], v84
	v_lshl_add_u64 v[88:89], v[166:167], 3, v[80:81]
	flat_store_dwordx2 v[88:89], v[86:87]
	s_mov_b64 s[2:3], 0
.LBB113_123:
	s_andn2_b64 vcc, exec, s[2:3]
	v_mov_b32_e32 v84, 0
	s_cbranch_vccnz .LBB113_125
; %bb.124:
	v_lshl_add_u64 v[86:87], v[82:83], 0, v[170:171]
	flat_load_dwordx2 v[86:87], v[86:87]
	v_lshl_add_u64 v[88:89], v[80:81], 0, v[170:171]
	v_lshl_add_u64 v[82:83], v[162:163], 3, v[82:83]
	s_waitcnt vmcnt(0) lgkmcnt(0)
	v_mul_f64 v[86:87], s[10:11], v[86:87]
	v_cvt_f32_f64_e32 v84, v[86:87]
	v_min_f32_e32 v84, v84, v85
	v_cvt_f64_f32_e32 v[84:85], v84
	flat_store_dwordx2 v[88:89], v[84:85]
	flat_load_dwordx2 v[82:83], v[82:83]
	s_waitcnt vmcnt(0) lgkmcnt(0)
	v_mul_f64 v[82:83], s[10:11], v[82:83]
	v_cvt_f32_f64_e32 v84, v[82:83]
.LBB113_125:
	v_add_f64 v[78:79], v[2:3], v[78:79]
	v_add_f64 v[76:77], v[0:1], v[76:77]
	v_cvt_f32_f64_e32 v76, v[76:77]
	v_cvt_f32_f64_e32 v77, v[78:79]
	v_add_f64 v[74:75], v[6:7], v[74:75]
	v_add_f64 v[72:73], v[4:5], v[72:73]
	v_min3_f32 v82, v76, v77, v213
	v_add_f64 v[76:77], v[38:39], v[70:71]
	v_add_f64 v[78:79], v[36:37], v[68:69]
	v_cvt_f32_f64_e32 v72, v[72:73]
	v_cvt_f32_f64_e32 v73, v[74:75]
	;; [unrolled: 1-line block ×4, first 2 shown]
	v_min_f32_e32 v77, v72, v73
	v_add_f64 v[72:73], v[34:35], v[66:67]
	v_add_f64 v[74:75], v[32:33], v[64:65]
	v_min3_f32 v76, v78, v76, v212
	v_cvt_f32_f64_e32 v74, v[74:75]
	v_cvt_f32_f64_e32 v72, v[72:73]
	v_min3_f32 v76, v74, v72, v76
	v_min3_f32 v72, v84, v77, v82
	v_cvt_f64_f32_e32 v[72:73], v72
	v_lshl_add_u64 v[74:75], v[162:163], 3, v[80:81]
	flat_store_dwordx2 v[74:75], v[72:73]
	v_add_u32_e32 v74, 0x58, v176
	v_mad_i64_i32 v[72:73], s[2:3], v74, s5, 0
	v_mad_i64_i32 v[74:75], s[2:3], v74, s4, 0
	v_lshl_add_u64 v[72:73], v[72:73], 3, s[0:1]
	s_mov_b64 s[2:3], -1
	v_max_f32_e32 v77, v76, v76
	s_mov_b64 vcc, s[8:9]
	s_cbranch_vccz .LBB113_127
; %bb.126:
	v_min_f32_e32 v76, 0, v77
	v_cvt_f64_f32_e32 v[78:79], v76
	v_lshl_add_u64 v[80:81], v[164:165], 3, v[72:73]
	flat_store_dwordx2 v[80:81], v[78:79]
	s_mov_b64 s[2:3], 0
.LBB113_127:
	v_lshl_add_u64 v[74:75], v[74:75], 3, s[14:15]
	s_andn2_b64 vcc, exec, s[2:3]
	v_mov_b32_e32 v76, 0
	s_cbranch_vccnz .LBB113_129
; %bb.128:
	v_lshl_add_u64 v[78:79], v[74:75], 0, v[168:169]
	flat_load_dwordx2 v[78:79], v[78:79]
	v_lshl_add_u64 v[80:81], v[72:73], 0, v[168:169]
	s_waitcnt vmcnt(0) lgkmcnt(0)
	v_mul_f64 v[78:79], s[10:11], v[78:79]
	v_cvt_f32_f64_e32 v76, v[78:79]
	v_min_f32_e32 v76, v76, v77
	v_cvt_f64_f32_e32 v[76:77], v76
	flat_store_dwordx2 v[80:81], v[76:77]
	v_lshl_add_u64 v[76:77], v[160:161], 3, v[74:75]
	flat_load_dwordx2 v[76:77], v[76:77]
	s_waitcnt vmcnt(0) lgkmcnt(0)
	v_mul_f64 v[76:77], s[10:11], v[76:77]
	v_cvt_f32_f64_e32 v76, v[76:77]
.LBB113_129:
	v_add_f64 v[78:79], v[30:31], v[70:71]
	v_add_f64 v[80:81], v[28:29], v[68:69]
	v_cvt_f32_f64_e32 v77, v[80:81]
	v_cvt_f32_f64_e32 v78, v[78:79]
	v_min3_f32 v77, v77, v78, v211
	v_add_f64 v[78:79], v[26:27], v[70:71]
	v_add_f64 v[80:81], v[24:25], v[68:69]
	v_cvt_f32_f64_e32 v80, v[80:81]
	v_cvt_f32_f64_e32 v78, v[78:79]
	v_min3_f32 v82, v80, v78, v210
	v_add_f64 v[78:79], v[22:23], v[66:67]
	v_add_f64 v[80:81], v[20:21], v[64:65]
	v_cvt_f32_f64_e32 v80, v[80:81]
	v_cvt_f32_f64_e32 v78, v[78:79]
	v_min_f32_e32 v83, v80, v78
	v_add_f64 v[78:79], v[14:15], v[66:67]
	v_add_f64 v[80:81], v[12:13], v[64:65]
	v_cvt_f32_f64_e32 v80, v[80:81]
	v_cvt_f32_f64_e32 v78, v[78:79]
	v_min3_f32 v76, v76, v83, v77
	v_min3_f32 v80, v80, v78, v82
	v_cvt_f64_f32_e32 v[76:77], v76
	v_lshl_add_u64 v[78:79], v[160:161], 3, v[72:73]
	flat_store_dwordx2 v[78:79], v[76:77]
	s_mov_b64 s[2:3], -1
	v_max_f32_e32 v77, v80, v80
	s_mov_b64 vcc, s[8:9]
	s_cbranch_vccz .LBB113_131
; %bb.130:
	v_min_f32_e32 v76, 0, v77
	v_cvt_f64_f32_e32 v[78:79], v76
	v_lshl_add_u64 v[80:81], v[166:167], 3, v[72:73]
	flat_store_dwordx2 v[80:81], v[78:79]
	s_mov_b64 s[2:3], 0
.LBB113_131:
	s_andn2_b64 vcc, exec, s[2:3]
	v_mov_b32_e32 v76, 0
	s_cbranch_vccnz .LBB113_133
; %bb.132:
	v_lshl_add_u64 v[78:79], v[74:75], 0, v[170:171]
	flat_load_dwordx2 v[78:79], v[78:79]
	v_lshl_add_u64 v[80:81], v[72:73], 0, v[170:171]
	v_lshl_add_u64 v[74:75], v[162:163], 3, v[74:75]
	s_waitcnt vmcnt(0) lgkmcnt(0)
	v_mul_f64 v[78:79], s[10:11], v[78:79]
	v_cvt_f32_f64_e32 v76, v[78:79]
	v_min_f32_e32 v76, v76, v77
	v_cvt_f64_f32_e32 v[76:77], v76
	flat_store_dwordx2 v[80:81], v[76:77]
	flat_load_dwordx2 v[74:75], v[74:75]
	s_waitcnt vmcnt(0) lgkmcnt(0)
	v_mul_f64 v[74:75], s[10:11], v[74:75]
	v_cvt_f32_f64_e32 v76, v[74:75]
.LBB113_133:
	v_add_f64 v[70:71], v[2:3], v[70:71]
	v_add_f64 v[68:69], v[0:1], v[68:69]
	v_cvt_f32_f64_e32 v68, v[68:69]
	v_cvt_f32_f64_e32 v69, v[70:71]
	v_add_f64 v[66:67], v[6:7], v[66:67]
	v_add_f64 v[64:65], v[4:5], v[64:65]
	v_min3_f32 v74, v68, v69, v209
	v_add_f64 v[68:69], v[38:39], v[62:63]
	v_add_f64 v[70:71], v[36:37], v[60:61]
	v_cvt_f32_f64_e32 v64, v[64:65]
	v_cvt_f32_f64_e32 v65, v[66:67]
	;; [unrolled: 1-line block ×4, first 2 shown]
	v_min_f32_e32 v69, v64, v65
	v_add_f64 v[64:65], v[34:35], v[58:59]
	v_add_f64 v[66:67], v[32:33], v[56:57]
	v_min3_f32 v68, v70, v68, v208
	v_cvt_f32_f64_e32 v66, v[66:67]
	v_cvt_f32_f64_e32 v64, v[64:65]
	v_min3_f32 v68, v66, v64, v68
	v_min3_f32 v64, v76, v69, v74
	v_cvt_f64_f32_e32 v[64:65], v64
	v_lshl_add_u64 v[66:67], v[162:163], 3, v[72:73]
	flat_store_dwordx2 v[66:67], v[64:65]
	v_add_u32_e32 v66, 0x60, v176
	v_mad_i64_i32 v[64:65], s[2:3], v66, s5, 0
	v_mad_i64_i32 v[66:67], s[2:3], v66, s4, 0
	v_lshl_add_u64 v[64:65], v[64:65], 3, s[0:1]
	s_mov_b64 s[2:3], -1
	v_max_f32_e32 v69, v68, v68
	s_mov_b64 vcc, s[8:9]
	s_cbranch_vccz .LBB113_135
; %bb.134:
	v_min_f32_e32 v68, 0, v69
	v_cvt_f64_f32_e32 v[70:71], v68
	v_lshl_add_u64 v[72:73], v[164:165], 3, v[64:65]
	flat_store_dwordx2 v[72:73], v[70:71]
	s_mov_b64 s[2:3], 0
.LBB113_135:
	v_lshl_add_u64 v[66:67], v[66:67], 3, s[14:15]
	s_andn2_b64 vcc, exec, s[2:3]
	v_mov_b32_e32 v68, 0
	s_cbranch_vccnz .LBB113_137
; %bb.136:
	v_lshl_add_u64 v[70:71], v[66:67], 0, v[168:169]
	flat_load_dwordx2 v[70:71], v[70:71]
	v_lshl_add_u64 v[72:73], v[64:65], 0, v[168:169]
	s_waitcnt vmcnt(0) lgkmcnt(0)
	v_mul_f64 v[70:71], s[10:11], v[70:71]
	v_cvt_f32_f64_e32 v68, v[70:71]
	v_min_f32_e32 v68, v68, v69
	v_cvt_f64_f32_e32 v[68:69], v68
	flat_store_dwordx2 v[72:73], v[68:69]
	v_lshl_add_u64 v[68:69], v[160:161], 3, v[66:67]
	flat_load_dwordx2 v[68:69], v[68:69]
	s_waitcnt vmcnt(0) lgkmcnt(0)
	v_mul_f64 v[68:69], s[10:11], v[68:69]
	v_cvt_f32_f64_e32 v68, v[68:69]
.LBB113_137:
	v_add_f64 v[70:71], v[30:31], v[62:63]
	v_add_f64 v[72:73], v[28:29], v[60:61]
	v_cvt_f32_f64_e32 v69, v[72:73]
	v_cvt_f32_f64_e32 v70, v[70:71]
	v_min3_f32 v69, v69, v70, v207
	v_add_f64 v[70:71], v[26:27], v[62:63]
	v_add_f64 v[72:73], v[24:25], v[60:61]
	v_cvt_f32_f64_e32 v72, v[72:73]
	v_cvt_f32_f64_e32 v70, v[70:71]
	v_min3_f32 v74, v72, v70, v206
	v_add_f64 v[70:71], v[22:23], v[58:59]
	v_add_f64 v[72:73], v[20:21], v[56:57]
	v_cvt_f32_f64_e32 v72, v[72:73]
	v_cvt_f32_f64_e32 v70, v[70:71]
	v_min_f32_e32 v75, v72, v70
	v_add_f64 v[70:71], v[14:15], v[58:59]
	v_add_f64 v[72:73], v[12:13], v[56:57]
	v_cvt_f32_f64_e32 v72, v[72:73]
	v_cvt_f32_f64_e32 v70, v[70:71]
	v_min3_f32 v68, v68, v75, v69
	v_min3_f32 v72, v72, v70, v74
	v_cvt_f64_f32_e32 v[68:69], v68
	v_lshl_add_u64 v[70:71], v[160:161], 3, v[64:65]
	flat_store_dwordx2 v[70:71], v[68:69]
	s_mov_b64 s[2:3], -1
	v_max_f32_e32 v69, v72, v72
	s_mov_b64 vcc, s[8:9]
	s_cbranch_vccz .LBB113_139
; %bb.138:
	v_min_f32_e32 v68, 0, v69
	v_cvt_f64_f32_e32 v[70:71], v68
	v_lshl_add_u64 v[72:73], v[166:167], 3, v[64:65]
	flat_store_dwordx2 v[72:73], v[70:71]
	s_mov_b64 s[2:3], 0
.LBB113_139:
	s_andn2_b64 vcc, exec, s[2:3]
	v_mov_b32_e32 v68, 0
	s_cbranch_vccnz .LBB113_141
; %bb.140:
	v_lshl_add_u64 v[70:71], v[66:67], 0, v[170:171]
	flat_load_dwordx2 v[70:71], v[70:71]
	v_lshl_add_u64 v[72:73], v[64:65], 0, v[170:171]
	v_lshl_add_u64 v[66:67], v[162:163], 3, v[66:67]
	s_waitcnt vmcnt(0) lgkmcnt(0)
	v_mul_f64 v[70:71], s[10:11], v[70:71]
	v_cvt_f32_f64_e32 v68, v[70:71]
	v_min_f32_e32 v68, v68, v69
	v_cvt_f64_f32_e32 v[68:69], v68
	flat_store_dwordx2 v[72:73], v[68:69]
	flat_load_dwordx2 v[66:67], v[66:67]
	s_waitcnt vmcnt(0) lgkmcnt(0)
	v_mul_f64 v[66:67], s[10:11], v[66:67]
	v_cvt_f32_f64_e32 v68, v[66:67]
.LBB113_141:
	v_add_f64 v[62:63], v[2:3], v[62:63]
	v_add_f64 v[60:61], v[0:1], v[60:61]
	v_cvt_f32_f64_e32 v60, v[60:61]
	v_cvt_f32_f64_e32 v61, v[62:63]
	v_add_f64 v[58:59], v[6:7], v[58:59]
	v_add_f64 v[56:57], v[4:5], v[56:57]
	v_min3_f32 v66, v60, v61, v205
	v_add_f64 v[60:61], v[38:39], v[54:55]
	v_add_f64 v[62:63], v[36:37], v[52:53]
	v_cvt_f32_f64_e32 v56, v[56:57]
	v_cvt_f32_f64_e32 v57, v[58:59]
	;; [unrolled: 1-line block ×4, first 2 shown]
	v_min_f32_e32 v61, v56, v57
	v_add_f64 v[56:57], v[34:35], v[50:51]
	v_add_f64 v[58:59], v[32:33], v[48:49]
	v_min3_f32 v60, v62, v60, v204
	v_cvt_f32_f64_e32 v58, v[58:59]
	v_cvt_f32_f64_e32 v56, v[56:57]
	v_min3_f32 v60, v58, v56, v60
	v_min3_f32 v56, v68, v61, v66
	v_cvt_f64_f32_e32 v[56:57], v56
	v_lshl_add_u64 v[58:59], v[162:163], 3, v[64:65]
	flat_store_dwordx2 v[58:59], v[56:57]
	v_add_u32_e32 v58, 0x68, v176
	v_mad_i64_i32 v[56:57], s[2:3], v58, s5, 0
	v_mad_i64_i32 v[58:59], s[2:3], v58, s4, 0
	v_lshl_add_u64 v[56:57], v[56:57], 3, s[0:1]
	s_mov_b64 s[2:3], -1
	v_max_f32_e32 v61, v60, v60
	s_mov_b64 vcc, s[8:9]
	s_cbranch_vccz .LBB113_143
; %bb.142:
	v_min_f32_e32 v60, 0, v61
	v_cvt_f64_f32_e32 v[62:63], v60
	v_lshl_add_u64 v[64:65], v[164:165], 3, v[56:57]
	flat_store_dwordx2 v[64:65], v[62:63]
	s_mov_b64 s[2:3], 0
.LBB113_143:
	v_lshl_add_u64 v[58:59], v[58:59], 3, s[14:15]
	s_andn2_b64 vcc, exec, s[2:3]
	v_mov_b32_e32 v60, 0
	s_cbranch_vccnz .LBB113_145
; %bb.144:
	v_lshl_add_u64 v[62:63], v[58:59], 0, v[168:169]
	flat_load_dwordx2 v[62:63], v[62:63]
	v_lshl_add_u64 v[64:65], v[56:57], 0, v[168:169]
	s_waitcnt vmcnt(0) lgkmcnt(0)
	v_mul_f64 v[62:63], s[10:11], v[62:63]
	v_cvt_f32_f64_e32 v60, v[62:63]
	v_min_f32_e32 v60, v60, v61
	v_cvt_f64_f32_e32 v[60:61], v60
	flat_store_dwordx2 v[64:65], v[60:61]
	v_lshl_add_u64 v[60:61], v[160:161], 3, v[58:59]
	flat_load_dwordx2 v[60:61], v[60:61]
	s_waitcnt vmcnt(0) lgkmcnt(0)
	v_mul_f64 v[60:61], s[10:11], v[60:61]
	v_cvt_f32_f64_e32 v60, v[60:61]
.LBB113_145:
	v_add_f64 v[62:63], v[30:31], v[54:55]
	v_add_f64 v[64:65], v[28:29], v[52:53]
	v_cvt_f32_f64_e32 v61, v[64:65]
	v_cvt_f32_f64_e32 v62, v[62:63]
	v_min3_f32 v61, v61, v62, v203
	v_add_f64 v[62:63], v[26:27], v[54:55]
	v_add_f64 v[64:65], v[24:25], v[52:53]
	v_cvt_f32_f64_e32 v64, v[64:65]
	v_cvt_f32_f64_e32 v62, v[62:63]
	v_min3_f32 v66, v64, v62, v202
	v_add_f64 v[62:63], v[22:23], v[50:51]
	v_add_f64 v[64:65], v[20:21], v[48:49]
	v_cvt_f32_f64_e32 v64, v[64:65]
	v_cvt_f32_f64_e32 v62, v[62:63]
	v_min_f32_e32 v67, v64, v62
	v_add_f64 v[62:63], v[14:15], v[50:51]
	v_add_f64 v[64:65], v[12:13], v[48:49]
	v_cvt_f32_f64_e32 v64, v[64:65]
	v_cvt_f32_f64_e32 v62, v[62:63]
	v_min3_f32 v60, v60, v67, v61
	v_min3_f32 v64, v64, v62, v66
	v_cvt_f64_f32_e32 v[60:61], v60
	v_lshl_add_u64 v[62:63], v[160:161], 3, v[56:57]
	flat_store_dwordx2 v[62:63], v[60:61]
	s_mov_b64 s[2:3], -1
	v_max_f32_e32 v61, v64, v64
	s_mov_b64 vcc, s[8:9]
	s_cbranch_vccz .LBB113_147
; %bb.146:
	v_min_f32_e32 v60, 0, v61
	v_cvt_f64_f32_e32 v[62:63], v60
	v_lshl_add_u64 v[64:65], v[166:167], 3, v[56:57]
	flat_store_dwordx2 v[64:65], v[62:63]
	s_mov_b64 s[2:3], 0
.LBB113_147:
	s_andn2_b64 vcc, exec, s[2:3]
	v_mov_b32_e32 v60, 0
	s_cbranch_vccnz .LBB113_149
; %bb.148:
	v_lshl_add_u64 v[62:63], v[58:59], 0, v[170:171]
	flat_load_dwordx2 v[62:63], v[62:63]
	v_lshl_add_u64 v[64:65], v[56:57], 0, v[170:171]
	v_lshl_add_u64 v[58:59], v[162:163], 3, v[58:59]
	s_waitcnt vmcnt(0) lgkmcnt(0)
	v_mul_f64 v[62:63], s[10:11], v[62:63]
	v_cvt_f32_f64_e32 v60, v[62:63]
	v_min_f32_e32 v60, v60, v61
	v_cvt_f64_f32_e32 v[60:61], v60
	flat_store_dwordx2 v[64:65], v[60:61]
	flat_load_dwordx2 v[58:59], v[58:59]
	s_waitcnt vmcnt(0) lgkmcnt(0)
	v_mul_f64 v[58:59], s[10:11], v[58:59]
	v_cvt_f32_f64_e32 v60, v[58:59]
.LBB113_149:
	v_add_f64 v[54:55], v[2:3], v[54:55]
	v_add_f64 v[52:53], v[0:1], v[52:53]
	v_cvt_f32_f64_e32 v52, v[52:53]
	v_cvt_f32_f64_e32 v53, v[54:55]
	v_add_f64 v[50:51], v[6:7], v[50:51]
	v_add_f64 v[48:49], v[4:5], v[48:49]
	v_min3_f32 v58, v52, v53, v201
	v_add_f64 v[52:53], v[38:39], v[46:47]
	v_add_f64 v[54:55], v[36:37], v[44:45]
	v_cvt_f32_f64_e32 v48, v[48:49]
	v_cvt_f32_f64_e32 v49, v[50:51]
	;; [unrolled: 1-line block ×4, first 2 shown]
	v_min_f32_e32 v53, v48, v49
	v_add_f64 v[48:49], v[34:35], v[42:43]
	v_add_f64 v[50:51], v[32:33], v[40:41]
	v_min3_f32 v52, v54, v52, v200
	v_cvt_f32_f64_e32 v50, v[50:51]
	v_cvt_f32_f64_e32 v48, v[48:49]
	v_min3_f32 v52, v50, v48, v52
	v_min3_f32 v48, v60, v53, v58
	v_cvt_f64_f32_e32 v[48:49], v48
	v_lshl_add_u64 v[50:51], v[162:163], 3, v[56:57]
	flat_store_dwordx2 v[50:51], v[48:49]
	v_add_u32_e32 v50, 0x70, v176
	v_mad_i64_i32 v[48:49], s[2:3], v50, s5, 0
	v_mad_i64_i32 v[50:51], s[2:3], v50, s4, 0
	v_lshl_add_u64 v[48:49], v[48:49], 3, s[0:1]
	s_mov_b64 s[2:3], -1
	v_max_f32_e32 v53, v52, v52
	s_mov_b64 vcc, s[8:9]
	s_cbranch_vccz .LBB113_151
; %bb.150:
	v_min_f32_e32 v52, 0, v53
	v_cvt_f64_f32_e32 v[54:55], v52
	v_lshl_add_u64 v[56:57], v[164:165], 3, v[48:49]
	flat_store_dwordx2 v[56:57], v[54:55]
	s_mov_b64 s[2:3], 0
.LBB113_151:
	v_lshl_add_u64 v[50:51], v[50:51], 3, s[14:15]
	s_andn2_b64 vcc, exec, s[2:3]
	v_mov_b32_e32 v52, 0
	s_cbranch_vccnz .LBB113_153
; %bb.152:
	v_lshl_add_u64 v[54:55], v[50:51], 0, v[168:169]
	flat_load_dwordx2 v[54:55], v[54:55]
	v_lshl_add_u64 v[56:57], v[48:49], 0, v[168:169]
	s_waitcnt vmcnt(0) lgkmcnt(0)
	v_mul_f64 v[54:55], s[10:11], v[54:55]
	v_cvt_f32_f64_e32 v52, v[54:55]
	v_min_f32_e32 v52, v52, v53
	v_cvt_f64_f32_e32 v[52:53], v52
	flat_store_dwordx2 v[56:57], v[52:53]
	v_lshl_add_u64 v[52:53], v[160:161], 3, v[50:51]
	flat_load_dwordx2 v[52:53], v[52:53]
	s_waitcnt vmcnt(0) lgkmcnt(0)
	v_mul_f64 v[52:53], s[10:11], v[52:53]
	v_cvt_f32_f64_e32 v52, v[52:53]
.LBB113_153:
	v_add_f64 v[54:55], v[30:31], v[46:47]
	v_add_f64 v[56:57], v[28:29], v[44:45]
	v_cvt_f32_f64_e32 v53, v[56:57]
	v_cvt_f32_f64_e32 v54, v[54:55]
	v_min3_f32 v53, v53, v54, v199
	v_add_f64 v[54:55], v[26:27], v[46:47]
	v_add_f64 v[56:57], v[24:25], v[44:45]
	v_cvt_f32_f64_e32 v56, v[56:57]
	v_cvt_f32_f64_e32 v54, v[54:55]
	v_min3_f32 v58, v56, v54, v198
	v_add_f64 v[54:55], v[22:23], v[42:43]
	v_add_f64 v[56:57], v[20:21], v[40:41]
	v_cvt_f32_f64_e32 v56, v[56:57]
	v_cvt_f32_f64_e32 v54, v[54:55]
	v_min_f32_e32 v59, v56, v54
	v_add_f64 v[54:55], v[14:15], v[42:43]
	v_add_f64 v[56:57], v[12:13], v[40:41]
	v_cvt_f32_f64_e32 v56, v[56:57]
	v_cvt_f32_f64_e32 v54, v[54:55]
	v_min3_f32 v52, v52, v59, v53
	v_min3_f32 v56, v56, v54, v58
	v_cvt_f64_f32_e32 v[52:53], v52
	v_lshl_add_u64 v[54:55], v[160:161], 3, v[48:49]
	flat_store_dwordx2 v[54:55], v[52:53]
	s_mov_b64 s[2:3], -1
	v_max_f32_e32 v53, v56, v56
	s_mov_b64 vcc, s[8:9]
	s_cbranch_vccz .LBB113_155
; %bb.154:
	v_min_f32_e32 v52, 0, v53
	v_cvt_f64_f32_e32 v[54:55], v52
	v_lshl_add_u64 v[56:57], v[166:167], 3, v[48:49]
	flat_store_dwordx2 v[56:57], v[54:55]
	s_mov_b64 s[2:3], 0
.LBB113_155:
	s_andn2_b64 vcc, exec, s[2:3]
	v_mov_b32_e32 v52, 0
	s_cbranch_vccnz .LBB113_157
; %bb.156:
	v_lshl_add_u64 v[54:55], v[50:51], 0, v[170:171]
	flat_load_dwordx2 v[54:55], v[54:55]
	v_lshl_add_u64 v[56:57], v[48:49], 0, v[170:171]
	v_lshl_add_u64 v[50:51], v[162:163], 3, v[50:51]
	s_waitcnt vmcnt(0) lgkmcnt(0)
	v_mul_f64 v[54:55], s[10:11], v[54:55]
	v_cvt_f32_f64_e32 v52, v[54:55]
	v_min_f32_e32 v52, v52, v53
	v_cvt_f64_f32_e32 v[52:53], v52
	flat_store_dwordx2 v[56:57], v[52:53]
	flat_load_dwordx2 v[50:51], v[50:51]
	s_waitcnt vmcnt(0) lgkmcnt(0)
	v_mul_f64 v[50:51], s[10:11], v[50:51]
	v_cvt_f32_f64_e32 v52, v[50:51]
.LBB113_157:
	v_add_f64 v[46:47], v[2:3], v[46:47]
	v_add_f64 v[44:45], v[0:1], v[44:45]
	;; [unrolled: 1-line block ×4, first 2 shown]
	v_cvt_f32_f64_e32 v44, v[44:45]
	v_cvt_f32_f64_e32 v45, v[46:47]
	;; [unrolled: 1-line block ×4, first 2 shown]
	v_min3_f32 v44, v44, v45, v197
	v_min3_f32 v45, v36, v37, v196
	v_add_f64 v[36:37], v[6:7], v[42:43]
	v_add_f64 v[38:39], v[4:5], v[40:41]
	v_cvt_f32_f64_e32 v38, v[38:39]
	v_cvt_f32_f64_e32 v36, v[36:37]
	v_add_f64 v[34:35], v[34:35], v[18:19]
	v_add_f64 v[32:33], v[32:33], v[16:17]
	v_min_f32_e32 v36, v38, v36
	v_cvt_f32_f64_e32 v32, v[32:33]
	v_cvt_f32_f64_e32 v33, v[34:35]
	v_min3_f32 v37, v32, v33, v45
	v_min3_f32 v32, v52, v36, v44
	v_cvt_f64_f32_e32 v[32:33], v32
	v_lshl_add_u64 v[34:35], v[162:163], 3, v[48:49]
	flat_store_dwordx2 v[34:35], v[32:33]
	v_add_u32_e32 v34, 0x78, v176
	v_mad_i64_i32 v[32:33], s[2:3], v34, s5, 0
	v_lshl_add_u64 v[32:33], v[32:33], 3, s[0:1]
	v_mad_i64_i32 v[34:35], s[0:1], v34, s4, 0
	s_mov_b64 s[0:1], -1
	v_max_f32_e32 v37, v37, v37
	s_mov_b64 vcc, s[8:9]
	s_cbranch_vccz .LBB113_159
; %bb.158:
	v_min_f32_e32 v36, 0, v37
	v_cvt_f64_f32_e32 v[38:39], v36
	v_lshl_add_u64 v[40:41], v[164:165], 3, v[32:33]
	flat_store_dwordx2 v[40:41], v[38:39]
	s_mov_b64 s[0:1], 0
.LBB113_159:
	v_lshl_add_u64 v[34:35], v[34:35], 3, s[14:15]
	s_andn2_b64 vcc, exec, s[0:1]
	v_mov_b32_e32 v36, 0
	s_cbranch_vccnz .LBB113_161
; %bb.160:
	v_lshl_add_u64 v[38:39], v[34:35], 0, v[168:169]
	flat_load_dwordx2 v[38:39], v[38:39]
	v_lshl_add_u64 v[40:41], v[32:33], 0, v[168:169]
	s_waitcnt vmcnt(0) lgkmcnt(0)
	v_mul_f64 v[38:39], s[10:11], v[38:39]
	v_cvt_f32_f64_e32 v36, v[38:39]
	v_min_f32_e32 v36, v36, v37
	v_cvt_f64_f32_e32 v[36:37], v36
	flat_store_dwordx2 v[40:41], v[36:37]
	v_lshl_add_u64 v[36:37], v[160:161], 3, v[34:35]
	flat_load_dwordx2 v[36:37], v[36:37]
	s_waitcnt vmcnt(0) lgkmcnt(0)
	v_mul_f64 v[36:37], s[10:11], v[36:37]
	v_cvt_f32_f64_e32 v36, v[36:37]
.LBB113_161:
	v_add_f64 v[30:31], v[30:31], v[10:11]
	v_add_f64 v[28:29], v[28:29], v[8:9]
	;; [unrolled: 1-line block ×6, first 2 shown]
	v_cvt_f32_f64_e32 v28, v[28:29]
	v_cvt_f32_f64_e32 v29, v[30:31]
	;; [unrolled: 1-line block ×6, first 2 shown]
	v_add_f64 v[14:15], v[14:15], v[18:19]
	v_add_f64 v[12:13], v[12:13], v[16:17]
	v_min3_f32 v28, v28, v29, v194
	v_min3_f32 v24, v24, v25, v193
	v_min_f32_e32 v20, v20, v21
	v_cvt_f32_f64_e32 v12, v[12:13]
	v_cvt_f32_f64_e32 v13, v[14:15]
	v_min3_f32 v21, v12, v13, v24
	v_min3_f32 v12, v36, v20, v28
	v_cvt_f64_f32_e32 v[12:13], v12
	v_lshl_add_u64 v[14:15], v[160:161], 3, v[32:33]
	flat_store_dwordx2 v[14:15], v[12:13]
	s_mov_b64 s[0:1], -1
	v_max_f32_e32 v13, v21, v21
	s_mov_b64 vcc, s[8:9]
	s_cbranch_vccz .LBB113_163
; %bb.162:
	v_min_f32_e32 v12, 0, v13
	v_cvt_f64_f32_e32 v[14:15], v12
	v_lshl_add_u64 v[20:21], v[166:167], 3, v[32:33]
	flat_store_dwordx2 v[20:21], v[14:15]
	s_mov_b64 s[0:1], 0
.LBB113_163:
	s_andn2_b64 vcc, exec, s[0:1]
	v_mov_b32_e32 v12, 0
	s_cbranch_vccnz .LBB113_165
; %bb.164:
	v_lshl_add_u64 v[14:15], v[34:35], 0, v[170:171]
	flat_load_dwordx2 v[14:15], v[14:15]
	v_lshl_add_u64 v[20:21], v[32:33], 0, v[170:171]
	s_waitcnt vmcnt(0) lgkmcnt(0)
	v_mul_f64 v[14:15], s[10:11], v[14:15]
	v_cvt_f32_f64_e32 v12, v[14:15]
	v_min_f32_e32 v12, v12, v13
	v_cvt_f64_f32_e32 v[12:13], v12
	flat_store_dwordx2 v[20:21], v[12:13]
	v_lshl_add_u64 v[12:13], v[162:163], 3, v[34:35]
	flat_load_dwordx2 v[12:13], v[12:13]
	s_waitcnt vmcnt(0) lgkmcnt(0)
	v_mul_f64 v[12:13], s[10:11], v[12:13]
	v_cvt_f32_f64_e32 v12, v[12:13]
.LBB113_165:
	v_add_f64 v[6:7], v[6:7], v[18:19]
	v_add_f64 v[4:5], v[4:5], v[16:17]
	;; [unrolled: 1-line block ×4, first 2 shown]
	v_cvt_f32_f64_e32 v4, v[4:5]
	v_cvt_f32_f64_e32 v5, v[6:7]
	;; [unrolled: 1-line block ×4, first 2 shown]
	v_min_f32_e32 v4, v4, v5
	v_min3_f32 v0, v0, v1, v184
	v_min3_f32 v0, v12, v4, v0
	v_cvt_f64_f32_e32 v[0:1], v0
	v_lshl_add_u64 v[2:3], v[162:163], 3, v[32:33]
	flat_store_dwordx2 v[2:3], v[0:1]
	s_endpgm
	.section	.rodata,"a",@progbits
	.p2align	6, 0x0
	.amdhsa_kernel _ZN12_GLOBAL__N_120geam_min_plus_kernelId15HIP_vector_typeIdLj2EEdLi32ELi8ELi128ELi128ELi4ELi4ELi64ELi4ELi64ELc84ELc78ELb0ELb0ELb1EdKPKdKPdEEviiiT16_PT17_ilSA_ilS8_SA_ilPT18_ili26rocblas_geam_ex_operation_
		.amdhsa_group_segment_fixed_size 16384
		.amdhsa_private_segment_fixed_size 0
		.amdhsa_kernarg_size 136
		.amdhsa_user_sgpr_count 2
		.amdhsa_user_sgpr_dispatch_ptr 0
		.amdhsa_user_sgpr_queue_ptr 0
		.amdhsa_user_sgpr_kernarg_segment_ptr 1
		.amdhsa_user_sgpr_dispatch_id 0
		.amdhsa_user_sgpr_kernarg_preload_length 0
		.amdhsa_user_sgpr_kernarg_preload_offset 0
		.amdhsa_user_sgpr_private_segment_size 0
		.amdhsa_uses_dynamic_stack 0
		.amdhsa_enable_private_segment 0
		.amdhsa_system_sgpr_workgroup_id_x 1
		.amdhsa_system_sgpr_workgroup_id_y 0
		.amdhsa_system_sgpr_workgroup_id_z 1
		.amdhsa_system_sgpr_workgroup_info 0
		.amdhsa_system_vgpr_workitem_id 1
		.amdhsa_next_free_vgpr 260
		.amdhsa_next_free_sgpr 28
		.amdhsa_accum_offset 256
		.amdhsa_reserve_vcc 1
		.amdhsa_float_round_mode_32 0
		.amdhsa_float_round_mode_16_64 0
		.amdhsa_float_denorm_mode_32 3
		.amdhsa_float_denorm_mode_16_64 3
		.amdhsa_dx10_clamp 1
		.amdhsa_ieee_mode 1
		.amdhsa_fp16_overflow 0
		.amdhsa_tg_split 0
		.amdhsa_exception_fp_ieee_invalid_op 0
		.amdhsa_exception_fp_denorm_src 0
		.amdhsa_exception_fp_ieee_div_zero 0
		.amdhsa_exception_fp_ieee_overflow 0
		.amdhsa_exception_fp_ieee_underflow 0
		.amdhsa_exception_fp_ieee_inexact 0
		.amdhsa_exception_int_div_zero 0
	.end_amdhsa_kernel
	.section	.text._ZN12_GLOBAL__N_120geam_min_plus_kernelId15HIP_vector_typeIdLj2EEdLi32ELi8ELi128ELi128ELi4ELi4ELi64ELi4ELi64ELc84ELc78ELb0ELb0ELb1EdKPKdKPdEEviiiT16_PT17_ilSA_ilS8_SA_ilPT18_ili26rocblas_geam_ex_operation_,"axG",@progbits,_ZN12_GLOBAL__N_120geam_min_plus_kernelId15HIP_vector_typeIdLj2EEdLi32ELi8ELi128ELi128ELi4ELi4ELi64ELi4ELi64ELc84ELc78ELb0ELb0ELb1EdKPKdKPdEEviiiT16_PT17_ilSA_ilS8_SA_ilPT18_ili26rocblas_geam_ex_operation_,comdat
.Lfunc_end113:
	.size	_ZN12_GLOBAL__N_120geam_min_plus_kernelId15HIP_vector_typeIdLj2EEdLi32ELi8ELi128ELi128ELi4ELi4ELi64ELi4ELi64ELc84ELc78ELb0ELb0ELb1EdKPKdKPdEEviiiT16_PT17_ilSA_ilS8_SA_ilPT18_ili26rocblas_geam_ex_operation_, .Lfunc_end113-_ZN12_GLOBAL__N_120geam_min_plus_kernelId15HIP_vector_typeIdLj2EEdLi32ELi8ELi128ELi128ELi4ELi4ELi64ELi4ELi64ELc84ELc78ELb0ELb0ELb1EdKPKdKPdEEviiiT16_PT17_ilSA_ilS8_SA_ilPT18_ili26rocblas_geam_ex_operation_
                                        ; -- End function
	.set _ZN12_GLOBAL__N_120geam_min_plus_kernelId15HIP_vector_typeIdLj2EEdLi32ELi8ELi128ELi128ELi4ELi4ELi64ELi4ELi64ELc84ELc78ELb0ELb0ELb1EdKPKdKPdEEviiiT16_PT17_ilSA_ilS8_SA_ilPT18_ili26rocblas_geam_ex_operation_.num_vgpr, 256
	.set _ZN12_GLOBAL__N_120geam_min_plus_kernelId15HIP_vector_typeIdLj2EEdLi32ELi8ELi128ELi128ELi4ELi4ELi64ELi4ELi64ELc84ELc78ELb0ELb0ELb1EdKPKdKPdEEviiiT16_PT17_ilSA_ilS8_SA_ilPT18_ili26rocblas_geam_ex_operation_.num_agpr, 4
	.set _ZN12_GLOBAL__N_120geam_min_plus_kernelId15HIP_vector_typeIdLj2EEdLi32ELi8ELi128ELi128ELi4ELi4ELi64ELi4ELi64ELc84ELc78ELb0ELb0ELb1EdKPKdKPdEEviiiT16_PT17_ilSA_ilS8_SA_ilPT18_ili26rocblas_geam_ex_operation_.numbered_sgpr, 28
	.set _ZN12_GLOBAL__N_120geam_min_plus_kernelId15HIP_vector_typeIdLj2EEdLi32ELi8ELi128ELi128ELi4ELi4ELi64ELi4ELi64ELc84ELc78ELb0ELb0ELb1EdKPKdKPdEEviiiT16_PT17_ilSA_ilS8_SA_ilPT18_ili26rocblas_geam_ex_operation_.num_named_barrier, 0
	.set _ZN12_GLOBAL__N_120geam_min_plus_kernelId15HIP_vector_typeIdLj2EEdLi32ELi8ELi128ELi128ELi4ELi4ELi64ELi4ELi64ELc84ELc78ELb0ELb0ELb1EdKPKdKPdEEviiiT16_PT17_ilSA_ilS8_SA_ilPT18_ili26rocblas_geam_ex_operation_.private_seg_size, 0
	.set _ZN12_GLOBAL__N_120geam_min_plus_kernelId15HIP_vector_typeIdLj2EEdLi32ELi8ELi128ELi128ELi4ELi4ELi64ELi4ELi64ELc84ELc78ELb0ELb0ELb1EdKPKdKPdEEviiiT16_PT17_ilSA_ilS8_SA_ilPT18_ili26rocblas_geam_ex_operation_.uses_vcc, 1
	.set _ZN12_GLOBAL__N_120geam_min_plus_kernelId15HIP_vector_typeIdLj2EEdLi32ELi8ELi128ELi128ELi4ELi4ELi64ELi4ELi64ELc84ELc78ELb0ELb0ELb1EdKPKdKPdEEviiiT16_PT17_ilSA_ilS8_SA_ilPT18_ili26rocblas_geam_ex_operation_.uses_flat_scratch, 0
	.set _ZN12_GLOBAL__N_120geam_min_plus_kernelId15HIP_vector_typeIdLj2EEdLi32ELi8ELi128ELi128ELi4ELi4ELi64ELi4ELi64ELc84ELc78ELb0ELb0ELb1EdKPKdKPdEEviiiT16_PT17_ilSA_ilS8_SA_ilPT18_ili26rocblas_geam_ex_operation_.has_dyn_sized_stack, 0
	.set _ZN12_GLOBAL__N_120geam_min_plus_kernelId15HIP_vector_typeIdLj2EEdLi32ELi8ELi128ELi128ELi4ELi4ELi64ELi4ELi64ELc84ELc78ELb0ELb0ELb1EdKPKdKPdEEviiiT16_PT17_ilSA_ilS8_SA_ilPT18_ili26rocblas_geam_ex_operation_.has_recursion, 0
	.set _ZN12_GLOBAL__N_120geam_min_plus_kernelId15HIP_vector_typeIdLj2EEdLi32ELi8ELi128ELi128ELi4ELi4ELi64ELi4ELi64ELc84ELc78ELb0ELb0ELb1EdKPKdKPdEEviiiT16_PT17_ilSA_ilS8_SA_ilPT18_ili26rocblas_geam_ex_operation_.has_indirect_call, 0
	.section	.AMDGPU.csdata,"",@progbits
; Kernel info:
; codeLenInByte = 25588
; TotalNumSgprs: 34
; NumVgprs: 256
; NumAgprs: 4
; TotalNumVgprs: 260
; ScratchSize: 0
; MemoryBound: 0
; FloatMode: 240
; IeeeMode: 1
; LDSByteSize: 16384 bytes/workgroup (compile time only)
; SGPRBlocks: 4
; VGPRBlocks: 32
; NumSGPRsForWavesPerEU: 34
; NumVGPRsForWavesPerEU: 260
; AccumOffset: 256
; Occupancy: 1
; WaveLimiterHint : 1
; COMPUTE_PGM_RSRC2:SCRATCH_EN: 0
; COMPUTE_PGM_RSRC2:USER_SGPR: 2
; COMPUTE_PGM_RSRC2:TRAP_HANDLER: 0
; COMPUTE_PGM_RSRC2:TGID_X_EN: 1
; COMPUTE_PGM_RSRC2:TGID_Y_EN: 0
; COMPUTE_PGM_RSRC2:TGID_Z_EN: 1
; COMPUTE_PGM_RSRC2:TIDIG_COMP_CNT: 1
; COMPUTE_PGM_RSRC3_GFX90A:ACCUM_OFFSET: 63
; COMPUTE_PGM_RSRC3_GFX90A:TG_SPLIT: 0
	.section	.text._ZN12_GLOBAL__N_120geam_min_plus_kernelId15HIP_vector_typeIdLj2EEdLi32ELi8ELi128ELi128ELi4ELi4ELi64ELi4ELi64ELc84ELc78ELb0ELb1ELb1EPKdKS4_KPdEEviiiT16_PT17_ilSA_ilS8_SA_ilPT18_ili26rocblas_geam_ex_operation_,"axG",@progbits,_ZN12_GLOBAL__N_120geam_min_plus_kernelId15HIP_vector_typeIdLj2EEdLi32ELi8ELi128ELi128ELi4ELi4ELi64ELi4ELi64ELc84ELc78ELb0ELb1ELb1EPKdKS4_KPdEEviiiT16_PT17_ilSA_ilS8_SA_ilPT18_ili26rocblas_geam_ex_operation_,comdat
	.globl	_ZN12_GLOBAL__N_120geam_min_plus_kernelId15HIP_vector_typeIdLj2EEdLi32ELi8ELi128ELi128ELi4ELi4ELi64ELi4ELi64ELc84ELc78ELb0ELb1ELb1EPKdKS4_KPdEEviiiT16_PT17_ilSA_ilS8_SA_ilPT18_ili26rocblas_geam_ex_operation_ ; -- Begin function _ZN12_GLOBAL__N_120geam_min_plus_kernelId15HIP_vector_typeIdLj2EEdLi32ELi8ELi128ELi128ELi4ELi4ELi64ELi4ELi64ELc84ELc78ELb0ELb1ELb1EPKdKS4_KPdEEviiiT16_PT17_ilSA_ilS8_SA_ilPT18_ili26rocblas_geam_ex_operation_
	.p2align	8
	.type	_ZN12_GLOBAL__N_120geam_min_plus_kernelId15HIP_vector_typeIdLj2EEdLi32ELi8ELi128ELi128ELi4ELi4ELi64ELi4ELi64ELc84ELc78ELb0ELb1ELb1EPKdKS4_KPdEEviiiT16_PT17_ilSA_ilS8_SA_ilPT18_ili26rocblas_geam_ex_operation_,@function
_ZN12_GLOBAL__N_120geam_min_plus_kernelId15HIP_vector_typeIdLj2EEdLi32ELi8ELi128ELi128ELi4ELi4ELi64ELi4ELi64ELc84ELc78ELb0ELb1ELb1EPKdKS4_KPdEEviiiT16_PT17_ilSA_ilS8_SA_ilPT18_ili26rocblas_geam_ex_operation_: ; @_ZN12_GLOBAL__N_120geam_min_plus_kernelId15HIP_vector_typeIdLj2EEdLi32ELi8ELi128ELi128ELi4ELi4ELi64ELi4ELi64ELc84ELc78ELb0ELb1ELb1EPKdKS4_KPdEEviiiT16_PT17_ilSA_ilS8_SA_ilPT18_ili26rocblas_geam_ex_operation_
; %bb.0:
	s_load_dwordx4 s[12:15], s[0:1], 0x10
	s_load_dwordx4 s[8:11], s[0:1], 0x28
	;; [unrolled: 1-line block ×3, first 2 shown]
	s_mov_b32 s16, s3
	s_mov_b32 s17, 0
	s_lshl_b64 s[28:29], s[16:17], 3
	s_waitcnt lgkmcnt(0)
	s_add_u32 s16, s12, s28
	s_addc_u32 s17, s13, s29
	s_load_dwordx2 s[22:23], s[16:17], 0x0
	s_load_dwordx2 s[12:13], s[0:1], 0x50
	s_add_u32 s6, s6, s28
	s_addc_u32 s7, s7, s29
	s_mov_b64 s[24:25], 0
	s_waitcnt lgkmcnt(0)
	v_cmp_eq_f64_e64 s[16:17], s[22:23], 0
	v_cmp_neq_f64_e64 s[18:19], s[22:23], 0
	s_and_b64 vcc, exec, s[16:17]
	s_mov_b64 s[26:27], 0
	s_cbranch_vccnz .LBB114_2
; %bb.1:
	s_add_u32 s14, s14, s28
	s_addc_u32 s15, s15, s29
	s_load_dwordx2 s[14:15], s[14:15], 0x0
	s_lshl_b64 s[8:9], s[8:9], 3
	s_waitcnt lgkmcnt(0)
	s_add_u32 s26, s14, s8
	s_addc_u32 s27, s15, s9
.LBB114_2:
	s_load_dwordx2 s[16:17], s[6:7], 0x0
	s_andn2_b64 vcc, exec, s[18:19]
	s_cbranch_vccnz .LBB114_4
; %bb.3:
	s_add_u32 s6, s10, s28
	s_addc_u32 s7, s11, s29
	s_load_dwordx2 s[6:7], s[6:7], 0x0
	s_lshl_b64 s[4:5], s[4:5], 3
	s_waitcnt lgkmcnt(0)
	s_add_u32 s24, s6, s4
	s_addc_u32 s25, s7, s5
.LBB114_4:
	s_load_dwordx4 s[4:7], s[0:1], 0x60
	s_waitcnt lgkmcnt(0)
	v_cmp_eq_f64_e64 s[8:9], s[16:17], 0
	s_mov_b64 s[18:19], 0
	v_cmp_neq_f64_e64 s[20:21], s[16:17], 0
	s_and_b64 vcc, exec, s[8:9]
	s_cbranch_vccnz .LBB114_6
; %bb.5:
	s_add_u32 s8, s12, s28
	s_addc_u32 s9, s13, s29
	s_load_dwordx2 s[8:9], s[8:9], 0x0
	s_lshl_b64 s[4:5], s[4:5], 3
	s_waitcnt lgkmcnt(0)
	s_add_u32 s18, s8, s4
	s_addc_u32 s19, s9, s5
.LBB114_6:
	s_load_dwordx4 s[12:15], s[0:1], 0x0
	s_load_dword s35, s[0:1], 0x20
	s_add_u32 s30, s6, s28
	s_addc_u32 s31, s7, s29
	v_and_b32_e32 v182, 0x3ff, v0
	s_waitcnt lgkmcnt(0)
	s_add_i32 s3, s12, -1
	s_ashr_i32 s4, s3, 31
	s_lshr_b32 s4, s4, 25
	s_add_i32 s3, s3, s4
	s_ashr_i32 s3, s3, 7
	s_add_i32 s4, s3, 1
	v_cvt_f32_u32_e32 v1, s4
	s_not_b32 s3, s3
	v_bfe_u32 v183, v0, 10, 10
	v_and_b32_e32 v190, 3, v0
	v_rcp_iflag_f32_e32 v1, v1
	v_lshl_add_u32 v0, v183, 5, v182
	v_lshrrev_b32_e32 v12, 2, v0
	v_cmp_le_i32_e64 s[8:9], s14, v190
	v_mul_f32_e32 v1, 0x4f7ffffe, v1
	v_cvt_u32_f32_e32 v1, v1
	v_cmp_eq_f64_e64 s[28:29], s[22:23], 0
	v_mov_b32_e32 v2, 0x7fefffff
	v_readfirstlane_b32 s5, v1
	s_mul_i32 s3, s3, s5
	s_mul_hi_u32 s3, s5, s3
	s_add_i32 s5, s5, s3
	s_mul_hi_u32 s3, s2, s5
	s_mul_i32 s5, s3, s4
	s_sub_i32 s5, s2, s5
	s_add_i32 s6, s3, 1
	s_sub_i32 s7, s5, s4
	s_cmp_ge_u32 s5, s4
	s_cselect_b32 s3, s6, s3
	s_cselect_b32 s5, s7, s5
	s_add_i32 s6, s3, 1
	s_cmp_ge_u32 s5, s4
	s_cselect_b32 s6, s6, s3
	s_mul_i32 s3, s6, s4
	s_sub_i32 s2, s2, s3
	s_lshl_b32 s33, s2, 7
	s_add_i32 s15, s14, -1
	v_add_u32_e32 v108, s33, v12
	v_min_i32_e32 v4, s15, v190
	v_cmp_le_i32_e32 vcc, s12, v108
	v_ashrrev_i32_e32 v5, 31, v4
	s_or_b64 s[2:3], s[8:9], vcc
	v_lshl_add_u64 v[6:7], v[4:5], 3, s[26:27]
	v_cndmask_b32_e64 v1, 0, v2, s[2:3]
	s_nor_b64 s[4:5], s[28:29], s[2:3]
	v_cndmask_b32_e64 v0, 0, -1, s[2:3]
	s_and_saveexec_b64 s[2:3], s[4:5]
	s_cbranch_execz .LBB114_8
; %bb.7:
	v_mad_i64_i32 v[0:1], s[4:5], v108, s35, 0
	v_lshl_add_u64 v[0:1], v[0:1], 3, v[6:7]
	flat_load_dwordx2 v[0:1], v[0:1]
	s_waitcnt vmcnt(0) lgkmcnt(0)
	v_mul_f64 v[0:1], s[22:23], v[0:1]
.LBB114_8:
	s_or_b64 exec, exec, s[2:3]
	v_add_u32_e32 v109, 64, v108
	v_cmp_le_i32_e64 s[2:3], s12, v109
	s_or_b64 s[4:5], s[8:9], s[2:3]
	v_cndmask_b32_e64 v3, 0, v2, s[4:5]
	s_nor_b64 s[10:11], s[28:29], s[4:5]
	v_cndmask_b32_e64 v2, 0, -1, s[4:5]
	s_and_saveexec_b64 s[4:5], s[10:11]
	s_cbranch_execz .LBB114_10
; %bb.9:
	v_mad_i64_i32 v[2:3], s[10:11], v109, s35, 0
	v_lshl_add_u64 v[2:3], v[2:3], 3, v[6:7]
	flat_load_dwordx2 v[2:3], v[2:3]
	s_waitcnt vmcnt(0) lgkmcnt(0)
	v_mul_f64 v[2:3], s[22:23], v[2:3]
.LBB114_10:
	s_or_b64 exec, exec, s[4:5]
	s_load_dword s37, s[0:1], 0x38
	s_lshl_b32 s34, s6, 7
	v_add_u32_e32 v110, s34, v12
	v_cmp_le_i32_e64 s[4:5], s13, v110
	v_mov_b32_e32 v6, 0x7fefffff
	s_or_b64 s[6:7], s[8:9], s[4:5]
	v_lshl_add_u64 v[8:9], v[4:5], 3, s[24:25]
	v_cndmask_b32_e64 v5, 0, v6, s[6:7]
	s_nor_b64 s[10:11], s[28:29], s[6:7]
	v_cndmask_b32_e64 v4, 0, -1, s[6:7]
	s_and_saveexec_b64 s[6:7], s[10:11]
	s_cbranch_execz .LBB114_12
; %bb.11:
	s_waitcnt lgkmcnt(0)
	v_mad_i64_i32 v[4:5], s[10:11], v110, s37, 0
	v_lshl_add_u64 v[4:5], v[4:5], 3, v[8:9]
	flat_load_dwordx2 v[4:5], v[4:5]
	s_waitcnt vmcnt(0) lgkmcnt(0)
	v_mul_f64 v[4:5], s[22:23], v[4:5]
.LBB114_12:
	s_or_b64 exec, exec, s[6:7]
	v_add_u32_e32 v111, 64, v110
	v_cmp_le_i32_e64 s[6:7], s13, v111
	s_or_b64 s[8:9], s[8:9], s[6:7]
	v_cndmask_b32_e64 v7, 0, v6, s[8:9]
	s_nor_b64 s[10:11], s[28:29], s[8:9]
	v_cndmask_b32_e64 v6, 0, -1, s[8:9]
	s_and_saveexec_b64 s[8:9], s[10:11]
	s_cbranch_execz .LBB114_14
; %bb.13:
	s_waitcnt lgkmcnt(0)
	v_mad_i64_i32 v[6:7], s[10:11], v111, s37, 0
	v_lshl_add_u64 v[6:7], v[6:7], 3, v[8:9]
	flat_load_dwordx2 v[6:7], v[6:7]
	s_waitcnt vmcnt(0) lgkmcnt(0)
	v_mul_f64 v[6:7], s[22:23], v[6:7]
.LBB114_14:
	s_or_b64 exec, exec, s[8:9]
	v_or_b32_e32 v8, 4, v190
	v_cmp_le_i32_e64 s[8:9], s14, v8
	v_min_i32_e32 v8, s15, v8
	v_ashrrev_i32_e32 v9, 31, v8
	v_mov_b32_e32 v13, 0x7fefffff
	s_or_b64 s[10:11], s[8:9], vcc
	v_lshl_add_u64 v[10:11], v[8:9], 3, s[26:27]
	v_cndmask_b32_e64 v101, 0, v13, s[10:11]
	s_nor_b64 s[38:39], s[28:29], s[10:11]
	v_cndmask_b32_e64 v100, 0, -1, s[10:11]
	s_and_saveexec_b64 s[10:11], s[38:39]
	s_cbranch_execz .LBB114_16
; %bb.15:
	v_mad_i64_i32 v[14:15], s[38:39], v108, s35, 0
	v_lshl_add_u64 v[14:15], v[14:15], 3, v[10:11]
	flat_load_dwordx2 v[14:15], v[14:15]
	s_waitcnt vmcnt(0) lgkmcnt(0)
	v_mul_f64 v[100:101], s[22:23], v[14:15]
.LBB114_16:
	s_or_b64 exec, exec, s[10:11]
	s_or_b64 s[10:11], s[8:9], s[2:3]
	v_cndmask_b32_e64 v103, 0, v13, s[10:11]
	s_nor_b64 s[38:39], s[28:29], s[10:11]
	v_cndmask_b32_e64 v102, 0, -1, s[10:11]
	s_and_saveexec_b64 s[10:11], s[38:39]
	s_cbranch_execz .LBB114_18
; %bb.17:
	v_mad_i64_i32 v[14:15], s[38:39], v109, s35, 0
	v_lshl_add_u64 v[10:11], v[14:15], 3, v[10:11]
	flat_load_dwordx2 v[10:11], v[10:11]
	s_waitcnt vmcnt(0) lgkmcnt(0)
	v_mul_f64 v[102:103], s[22:23], v[10:11]
.LBB114_18:
	s_or_b64 exec, exec, s[10:11]
	v_mov_b32_e32 v10, 0x7fefffff
	s_or_b64 s[10:11], s[8:9], s[4:5]
	v_lshl_add_u64 v[8:9], v[8:9], 3, s[24:25]
	v_cndmask_b32_e64 v105, 0, v10, s[10:11]
	s_nor_b64 s[38:39], s[28:29], s[10:11]
	v_cndmask_b32_e64 v104, 0, -1, s[10:11]
	s_and_saveexec_b64 s[10:11], s[38:39]
	s_cbranch_execz .LBB114_20
; %bb.19:
	s_waitcnt lgkmcnt(0)
	v_mad_i64_i32 v[14:15], s[38:39], v110, s37, 0
	v_lshl_add_u64 v[14:15], v[14:15], 3, v[8:9]
	flat_load_dwordx2 v[14:15], v[14:15]
	s_waitcnt vmcnt(0) lgkmcnt(0)
	v_mul_f64 v[104:105], s[22:23], v[14:15]
.LBB114_20:
	s_or_b64 exec, exec, s[10:11]
	s_or_b64 s[8:9], s[8:9], s[6:7]
	v_cndmask_b32_e64 v107, 0, v10, s[8:9]
	s_nor_b64 s[10:11], s[28:29], s[8:9]
	v_cndmask_b32_e64 v106, 0, -1, s[8:9]
	s_and_saveexec_b64 s[8:9], s[10:11]
	s_cbranch_execz .LBB114_22
; %bb.21:
	s_waitcnt lgkmcnt(0)
	v_mad_i64_i32 v[10:11], s[10:11], v111, s37, 0
	v_lshl_add_u64 v[8:9], v[10:11], 3, v[8:9]
	flat_load_dwordx2 v[8:9], v[8:9]
	s_waitcnt vmcnt(0) lgkmcnt(0)
	v_mul_f64 v[106:107], s[22:23], v[8:9]
.LBB114_22:
	s_or_b64 exec, exec, s[8:9]
	v_lshlrev_b32_e32 v8, 5, v12
	v_lshl_or_b32 v197, v190, 3, v8
	v_lshlrev_b32_e32 v192, 5, v182
	s_load_dwordx2 s[30:31], s[30:31], 0x0
	ds_write2st64_b64 v197, v[0:1], v[2:3] offset1:4
	ds_write2st64_b64 v197, v[4:5], v[6:7] offset0:16 offset1:20
	s_waitcnt lgkmcnt(0)
	s_barrier
	v_lshlrev_b32_e32 v189, 5, v183
	ds_read_b128 v[16:19], v192 offset:1024
	ds_read_b128 v[12:15], v192 offset:2048
	;; [unrolled: 1-line block ×16, first 2 shown]
	ds_read_b128 v[24:27], v192
	ds_read_b128 v[96:99], v189 offset:8192
	ds_read_b128 v[28:31], v189 offset:11776
	ds_read_b128 v[20:23], v189 offset:12032
	ds_read_b128 v[0:3], v192 offset:16
	ds_read_b128 v[4:7], v189 offset:8208
	s_waitcnt lgkmcnt(5)
	v_add_f64 v[114:115], v[26:27], v[94:95]
	v_add_f64 v[116:117], v[24:25], v[92:93]
	s_mov_b32 s8, 0x7f800000
	v_cvt_f32_f64_e32 v113, v[116:117]
	v_cvt_f32_f64_e32 v114, v[114:115]
	v_min3_f32 v172, v113, v114, s8
	v_add_f64 v[114:115], v[18:19], v[94:95]
	v_add_f64 v[116:117], v[16:17], v[92:93]
	v_cvt_f32_f64_e32 v113, v[116:117]
	v_cvt_f32_f64_e32 v114, v[114:115]
	v_min3_f32 v173, v113, v114, s8
	v_add_f64 v[114:115], v[14:15], v[94:95]
	v_add_f64 v[116:117], v[12:13], v[92:93]
	;; [unrolled: 5-line block ×36, first 2 shown]
	s_waitcnt lgkmcnt(4)
	v_add_f64 v[48:49], v[26:27], v[98:99]
	v_add_f64 v[50:51], v[24:25], v[96:97]
	v_cvt_f32_f64_e32 v113, v[116:117]
	v_cvt_f32_f64_e32 v114, v[114:115]
	;; [unrolled: 1-line block ×4, first 2 shown]
	v_min3_f32 v122, v113, v114, s8
	v_add_f64 v[114:115], v[18:19], v[34:35]
	v_add_f64 v[116:117], v[16:17], v[32:33]
	v_min3_f32 v112, v50, v48, s8
	v_add_f64 v[48:49], v[18:19], v[98:99]
	v_add_f64 v[50:51], v[16:17], v[96:97]
	v_cvt_f32_f64_e32 v113, v[116:117]
	v_cvt_f32_f64_e32 v114, v[114:115]
	v_cvt_f32_f64_e32 v50, v[50:51]
	v_cvt_f32_f64_e32 v48, v[48:49]
	v_min3_f32 v120, v113, v114, s8
	v_add_f64 v[114:115], v[14:15], v[34:35]
	v_add_f64 v[116:117], v[12:13], v[32:33]
	ds_read_b128 v[52:55], v192 offset:1040
	v_min3_f32 v165, v50, v48, s8
	v_add_f64 v[48:49], v[14:15], v[98:99]
	v_add_f64 v[50:51], v[12:13], v[96:97]
	v_cvt_f32_f64_e32 v113, v[116:117]
	v_cvt_f32_f64_e32 v114, v[114:115]
	s_waitcnt lgkmcnt(4)
	v_add_f64 v[166:167], v[26:27], v[30:31]
	v_add_f64 v[168:169], v[24:25], v[28:29]
	v_cvt_f32_f64_e32 v50, v[50:51]
	v_cvt_f32_f64_e32 v48, v[48:49]
	v_min3_f32 v117, v113, v114, s8
	v_cvt_f32_f64_e32 v113, v[168:169]
	v_cvt_f32_f64_e32 v114, v[166:167]
	v_add_f64 v[166:167], v[18:19], v[30:31]
	v_add_f64 v[168:169], v[16:17], v[28:29]
	ds_read_b128 v[56:59], v192 offset:2064
	v_min3_f32 v170, v50, v48, s8
	ds_read_b128 v[48:51], v192 offset:3088
	v_add_f64 v[98:99], v[10:11], v[98:99]
	v_add_f64 v[96:97], v[8:9], v[96:97]
	v_add_f64 v[94:95], v[10:11], v[94:95]
	v_add_f64 v[92:93], v[8:9], v[92:93]
	v_add_f64 v[90:91], v[10:11], v[90:91]
	v_add_f64 v[88:89], v[8:9], v[88:89]
	v_add_f64 v[86:87], v[10:11], v[86:87]
	v_add_f64 v[84:85], v[8:9], v[84:85]
	v_add_f64 v[82:83], v[10:11], v[82:83]
	v_add_f64 v[80:81], v[8:9], v[80:81]
	v_add_f64 v[78:79], v[10:11], v[78:79]
	v_add_f64 v[76:77], v[8:9], v[76:77]
	v_add_f64 v[74:75], v[10:11], v[74:75]
	v_add_f64 v[72:73], v[8:9], v[72:73]
	v_add_f64 v[70:71], v[10:11], v[70:71]
	v_add_f64 v[68:69], v[8:9], v[68:69]
	v_add_f64 v[66:67], v[10:11], v[66:67]
	v_add_f64 v[64:65], v[8:9], v[64:65]
	v_add_f64 v[62:63], v[10:11], v[62:63]
	v_add_f64 v[60:61], v[8:9], v[60:61]
	v_add_f64 v[46:47], v[10:11], v[46:47]
	v_add_f64 v[44:45], v[8:9], v[44:45]
	v_add_f64 v[42:43], v[10:11], v[42:43]
	v_add_f64 v[40:41], v[8:9], v[40:41]
	v_add_f64 v[38:39], v[10:11], v[38:39]
	v_add_f64 v[36:37], v[8:9], v[36:37]
	v_add_f64 v[34:35], v[10:11], v[34:35]
	v_add_f64 v[32:33], v[8:9], v[32:33]
	v_min3_f32 v118, v113, v114, s8
	v_cvt_f32_f64_e32 v113, v[168:169]
	v_cvt_f32_f64_e32 v114, v[166:167]
	v_add_f64 v[166:167], v[14:15], v[30:31]
	v_add_f64 v[168:169], v[12:13], v[28:29]
	;; [unrolled: 1-line block ×4, first 2 shown]
	s_waitcnt lgkmcnt(5)
	v_add_f64 v[14:15], v[14:15], v[22:23]
	v_add_f64 v[12:13], v[12:13], v[20:21]
	;; [unrolled: 1-line block ×4, first 2 shown]
	v_cvt_f32_f64_e32 v96, v[96:97]
	v_cvt_f32_f64_e32 v97, v[98:99]
	;; [unrolled: 1-line block ×6, first 2 shown]
	s_waitcnt lgkmcnt(3)
	v_add_f64 v[10:11], v[2:3], v[6:7]
	v_add_f64 v[14:15], v[0:1], v[4:5]
	v_min3_f32 v171, v96, v97, s8
	ds_read_b128 v[96:99], v189 offset:8464
	v_min3_f32 v116, v113, v114, s8
	v_cvt_f32_f64_e32 v113, v[168:169]
	v_cvt_f32_f64_e32 v114, v[166:167]
	;; [unrolled: 1-line block ×4, first 2 shown]
	v_min3_f32 v8, v8, v9, s8
	v_cvt_f32_f64_e32 v9, v[14:15]
	v_cvt_f32_f64_e32 v10, v[10:11]
	v_min3_f32 v114, v113, v114, s8
	v_min3_f32 v113, v28, v29, s8
	ds_read_b128 v[28:31], v189 offset:12048
	v_min3_f32 v252, v9, v10, v112
	s_waitcnt lgkmcnt(4)
	v_add_f64 v[10:11], v[54:55], v[6:7]
	v_add_f64 v[14:15], v[52:53], v[4:5]
	v_cvt_f32_f64_e32 v9, v[14:15]
	v_cvt_f32_f64_e32 v10, v[10:11]
	v_min3_f32 v251, v9, v10, v165
	s_waitcnt lgkmcnt(3)
	v_add_f64 v[10:11], v[58:59], v[6:7]
	v_add_f64 v[14:15], v[56:57], v[4:5]
	s_waitcnt lgkmcnt(2)
	v_add_f64 v[6:7], v[50:51], v[6:7]
	v_add_f64 v[4:5], v[48:49], v[4:5]
	v_cvt_f32_f64_e32 v92, v[92:93]
	v_cvt_f32_f64_e32 v93, v[94:95]
	v_cvt_f32_f64_e32 v4, v[4:5]
	v_cvt_f32_f64_e32 v5, v[6:7]
	v_min3_f32 v163, v92, v93, s8
	ds_read_b128 v[92:95], v189 offset:8720
	v_min3_f32 v249, v4, v5, v171
	s_waitcnt lgkmcnt(2)
	v_add_f64 v[4:5], v[2:3], v[98:99]
	v_add_f64 v[6:7], v[0:1], v[96:97]
	v_cvt_f32_f64_e32 v6, v[6:7]
	v_cvt_f32_f64_e32 v4, v[4:5]
	v_min3_f32 v248, v6, v4, v172
	v_add_f64 v[4:5], v[54:55], v[98:99]
	v_add_f64 v[6:7], v[52:53], v[96:97]
	v_cvt_f32_f64_e32 v6, v[6:7]
	v_cvt_f32_f64_e32 v4, v[4:5]
	v_min3_f32 v242, v6, v4, v173
	v_add_f64 v[4:5], v[58:59], v[98:99]
	v_add_f64 v[6:7], v[56:57], v[96:97]
	v_cvt_f32_f64_e32 v6, v[6:7]
	v_cvt_f32_f64_e32 v4, v[4:5]
	v_min3_f32 v241, v6, v4, v174
	v_add_f64 v[4:5], v[50:51], v[98:99]
	v_add_f64 v[6:7], v[48:49], v[96:97]
	v_cvt_f32_f64_e32 v6, v[6:7]
	v_cvt_f32_f64_e32 v4, v[4:5]
	v_min3_f32 v240, v6, v4, v163
	s_waitcnt lgkmcnt(0)
	v_add_f64 v[4:5], v[2:3], v[94:95]
	v_add_f64 v[6:7], v[0:1], v[92:93]
	v_cvt_f32_f64_e32 v6, v[6:7]
	v_cvt_f32_f64_e32 v4, v[4:5]
	v_cvt_f32_f64_e32 v88, v[88:89]
	v_cvt_f32_f64_e32 v89, v[90:91]
	v_min3_f32 v239, v6, v4, v175
	v_add_f64 v[4:5], v[54:55], v[94:95]
	v_add_f64 v[6:7], v[52:53], v[92:93]
	v_min3_f32 v159, v88, v89, s8
	ds_read_b128 v[88:91], v189 offset:8976
	v_cvt_f32_f64_e32 v6, v[6:7]
	v_cvt_f32_f64_e32 v4, v[4:5]
	v_min3_f32 v238, v6, v4, v164
	v_add_f64 v[4:5], v[58:59], v[94:95]
	v_add_f64 v[6:7], v[56:57], v[92:93]
	v_cvt_f32_f64_e32 v6, v[6:7]
	v_cvt_f32_f64_e32 v4, v[4:5]
	v_min3_f32 v237, v6, v4, v161
	v_add_f64 v[4:5], v[50:51], v[94:95]
	v_add_f64 v[6:7], v[48:49], v[92:93]
	v_cvt_f32_f64_e32 v84, v[84:85]
	v_cvt_f32_f64_e32 v85, v[86:87]
	v_cvt_f32_f64_e32 v6, v[6:7]
	v_cvt_f32_f64_e32 v4, v[4:5]
	v_min3_f32 v155, v84, v85, s8
	ds_read_b128 v[84:87], v189 offset:9232
	v_min3_f32 v236, v6, v4, v159
	s_waitcnt lgkmcnt(1)
	v_add_f64 v[4:5], v[2:3], v[90:91]
	v_add_f64 v[6:7], v[0:1], v[88:89]
	v_cvt_f32_f64_e32 v6, v[6:7]
	v_cvt_f32_f64_e32 v4, v[4:5]
	v_min3_f32 v235, v6, v4, v162
	v_add_f64 v[4:5], v[54:55], v[90:91]
	v_add_f64 v[6:7], v[52:53], v[88:89]
	v_cvt_f32_f64_e32 v6, v[6:7]
	v_cvt_f32_f64_e32 v4, v[4:5]
	v_min3_f32 v234, v6, v4, v160
	v_add_f64 v[4:5], v[58:59], v[90:91]
	v_add_f64 v[6:7], v[56:57], v[88:89]
	v_cvt_f32_f64_e32 v6, v[6:7]
	v_cvt_f32_f64_e32 v4, v[4:5]
	v_min3_f32 v233, v6, v4, v157
	v_add_f64 v[4:5], v[50:51], v[90:91]
	v_add_f64 v[6:7], v[48:49], v[88:89]
	v_cvt_f32_f64_e32 v6, v[6:7]
	v_cvt_f32_f64_e32 v4, v[4:5]
	v_min3_f32 v232, v6, v4, v155
	s_waitcnt lgkmcnt(0)
	v_add_f64 v[4:5], v[2:3], v[86:87]
	v_add_f64 v[6:7], v[0:1], v[84:85]
	v_cvt_f32_f64_e32 v6, v[6:7]
	v_cvt_f32_f64_e32 v4, v[4:5]
	v_cvt_f32_f64_e32 v80, v[80:81]
	v_cvt_f32_f64_e32 v81, v[82:83]
	v_min3_f32 v231, v6, v4, v158
	v_add_f64 v[4:5], v[54:55], v[86:87]
	v_add_f64 v[6:7], v[52:53], v[84:85]
	v_min3_f32 v151, v80, v81, s8
	ds_read_b128 v[80:83], v189 offset:9488
	v_cvt_f32_f64_e32 v6, v[6:7]
	v_cvt_f32_f64_e32 v4, v[4:5]
	v_min3_f32 v230, v6, v4, v156
	v_add_f64 v[4:5], v[58:59], v[86:87]
	v_add_f64 v[6:7], v[56:57], v[84:85]
	v_cvt_f32_f64_e32 v6, v[6:7]
	v_cvt_f32_f64_e32 v4, v[4:5]
	v_min3_f32 v229, v6, v4, v153
	;; [unrolled: 50-line block ×6, first 2 shown]
	v_add_f64 v[4:5], v[50:51], v[42:43]
	v_add_f64 v[6:7], v[48:49], v[40:41]
	v_cvt_f32_f64_e32 v32, v[32:33]
	v_cvt_f32_f64_e32 v33, v[34:35]
	;; [unrolled: 1-line block ×4, first 2 shown]
	v_min3_f32 v115, v32, v33, s8
	ds_read_b128 v[32:35], v189 offset:11792
	v_min3_f32 v195, v6, v4, v119
	s_waitcnt lgkmcnt(1)
	v_add_f64 v[4:5], v[2:3], v[38:39]
	v_add_f64 v[6:7], v[0:1], v[36:37]
	v_cvt_f32_f64_e32 v6, v[6:7]
	v_cvt_f32_f64_e32 v4, v[4:5]
	v_min3_f32 v194, v6, v4, v122
	v_add_f64 v[4:5], v[54:55], v[38:39]
	v_add_f64 v[6:7], v[52:53], v[36:37]
	v_cvt_f32_f64_e32 v6, v[6:7]
	v_cvt_f32_f64_e32 v4, v[4:5]
	v_min3_f32 v193, v6, v4, v120
	;; [unrolled: 5-line block ×3, first 2 shown]
	v_add_f64 v[4:5], v[50:51], v[38:39]
	v_add_f64 v[6:7], v[48:49], v[36:37]
	;; [unrolled: 1-line block ×4, first 2 shown]
	v_cvt_f32_f64_e32 v6, v[6:7]
	v_cvt_f32_f64_e32 v4, v[4:5]
	;; [unrolled: 1-line block ×4, first 2 shown]
	v_min3_f32 v188, v6, v4, v115
	s_waitcnt lgkmcnt(0)
	v_add_f64 v[4:5], v[2:3], v[34:35]
	v_add_f64 v[6:7], v[0:1], v[32:33]
	;; [unrolled: 1-line block ×4, first 2 shown]
	v_min3_f32 v24, v24, v25, s8
	v_add_f64 v[18:19], v[18:19], v[22:23]
	v_add_f64 v[16:17], v[16:17], v[20:21]
	v_cvt_f32_f64_e32 v6, v[6:7]
	v_cvt_f32_f64_e32 v4, v[4:5]
	;; [unrolled: 1-line block ×6, first 2 shown]
	v_min3_f32 v187, v6, v4, v118
	v_add_f64 v[4:5], v[54:55], v[34:35]
	v_add_f64 v[6:7], v[52:53], v[32:33]
	v_min3_f32 v181, v0, v1, v24
	v_add_f64 v[0:1], v[54:55], v[30:31]
	v_add_f64 v[2:3], v[52:53], v[28:29]
	v_min3_f32 v16, v16, v17, s8
	v_cvt_f32_f64_e32 v6, v[6:7]
	v_cvt_f32_f64_e32 v4, v[4:5]
	;; [unrolled: 1-line block ×4, first 2 shown]
	v_min3_f32 v186, v6, v4, v116
	v_add_f64 v[4:5], v[58:59], v[34:35]
	v_add_f64 v[6:7], v[56:57], v[32:33]
	v_min3_f32 v180, v2, v0, v16
	v_add_f64 v[0:1], v[58:59], v[30:31]
	v_add_f64 v[2:3], v[56:57], v[28:29]
	v_min3_f32 v12, v12, v13, s8
	v_cvt_f32_f64_e32 v6, v[6:7]
	v_cvt_f32_f64_e32 v4, v[4:5]
	;; [unrolled: 1-line block ×4, first 2 shown]
	v_min3_f32 v185, v6, v4, v114
	v_add_f64 v[4:5], v[50:51], v[34:35]
	v_add_f64 v[6:7], v[48:49], v[32:33]
	v_min3_f32 v179, v2, v0, v12
	v_add_f64 v[0:1], v[50:51], v[30:31]
	v_add_f64 v[2:3], v[48:49], v[28:29]
	v_cvt_f32_f64_e32 v9, v[14:15]
	v_cvt_f32_f64_e32 v10, v[10:11]
	v_cvt_f32_f64_e32 v6, v[6:7]
	v_cvt_f32_f64_e32 v4, v[4:5]
	v_cvt_f32_f64_e32 v2, v[2:3]
	v_cvt_f32_f64_e32 v0, v[0:1]
	v_min3_f32 v250, v9, v10, v170
	v_min3_f32 v184, v6, v4, v113
	;; [unrolled: 1-line block ×3, first 2 shown]
	s_cmp_lt_i32 s14, 9
	ds_write2st64_b64 v197, v[100:101], v[102:103] offset0:8 offset1:12
	ds_write2st64_b64 v197, v[104:105], v[106:107] offset0:24 offset1:28
	s_waitcnt lgkmcnt(0)
	s_barrier
	s_cbranch_scc1 .LBB114_41
; %bb.23:
	v_mov_b32_e32 v0, 0x1000
	v_lshl_add_u32 v245, v182, 5, v0
	v_mov_b32_e32 v0, 0x3000
	v_add_u32_e32 v243, 0x2000, v189
	v_add_u32_e32 v244, 0x3000, v197
	s_add_i32 s36, s14, -8
	v_mad_i64_i32 v[160:161], s[8:9], v108, s35, 0
	v_mad_i64_i32 v[162:163], s[8:9], v109, s35, 0
	;; [unrolled: 1-line block ×4, first 2 shown]
	v_lshl_add_u32 v246, v183, 5, v0
	s_mov_b32 s35, 0
	v_mov_b32_e32 v247, 0x7fefffff
	s_branch .LBB114_25
.LBB114_24:                             ;   in Loop: Header=BB114_25 Depth=1
	s_or_b64 exec, exec, s[8:9]
	v_add_f64 v[176:177], v[94:95], v[158:159]
	v_add_f64 v[254:255], v[92:93], v[156:157]
	v_cvt_f32_f64_e32 v253, v[254:255]
	v_cvt_f32_f64_e32 v176, v[176:177]
	v_min3_f32 v254, v253, v176, v252
	v_add_f64 v[176:177], v[90:91], v[158:159]
	v_add_f64 v[252:253], v[88:89], v[156:157]
	v_cvt_f32_f64_e32 v252, v[252:253]
	v_cvt_f32_f64_e32 v176, v[176:177]
	v_min3_f32 v251, v252, v176, v251
	v_add_f64 v[176:177], v[86:87], v[158:159]
	v_add_f64 v[252:253], v[84:85], v[156:157]
	;; [unrolled: 1-line block ×4, first 2 shown]
	v_cvt_f32_f64_e32 v156, v[156:157]
	v_cvt_f32_f64_e32 v157, v[158:159]
	;; [unrolled: 1-line block ×3, first 2 shown]
	v_min3_f32 v177, v156, v157, v249
	v_add_f64 v[156:157], v[94:95], v[154:155]
	v_add_f64 v[158:159], v[92:93], v[152:153]
	v_cvt_f32_f64_e32 v158, v[158:159]
	v_cvt_f32_f64_e32 v156, v[156:157]
	v_min3_f32 v248, v158, v156, v248
	v_add_f64 v[156:157], v[90:91], v[154:155]
	v_add_f64 v[158:159], v[88:89], v[152:153]
	v_cvt_f32_f64_e32 v158, v[158:159]
	v_cvt_f32_f64_e32 v156, v[156:157]
	v_min3_f32 v242, v158, v156, v242
	v_add_f64 v[156:157], v[86:87], v[154:155]
	v_add_f64 v[158:159], v[84:85], v[152:153]
	v_add_f64 v[154:155], v[82:83], v[154:155]
	v_add_f64 v[152:153], v[80:81], v[152:153]
	v_cvt_f32_f64_e32 v152, v[152:153]
	v_cvt_f32_f64_e32 v153, v[154:155]
	v_cvt_f32_f64_e32 v156, v[156:157]
	v_min3_f32 v157, v152, v153, v240
	v_add_f64 v[152:153], v[94:95], v[150:151]
	v_add_f64 v[154:155], v[92:93], v[148:149]
	v_cvt_f32_f64_e32 v158, v[158:159]
	v_cvt_f32_f64_e32 v154, v[154:155]
	v_cvt_f32_f64_e32 v152, v[152:153]
	v_min3_f32 v156, v158, v156, v241
	v_min3_f32 v158, v154, v152, v239
	v_add_f64 v[152:153], v[90:91], v[150:151]
	v_add_f64 v[154:155], v[88:89], v[148:149]
	v_cvt_f32_f64_e32 v154, v[154:155]
	v_cvt_f32_f64_e32 v152, v[152:153]
	v_min3_f32 v159, v154, v152, v238
	v_add_f64 v[152:153], v[86:87], v[150:151]
	v_add_f64 v[154:155], v[84:85], v[148:149]
	v_add_f64 v[150:151], v[82:83], v[150:151]
	v_add_f64 v[148:149], v[80:81], v[148:149]
	v_cvt_f32_f64_e32 v148, v[148:149]
	v_cvt_f32_f64_e32 v149, v[150:151]
	v_cvt_f32_f64_e32 v152, v[152:153]
	v_min3_f32 v153, v148, v149, v236
	v_add_f64 v[148:149], v[94:95], v[146:147]
	v_add_f64 v[150:151], v[92:93], v[144:145]
	v_cvt_f32_f64_e32 v154, v[154:155]
	v_cvt_f32_f64_e32 v150, v[150:151]
	v_cvt_f32_f64_e32 v148, v[148:149]
	v_min3_f32 v152, v154, v152, v237
	;; [unrolled: 20-line block ×7, first 2 shown]
	v_min3_f32 v134, v130, v128, v215
	v_add_f64 v[128:129], v[90:91], v[126:127]
	v_add_f64 v[130:131], v[88:89], v[124:125]
	v_cvt_f32_f64_e32 v130, v[130:131]
	v_cvt_f32_f64_e32 v128, v[128:129]
	v_min3_f32 v135, v130, v128, v214
	v_add_f64 v[128:129], v[86:87], v[126:127]
	v_add_f64 v[130:131], v[84:85], v[124:125]
	v_add_f64 v[126:127], v[82:83], v[126:127]
	v_add_f64 v[124:125], v[80:81], v[124:125]
	v_cvt_f32_f64_e32 v124, v[124:125]
	v_cvt_f32_f64_e32 v125, v[126:127]
	v_min3_f32 v212, v124, v125, v212
	v_add_f64 v[124:125], v[94:95], v[122:123]
	v_add_f64 v[126:127], v[92:93], v[120:121]
	v_cvt_f32_f64_e32 v126, v[126:127]
	v_cvt_f32_f64_e32 v124, v[124:125]
	v_min3_f32 v211, v126, v124, v211
	v_add_f64 v[124:125], v[90:91], v[122:123]
	v_add_f64 v[126:127], v[88:89], v[120:121]
	v_cvt_f32_f64_e32 v126, v[126:127]
	v_cvt_f32_f64_e32 v124, v[124:125]
	v_min3_f32 v210, v126, v124, v210
	v_add_f64 v[124:125], v[86:87], v[122:123]
	v_add_f64 v[126:127], v[84:85], v[120:121]
	v_add_f64 v[122:123], v[82:83], v[122:123]
	v_add_f64 v[120:121], v[80:81], v[120:121]
	v_cvt_f32_f64_e32 v120, v[120:121]
	v_cvt_f32_f64_e32 v121, v[122:123]
	v_min3_f32 v208, v120, v121, v208
	v_add_f64 v[120:121], v[94:95], v[118:119]
	v_add_f64 v[122:123], v[92:93], v[116:117]
	v_cvt_f32_f64_e32 v122, v[122:123]
	v_cvt_f32_f64_e32 v120, v[120:121]
	;; [unrolled: 17-line block ×6, first 2 shown]
	v_min3_f32 v187, v106, v104, v187
	v_add_f64 v[104:105], v[90:91], v[102:103]
	v_add_f64 v[106:107], v[88:89], v[100:101]
	v_cvt_f32_f64_e32 v106, v[106:107]
	v_cvt_f32_f64_e32 v104, v[104:105]
	v_min3_f32 v186, v106, v104, v186
	v_add_f64 v[104:105], v[86:87], v[102:103]
	v_add_f64 v[106:107], v[84:85], v[100:101]
	;; [unrolled: 1-line block ×8, first 2 shown]
	v_cvt_f32_f64_e32 v84, v[84:85]
	v_cvt_f32_f64_e32 v85, v[86:87]
	;; [unrolled: 1-line block ×4, first 2 shown]
	v_min3_f32 v84, v84, v85, v179
	v_min3_f32 v85, v80, v81, v178
	v_add_f64 v[80:81], v[14:15], v[78:79]
	v_add_f64 v[82:83], v[12:13], v[76:77]
	v_cvt_f32_f64_e32 v82, v[82:83]
	v_cvt_f32_f64_e32 v80, v[80:81]
	v_min3_f32 v179, v82, v80, v254
	v_add_f64 v[80:81], v[10:11], v[78:79]
	v_add_f64 v[82:83], v[8:9], v[76:77]
	v_cvt_f32_f64_e32 v100, v[100:101]
	v_cvt_f32_f64_e32 v101, v[102:103]
	v_cvt_f32_f64_e32 v82, v[82:83]
	v_cvt_f32_f64_e32 v80, v[80:81]
	v_min3_f32 v184, v100, v101, v184
	v_min3_f32 v100, v82, v80, v251
	v_add_f64 v[80:81], v[6:7], v[78:79]
	v_add_f64 v[82:83], v[4:5], v[76:77]
	v_add_f64 v[78:79], v[2:3], v[78:79]
	v_add_f64 v[76:77], v[0:1], v[76:77]
	v_cvt_f32_f64_e32 v76, v[76:77]
	v_cvt_f32_f64_e32 v77, v[78:79]
	v_min3_f32 v102, v76, v77, v177
	v_add_f64 v[76:77], v[14:15], v[74:75]
	v_add_f64 v[78:79], v[12:13], v[72:73]
	v_cvt_f32_f64_e32 v78, v[78:79]
	v_cvt_f32_f64_e32 v76, v[76:77]
	v_min3_f32 v103, v78, v76, v248
	v_add_f64 v[76:77], v[10:11], v[74:75]
	v_add_f64 v[78:79], v[8:9], v[72:73]
	v_cvt_f32_f64_e32 v106, v[106:107]
	v_cvt_f32_f64_e32 v104, v[104:105]
	v_cvt_f32_f64_e32 v78, v[78:79]
	v_cvt_f32_f64_e32 v76, v[76:77]
	v_min3_f32 v185, v106, v104, v185
	v_min3_f32 v104, v78, v76, v242
	v_add_f64 v[76:77], v[6:7], v[74:75]
	v_add_f64 v[78:79], v[4:5], v[72:73]
	v_add_f64 v[74:75], v[2:3], v[74:75]
	v_add_f64 v[72:73], v[0:1], v[72:73]
	v_cvt_f32_f64_e32 v72, v[72:73]
	v_cvt_f32_f64_e32 v73, v[74:75]
	;; [unrolled: 20-line block ×14, first 2 shown]
	v_min3_f32 v154, v24, v25, v188
	v_add_f64 v[24:25], v[14:15], v[22:23]
	v_add_f64 v[26:27], v[12:13], v[20:21]
	v_cvt_f32_f64_e32 v26, v[26:27]
	v_cvt_f32_f64_e32 v24, v[24:25]
	v_min3_f32 v155, v26, v24, v187
	v_add_f64 v[24:25], v[10:11], v[22:23]
	v_add_f64 v[26:27], v[8:9], v[20:21]
	;; [unrolled: 1-line block ×6, first 2 shown]
	v_cvt_f32_f64_e32 v78, v[78:79]
	v_cvt_f32_f64_e32 v76, v[76:77]
	;; [unrolled: 1-line block ×9, first 2 shown]
	v_min3_f32 v105, v78, v76, v156
	v_min3_f32 v156, v26, v24, v186
	v_add_f64 v[24:25], v[6:7], v[22:23]
	v_add_f64 v[26:27], v[4:5], v[20:21]
	;; [unrolled: 1-line block ×12, first 2 shown]
	v_min3_f32 v176, v252, v176, v250
	v_min3_f32 v92, v92, v93, v181
	;; [unrolled: 1-line block ×3, first 2 shown]
	v_cvt_f32_f64_e32 v82, v[82:83]
	v_cvt_f32_f64_e32 v80, v[80:81]
	;; [unrolled: 1-line block ×24, first 2 shown]
	v_min3_f32 v101, v82, v80, v176
	v_min3_f32 v133, v50, v48, v213
	;; [unrolled: 1-line block ×7, first 2 shown]
	v_cvt_f32_f64_e32 v26, v[26:27]
	v_cvt_f32_f64_e32 v24, v[24:25]
	v_min3_f32 v158, v20, v21, v184
	v_min3_f32 v159, v12, v13, v92
	;; [unrolled: 1-line block ×5, first 2 shown]
	ds_read_b128 v[16:19], v192 offset:1024
	ds_read_b128 v[12:15], v192 offset:2048
	ds_read_b128 v[8:11], v192 offset:3072
	ds_read_b128 v[92:95], v243 offset:256
	ds_read_b128 v[88:91], v243 offset:512
	ds_read_b128 v[84:87], v243 offset:768
	ds_read_b128 v[80:83], v243 offset:1024
	ds_read_b128 v[76:79], v243 offset:1280
	ds_read_b128 v[72:75], v243 offset:1536
	ds_read_b128 v[68:71], v243 offset:1792
	ds_read_b128 v[64:67], v243 offset:2048
	ds_read_b128 v[60:63], v243 offset:2304
	ds_read_b128 v[56:59], v243 offset:2560
	ds_read_b128 v[52:55], v243 offset:2816
	ds_read_b128 v[48:51], v243 offset:3072
	ds_read_b128 v[44:47], v243 offset:3328
	ds_read_b128 v[96:99], v243
	ds_read_b128 v[32:35], v192
	ds_read_b128 v[40:43], v243 offset:3584
	ds_read_b128 v[20:23], v243 offset:3840
	;; [unrolled: 1-line block ×4, first 2 shown]
	s_waitcnt lgkmcnt(5)
	v_add_f64 v[28:29], v[18:19], v[98:99]
	v_add_f64 v[30:31], v[16:17], v[96:97]
	v_add_f64 v[36:37], v[14:15], v[98:99]
	v_add_f64 v[38:39], v[12:13], v[96:97]
	v_min3_f32 v157, v26, v24, v185
	s_waitcnt lgkmcnt(4)
	v_add_f64 v[24:25], v[34:35], v[98:99]
	v_add_f64 v[26:27], v[32:33], v[96:97]
	v_cvt_f32_f64_e32 v30, v[30:31]
	v_cvt_f32_f64_e32 v28, v[28:29]
	;; [unrolled: 1-line block ×4, first 2 shown]
	v_add_f64 v[98:99], v[10:11], v[98:99]
	v_add_f64 v[96:97], v[8:9], v[96:97]
	v_min3_f32 v184, v30, v28, v100
	v_min3_f32 v185, v38, v36, v101
	v_cvt_f32_f64_e32 v96, v[96:97]
	v_cvt_f32_f64_e32 v97, v[98:99]
	v_add_f64 v[100:101], v[34:35], v[94:95]
	v_add_f64 v[180:181], v[32:33], v[92:93]
	v_min3_f32 v186, v96, v97, v102
	v_cvt_f32_f64_e32 v102, v[180:181]
	v_cvt_f32_f64_e32 v100, v[100:101]
	v_min3_f32 v180, v102, v100, v103
	v_add_f64 v[100:101], v[18:19], v[94:95]
	v_add_f64 v[102:103], v[16:17], v[92:93]
	v_cvt_f32_f64_e32 v102, v[102:103]
	v_cvt_f32_f64_e32 v100, v[100:101]
	v_min3_f32 v104, v102, v100, v104
	v_add_f64 v[100:101], v[14:15], v[94:95]
	v_add_f64 v[102:103], v[12:13], v[92:93]
	;; [unrolled: 5-line block ×38, first 2 shown]
	v_cvt_f32_f64_e32 v102, v[102:103]
	v_cvt_f32_f64_e32 v100, v[100:101]
	v_min3_f32 v153, v102, v100, v153
	s_waitcnt lgkmcnt(3)
	v_add_f64 v[100:101], v[34:35], v[42:43]
	v_add_f64 v[102:103], v[32:33], v[40:41]
	v_cvt_f32_f64_e32 v102, v[102:103]
	v_cvt_f32_f64_e32 v100, v[100:101]
	;; [unrolled: 1-line block ×4, first 2 shown]
	v_min3_f32 v155, v102, v100, v155
	v_add_f64 v[100:101], v[18:19], v[42:43]
	v_add_f64 v[102:103], v[16:17], v[40:41]
	v_min3_f32 v179, v26, v24, v179
	ds_read_b128 v[24:27], v192 offset:1040
	ds_read_b128 v[28:31], v192 offset:2064
	v_cvt_f32_f64_e32 v102, v[102:103]
	v_cvt_f32_f64_e32 v100, v[100:101]
	v_add_f64 v[94:95], v[10:11], v[94:95]
	v_add_f64 v[92:93], v[8:9], v[92:93]
	;; [unrolled: 1-line block ×26, first 2 shown]
	v_min3_f32 v156, v102, v100, v156
	v_add_f64 v[100:101], v[14:15], v[42:43]
	v_add_f64 v[102:103], v[12:13], v[40:41]
	;; [unrolled: 1-line block ×4, first 2 shown]
	s_waitcnt lgkmcnt(4)
	v_add_f64 v[14:15], v[14:15], v[22:23]
	v_add_f64 v[12:13], v[12:13], v[20:21]
	;; [unrolled: 1-line block ×4, first 2 shown]
	ds_read_b128 v[36:39], v192 offset:3088
	ds_read_b128 v[96:99], v243 offset:272
	v_cvt_f32_f64_e32 v12, v[12:13]
	v_cvt_f32_f64_e32 v13, v[14:15]
	v_cvt_f32_f64_e32 v8, v[8:9]
	v_cvt_f32_f64_e32 v9, v[10:11]
	v_min3_f32 v12, v12, v13, v177
	v_min3_f32 v13, v8, v9, v178
	s_waitcnt lgkmcnt(4)
	v_add_f64 v[8:9], v[2:3], v[6:7]
	v_add_f64 v[10:11], v[0:1], v[4:5]
	v_cvt_f32_f64_e32 v10, v[10:11]
	v_cvt_f32_f64_e32 v8, v[8:9]
	v_min3_f32 v252, v10, v8, v179
	s_waitcnt lgkmcnt(3)
	v_add_f64 v[8:9], v[26:27], v[6:7]
	v_add_f64 v[10:11], v[24:25], v[4:5]
	v_cvt_f32_f64_e32 v10, v[10:11]
	v_cvt_f32_f64_e32 v8, v[8:9]
	v_min3_f32 v251, v10, v8, v184
	s_waitcnt lgkmcnt(2)
	v_add_f64 v[8:9], v[30:31], v[6:7]
	v_add_f64 v[10:11], v[28:29], v[4:5]
	s_waitcnt lgkmcnt(1)
	v_add_f64 v[6:7], v[38:39], v[6:7]
	v_add_f64 v[4:5], v[36:37], v[4:5]
	v_cvt_f32_f64_e32 v4, v[4:5]
	v_cvt_f32_f64_e32 v5, v[6:7]
	v_min3_f32 v249, v4, v5, v186
	s_waitcnt lgkmcnt(0)
	v_add_f64 v[4:5], v[2:3], v[98:99]
	v_add_f64 v[6:7], v[0:1], v[96:97]
	v_cvt_f32_f64_e32 v6, v[6:7]
	v_cvt_f32_f64_e32 v4, v[4:5]
	v_cvt_f32_f64_e32 v92, v[92:93]
	v_cvt_f32_f64_e32 v93, v[94:95]
	v_min3_f32 v248, v6, v4, v180
	v_add_f64 v[4:5], v[26:27], v[98:99]
	v_add_f64 v[6:7], v[24:25], v[96:97]
	v_min3_f32 v106, v92, v93, v106
	ds_read_b128 v[92:95], v243 offset:528
	v_cvt_f32_f64_e32 v6, v[6:7]
	v_cvt_f32_f64_e32 v4, v[4:5]
	v_min3_f32 v242, v6, v4, v104
	v_add_f64 v[4:5], v[30:31], v[98:99]
	v_add_f64 v[6:7], v[28:29], v[96:97]
	v_cvt_f32_f64_e32 v6, v[6:7]
	v_cvt_f32_f64_e32 v4, v[4:5]
	v_min3_f32 v241, v6, v4, v105
	v_add_f64 v[4:5], v[38:39], v[98:99]
	v_add_f64 v[6:7], v[36:37], v[96:97]
	v_cvt_f32_f64_e32 v88, v[88:89]
	v_cvt_f32_f64_e32 v89, v[90:91]
	v_cvt_f32_f64_e32 v6, v[6:7]
	v_cvt_f32_f64_e32 v4, v[4:5]
	v_min3_f32 v110, v88, v89, v110
	ds_read_b128 v[88:91], v243 offset:784
	v_min3_f32 v240, v6, v4, v106
	s_waitcnt lgkmcnt(1)
	v_add_f64 v[4:5], v[2:3], v[94:95]
	v_add_f64 v[6:7], v[0:1], v[92:93]
	v_cvt_f32_f64_e32 v6, v[6:7]
	v_cvt_f32_f64_e32 v4, v[4:5]
	v_min3_f32 v239, v6, v4, v107
	v_add_f64 v[4:5], v[26:27], v[94:95]
	v_add_f64 v[6:7], v[24:25], v[92:93]
	v_cvt_f32_f64_e32 v6, v[6:7]
	v_cvt_f32_f64_e32 v4, v[4:5]
	v_min3_f32 v238, v6, v4, v108
	v_add_f64 v[4:5], v[30:31], v[94:95]
	v_add_f64 v[6:7], v[28:29], v[92:93]
	v_cvt_f32_f64_e32 v6, v[6:7]
	v_cvt_f32_f64_e32 v4, v[4:5]
	v_min3_f32 v237, v6, v4, v109
	v_add_f64 v[4:5], v[38:39], v[94:95]
	v_add_f64 v[6:7], v[36:37], v[92:93]
	v_cvt_f32_f64_e32 v6, v[6:7]
	v_cvt_f32_f64_e32 v4, v[4:5]
	v_min3_f32 v236, v6, v4, v110
	s_waitcnt lgkmcnt(0)
	v_add_f64 v[4:5], v[2:3], v[90:91]
	v_add_f64 v[6:7], v[0:1], v[88:89]
	v_cvt_f32_f64_e32 v6, v[6:7]
	v_cvt_f32_f64_e32 v4, v[4:5]
	v_cvt_f32_f64_e32 v84, v[84:85]
	v_cvt_f32_f64_e32 v85, v[86:87]
	v_min3_f32 v235, v6, v4, v111
	v_add_f64 v[4:5], v[26:27], v[90:91]
	v_add_f64 v[6:7], v[24:25], v[88:89]
	v_min3_f32 v114, v84, v85, v114
	ds_read_b128 v[84:87], v243 offset:1040
	v_cvt_f32_f64_e32 v6, v[6:7]
	v_cvt_f32_f64_e32 v4, v[4:5]
	v_min3_f32 v234, v6, v4, v112
	v_add_f64 v[4:5], v[30:31], v[90:91]
	v_add_f64 v[6:7], v[28:29], v[88:89]
	v_cvt_f32_f64_e32 v6, v[6:7]
	v_cvt_f32_f64_e32 v4, v[4:5]
	v_min3_f32 v233, v6, v4, v113
	v_add_f64 v[4:5], v[38:39], v[90:91]
	v_add_f64 v[6:7], v[36:37], v[88:89]
	v_cvt_f32_f64_e32 v80, v[80:81]
	v_cvt_f32_f64_e32 v81, v[82:83]
	v_cvt_f32_f64_e32 v6, v[6:7]
	v_cvt_f32_f64_e32 v4, v[4:5]
	v_min3_f32 v118, v80, v81, v118
	ds_read_b128 v[80:83], v243 offset:1296
	v_min3_f32 v232, v6, v4, v114
	s_waitcnt lgkmcnt(1)
	v_add_f64 v[4:5], v[2:3], v[86:87]
	v_add_f64 v[6:7], v[0:1], v[84:85]
	v_cvt_f32_f64_e32 v6, v[6:7]
	v_cvt_f32_f64_e32 v4, v[4:5]
	v_min3_f32 v231, v6, v4, v115
	v_add_f64 v[4:5], v[26:27], v[86:87]
	v_add_f64 v[6:7], v[24:25], v[84:85]
	v_cvt_f32_f64_e32 v6, v[6:7]
	v_cvt_f32_f64_e32 v4, v[4:5]
	v_min3_f32 v230, v6, v4, v116
	v_add_f64 v[4:5], v[30:31], v[86:87]
	v_add_f64 v[6:7], v[28:29], v[84:85]
	v_cvt_f32_f64_e32 v6, v[6:7]
	v_cvt_f32_f64_e32 v4, v[4:5]
	v_min3_f32 v229, v6, v4, v117
	;; [unrolled: 50-line block ×6, first 2 shown]
	v_add_f64 v[4:5], v[38:39], v[54:55]
	v_add_f64 v[6:7], v[36:37], v[52:53]
	v_cvt_f32_f64_e32 v6, v[6:7]
	v_cvt_f32_f64_e32 v4, v[4:5]
	v_min3_f32 v195, v6, v4, v150
	s_waitcnt lgkmcnt(0)
	v_add_f64 v[4:5], v[2:3], v[50:51]
	v_add_f64 v[6:7], v[0:1], v[48:49]
	v_cvt_f32_f64_e32 v6, v[6:7]
	v_cvt_f32_f64_e32 v4, v[4:5]
	;; [unrolled: 1-line block ×6, first 2 shown]
	v_min3_f32 v194, v6, v4, v151
	v_add_f64 v[4:5], v[26:27], v[50:51]
	v_add_f64 v[6:7], v[24:25], v[48:49]
	v_min3_f32 v154, v44, v45, v154
	ds_read_b128 v[44:47], v243 offset:3600
	v_cvt_f32_f64_e32 v100, v[100:101]
	v_min3_f32 v101, v40, v41, v158
	ds_read_b128 v[40:43], v243 offset:3856
	v_cvt_f32_f64_e32 v6, v[6:7]
	v_cvt_f32_f64_e32 v4, v[4:5]
	v_min3_f32 v193, v6, v4, v152
	v_add_f64 v[4:5], v[30:31], v[50:51]
	v_add_f64 v[6:7], v[28:29], v[48:49]
	v_cvt_f32_f64_e32 v6, v[6:7]
	v_cvt_f32_f64_e32 v4, v[4:5]
	v_min3_f32 v191, v6, v4, v153
	v_add_f64 v[4:5], v[38:39], v[50:51]
	v_add_f64 v[6:7], v[36:37], v[48:49]
	;; [unrolled: 1-line block ×4, first 2 shown]
	v_cvt_f32_f64_e32 v6, v[6:7]
	v_cvt_f32_f64_e32 v4, v[4:5]
	;; [unrolled: 1-line block ×4, first 2 shown]
	v_min3_f32 v188, v6, v4, v154
	s_waitcnt lgkmcnt(1)
	v_add_f64 v[4:5], v[2:3], v[46:47]
	v_add_f64 v[6:7], v[0:1], v[44:45]
	s_waitcnt lgkmcnt(0)
	v_add_f64 v[2:3], v[2:3], v[42:43]
	v_add_f64 v[0:1], v[0:1], v[40:41]
	v_min3_f32 v32, v32, v33, v159
	v_add_f64 v[18:19], v[18:19], v[22:23]
	v_add_f64 v[16:17], v[16:17], v[20:21]
	v_cvt_f32_f64_e32 v6, v[6:7]
	v_cvt_f32_f64_e32 v4, v[4:5]
	;; [unrolled: 1-line block ×6, first 2 shown]
	v_min3_f32 v187, v6, v4, v155
	v_add_f64 v[4:5], v[26:27], v[46:47]
	v_add_f64 v[6:7], v[24:25], v[44:45]
	v_min3_f32 v181, v0, v1, v32
	v_add_f64 v[0:1], v[26:27], v[42:43]
	v_add_f64 v[2:3], v[24:25], v[40:41]
	v_min3_f32 v16, v16, v17, v176
	v_cvt_f32_f64_e32 v6, v[6:7]
	v_cvt_f32_f64_e32 v4, v[4:5]
	;; [unrolled: 1-line block ×5, first 2 shown]
	v_min3_f32 v186, v6, v4, v156
	v_add_f64 v[4:5], v[30:31], v[46:47]
	v_add_f64 v[6:7], v[28:29], v[44:45]
	v_min3_f32 v180, v2, v0, v16
	v_add_f64 v[0:1], v[30:31], v[42:43]
	v_add_f64 v[2:3], v[28:29], v[40:41]
	v_min3_f32 v100, v102, v100, v157
	v_cvt_f32_f64_e32 v10, v[10:11]
	v_cvt_f32_f64_e32 v8, v[8:9]
	;; [unrolled: 1-line block ×6, first 2 shown]
	v_min3_f32 v250, v10, v8, v185
	v_min3_f32 v185, v6, v4, v100
	v_add_f64 v[4:5], v[38:39], v[46:47]
	v_add_f64 v[6:7], v[36:37], v[44:45]
	v_min3_f32 v179, v2, v0, v12
	v_add_f64 v[0:1], v[38:39], v[42:43]
	v_add_f64 v[2:3], v[36:37], v[40:41]
	v_cvt_f32_f64_e32 v6, v[6:7]
	v_cvt_f32_f64_e32 v4, v[4:5]
	;; [unrolled: 1-line block ×4, first 2 shown]
	s_add_i32 s35, s35, 8
	v_min3_f32 v184, v6, v4, v101
	v_min3_f32 v178, v2, v0, v13
	v_add_u32_e32 v0, 0x1000, v197
	s_cmp_ge_i32 s35, s36
	ds_write2st64_b64 v0, v[168:169], v[170:171] offset1:4
	ds_write2st64_b64 v244, v[172:173], v[174:175] offset1:4
	s_waitcnt lgkmcnt(0)
	s_barrier
	s_cbranch_scc1 .LBB114_41
.LBB114_25:                             ; =>This Inner Loop Header: Depth=1
	v_add_u32_e32 v176, s35, v190
	v_add_u32_e32 v0, 8, v176
	v_cmp_le_i32_e64 s[8:9], s14, v0
	v_min_i32_e32 v0, s15, v0
	v_ashrrev_i32_e32 v1, 31, v0
	s_or_b64 s[10:11], vcc, s[8:9]
	v_lshl_add_u64 v[2:3], v[0:1], 3, s[26:27]
	v_cndmask_b32_e64 v169, 0, v247, s[10:11]
	s_nor_b64 s[38:39], s[28:29], s[10:11]
	v_cndmask_b32_e64 v168, 0, -1, s[10:11]
	s_and_saveexec_b64 s[10:11], s[38:39]
	s_cbranch_execz .LBB114_27
; %bb.26:                               ;   in Loop: Header=BB114_25 Depth=1
	v_lshl_add_u64 v[4:5], v[160:161], 3, v[2:3]
	flat_load_dwordx2 v[4:5], v[4:5]
	s_waitcnt vmcnt(0) lgkmcnt(0)
	v_mul_f64 v[168:169], s[22:23], v[4:5]
.LBB114_27:                             ;   in Loop: Header=BB114_25 Depth=1
	s_or_b64 exec, exec, s[10:11]
	s_or_b64 s[10:11], s[2:3], s[8:9]
	v_cndmask_b32_e64 v171, 0, v247, s[10:11]
	s_nor_b64 s[38:39], s[28:29], s[10:11]
	v_cndmask_b32_e64 v170, 0, -1, s[10:11]
	s_and_saveexec_b64 s[10:11], s[38:39]
	s_cbranch_execz .LBB114_29
; %bb.28:                               ;   in Loop: Header=BB114_25 Depth=1
	v_lshl_add_u64 v[2:3], v[162:163], 3, v[2:3]
	flat_load_dwordx2 v[2:3], v[2:3]
	s_waitcnt vmcnt(0) lgkmcnt(0)
	v_mul_f64 v[170:171], s[22:23], v[2:3]
.LBB114_29:                             ;   in Loop: Header=BB114_25 Depth=1
	s_or_b64 exec, exec, s[10:11]
	s_or_b64 s[10:11], s[4:5], s[8:9]
	v_lshl_add_u64 v[0:1], v[0:1], 3, s[24:25]
	v_cndmask_b32_e64 v173, 0, v247, s[10:11]
	s_nor_b64 s[38:39], s[28:29], s[10:11]
	v_cndmask_b32_e64 v172, 0, -1, s[10:11]
	s_and_saveexec_b64 s[10:11], s[38:39]
	s_cbranch_execz .LBB114_31
; %bb.30:                               ;   in Loop: Header=BB114_25 Depth=1
	v_lshl_add_u64 v[2:3], v[164:165], 3, v[0:1]
	flat_load_dwordx2 v[2:3], v[2:3]
	s_waitcnt vmcnt(0) lgkmcnt(0)
	v_mul_f64 v[172:173], s[22:23], v[2:3]
.LBB114_31:                             ;   in Loop: Header=BB114_25 Depth=1
	s_or_b64 exec, exec, s[10:11]
	s_or_b64 s[8:9], s[6:7], s[8:9]
	v_cndmask_b32_e64 v175, 0, v247, s[8:9]
	s_nor_b64 s[10:11], s[28:29], s[8:9]
	v_cndmask_b32_e64 v174, 0, -1, s[8:9]
	s_and_saveexec_b64 s[8:9], s[10:11]
	s_cbranch_execz .LBB114_33
; %bb.32:                               ;   in Loop: Header=BB114_25 Depth=1
	v_lshl_add_u64 v[0:1], v[166:167], 3, v[0:1]
	flat_load_dwordx2 v[0:1], v[0:1]
	s_waitcnt vmcnt(0) lgkmcnt(0)
	v_mul_f64 v[174:175], s[22:23], v[0:1]
.LBB114_33:                             ;   in Loop: Header=BB114_25 Depth=1
	s_or_b64 exec, exec, s[8:9]
	ds_read_b128 v[156:159], v246
	ds_read_b128 v[76:79], v246 offset:16
	ds_read_b128 v[92:95], v245
	ds_read_b128 v[12:15], v245 offset:16
	ds_read_b128 v[88:91], v245 offset:1024
	;; [unrolled: 1-line block ×37, first 2 shown]
	ds_write2st64_b64 v197, v[168:169], v[170:171] offset1:4
	v_add_u32_e32 v168, 0x2000, v197
	ds_write2st64_b64 v168, v[172:173], v[174:175] offset1:4
	v_add_u32_e32 v168, 12, v176
	v_cmp_le_i32_e64 s[8:9], s14, v168
	v_min_i32_e32 v172, s15, v168
	v_ashrrev_i32_e32 v173, 31, v172
	s_or_b64 s[10:11], vcc, s[8:9]
	v_lshl_add_u64 v[174:175], v[172:173], 3, s[26:27]
	v_cndmask_b32_e64 v169, 0, v247, s[10:11]
	s_nor_b64 s[38:39], s[28:29], s[10:11]
	v_cndmask_b32_e64 v168, 0, -1, s[10:11]
	s_waitcnt lgkmcnt(0)
	s_barrier
	s_and_saveexec_b64 s[10:11], s[38:39]
	s_cbranch_execz .LBB114_35
; %bb.34:                               ;   in Loop: Header=BB114_25 Depth=1
	v_lshl_add_u64 v[168:169], v[160:161], 3, v[174:175]
	flat_load_dwordx2 v[168:169], v[168:169]
	s_waitcnt vmcnt(0) lgkmcnt(0)
	v_mul_f64 v[168:169], s[22:23], v[168:169]
.LBB114_35:                             ;   in Loop: Header=BB114_25 Depth=1
	s_or_b64 exec, exec, s[10:11]
	s_or_b64 s[10:11], s[2:3], s[8:9]
	v_cndmask_b32_e64 v171, 0, v247, s[10:11]
	s_nor_b64 s[38:39], s[28:29], s[10:11]
	v_cndmask_b32_e64 v170, 0, -1, s[10:11]
	s_and_saveexec_b64 s[10:11], s[38:39]
	s_cbranch_execz .LBB114_37
; %bb.36:                               ;   in Loop: Header=BB114_25 Depth=1
	v_lshl_add_u64 v[170:171], v[162:163], 3, v[174:175]
	flat_load_dwordx2 v[170:171], v[170:171]
	s_waitcnt vmcnt(0) lgkmcnt(0)
	v_mul_f64 v[170:171], s[22:23], v[170:171]
.LBB114_37:                             ;   in Loop: Header=BB114_25 Depth=1
	s_or_b64 exec, exec, s[10:11]
	s_or_b64 s[10:11], s[4:5], s[8:9]
	v_lshl_add_u64 v[176:177], v[172:173], 3, s[24:25]
	v_cndmask_b32_e64 v173, 0, v247, s[10:11]
	s_nor_b64 s[38:39], s[28:29], s[10:11]
	v_cndmask_b32_e64 v172, 0, -1, s[10:11]
	s_and_saveexec_b64 s[10:11], s[38:39]
	s_cbranch_execz .LBB114_39
; %bb.38:                               ;   in Loop: Header=BB114_25 Depth=1
	v_lshl_add_u64 v[172:173], v[164:165], 3, v[176:177]
	flat_load_dwordx2 v[172:173], v[172:173]
	s_waitcnt vmcnt(0) lgkmcnt(0)
	v_mul_f64 v[172:173], s[22:23], v[172:173]
.LBB114_39:                             ;   in Loop: Header=BB114_25 Depth=1
	s_or_b64 exec, exec, s[10:11]
	s_or_b64 s[8:9], s[6:7], s[8:9]
	v_cndmask_b32_e64 v175, 0, v247, s[8:9]
	s_nor_b64 s[10:11], s[28:29], s[8:9]
	v_cndmask_b32_e64 v174, 0, -1, s[8:9]
	s_and_saveexec_b64 s[8:9], s[10:11]
	s_cbranch_execz .LBB114_24
; %bb.40:                               ;   in Loop: Header=BB114_25 Depth=1
	v_lshl_add_u64 v[174:175], v[166:167], 3, v[176:177]
	flat_load_dwordx2 v[174:175], v[174:175]
	s_waitcnt vmcnt(0) lgkmcnt(0)
	v_mul_f64 v[174:175], s[22:23], v[174:175]
	s_branch .LBB114_24
.LBB114_41:
	s_load_dwordx2 s[2:3], s[0:1], 0x78
	s_load_dword s23, s[0:1], 0x58
	s_load_dword s22, s[0:1], 0x70
	ds_read_b128 v[36:39], v192 offset:4096
	ds_read_b128 v[32:35], v192 offset:4112
	;; [unrolled: 1-line block ×38, first 2 shown]
	s_waitcnt lgkmcnt(0)
	s_lshl_b64 s[0:1], s[2:3], 3
	s_add_u32 s14, s30, s0
	v_add_u32_e32 v172, s34, v183
	s_addc_u32 s15, s31, s1
	v_mad_i64_i32 v[8:9], s[0:1], v172, s23, 0
	v_lshl_add_u64 v[170:171], v[8:9], 3, s[18:19]
	ds_read_b128 v[16:19], v189 offset:16128
	ds_read_b128 v[8:11], v189 offset:16144
	v_add_u32_e32 v160, s33, v182
	v_mad_i64_i32 v[162:163], s[0:1], v172, s22, 0
	v_cmp_gt_i32_e64 s[2:3], s12, v160
	v_cmp_gt_i32_e64 s[10:11], s13, v172
	v_lshl_add_u64 v[168:169], v[162:163], 3, s[14:15]
	v_cndmask_b32_e64 v162, 0, 1, s[20:21]
	v_ashrrev_i32_e32 v161, 31, v160
	s_and_b64 s[6:7], s[2:3], s[10:11]
	v_cmp_ne_u32_e64 s[0:1], 1, v162
	s_and_saveexec_b64 s[4:5], s[6:7]
	s_cbranch_execz .LBB114_46
; %bb.42:
	s_and_b64 vcc, exec, s[0:1]
	s_cbranch_vccnz .LBB114_44
; %bb.43:
	v_lshl_add_u64 v[162:163], v[160:161], 3, v[170:171]
	flat_load_dwordx2 v[162:163], v[162:163]
	s_waitcnt vmcnt(0) lgkmcnt(0)
	v_mul_f64 v[162:163], s[16:17], v[162:163]
	v_cvt_f32_f64_e32 v162, v[162:163]
	s_branch .LBB114_45
.LBB114_44:
	v_mov_b32_e32 v162, 0
.LBB114_45:
	v_add_f64 v[164:165], v[38:39], v[158:159]
	v_add_f64 v[166:167], v[36:37], v[156:157]
	v_cvt_f32_f64_e32 v163, v[166:167]
	v_cvt_f32_f64_e32 v164, v[164:165]
	v_min3_f32 v163, v163, v164, v252
	v_add_f64 v[164:165], v[34:35], v[154:155]
	v_add_f64 v[166:167], v[32:33], v[152:153]
	v_cvt_f32_f64_e32 v166, v[166:167]
	v_cvt_f32_f64_e32 v164, v[164:165]
	v_min_f32_e32 v164, v166, v164
	v_min3_f32 v162, v162, v164, v163
	v_cvt_f64_f32_e32 v[162:163], v162
	v_lshl_add_u64 v[164:165], v[160:161], 3, v[168:169]
	flat_store_dwordx2 v[164:165], v[162:163]
.LBB114_46:
	s_or_b64 exec, exec, s[4:5]
	v_add_u32_e32 v162, 32, v160
	v_cmp_gt_i32_e64 s[4:5], s12, v162
	v_ashrrev_i32_e32 v163, 31, v162
	s_and_b64 s[8:9], s[4:5], s[10:11]
	s_and_saveexec_b64 s[6:7], s[8:9]
	s_cbranch_execz .LBB114_51
; %bb.47:
	s_and_b64 vcc, exec, s[0:1]
	s_cbranch_vccnz .LBB114_49
; %bb.48:
	v_lshl_add_u64 v[164:165], v[162:163], 3, v[170:171]
	flat_load_dwordx2 v[164:165], v[164:165]
	s_waitcnt vmcnt(0) lgkmcnt(0)
	v_mul_f64 v[164:165], s[16:17], v[164:165]
	v_cvt_f32_f64_e32 v164, v[164:165]
	s_branch .LBB114_50
.LBB114_49:
	v_mov_b32_e32 v164, 0
.LBB114_50:
	v_add_f64 v[166:167], v[26:27], v[158:159]
	v_add_f64 v[174:175], v[24:25], v[156:157]
	v_cvt_f32_f64_e32 v165, v[174:175]
	v_cvt_f32_f64_e32 v166, v[166:167]
	v_min3_f32 v165, v165, v166, v251
	v_add_f64 v[166:167], v[30:31], v[154:155]
	v_add_f64 v[174:175], v[28:29], v[152:153]
	v_cvt_f32_f64_e32 v173, v[174:175]
	v_cvt_f32_f64_e32 v166, v[166:167]
	v_min_f32_e32 v166, v173, v166
	v_min3_f32 v164, v164, v166, v165
	v_cvt_f64_f32_e32 v[164:165], v164
	v_lshl_add_u64 v[166:167], v[162:163], 3, v[168:169]
	flat_store_dwordx2 v[166:167], v[164:165]
.LBB114_51:
	s_or_b64 exec, exec, s[6:7]
	v_add_u32_e32 v164, 64, v160
	v_cmp_gt_i32_e64 s[6:7], s12, v164
	v_ashrrev_i32_e32 v165, 31, v164
	s_and_b64 s[20:21], s[6:7], s[10:11]
	s_and_saveexec_b64 s[8:9], s[20:21]
	s_cbranch_execz .LBB114_56
; %bb.52:
	s_and_b64 vcc, exec, s[0:1]
	s_cbranch_vccnz .LBB114_54
; %bb.53:
	v_lshl_add_u64 v[166:167], v[164:165], 3, v[170:171]
	flat_load_dwordx2 v[166:167], v[166:167]
	s_waitcnt vmcnt(0) lgkmcnt(0)
	v_mul_f64 v[166:167], s[16:17], v[166:167]
	v_cvt_f32_f64_e32 v166, v[166:167]
	s_branch .LBB114_55
.LBB114_54:
	v_mov_b32_e32 v166, 0
.LBB114_55:
	v_add_f64 v[174:175], v[22:23], v[158:159]
	v_add_f64 v[176:177], v[20:21], v[156:157]
	v_cvt_f32_f64_e32 v167, v[176:177]
	v_cvt_f32_f64_e32 v173, v[174:175]
	v_add_f64 v[174:175], v[14:15], v[154:155]
	v_add_f64 v[176:177], v[12:13], v[152:153]
	v_min3_f32 v167, v167, v173, v250
	v_cvt_f32_f64_e32 v173, v[176:177]
	v_cvt_f32_f64_e32 v174, v[174:175]
	v_min_f32_e32 v173, v173, v174
	v_min3_f32 v166, v166, v173, v167
	v_cvt_f64_f32_e32 v[166:167], v166
	v_lshl_add_u64 v[174:175], v[164:165], 3, v[168:169]
	flat_store_dwordx2 v[174:175], v[166:167]
.LBB114_56:
	s_or_b64 exec, exec, s[8:9]
	v_add_u32_e32 v166, 0x60, v160
	v_cmp_gt_i32_e64 s[8:9], s12, v166
	v_ashrrev_i32_e32 v167, 31, v166
	s_and_b64 s[20:21], s[8:9], s[10:11]
	s_and_saveexec_b64 s[10:11], s[20:21]
	s_cbranch_execz .LBB114_61
; %bb.57:
	s_and_b64 vcc, exec, s[0:1]
	s_cbranch_vccnz .LBB114_59
; %bb.58:
	v_lshl_add_u64 v[170:171], v[166:167], 3, v[170:171]
	flat_load_dwordx2 v[170:171], v[170:171]
	s_waitcnt vmcnt(0) lgkmcnt(0)
	v_mul_f64 v[170:171], s[16:17], v[170:171]
	v_cvt_f32_f64_e32 v170, v[170:171]
	s_branch .LBB114_60
.LBB114_59:
	v_mov_b32_e32 v170, 0
.LBB114_60:
	v_add_f64 v[158:159], v[6:7], v[158:159]
	v_add_f64 v[156:157], v[4:5], v[156:157]
	;; [unrolled: 1-line block ×4, first 2 shown]
	v_cvt_f32_f64_e32 v156, v[156:157]
	v_cvt_f32_f64_e32 v157, v[158:159]
	v_cvt_f32_f64_e32 v152, v[152:153]
	v_cvt_f32_f64_e32 v153, v[154:155]
	v_min3_f32 v156, v156, v157, v249
	v_min_f32_e32 v152, v152, v153
	v_min3_f32 v152, v170, v152, v156
	v_cvt_f64_f32_e32 v[152:153], v152
	v_lshl_add_u64 v[154:155], v[166:167], 3, v[168:169]
	flat_store_dwordx2 v[154:155], v[152:153]
.LBB114_61:
	s_or_b64 exec, exec, s[10:11]
	v_add_u32_e32 v156, 8, v172
	v_mad_i64_i32 v[152:153], s[20:21], v156, s23, 0
	v_cmp_gt_i32_e64 s[10:11], s13, v156
	v_lshl_add_u64 v[154:155], v[152:153], 3, s[18:19]
	v_mad_i64_i32 v[152:153], s[20:21], v156, s22, 0
	v_lshl_add_u64 v[152:153], v[152:153], 3, s[14:15]
	s_and_b64 s[24:25], s[2:3], s[10:11]
	s_and_saveexec_b64 s[20:21], s[24:25]
	s_cbranch_execnz .LBB114_65
; %bb.62:
	s_or_b64 exec, exec, s[20:21]
	s_and_b64 s[24:25], s[4:5], s[10:11]
	s_and_saveexec_b64 s[20:21], s[24:25]
	s_cbranch_execnz .LBB114_69
.LBB114_63:
	s_or_b64 exec, exec, s[20:21]
	s_and_b64 s[24:25], s[6:7], s[10:11]
	s_and_saveexec_b64 s[20:21], s[24:25]
	s_cbranch_execnz .LBB114_73
.LBB114_64:
	s_or_b64 exec, exec, s[20:21]
	s_and_b64 s[20:21], s[8:9], s[10:11]
	s_and_saveexec_b64 s[10:11], s[20:21]
	s_cbranch_execnz .LBB114_77
	s_branch .LBB114_81
.LBB114_65:
	s_and_b64 vcc, exec, s[0:1]
	s_cbranch_vccnz .LBB114_67
; %bb.66:
	v_lshl_add_u64 v[156:157], v[160:161], 3, v[154:155]
	flat_load_dwordx2 v[156:157], v[156:157]
	s_waitcnt vmcnt(0) lgkmcnt(0)
	v_mul_f64 v[156:157], s[16:17], v[156:157]
	v_cvt_f32_f64_e32 v156, v[156:157]
	s_branch .LBB114_68
.LBB114_67:
	v_mov_b32_e32 v156, 0
.LBB114_68:
	v_add_f64 v[158:159], v[38:39], v[150:151]
	v_add_f64 v[168:169], v[36:37], v[148:149]
	v_cvt_f32_f64_e32 v157, v[168:169]
	v_cvt_f32_f64_e32 v158, v[158:159]
	v_min3_f32 v157, v157, v158, v248
	v_add_f64 v[158:159], v[34:35], v[146:147]
	v_add_f64 v[168:169], v[32:33], v[144:145]
	v_cvt_f32_f64_e32 v168, v[168:169]
	v_cvt_f32_f64_e32 v158, v[158:159]
	v_min_f32_e32 v158, v168, v158
	v_min3_f32 v156, v156, v158, v157
	v_cvt_f64_f32_e32 v[156:157], v156
	v_lshl_add_u64 v[158:159], v[160:161], 3, v[152:153]
	flat_store_dwordx2 v[158:159], v[156:157]
	s_or_b64 exec, exec, s[20:21]
	s_and_b64 s[24:25], s[4:5], s[10:11]
	s_and_saveexec_b64 s[20:21], s[24:25]
	s_cbranch_execz .LBB114_63
.LBB114_69:
	s_and_b64 vcc, exec, s[0:1]
	s_cbranch_vccnz .LBB114_71
; %bb.70:
	v_lshl_add_u64 v[156:157], v[162:163], 3, v[154:155]
	flat_load_dwordx2 v[156:157], v[156:157]
	s_waitcnt vmcnt(0) lgkmcnt(0)
	v_mul_f64 v[156:157], s[16:17], v[156:157]
	v_cvt_f32_f64_e32 v156, v[156:157]
	s_branch .LBB114_72
.LBB114_71:
	v_mov_b32_e32 v156, 0
.LBB114_72:
	v_add_f64 v[158:159], v[26:27], v[150:151]
	v_add_f64 v[168:169], v[24:25], v[148:149]
	v_cvt_f32_f64_e32 v157, v[168:169]
	v_cvt_f32_f64_e32 v158, v[158:159]
	v_min3_f32 v157, v157, v158, v242
	v_add_f64 v[158:159], v[30:31], v[146:147]
	v_add_f64 v[168:169], v[28:29], v[144:145]
	v_cvt_f32_f64_e32 v168, v[168:169]
	v_cvt_f32_f64_e32 v158, v[158:159]
	v_min_f32_e32 v158, v168, v158
	v_min3_f32 v156, v156, v158, v157
	v_cvt_f64_f32_e32 v[156:157], v156
	v_lshl_add_u64 v[158:159], v[162:163], 3, v[152:153]
	flat_store_dwordx2 v[158:159], v[156:157]
	s_or_b64 exec, exec, s[20:21]
	s_and_b64 s[24:25], s[6:7], s[10:11]
	s_and_saveexec_b64 s[20:21], s[24:25]
	s_cbranch_execz .LBB114_64
.LBB114_73:
	s_and_b64 vcc, exec, s[0:1]
	s_cbranch_vccnz .LBB114_75
; %bb.74:
	v_lshl_add_u64 v[156:157], v[164:165], 3, v[154:155]
	flat_load_dwordx2 v[156:157], v[156:157]
	s_waitcnt vmcnt(0) lgkmcnt(0)
	v_mul_f64 v[156:157], s[16:17], v[156:157]
	v_cvt_f32_f64_e32 v156, v[156:157]
	s_branch .LBB114_76
.LBB114_75:
	v_mov_b32_e32 v156, 0
.LBB114_76:
	v_add_f64 v[158:159], v[22:23], v[150:151]
	v_add_f64 v[168:169], v[20:21], v[148:149]
	v_cvt_f32_f64_e32 v157, v[168:169]
	v_cvt_f32_f64_e32 v158, v[158:159]
	v_min3_f32 v157, v157, v158, v241
	v_add_f64 v[158:159], v[14:15], v[146:147]
	v_add_f64 v[168:169], v[12:13], v[144:145]
	v_cvt_f32_f64_e32 v168, v[168:169]
	v_cvt_f32_f64_e32 v158, v[158:159]
	v_min_f32_e32 v158, v168, v158
	v_min3_f32 v156, v156, v158, v157
	v_cvt_f64_f32_e32 v[156:157], v156
	v_lshl_add_u64 v[158:159], v[164:165], 3, v[152:153]
	flat_store_dwordx2 v[158:159], v[156:157]
	s_or_b64 exec, exec, s[20:21]
	s_and_b64 s[20:21], s[8:9], s[10:11]
	s_and_saveexec_b64 s[10:11], s[20:21]
	s_cbranch_execz .LBB114_81
.LBB114_77:
	s_and_b64 vcc, exec, s[0:1]
	s_cbranch_vccnz .LBB114_79
; %bb.78:
	v_lshl_add_u64 v[154:155], v[166:167], 3, v[154:155]
	flat_load_dwordx2 v[154:155], v[154:155]
	s_waitcnt vmcnt(0) lgkmcnt(0)
	v_mul_f64 v[154:155], s[16:17], v[154:155]
	v_cvt_f32_f64_e32 v154, v[154:155]
	s_branch .LBB114_80
.LBB114_79:
	v_mov_b32_e32 v154, 0
.LBB114_80:
	v_add_f64 v[150:151], v[6:7], v[150:151]
	v_add_f64 v[148:149], v[4:5], v[148:149]
	;; [unrolled: 1-line block ×4, first 2 shown]
	v_cvt_f32_f64_e32 v148, v[148:149]
	v_cvt_f32_f64_e32 v149, v[150:151]
	;; [unrolled: 1-line block ×4, first 2 shown]
	v_min3_f32 v148, v148, v149, v240
	v_min_f32_e32 v144, v144, v145
	v_min3_f32 v144, v154, v144, v148
	v_cvt_f64_f32_e32 v[144:145], v144
	v_lshl_add_u64 v[146:147], v[166:167], 3, v[152:153]
	flat_store_dwordx2 v[146:147], v[144:145]
.LBB114_81:
	s_or_b64 exec, exec, s[10:11]
	v_add_u32_e32 v148, 16, v172
	v_mad_i64_i32 v[144:145], s[20:21], v148, s23, 0
	v_cmp_gt_i32_e64 s[10:11], s13, v148
	v_lshl_add_u64 v[146:147], v[144:145], 3, s[18:19]
	v_mad_i64_i32 v[144:145], s[20:21], v148, s22, 0
	v_lshl_add_u64 v[144:145], v[144:145], 3, s[14:15]
	s_and_b64 s[24:25], s[2:3], s[10:11]
	s_and_saveexec_b64 s[20:21], s[24:25]
	s_cbranch_execnz .LBB114_85
; %bb.82:
	s_or_b64 exec, exec, s[20:21]
	s_and_b64 s[24:25], s[4:5], s[10:11]
	s_and_saveexec_b64 s[20:21], s[24:25]
	s_cbranch_execnz .LBB114_89
.LBB114_83:
	s_or_b64 exec, exec, s[20:21]
	s_and_b64 s[24:25], s[6:7], s[10:11]
	s_and_saveexec_b64 s[20:21], s[24:25]
	s_cbranch_execnz .LBB114_93
.LBB114_84:
	s_or_b64 exec, exec, s[20:21]
	s_and_b64 s[20:21], s[8:9], s[10:11]
	s_and_saveexec_b64 s[10:11], s[20:21]
	s_cbranch_execnz .LBB114_97
	s_branch .LBB114_101
.LBB114_85:
	s_and_b64 vcc, exec, s[0:1]
	s_cbranch_vccnz .LBB114_87
; %bb.86:
	v_lshl_add_u64 v[148:149], v[160:161], 3, v[146:147]
	flat_load_dwordx2 v[148:149], v[148:149]
	s_waitcnt vmcnt(0) lgkmcnt(0)
	v_mul_f64 v[148:149], s[16:17], v[148:149]
	v_cvt_f32_f64_e32 v148, v[148:149]
	s_branch .LBB114_88
.LBB114_87:
	v_mov_b32_e32 v148, 0
.LBB114_88:
	v_add_f64 v[150:151], v[38:39], v[142:143]
	v_add_f64 v[152:153], v[36:37], v[140:141]
	v_cvt_f32_f64_e32 v149, v[152:153]
	v_cvt_f32_f64_e32 v150, v[150:151]
	v_min3_f32 v149, v149, v150, v239
	v_add_f64 v[150:151], v[34:35], v[138:139]
	v_add_f64 v[152:153], v[32:33], v[136:137]
	v_cvt_f32_f64_e32 v152, v[152:153]
	v_cvt_f32_f64_e32 v150, v[150:151]
	v_min_f32_e32 v150, v152, v150
	v_min3_f32 v148, v148, v150, v149
	v_cvt_f64_f32_e32 v[148:149], v148
	v_lshl_add_u64 v[150:151], v[160:161], 3, v[144:145]
	flat_store_dwordx2 v[150:151], v[148:149]
	s_or_b64 exec, exec, s[20:21]
	s_and_b64 s[24:25], s[4:5], s[10:11]
	s_and_saveexec_b64 s[20:21], s[24:25]
	s_cbranch_execz .LBB114_83
.LBB114_89:
	s_and_b64 vcc, exec, s[0:1]
	s_cbranch_vccnz .LBB114_91
; %bb.90:
	v_lshl_add_u64 v[148:149], v[162:163], 3, v[146:147]
	flat_load_dwordx2 v[148:149], v[148:149]
	s_waitcnt vmcnt(0) lgkmcnt(0)
	v_mul_f64 v[148:149], s[16:17], v[148:149]
	v_cvt_f32_f64_e32 v148, v[148:149]
	s_branch .LBB114_92
.LBB114_91:
	v_mov_b32_e32 v148, 0
.LBB114_92:
	v_add_f64 v[150:151], v[26:27], v[142:143]
	v_add_f64 v[152:153], v[24:25], v[140:141]
	v_cvt_f32_f64_e32 v149, v[152:153]
	v_cvt_f32_f64_e32 v150, v[150:151]
	v_min3_f32 v149, v149, v150, v238
	v_add_f64 v[150:151], v[30:31], v[138:139]
	v_add_f64 v[152:153], v[28:29], v[136:137]
	v_cvt_f32_f64_e32 v152, v[152:153]
	v_cvt_f32_f64_e32 v150, v[150:151]
	v_min_f32_e32 v150, v152, v150
	v_min3_f32 v148, v148, v150, v149
	v_cvt_f64_f32_e32 v[148:149], v148
	v_lshl_add_u64 v[150:151], v[162:163], 3, v[144:145]
	flat_store_dwordx2 v[150:151], v[148:149]
	s_or_b64 exec, exec, s[20:21]
	s_and_b64 s[24:25], s[6:7], s[10:11]
	s_and_saveexec_b64 s[20:21], s[24:25]
	s_cbranch_execz .LBB114_84
.LBB114_93:
	s_and_b64 vcc, exec, s[0:1]
	s_cbranch_vccnz .LBB114_95
; %bb.94:
	v_lshl_add_u64 v[148:149], v[164:165], 3, v[146:147]
	flat_load_dwordx2 v[148:149], v[148:149]
	s_waitcnt vmcnt(0) lgkmcnt(0)
	v_mul_f64 v[148:149], s[16:17], v[148:149]
	v_cvt_f32_f64_e32 v148, v[148:149]
	s_branch .LBB114_96
.LBB114_95:
	v_mov_b32_e32 v148, 0
.LBB114_96:
	v_add_f64 v[150:151], v[22:23], v[142:143]
	v_add_f64 v[152:153], v[20:21], v[140:141]
	v_cvt_f32_f64_e32 v149, v[152:153]
	v_cvt_f32_f64_e32 v150, v[150:151]
	v_min3_f32 v149, v149, v150, v237
	v_add_f64 v[150:151], v[14:15], v[138:139]
	v_add_f64 v[152:153], v[12:13], v[136:137]
	v_cvt_f32_f64_e32 v152, v[152:153]
	v_cvt_f32_f64_e32 v150, v[150:151]
	v_min_f32_e32 v150, v152, v150
	v_min3_f32 v148, v148, v150, v149
	v_cvt_f64_f32_e32 v[148:149], v148
	v_lshl_add_u64 v[150:151], v[164:165], 3, v[144:145]
	flat_store_dwordx2 v[150:151], v[148:149]
	s_or_b64 exec, exec, s[20:21]
	s_and_b64 s[20:21], s[8:9], s[10:11]
	s_and_saveexec_b64 s[10:11], s[20:21]
	s_cbranch_execz .LBB114_101
.LBB114_97:
	s_and_b64 vcc, exec, s[0:1]
	s_cbranch_vccnz .LBB114_99
; %bb.98:
	v_lshl_add_u64 v[146:147], v[166:167], 3, v[146:147]
	flat_load_dwordx2 v[146:147], v[146:147]
	s_waitcnt vmcnt(0) lgkmcnt(0)
	v_mul_f64 v[146:147], s[16:17], v[146:147]
	v_cvt_f32_f64_e32 v146, v[146:147]
	s_branch .LBB114_100
.LBB114_99:
	v_mov_b32_e32 v146, 0
.LBB114_100:
	v_add_f64 v[142:143], v[6:7], v[142:143]
	v_add_f64 v[140:141], v[4:5], v[140:141]
	;; [unrolled: 1-line block ×4, first 2 shown]
	v_cvt_f32_f64_e32 v140, v[140:141]
	v_cvt_f32_f64_e32 v141, v[142:143]
	;; [unrolled: 1-line block ×4, first 2 shown]
	v_min3_f32 v140, v140, v141, v236
	v_min_f32_e32 v136, v136, v137
	v_min3_f32 v136, v146, v136, v140
	v_cvt_f64_f32_e32 v[136:137], v136
	v_lshl_add_u64 v[138:139], v[166:167], 3, v[144:145]
	flat_store_dwordx2 v[138:139], v[136:137]
.LBB114_101:
	s_or_b64 exec, exec, s[10:11]
	v_add_u32_e32 v140, 24, v172
	v_mad_i64_i32 v[136:137], s[20:21], v140, s23, 0
	v_cmp_gt_i32_e64 s[10:11], s13, v140
	v_lshl_add_u64 v[138:139], v[136:137], 3, s[18:19]
	v_mad_i64_i32 v[136:137], s[20:21], v140, s22, 0
	v_lshl_add_u64 v[136:137], v[136:137], 3, s[14:15]
	s_and_b64 s[24:25], s[2:3], s[10:11]
	s_and_saveexec_b64 s[20:21], s[24:25]
	s_cbranch_execnz .LBB114_105
; %bb.102:
	s_or_b64 exec, exec, s[20:21]
	s_and_b64 s[24:25], s[4:5], s[10:11]
	s_and_saveexec_b64 s[20:21], s[24:25]
	s_cbranch_execnz .LBB114_109
.LBB114_103:
	s_or_b64 exec, exec, s[20:21]
	s_and_b64 s[24:25], s[6:7], s[10:11]
	s_and_saveexec_b64 s[20:21], s[24:25]
	s_cbranch_execnz .LBB114_113
.LBB114_104:
	s_or_b64 exec, exec, s[20:21]
	s_and_b64 s[20:21], s[8:9], s[10:11]
	s_and_saveexec_b64 s[10:11], s[20:21]
	s_cbranch_execnz .LBB114_117
	s_branch .LBB114_121
.LBB114_105:
	s_and_b64 vcc, exec, s[0:1]
	s_cbranch_vccnz .LBB114_107
; %bb.106:
	v_lshl_add_u64 v[140:141], v[160:161], 3, v[138:139]
	flat_load_dwordx2 v[140:141], v[140:141]
	s_waitcnt vmcnt(0) lgkmcnt(0)
	v_mul_f64 v[140:141], s[16:17], v[140:141]
	v_cvt_f32_f64_e32 v140, v[140:141]
	s_branch .LBB114_108
.LBB114_107:
	v_mov_b32_e32 v140, 0
.LBB114_108:
	v_add_f64 v[142:143], v[38:39], v[134:135]
	v_add_f64 v[144:145], v[36:37], v[132:133]
	v_cvt_f32_f64_e32 v141, v[144:145]
	v_cvt_f32_f64_e32 v142, v[142:143]
	v_min3_f32 v141, v141, v142, v235
	v_add_f64 v[142:143], v[34:35], v[130:131]
	v_add_f64 v[144:145], v[32:33], v[128:129]
	v_cvt_f32_f64_e32 v144, v[144:145]
	v_cvt_f32_f64_e32 v142, v[142:143]
	v_min_f32_e32 v142, v144, v142
	v_min3_f32 v140, v140, v142, v141
	v_cvt_f64_f32_e32 v[140:141], v140
	v_lshl_add_u64 v[142:143], v[160:161], 3, v[136:137]
	flat_store_dwordx2 v[142:143], v[140:141]
	s_or_b64 exec, exec, s[20:21]
	s_and_b64 s[24:25], s[4:5], s[10:11]
	s_and_saveexec_b64 s[20:21], s[24:25]
	s_cbranch_execz .LBB114_103
.LBB114_109:
	s_and_b64 vcc, exec, s[0:1]
	s_cbranch_vccnz .LBB114_111
; %bb.110:
	v_lshl_add_u64 v[140:141], v[162:163], 3, v[138:139]
	flat_load_dwordx2 v[140:141], v[140:141]
	s_waitcnt vmcnt(0) lgkmcnt(0)
	v_mul_f64 v[140:141], s[16:17], v[140:141]
	v_cvt_f32_f64_e32 v140, v[140:141]
	s_branch .LBB114_112
.LBB114_111:
	v_mov_b32_e32 v140, 0
.LBB114_112:
	v_add_f64 v[142:143], v[26:27], v[134:135]
	v_add_f64 v[144:145], v[24:25], v[132:133]
	v_cvt_f32_f64_e32 v141, v[144:145]
	v_cvt_f32_f64_e32 v142, v[142:143]
	v_min3_f32 v141, v141, v142, v234
	v_add_f64 v[142:143], v[30:31], v[130:131]
	v_add_f64 v[144:145], v[28:29], v[128:129]
	v_cvt_f32_f64_e32 v144, v[144:145]
	v_cvt_f32_f64_e32 v142, v[142:143]
	v_min_f32_e32 v142, v144, v142
	v_min3_f32 v140, v140, v142, v141
	v_cvt_f64_f32_e32 v[140:141], v140
	v_lshl_add_u64 v[142:143], v[162:163], 3, v[136:137]
	flat_store_dwordx2 v[142:143], v[140:141]
	s_or_b64 exec, exec, s[20:21]
	s_and_b64 s[24:25], s[6:7], s[10:11]
	s_and_saveexec_b64 s[20:21], s[24:25]
	s_cbranch_execz .LBB114_104
.LBB114_113:
	s_and_b64 vcc, exec, s[0:1]
	s_cbranch_vccnz .LBB114_115
; %bb.114:
	v_lshl_add_u64 v[140:141], v[164:165], 3, v[138:139]
	flat_load_dwordx2 v[140:141], v[140:141]
	s_waitcnt vmcnt(0) lgkmcnt(0)
	v_mul_f64 v[140:141], s[16:17], v[140:141]
	v_cvt_f32_f64_e32 v140, v[140:141]
	s_branch .LBB114_116
.LBB114_115:
	v_mov_b32_e32 v140, 0
.LBB114_116:
	v_add_f64 v[142:143], v[22:23], v[134:135]
	v_add_f64 v[144:145], v[20:21], v[132:133]
	v_cvt_f32_f64_e32 v141, v[144:145]
	v_cvt_f32_f64_e32 v142, v[142:143]
	v_min3_f32 v141, v141, v142, v233
	v_add_f64 v[142:143], v[14:15], v[130:131]
	v_add_f64 v[144:145], v[12:13], v[128:129]
	v_cvt_f32_f64_e32 v144, v[144:145]
	v_cvt_f32_f64_e32 v142, v[142:143]
	v_min_f32_e32 v142, v144, v142
	v_min3_f32 v140, v140, v142, v141
	v_cvt_f64_f32_e32 v[140:141], v140
	v_lshl_add_u64 v[142:143], v[164:165], 3, v[136:137]
	flat_store_dwordx2 v[142:143], v[140:141]
	s_or_b64 exec, exec, s[20:21]
	s_and_b64 s[20:21], s[8:9], s[10:11]
	s_and_saveexec_b64 s[10:11], s[20:21]
	s_cbranch_execz .LBB114_121
.LBB114_117:
	s_and_b64 vcc, exec, s[0:1]
	s_cbranch_vccnz .LBB114_119
; %bb.118:
	v_lshl_add_u64 v[138:139], v[166:167], 3, v[138:139]
	flat_load_dwordx2 v[138:139], v[138:139]
	s_waitcnt vmcnt(0) lgkmcnt(0)
	v_mul_f64 v[138:139], s[16:17], v[138:139]
	v_cvt_f32_f64_e32 v138, v[138:139]
	s_branch .LBB114_120
.LBB114_119:
	v_mov_b32_e32 v138, 0
.LBB114_120:
	v_add_f64 v[134:135], v[6:7], v[134:135]
	v_add_f64 v[132:133], v[4:5], v[132:133]
	;; [unrolled: 1-line block ×4, first 2 shown]
	v_cvt_f32_f64_e32 v132, v[132:133]
	v_cvt_f32_f64_e32 v133, v[134:135]
	;; [unrolled: 1-line block ×4, first 2 shown]
	v_min3_f32 v132, v132, v133, v232
	v_min_f32_e32 v128, v128, v129
	v_min3_f32 v128, v138, v128, v132
	v_cvt_f64_f32_e32 v[128:129], v128
	v_lshl_add_u64 v[130:131], v[166:167], 3, v[136:137]
	flat_store_dwordx2 v[130:131], v[128:129]
.LBB114_121:
	s_or_b64 exec, exec, s[10:11]
	v_add_u32_e32 v132, 32, v172
	v_mad_i64_i32 v[128:129], s[20:21], v132, s23, 0
	v_cmp_gt_i32_e64 s[10:11], s13, v132
	v_lshl_add_u64 v[130:131], v[128:129], 3, s[18:19]
	v_mad_i64_i32 v[128:129], s[20:21], v132, s22, 0
	v_lshl_add_u64 v[128:129], v[128:129], 3, s[14:15]
	s_and_b64 s[24:25], s[2:3], s[10:11]
	s_and_saveexec_b64 s[20:21], s[24:25]
	s_cbranch_execnz .LBB114_125
; %bb.122:
	s_or_b64 exec, exec, s[20:21]
	s_and_b64 s[24:25], s[4:5], s[10:11]
	s_and_saveexec_b64 s[20:21], s[24:25]
	s_cbranch_execnz .LBB114_129
.LBB114_123:
	s_or_b64 exec, exec, s[20:21]
	s_and_b64 s[24:25], s[6:7], s[10:11]
	s_and_saveexec_b64 s[20:21], s[24:25]
	s_cbranch_execnz .LBB114_133
.LBB114_124:
	s_or_b64 exec, exec, s[20:21]
	s_and_b64 s[20:21], s[8:9], s[10:11]
	s_and_saveexec_b64 s[10:11], s[20:21]
	s_cbranch_execnz .LBB114_137
	s_branch .LBB114_141
.LBB114_125:
	s_and_b64 vcc, exec, s[0:1]
	s_cbranch_vccnz .LBB114_127
; %bb.126:
	v_lshl_add_u64 v[132:133], v[160:161], 3, v[130:131]
	flat_load_dwordx2 v[132:133], v[132:133]
	s_waitcnt vmcnt(0) lgkmcnt(0)
	v_mul_f64 v[132:133], s[16:17], v[132:133]
	v_cvt_f32_f64_e32 v132, v[132:133]
	s_branch .LBB114_128
.LBB114_127:
	v_mov_b32_e32 v132, 0
.LBB114_128:
	v_add_f64 v[134:135], v[38:39], v[126:127]
	v_add_f64 v[136:137], v[36:37], v[124:125]
	v_cvt_f32_f64_e32 v133, v[136:137]
	v_cvt_f32_f64_e32 v134, v[134:135]
	v_min3_f32 v133, v133, v134, v231
	v_add_f64 v[134:135], v[34:35], v[122:123]
	v_add_f64 v[136:137], v[32:33], v[120:121]
	v_cvt_f32_f64_e32 v136, v[136:137]
	v_cvt_f32_f64_e32 v134, v[134:135]
	v_min_f32_e32 v134, v136, v134
	v_min3_f32 v132, v132, v134, v133
	v_cvt_f64_f32_e32 v[132:133], v132
	v_lshl_add_u64 v[134:135], v[160:161], 3, v[128:129]
	flat_store_dwordx2 v[134:135], v[132:133]
	s_or_b64 exec, exec, s[20:21]
	s_and_b64 s[24:25], s[4:5], s[10:11]
	s_and_saveexec_b64 s[20:21], s[24:25]
	s_cbranch_execz .LBB114_123
.LBB114_129:
	s_and_b64 vcc, exec, s[0:1]
	s_cbranch_vccnz .LBB114_131
; %bb.130:
	v_lshl_add_u64 v[132:133], v[162:163], 3, v[130:131]
	flat_load_dwordx2 v[132:133], v[132:133]
	s_waitcnt vmcnt(0) lgkmcnt(0)
	v_mul_f64 v[132:133], s[16:17], v[132:133]
	v_cvt_f32_f64_e32 v132, v[132:133]
	s_branch .LBB114_132
.LBB114_131:
	v_mov_b32_e32 v132, 0
.LBB114_132:
	v_add_f64 v[134:135], v[26:27], v[126:127]
	v_add_f64 v[136:137], v[24:25], v[124:125]
	v_cvt_f32_f64_e32 v133, v[136:137]
	v_cvt_f32_f64_e32 v134, v[134:135]
	v_min3_f32 v133, v133, v134, v230
	v_add_f64 v[134:135], v[30:31], v[122:123]
	v_add_f64 v[136:137], v[28:29], v[120:121]
	v_cvt_f32_f64_e32 v136, v[136:137]
	v_cvt_f32_f64_e32 v134, v[134:135]
	v_min_f32_e32 v134, v136, v134
	v_min3_f32 v132, v132, v134, v133
	v_cvt_f64_f32_e32 v[132:133], v132
	v_lshl_add_u64 v[134:135], v[162:163], 3, v[128:129]
	flat_store_dwordx2 v[134:135], v[132:133]
	s_or_b64 exec, exec, s[20:21]
	s_and_b64 s[24:25], s[6:7], s[10:11]
	s_and_saveexec_b64 s[20:21], s[24:25]
	s_cbranch_execz .LBB114_124
.LBB114_133:
	s_and_b64 vcc, exec, s[0:1]
	s_cbranch_vccnz .LBB114_135
; %bb.134:
	v_lshl_add_u64 v[132:133], v[164:165], 3, v[130:131]
	flat_load_dwordx2 v[132:133], v[132:133]
	s_waitcnt vmcnt(0) lgkmcnt(0)
	v_mul_f64 v[132:133], s[16:17], v[132:133]
	v_cvt_f32_f64_e32 v132, v[132:133]
	s_branch .LBB114_136
.LBB114_135:
	v_mov_b32_e32 v132, 0
.LBB114_136:
	v_add_f64 v[134:135], v[22:23], v[126:127]
	v_add_f64 v[136:137], v[20:21], v[124:125]
	v_cvt_f32_f64_e32 v133, v[136:137]
	v_cvt_f32_f64_e32 v134, v[134:135]
	v_min3_f32 v133, v133, v134, v229
	v_add_f64 v[134:135], v[14:15], v[122:123]
	v_add_f64 v[136:137], v[12:13], v[120:121]
	v_cvt_f32_f64_e32 v136, v[136:137]
	v_cvt_f32_f64_e32 v134, v[134:135]
	v_min_f32_e32 v134, v136, v134
	v_min3_f32 v132, v132, v134, v133
	v_cvt_f64_f32_e32 v[132:133], v132
	v_lshl_add_u64 v[134:135], v[164:165], 3, v[128:129]
	flat_store_dwordx2 v[134:135], v[132:133]
	s_or_b64 exec, exec, s[20:21]
	s_and_b64 s[20:21], s[8:9], s[10:11]
	s_and_saveexec_b64 s[10:11], s[20:21]
	s_cbranch_execz .LBB114_141
.LBB114_137:
	s_and_b64 vcc, exec, s[0:1]
	s_cbranch_vccnz .LBB114_139
; %bb.138:
	v_lshl_add_u64 v[130:131], v[166:167], 3, v[130:131]
	flat_load_dwordx2 v[130:131], v[130:131]
	s_waitcnt vmcnt(0) lgkmcnt(0)
	v_mul_f64 v[130:131], s[16:17], v[130:131]
	v_cvt_f32_f64_e32 v130, v[130:131]
	s_branch .LBB114_140
.LBB114_139:
	v_mov_b32_e32 v130, 0
.LBB114_140:
	v_add_f64 v[126:127], v[6:7], v[126:127]
	v_add_f64 v[124:125], v[4:5], v[124:125]
	;; [unrolled: 1-line block ×4, first 2 shown]
	v_cvt_f32_f64_e32 v124, v[124:125]
	v_cvt_f32_f64_e32 v125, v[126:127]
	v_cvt_f32_f64_e32 v120, v[120:121]
	v_cvt_f32_f64_e32 v121, v[122:123]
	v_min3_f32 v124, v124, v125, v228
	v_min_f32_e32 v120, v120, v121
	v_min3_f32 v120, v130, v120, v124
	v_cvt_f64_f32_e32 v[120:121], v120
	v_lshl_add_u64 v[122:123], v[166:167], 3, v[128:129]
	flat_store_dwordx2 v[122:123], v[120:121]
.LBB114_141:
	s_or_b64 exec, exec, s[10:11]
	v_add_u32_e32 v124, 40, v172
	v_mad_i64_i32 v[120:121], s[20:21], v124, s23, 0
	v_cmp_gt_i32_e64 s[10:11], s13, v124
	v_lshl_add_u64 v[122:123], v[120:121], 3, s[18:19]
	v_mad_i64_i32 v[120:121], s[20:21], v124, s22, 0
	v_lshl_add_u64 v[120:121], v[120:121], 3, s[14:15]
	s_and_b64 s[24:25], s[2:3], s[10:11]
	s_and_saveexec_b64 s[20:21], s[24:25]
	s_cbranch_execnz .LBB114_145
; %bb.142:
	s_or_b64 exec, exec, s[20:21]
	s_and_b64 s[24:25], s[4:5], s[10:11]
	s_and_saveexec_b64 s[20:21], s[24:25]
	s_cbranch_execnz .LBB114_149
.LBB114_143:
	s_or_b64 exec, exec, s[20:21]
	s_and_b64 s[24:25], s[6:7], s[10:11]
	s_and_saveexec_b64 s[20:21], s[24:25]
	s_cbranch_execnz .LBB114_153
.LBB114_144:
	s_or_b64 exec, exec, s[20:21]
	s_and_b64 s[20:21], s[8:9], s[10:11]
	s_and_saveexec_b64 s[10:11], s[20:21]
	s_cbranch_execnz .LBB114_157
	s_branch .LBB114_161
.LBB114_145:
	s_and_b64 vcc, exec, s[0:1]
	s_cbranch_vccnz .LBB114_147
; %bb.146:
	v_lshl_add_u64 v[124:125], v[160:161], 3, v[122:123]
	flat_load_dwordx2 v[124:125], v[124:125]
	s_waitcnt vmcnt(0) lgkmcnt(0)
	v_mul_f64 v[124:125], s[16:17], v[124:125]
	v_cvt_f32_f64_e32 v124, v[124:125]
	s_branch .LBB114_148
.LBB114_147:
	v_mov_b32_e32 v124, 0
.LBB114_148:
	v_add_f64 v[126:127], v[38:39], v[118:119]
	v_add_f64 v[128:129], v[36:37], v[116:117]
	v_cvt_f32_f64_e32 v125, v[128:129]
	v_cvt_f32_f64_e32 v126, v[126:127]
	v_min3_f32 v125, v125, v126, v227
	v_add_f64 v[126:127], v[34:35], v[114:115]
	v_add_f64 v[128:129], v[32:33], v[112:113]
	v_cvt_f32_f64_e32 v128, v[128:129]
	v_cvt_f32_f64_e32 v126, v[126:127]
	v_min_f32_e32 v126, v128, v126
	v_min3_f32 v124, v124, v126, v125
	v_cvt_f64_f32_e32 v[124:125], v124
	v_lshl_add_u64 v[126:127], v[160:161], 3, v[120:121]
	flat_store_dwordx2 v[126:127], v[124:125]
	s_or_b64 exec, exec, s[20:21]
	s_and_b64 s[24:25], s[4:5], s[10:11]
	s_and_saveexec_b64 s[20:21], s[24:25]
	s_cbranch_execz .LBB114_143
.LBB114_149:
	s_and_b64 vcc, exec, s[0:1]
	s_cbranch_vccnz .LBB114_151
; %bb.150:
	v_lshl_add_u64 v[124:125], v[162:163], 3, v[122:123]
	flat_load_dwordx2 v[124:125], v[124:125]
	s_waitcnt vmcnt(0) lgkmcnt(0)
	v_mul_f64 v[124:125], s[16:17], v[124:125]
	v_cvt_f32_f64_e32 v124, v[124:125]
	s_branch .LBB114_152
.LBB114_151:
	v_mov_b32_e32 v124, 0
.LBB114_152:
	v_add_f64 v[126:127], v[26:27], v[118:119]
	v_add_f64 v[128:129], v[24:25], v[116:117]
	v_cvt_f32_f64_e32 v125, v[128:129]
	v_cvt_f32_f64_e32 v126, v[126:127]
	v_min3_f32 v125, v125, v126, v226
	v_add_f64 v[126:127], v[30:31], v[114:115]
	v_add_f64 v[128:129], v[28:29], v[112:113]
	v_cvt_f32_f64_e32 v128, v[128:129]
	v_cvt_f32_f64_e32 v126, v[126:127]
	v_min_f32_e32 v126, v128, v126
	v_min3_f32 v124, v124, v126, v125
	v_cvt_f64_f32_e32 v[124:125], v124
	v_lshl_add_u64 v[126:127], v[162:163], 3, v[120:121]
	flat_store_dwordx2 v[126:127], v[124:125]
	s_or_b64 exec, exec, s[20:21]
	s_and_b64 s[24:25], s[6:7], s[10:11]
	s_and_saveexec_b64 s[20:21], s[24:25]
	s_cbranch_execz .LBB114_144
.LBB114_153:
	s_and_b64 vcc, exec, s[0:1]
	s_cbranch_vccnz .LBB114_155
; %bb.154:
	v_lshl_add_u64 v[124:125], v[164:165], 3, v[122:123]
	flat_load_dwordx2 v[124:125], v[124:125]
	s_waitcnt vmcnt(0) lgkmcnt(0)
	v_mul_f64 v[124:125], s[16:17], v[124:125]
	v_cvt_f32_f64_e32 v124, v[124:125]
	s_branch .LBB114_156
.LBB114_155:
	v_mov_b32_e32 v124, 0
.LBB114_156:
	v_add_f64 v[126:127], v[22:23], v[118:119]
	v_add_f64 v[128:129], v[20:21], v[116:117]
	v_cvt_f32_f64_e32 v125, v[128:129]
	v_cvt_f32_f64_e32 v126, v[126:127]
	v_min3_f32 v125, v125, v126, v225
	v_add_f64 v[126:127], v[14:15], v[114:115]
	v_add_f64 v[128:129], v[12:13], v[112:113]
	v_cvt_f32_f64_e32 v128, v[128:129]
	v_cvt_f32_f64_e32 v126, v[126:127]
	v_min_f32_e32 v126, v128, v126
	v_min3_f32 v124, v124, v126, v125
	v_cvt_f64_f32_e32 v[124:125], v124
	v_lshl_add_u64 v[126:127], v[164:165], 3, v[120:121]
	flat_store_dwordx2 v[126:127], v[124:125]
	s_or_b64 exec, exec, s[20:21]
	s_and_b64 s[20:21], s[8:9], s[10:11]
	s_and_saveexec_b64 s[10:11], s[20:21]
	s_cbranch_execz .LBB114_161
.LBB114_157:
	s_and_b64 vcc, exec, s[0:1]
	s_cbranch_vccnz .LBB114_159
; %bb.158:
	v_lshl_add_u64 v[122:123], v[166:167], 3, v[122:123]
	flat_load_dwordx2 v[122:123], v[122:123]
	s_waitcnt vmcnt(0) lgkmcnt(0)
	v_mul_f64 v[122:123], s[16:17], v[122:123]
	v_cvt_f32_f64_e32 v122, v[122:123]
	s_branch .LBB114_160
.LBB114_159:
	v_mov_b32_e32 v122, 0
.LBB114_160:
	v_add_f64 v[118:119], v[6:7], v[118:119]
	v_add_f64 v[116:117], v[4:5], v[116:117]
	;; [unrolled: 1-line block ×4, first 2 shown]
	v_cvt_f32_f64_e32 v116, v[116:117]
	v_cvt_f32_f64_e32 v117, v[118:119]
	;; [unrolled: 1-line block ×4, first 2 shown]
	v_min3_f32 v116, v116, v117, v224
	v_min_f32_e32 v112, v112, v113
	v_min3_f32 v112, v122, v112, v116
	v_cvt_f64_f32_e32 v[112:113], v112
	v_lshl_add_u64 v[114:115], v[166:167], 3, v[120:121]
	flat_store_dwordx2 v[114:115], v[112:113]
.LBB114_161:
	s_or_b64 exec, exec, s[10:11]
	v_add_u32_e32 v116, 48, v172
	v_mad_i64_i32 v[112:113], s[20:21], v116, s23, 0
	v_cmp_gt_i32_e64 s[10:11], s13, v116
	v_lshl_add_u64 v[114:115], v[112:113], 3, s[18:19]
	v_mad_i64_i32 v[112:113], s[20:21], v116, s22, 0
	v_lshl_add_u64 v[112:113], v[112:113], 3, s[14:15]
	s_and_b64 s[24:25], s[2:3], s[10:11]
	s_and_saveexec_b64 s[20:21], s[24:25]
	s_cbranch_execnz .LBB114_165
; %bb.162:
	s_or_b64 exec, exec, s[20:21]
	s_and_b64 s[24:25], s[4:5], s[10:11]
	s_and_saveexec_b64 s[20:21], s[24:25]
	s_cbranch_execnz .LBB114_169
.LBB114_163:
	s_or_b64 exec, exec, s[20:21]
	s_and_b64 s[24:25], s[6:7], s[10:11]
	s_and_saveexec_b64 s[20:21], s[24:25]
	s_cbranch_execnz .LBB114_173
.LBB114_164:
	s_or_b64 exec, exec, s[20:21]
	s_and_b64 s[20:21], s[8:9], s[10:11]
	s_and_saveexec_b64 s[10:11], s[20:21]
	s_cbranch_execnz .LBB114_177
	s_branch .LBB114_181
.LBB114_165:
	s_and_b64 vcc, exec, s[0:1]
	s_cbranch_vccnz .LBB114_167
; %bb.166:
	v_lshl_add_u64 v[116:117], v[160:161], 3, v[114:115]
	flat_load_dwordx2 v[116:117], v[116:117]
	s_waitcnt vmcnt(0) lgkmcnt(0)
	v_mul_f64 v[116:117], s[16:17], v[116:117]
	v_cvt_f32_f64_e32 v116, v[116:117]
	s_branch .LBB114_168
.LBB114_167:
	v_mov_b32_e32 v116, 0
.LBB114_168:
	v_add_f64 v[118:119], v[38:39], v[110:111]
	v_add_f64 v[120:121], v[36:37], v[108:109]
	v_cvt_f32_f64_e32 v117, v[120:121]
	v_cvt_f32_f64_e32 v118, v[118:119]
	v_min3_f32 v117, v117, v118, v223
	v_add_f64 v[118:119], v[34:35], v[106:107]
	v_add_f64 v[120:121], v[32:33], v[104:105]
	v_cvt_f32_f64_e32 v120, v[120:121]
	v_cvt_f32_f64_e32 v118, v[118:119]
	v_min_f32_e32 v118, v120, v118
	v_min3_f32 v116, v116, v118, v117
	v_cvt_f64_f32_e32 v[116:117], v116
	v_lshl_add_u64 v[118:119], v[160:161], 3, v[112:113]
	flat_store_dwordx2 v[118:119], v[116:117]
	s_or_b64 exec, exec, s[20:21]
	s_and_b64 s[24:25], s[4:5], s[10:11]
	s_and_saveexec_b64 s[20:21], s[24:25]
	s_cbranch_execz .LBB114_163
.LBB114_169:
	s_and_b64 vcc, exec, s[0:1]
	s_cbranch_vccnz .LBB114_171
; %bb.170:
	v_lshl_add_u64 v[116:117], v[162:163], 3, v[114:115]
	flat_load_dwordx2 v[116:117], v[116:117]
	s_waitcnt vmcnt(0) lgkmcnt(0)
	v_mul_f64 v[116:117], s[16:17], v[116:117]
	v_cvt_f32_f64_e32 v116, v[116:117]
	s_branch .LBB114_172
.LBB114_171:
	v_mov_b32_e32 v116, 0
.LBB114_172:
	v_add_f64 v[118:119], v[26:27], v[110:111]
	v_add_f64 v[120:121], v[24:25], v[108:109]
	v_cvt_f32_f64_e32 v117, v[120:121]
	v_cvt_f32_f64_e32 v118, v[118:119]
	v_min3_f32 v117, v117, v118, v222
	v_add_f64 v[118:119], v[30:31], v[106:107]
	v_add_f64 v[120:121], v[28:29], v[104:105]
	v_cvt_f32_f64_e32 v120, v[120:121]
	v_cvt_f32_f64_e32 v118, v[118:119]
	v_min_f32_e32 v118, v120, v118
	v_min3_f32 v116, v116, v118, v117
	v_cvt_f64_f32_e32 v[116:117], v116
	v_lshl_add_u64 v[118:119], v[162:163], 3, v[112:113]
	flat_store_dwordx2 v[118:119], v[116:117]
	s_or_b64 exec, exec, s[20:21]
	s_and_b64 s[24:25], s[6:7], s[10:11]
	s_and_saveexec_b64 s[20:21], s[24:25]
	s_cbranch_execz .LBB114_164
.LBB114_173:
	s_and_b64 vcc, exec, s[0:1]
	s_cbranch_vccnz .LBB114_175
; %bb.174:
	v_lshl_add_u64 v[116:117], v[164:165], 3, v[114:115]
	flat_load_dwordx2 v[116:117], v[116:117]
	s_waitcnt vmcnt(0) lgkmcnt(0)
	v_mul_f64 v[116:117], s[16:17], v[116:117]
	v_cvt_f32_f64_e32 v116, v[116:117]
	s_branch .LBB114_176
.LBB114_175:
	v_mov_b32_e32 v116, 0
.LBB114_176:
	v_add_f64 v[118:119], v[22:23], v[110:111]
	v_add_f64 v[120:121], v[20:21], v[108:109]
	v_cvt_f32_f64_e32 v117, v[120:121]
	v_cvt_f32_f64_e32 v118, v[118:119]
	v_min3_f32 v117, v117, v118, v221
	v_add_f64 v[118:119], v[14:15], v[106:107]
	v_add_f64 v[120:121], v[12:13], v[104:105]
	v_cvt_f32_f64_e32 v120, v[120:121]
	v_cvt_f32_f64_e32 v118, v[118:119]
	v_min_f32_e32 v118, v120, v118
	v_min3_f32 v116, v116, v118, v117
	v_cvt_f64_f32_e32 v[116:117], v116
	v_lshl_add_u64 v[118:119], v[164:165], 3, v[112:113]
	flat_store_dwordx2 v[118:119], v[116:117]
	s_or_b64 exec, exec, s[20:21]
	s_and_b64 s[20:21], s[8:9], s[10:11]
	s_and_saveexec_b64 s[10:11], s[20:21]
	s_cbranch_execz .LBB114_181
.LBB114_177:
	s_and_b64 vcc, exec, s[0:1]
	s_cbranch_vccnz .LBB114_179
; %bb.178:
	v_lshl_add_u64 v[114:115], v[166:167], 3, v[114:115]
	flat_load_dwordx2 v[114:115], v[114:115]
	s_waitcnt vmcnt(0) lgkmcnt(0)
	v_mul_f64 v[114:115], s[16:17], v[114:115]
	v_cvt_f32_f64_e32 v114, v[114:115]
	s_branch .LBB114_180
.LBB114_179:
	v_mov_b32_e32 v114, 0
.LBB114_180:
	v_add_f64 v[110:111], v[6:7], v[110:111]
	v_add_f64 v[108:109], v[4:5], v[108:109]
	;; [unrolled: 1-line block ×4, first 2 shown]
	v_cvt_f32_f64_e32 v108, v[108:109]
	v_cvt_f32_f64_e32 v109, v[110:111]
	;; [unrolled: 1-line block ×4, first 2 shown]
	v_min3_f32 v108, v108, v109, v220
	v_min_f32_e32 v104, v104, v105
	v_min3_f32 v104, v114, v104, v108
	v_cvt_f64_f32_e32 v[104:105], v104
	v_lshl_add_u64 v[106:107], v[166:167], 3, v[112:113]
	flat_store_dwordx2 v[106:107], v[104:105]
.LBB114_181:
	s_or_b64 exec, exec, s[10:11]
	v_add_u32_e32 v108, 56, v172
	v_mad_i64_i32 v[104:105], s[20:21], v108, s23, 0
	v_cmp_gt_i32_e64 s[10:11], s13, v108
	v_lshl_add_u64 v[106:107], v[104:105], 3, s[18:19]
	v_mad_i64_i32 v[104:105], s[20:21], v108, s22, 0
	v_lshl_add_u64 v[104:105], v[104:105], 3, s[14:15]
	s_and_b64 s[24:25], s[2:3], s[10:11]
	s_and_saveexec_b64 s[20:21], s[24:25]
	s_cbranch_execnz .LBB114_185
; %bb.182:
	s_or_b64 exec, exec, s[20:21]
	s_and_b64 s[24:25], s[4:5], s[10:11]
	s_and_saveexec_b64 s[20:21], s[24:25]
	s_cbranch_execnz .LBB114_189
.LBB114_183:
	s_or_b64 exec, exec, s[20:21]
	s_and_b64 s[24:25], s[6:7], s[10:11]
	s_and_saveexec_b64 s[20:21], s[24:25]
	s_cbranch_execnz .LBB114_193
.LBB114_184:
	s_or_b64 exec, exec, s[20:21]
	s_and_b64 s[20:21], s[8:9], s[10:11]
	s_and_saveexec_b64 s[10:11], s[20:21]
	s_cbranch_execnz .LBB114_197
	s_branch .LBB114_201
.LBB114_185:
	s_and_b64 vcc, exec, s[0:1]
	s_cbranch_vccnz .LBB114_187
; %bb.186:
	v_lshl_add_u64 v[108:109], v[160:161], 3, v[106:107]
	flat_load_dwordx2 v[108:109], v[108:109]
	s_waitcnt vmcnt(0) lgkmcnt(0)
	v_mul_f64 v[108:109], s[16:17], v[108:109]
	v_cvt_f32_f64_e32 v108, v[108:109]
	s_branch .LBB114_188
.LBB114_187:
	v_mov_b32_e32 v108, 0
.LBB114_188:
	v_add_f64 v[110:111], v[38:39], v[102:103]
	v_add_f64 v[112:113], v[36:37], v[100:101]
	v_cvt_f32_f64_e32 v109, v[112:113]
	v_cvt_f32_f64_e32 v110, v[110:111]
	v_min3_f32 v109, v109, v110, v219
	v_add_f64 v[110:111], v[34:35], v[98:99]
	v_add_f64 v[112:113], v[32:33], v[96:97]
	v_cvt_f32_f64_e32 v112, v[112:113]
	v_cvt_f32_f64_e32 v110, v[110:111]
	v_min_f32_e32 v110, v112, v110
	v_min3_f32 v108, v108, v110, v109
	v_cvt_f64_f32_e32 v[108:109], v108
	v_lshl_add_u64 v[110:111], v[160:161], 3, v[104:105]
	flat_store_dwordx2 v[110:111], v[108:109]
	s_or_b64 exec, exec, s[20:21]
	s_and_b64 s[24:25], s[4:5], s[10:11]
	s_and_saveexec_b64 s[20:21], s[24:25]
	s_cbranch_execz .LBB114_183
.LBB114_189:
	s_and_b64 vcc, exec, s[0:1]
	s_cbranch_vccnz .LBB114_191
; %bb.190:
	v_lshl_add_u64 v[108:109], v[162:163], 3, v[106:107]
	flat_load_dwordx2 v[108:109], v[108:109]
	s_waitcnt vmcnt(0) lgkmcnt(0)
	v_mul_f64 v[108:109], s[16:17], v[108:109]
	v_cvt_f32_f64_e32 v108, v[108:109]
	s_branch .LBB114_192
.LBB114_191:
	v_mov_b32_e32 v108, 0
.LBB114_192:
	v_add_f64 v[110:111], v[26:27], v[102:103]
	v_add_f64 v[112:113], v[24:25], v[100:101]
	v_cvt_f32_f64_e32 v109, v[112:113]
	v_cvt_f32_f64_e32 v110, v[110:111]
	v_min3_f32 v109, v109, v110, v218
	v_add_f64 v[110:111], v[30:31], v[98:99]
	v_add_f64 v[112:113], v[28:29], v[96:97]
	v_cvt_f32_f64_e32 v112, v[112:113]
	v_cvt_f32_f64_e32 v110, v[110:111]
	v_min_f32_e32 v110, v112, v110
	v_min3_f32 v108, v108, v110, v109
	v_cvt_f64_f32_e32 v[108:109], v108
	v_lshl_add_u64 v[110:111], v[162:163], 3, v[104:105]
	flat_store_dwordx2 v[110:111], v[108:109]
	s_or_b64 exec, exec, s[20:21]
	s_and_b64 s[24:25], s[6:7], s[10:11]
	s_and_saveexec_b64 s[20:21], s[24:25]
	s_cbranch_execz .LBB114_184
.LBB114_193:
	s_and_b64 vcc, exec, s[0:1]
	s_cbranch_vccnz .LBB114_195
; %bb.194:
	v_lshl_add_u64 v[108:109], v[164:165], 3, v[106:107]
	flat_load_dwordx2 v[108:109], v[108:109]
	s_waitcnt vmcnt(0) lgkmcnt(0)
	v_mul_f64 v[108:109], s[16:17], v[108:109]
	v_cvt_f32_f64_e32 v108, v[108:109]
	s_branch .LBB114_196
.LBB114_195:
	v_mov_b32_e32 v108, 0
.LBB114_196:
	v_add_f64 v[110:111], v[22:23], v[102:103]
	v_add_f64 v[112:113], v[20:21], v[100:101]
	v_cvt_f32_f64_e32 v109, v[112:113]
	v_cvt_f32_f64_e32 v110, v[110:111]
	v_min3_f32 v109, v109, v110, v217
	v_add_f64 v[110:111], v[14:15], v[98:99]
	v_add_f64 v[112:113], v[12:13], v[96:97]
	v_cvt_f32_f64_e32 v112, v[112:113]
	v_cvt_f32_f64_e32 v110, v[110:111]
	v_min_f32_e32 v110, v112, v110
	v_min3_f32 v108, v108, v110, v109
	v_cvt_f64_f32_e32 v[108:109], v108
	v_lshl_add_u64 v[110:111], v[164:165], 3, v[104:105]
	flat_store_dwordx2 v[110:111], v[108:109]
	s_or_b64 exec, exec, s[20:21]
	s_and_b64 s[20:21], s[8:9], s[10:11]
	s_and_saveexec_b64 s[10:11], s[20:21]
	s_cbranch_execz .LBB114_201
.LBB114_197:
	s_and_b64 vcc, exec, s[0:1]
	s_cbranch_vccnz .LBB114_199
; %bb.198:
	v_lshl_add_u64 v[106:107], v[166:167], 3, v[106:107]
	flat_load_dwordx2 v[106:107], v[106:107]
	s_waitcnt vmcnt(0) lgkmcnt(0)
	v_mul_f64 v[106:107], s[16:17], v[106:107]
	v_cvt_f32_f64_e32 v106, v[106:107]
	s_branch .LBB114_200
.LBB114_199:
	v_mov_b32_e32 v106, 0
.LBB114_200:
	v_add_f64 v[102:103], v[6:7], v[102:103]
	v_add_f64 v[100:101], v[4:5], v[100:101]
	;; [unrolled: 1-line block ×4, first 2 shown]
	v_cvt_f32_f64_e32 v100, v[100:101]
	v_cvt_f32_f64_e32 v101, v[102:103]
	;; [unrolled: 1-line block ×4, first 2 shown]
	v_min3_f32 v100, v100, v101, v216
	v_min_f32_e32 v96, v96, v97
	v_min3_f32 v96, v106, v96, v100
	v_cvt_f64_f32_e32 v[96:97], v96
	v_lshl_add_u64 v[98:99], v[166:167], 3, v[104:105]
	flat_store_dwordx2 v[98:99], v[96:97]
.LBB114_201:
	s_or_b64 exec, exec, s[10:11]
	v_add_u32_e32 v100, 64, v172
	v_mad_i64_i32 v[96:97], s[20:21], v100, s23, 0
	v_cmp_gt_i32_e64 s[10:11], s13, v100
	v_lshl_add_u64 v[98:99], v[96:97], 3, s[18:19]
	v_mad_i64_i32 v[96:97], s[20:21], v100, s22, 0
	v_lshl_add_u64 v[96:97], v[96:97], 3, s[14:15]
	s_and_b64 s[24:25], s[2:3], s[10:11]
	s_and_saveexec_b64 s[20:21], s[24:25]
	s_cbranch_execnz .LBB114_205
; %bb.202:
	s_or_b64 exec, exec, s[20:21]
	s_and_b64 s[24:25], s[4:5], s[10:11]
	s_and_saveexec_b64 s[20:21], s[24:25]
	s_cbranch_execnz .LBB114_209
.LBB114_203:
	s_or_b64 exec, exec, s[20:21]
	s_and_b64 s[24:25], s[6:7], s[10:11]
	s_and_saveexec_b64 s[20:21], s[24:25]
	s_cbranch_execnz .LBB114_213
.LBB114_204:
	s_or_b64 exec, exec, s[20:21]
	s_and_b64 s[20:21], s[8:9], s[10:11]
	s_and_saveexec_b64 s[10:11], s[20:21]
	s_cbranch_execnz .LBB114_217
	s_branch .LBB114_221
.LBB114_205:
	s_and_b64 vcc, exec, s[0:1]
	s_cbranch_vccnz .LBB114_207
; %bb.206:
	v_lshl_add_u64 v[100:101], v[160:161], 3, v[98:99]
	flat_load_dwordx2 v[100:101], v[100:101]
	s_waitcnt vmcnt(0) lgkmcnt(0)
	v_mul_f64 v[100:101], s[16:17], v[100:101]
	v_cvt_f32_f64_e32 v100, v[100:101]
	s_branch .LBB114_208
.LBB114_207:
	v_mov_b32_e32 v100, 0
.LBB114_208:
	v_add_f64 v[102:103], v[38:39], v[94:95]
	v_add_f64 v[104:105], v[36:37], v[92:93]
	v_cvt_f32_f64_e32 v101, v[104:105]
	v_cvt_f32_f64_e32 v102, v[102:103]
	v_min3_f32 v101, v101, v102, v215
	v_add_f64 v[102:103], v[34:35], v[90:91]
	v_add_f64 v[104:105], v[32:33], v[88:89]
	v_cvt_f32_f64_e32 v104, v[104:105]
	v_cvt_f32_f64_e32 v102, v[102:103]
	v_min_f32_e32 v102, v104, v102
	v_min3_f32 v100, v100, v102, v101
	v_cvt_f64_f32_e32 v[100:101], v100
	v_lshl_add_u64 v[102:103], v[160:161], 3, v[96:97]
	flat_store_dwordx2 v[102:103], v[100:101]
	s_or_b64 exec, exec, s[20:21]
	s_and_b64 s[24:25], s[4:5], s[10:11]
	s_and_saveexec_b64 s[20:21], s[24:25]
	s_cbranch_execz .LBB114_203
.LBB114_209:
	s_and_b64 vcc, exec, s[0:1]
	s_cbranch_vccnz .LBB114_211
; %bb.210:
	v_lshl_add_u64 v[100:101], v[162:163], 3, v[98:99]
	flat_load_dwordx2 v[100:101], v[100:101]
	s_waitcnt vmcnt(0) lgkmcnt(0)
	v_mul_f64 v[100:101], s[16:17], v[100:101]
	v_cvt_f32_f64_e32 v100, v[100:101]
	s_branch .LBB114_212
.LBB114_211:
	v_mov_b32_e32 v100, 0
.LBB114_212:
	v_add_f64 v[102:103], v[26:27], v[94:95]
	v_add_f64 v[104:105], v[24:25], v[92:93]
	v_cvt_f32_f64_e32 v101, v[104:105]
	v_cvt_f32_f64_e32 v102, v[102:103]
	v_min3_f32 v101, v101, v102, v214
	v_add_f64 v[102:103], v[30:31], v[90:91]
	v_add_f64 v[104:105], v[28:29], v[88:89]
	v_cvt_f32_f64_e32 v104, v[104:105]
	v_cvt_f32_f64_e32 v102, v[102:103]
	v_min_f32_e32 v102, v104, v102
	v_min3_f32 v100, v100, v102, v101
	v_cvt_f64_f32_e32 v[100:101], v100
	v_lshl_add_u64 v[102:103], v[162:163], 3, v[96:97]
	flat_store_dwordx2 v[102:103], v[100:101]
	s_or_b64 exec, exec, s[20:21]
	s_and_b64 s[24:25], s[6:7], s[10:11]
	s_and_saveexec_b64 s[20:21], s[24:25]
	s_cbranch_execz .LBB114_204
.LBB114_213:
	s_and_b64 vcc, exec, s[0:1]
	s_cbranch_vccnz .LBB114_215
; %bb.214:
	v_lshl_add_u64 v[100:101], v[164:165], 3, v[98:99]
	flat_load_dwordx2 v[100:101], v[100:101]
	s_waitcnt vmcnt(0) lgkmcnt(0)
	v_mul_f64 v[100:101], s[16:17], v[100:101]
	v_cvt_f32_f64_e32 v100, v[100:101]
	s_branch .LBB114_216
.LBB114_215:
	v_mov_b32_e32 v100, 0
.LBB114_216:
	v_add_f64 v[102:103], v[22:23], v[94:95]
	v_add_f64 v[104:105], v[20:21], v[92:93]
	v_cvt_f32_f64_e32 v101, v[104:105]
	v_cvt_f32_f64_e32 v102, v[102:103]
	v_min3_f32 v101, v101, v102, v213
	v_add_f64 v[102:103], v[14:15], v[90:91]
	v_add_f64 v[104:105], v[12:13], v[88:89]
	v_cvt_f32_f64_e32 v104, v[104:105]
	v_cvt_f32_f64_e32 v102, v[102:103]
	v_min_f32_e32 v102, v104, v102
	v_min3_f32 v100, v100, v102, v101
	v_cvt_f64_f32_e32 v[100:101], v100
	v_lshl_add_u64 v[102:103], v[164:165], 3, v[96:97]
	flat_store_dwordx2 v[102:103], v[100:101]
	s_or_b64 exec, exec, s[20:21]
	s_and_b64 s[20:21], s[8:9], s[10:11]
	s_and_saveexec_b64 s[10:11], s[20:21]
	s_cbranch_execz .LBB114_221
.LBB114_217:
	s_and_b64 vcc, exec, s[0:1]
	s_cbranch_vccnz .LBB114_219
; %bb.218:
	v_lshl_add_u64 v[98:99], v[166:167], 3, v[98:99]
	flat_load_dwordx2 v[98:99], v[98:99]
	s_waitcnt vmcnt(0) lgkmcnt(0)
	v_mul_f64 v[98:99], s[16:17], v[98:99]
	v_cvt_f32_f64_e32 v98, v[98:99]
	s_branch .LBB114_220
.LBB114_219:
	v_mov_b32_e32 v98, 0
.LBB114_220:
	v_add_f64 v[94:95], v[6:7], v[94:95]
	v_add_f64 v[92:93], v[4:5], v[92:93]
	;; [unrolled: 1-line block ×4, first 2 shown]
	v_cvt_f32_f64_e32 v92, v[92:93]
	v_cvt_f32_f64_e32 v93, v[94:95]
	;; [unrolled: 1-line block ×4, first 2 shown]
	v_min3_f32 v92, v92, v93, v212
	v_min_f32_e32 v88, v88, v89
	v_min3_f32 v88, v98, v88, v92
	v_cvt_f64_f32_e32 v[88:89], v88
	v_lshl_add_u64 v[90:91], v[166:167], 3, v[96:97]
	flat_store_dwordx2 v[90:91], v[88:89]
.LBB114_221:
	s_or_b64 exec, exec, s[10:11]
	v_add_u32_e32 v92, 0x48, v172
	v_mad_i64_i32 v[88:89], s[20:21], v92, s23, 0
	v_cmp_gt_i32_e64 s[10:11], s13, v92
	v_lshl_add_u64 v[90:91], v[88:89], 3, s[18:19]
	v_mad_i64_i32 v[88:89], s[20:21], v92, s22, 0
	v_lshl_add_u64 v[88:89], v[88:89], 3, s[14:15]
	s_and_b64 s[24:25], s[2:3], s[10:11]
	s_and_saveexec_b64 s[20:21], s[24:25]
	s_cbranch_execnz .LBB114_225
; %bb.222:
	s_or_b64 exec, exec, s[20:21]
	s_and_b64 s[24:25], s[4:5], s[10:11]
	s_and_saveexec_b64 s[20:21], s[24:25]
	s_cbranch_execnz .LBB114_229
.LBB114_223:
	s_or_b64 exec, exec, s[20:21]
	s_and_b64 s[24:25], s[6:7], s[10:11]
	s_and_saveexec_b64 s[20:21], s[24:25]
	s_cbranch_execnz .LBB114_233
.LBB114_224:
	s_or_b64 exec, exec, s[20:21]
	s_and_b64 s[20:21], s[8:9], s[10:11]
	s_and_saveexec_b64 s[10:11], s[20:21]
	s_cbranch_execnz .LBB114_237
	s_branch .LBB114_241
.LBB114_225:
	s_and_b64 vcc, exec, s[0:1]
	s_cbranch_vccnz .LBB114_227
; %bb.226:
	v_lshl_add_u64 v[92:93], v[160:161], 3, v[90:91]
	flat_load_dwordx2 v[92:93], v[92:93]
	s_waitcnt vmcnt(0) lgkmcnt(0)
	v_mul_f64 v[92:93], s[16:17], v[92:93]
	v_cvt_f32_f64_e32 v92, v[92:93]
	s_branch .LBB114_228
.LBB114_227:
	v_mov_b32_e32 v92, 0
.LBB114_228:
	v_add_f64 v[94:95], v[38:39], v[86:87]
	v_add_f64 v[96:97], v[36:37], v[84:85]
	v_cvt_f32_f64_e32 v93, v[96:97]
	v_cvt_f32_f64_e32 v94, v[94:95]
	v_min3_f32 v93, v93, v94, v211
	v_add_f64 v[94:95], v[34:35], v[82:83]
	v_add_f64 v[96:97], v[32:33], v[80:81]
	v_cvt_f32_f64_e32 v96, v[96:97]
	v_cvt_f32_f64_e32 v94, v[94:95]
	v_min_f32_e32 v94, v96, v94
	v_min3_f32 v92, v92, v94, v93
	v_cvt_f64_f32_e32 v[92:93], v92
	v_lshl_add_u64 v[94:95], v[160:161], 3, v[88:89]
	flat_store_dwordx2 v[94:95], v[92:93]
	s_or_b64 exec, exec, s[20:21]
	s_and_b64 s[24:25], s[4:5], s[10:11]
	s_and_saveexec_b64 s[20:21], s[24:25]
	s_cbranch_execz .LBB114_223
.LBB114_229:
	s_and_b64 vcc, exec, s[0:1]
	s_cbranch_vccnz .LBB114_231
; %bb.230:
	v_lshl_add_u64 v[92:93], v[162:163], 3, v[90:91]
	flat_load_dwordx2 v[92:93], v[92:93]
	s_waitcnt vmcnt(0) lgkmcnt(0)
	v_mul_f64 v[92:93], s[16:17], v[92:93]
	v_cvt_f32_f64_e32 v92, v[92:93]
	s_branch .LBB114_232
.LBB114_231:
	v_mov_b32_e32 v92, 0
.LBB114_232:
	v_add_f64 v[94:95], v[26:27], v[86:87]
	v_add_f64 v[96:97], v[24:25], v[84:85]
	v_cvt_f32_f64_e32 v93, v[96:97]
	v_cvt_f32_f64_e32 v94, v[94:95]
	v_min3_f32 v93, v93, v94, v210
	v_add_f64 v[94:95], v[30:31], v[82:83]
	v_add_f64 v[96:97], v[28:29], v[80:81]
	v_cvt_f32_f64_e32 v96, v[96:97]
	v_cvt_f32_f64_e32 v94, v[94:95]
	v_min_f32_e32 v94, v96, v94
	v_min3_f32 v92, v92, v94, v93
	v_cvt_f64_f32_e32 v[92:93], v92
	v_lshl_add_u64 v[94:95], v[162:163], 3, v[88:89]
	flat_store_dwordx2 v[94:95], v[92:93]
	s_or_b64 exec, exec, s[20:21]
	s_and_b64 s[24:25], s[6:7], s[10:11]
	s_and_saveexec_b64 s[20:21], s[24:25]
	s_cbranch_execz .LBB114_224
.LBB114_233:
	s_and_b64 vcc, exec, s[0:1]
	s_cbranch_vccnz .LBB114_235
; %bb.234:
	v_lshl_add_u64 v[92:93], v[164:165], 3, v[90:91]
	flat_load_dwordx2 v[92:93], v[92:93]
	s_waitcnt vmcnt(0) lgkmcnt(0)
	v_mul_f64 v[92:93], s[16:17], v[92:93]
	v_cvt_f32_f64_e32 v92, v[92:93]
	s_branch .LBB114_236
.LBB114_235:
	v_mov_b32_e32 v92, 0
.LBB114_236:
	v_add_f64 v[94:95], v[22:23], v[86:87]
	v_add_f64 v[96:97], v[20:21], v[84:85]
	v_cvt_f32_f64_e32 v93, v[96:97]
	v_cvt_f32_f64_e32 v94, v[94:95]
	v_min3_f32 v93, v93, v94, v209
	v_add_f64 v[94:95], v[14:15], v[82:83]
	v_add_f64 v[96:97], v[12:13], v[80:81]
	v_cvt_f32_f64_e32 v96, v[96:97]
	v_cvt_f32_f64_e32 v94, v[94:95]
	v_min_f32_e32 v94, v96, v94
	v_min3_f32 v92, v92, v94, v93
	v_cvt_f64_f32_e32 v[92:93], v92
	v_lshl_add_u64 v[94:95], v[164:165], 3, v[88:89]
	flat_store_dwordx2 v[94:95], v[92:93]
	s_or_b64 exec, exec, s[20:21]
	s_and_b64 s[20:21], s[8:9], s[10:11]
	s_and_saveexec_b64 s[10:11], s[20:21]
	s_cbranch_execz .LBB114_241
.LBB114_237:
	s_and_b64 vcc, exec, s[0:1]
	s_cbranch_vccnz .LBB114_239
; %bb.238:
	v_lshl_add_u64 v[90:91], v[166:167], 3, v[90:91]
	flat_load_dwordx2 v[90:91], v[90:91]
	s_waitcnt vmcnt(0) lgkmcnt(0)
	v_mul_f64 v[90:91], s[16:17], v[90:91]
	v_cvt_f32_f64_e32 v90, v[90:91]
	s_branch .LBB114_240
.LBB114_239:
	v_mov_b32_e32 v90, 0
.LBB114_240:
	v_add_f64 v[86:87], v[6:7], v[86:87]
	v_add_f64 v[84:85], v[4:5], v[84:85]
	;; [unrolled: 1-line block ×4, first 2 shown]
	v_cvt_f32_f64_e32 v84, v[84:85]
	v_cvt_f32_f64_e32 v85, v[86:87]
	;; [unrolled: 1-line block ×4, first 2 shown]
	v_min3_f32 v84, v84, v85, v208
	v_min_f32_e32 v80, v80, v81
	v_min3_f32 v80, v90, v80, v84
	v_cvt_f64_f32_e32 v[80:81], v80
	v_lshl_add_u64 v[82:83], v[166:167], 3, v[88:89]
	flat_store_dwordx2 v[82:83], v[80:81]
.LBB114_241:
	s_or_b64 exec, exec, s[10:11]
	v_add_u32_e32 v84, 0x50, v172
	v_mad_i64_i32 v[80:81], s[20:21], v84, s23, 0
	v_cmp_gt_i32_e64 s[10:11], s13, v84
	v_lshl_add_u64 v[82:83], v[80:81], 3, s[18:19]
	v_mad_i64_i32 v[80:81], s[20:21], v84, s22, 0
	v_lshl_add_u64 v[80:81], v[80:81], 3, s[14:15]
	s_and_b64 s[24:25], s[2:3], s[10:11]
	s_and_saveexec_b64 s[20:21], s[24:25]
	s_cbranch_execnz .LBB114_245
; %bb.242:
	s_or_b64 exec, exec, s[20:21]
	s_and_b64 s[24:25], s[4:5], s[10:11]
	s_and_saveexec_b64 s[20:21], s[24:25]
	s_cbranch_execnz .LBB114_249
.LBB114_243:
	s_or_b64 exec, exec, s[20:21]
	s_and_b64 s[24:25], s[6:7], s[10:11]
	s_and_saveexec_b64 s[20:21], s[24:25]
	s_cbranch_execnz .LBB114_253
.LBB114_244:
	s_or_b64 exec, exec, s[20:21]
	s_and_b64 s[20:21], s[8:9], s[10:11]
	s_and_saveexec_b64 s[10:11], s[20:21]
	s_cbranch_execnz .LBB114_257
	s_branch .LBB114_261
.LBB114_245:
	s_and_b64 vcc, exec, s[0:1]
	s_cbranch_vccnz .LBB114_247
; %bb.246:
	v_lshl_add_u64 v[84:85], v[160:161], 3, v[82:83]
	flat_load_dwordx2 v[84:85], v[84:85]
	s_waitcnt vmcnt(0) lgkmcnt(0)
	v_mul_f64 v[84:85], s[16:17], v[84:85]
	v_cvt_f32_f64_e32 v84, v[84:85]
	s_branch .LBB114_248
.LBB114_247:
	v_mov_b32_e32 v84, 0
.LBB114_248:
	v_add_f64 v[86:87], v[38:39], v[78:79]
	v_add_f64 v[88:89], v[36:37], v[76:77]
	v_cvt_f32_f64_e32 v85, v[88:89]
	v_cvt_f32_f64_e32 v86, v[86:87]
	v_min3_f32 v85, v85, v86, v207
	v_add_f64 v[86:87], v[34:35], v[74:75]
	v_add_f64 v[88:89], v[32:33], v[72:73]
	v_cvt_f32_f64_e32 v88, v[88:89]
	v_cvt_f32_f64_e32 v86, v[86:87]
	v_min_f32_e32 v86, v88, v86
	v_min3_f32 v84, v84, v86, v85
	v_cvt_f64_f32_e32 v[84:85], v84
	v_lshl_add_u64 v[86:87], v[160:161], 3, v[80:81]
	flat_store_dwordx2 v[86:87], v[84:85]
	s_or_b64 exec, exec, s[20:21]
	s_and_b64 s[24:25], s[4:5], s[10:11]
	s_and_saveexec_b64 s[20:21], s[24:25]
	s_cbranch_execz .LBB114_243
.LBB114_249:
	s_and_b64 vcc, exec, s[0:1]
	s_cbranch_vccnz .LBB114_251
; %bb.250:
	v_lshl_add_u64 v[84:85], v[162:163], 3, v[82:83]
	flat_load_dwordx2 v[84:85], v[84:85]
	s_waitcnt vmcnt(0) lgkmcnt(0)
	v_mul_f64 v[84:85], s[16:17], v[84:85]
	v_cvt_f32_f64_e32 v84, v[84:85]
	s_branch .LBB114_252
.LBB114_251:
	v_mov_b32_e32 v84, 0
.LBB114_252:
	v_add_f64 v[86:87], v[26:27], v[78:79]
	v_add_f64 v[88:89], v[24:25], v[76:77]
	v_cvt_f32_f64_e32 v85, v[88:89]
	v_cvt_f32_f64_e32 v86, v[86:87]
	v_min3_f32 v85, v85, v86, v206
	v_add_f64 v[86:87], v[30:31], v[74:75]
	v_add_f64 v[88:89], v[28:29], v[72:73]
	v_cvt_f32_f64_e32 v88, v[88:89]
	v_cvt_f32_f64_e32 v86, v[86:87]
	v_min_f32_e32 v86, v88, v86
	v_min3_f32 v84, v84, v86, v85
	v_cvt_f64_f32_e32 v[84:85], v84
	v_lshl_add_u64 v[86:87], v[162:163], 3, v[80:81]
	flat_store_dwordx2 v[86:87], v[84:85]
	s_or_b64 exec, exec, s[20:21]
	s_and_b64 s[24:25], s[6:7], s[10:11]
	s_and_saveexec_b64 s[20:21], s[24:25]
	s_cbranch_execz .LBB114_244
.LBB114_253:
	s_and_b64 vcc, exec, s[0:1]
	s_cbranch_vccnz .LBB114_255
; %bb.254:
	v_lshl_add_u64 v[84:85], v[164:165], 3, v[82:83]
	flat_load_dwordx2 v[84:85], v[84:85]
	s_waitcnt vmcnt(0) lgkmcnt(0)
	v_mul_f64 v[84:85], s[16:17], v[84:85]
	v_cvt_f32_f64_e32 v84, v[84:85]
	s_branch .LBB114_256
.LBB114_255:
	v_mov_b32_e32 v84, 0
.LBB114_256:
	v_add_f64 v[86:87], v[22:23], v[78:79]
	v_add_f64 v[88:89], v[20:21], v[76:77]
	v_cvt_f32_f64_e32 v85, v[88:89]
	v_cvt_f32_f64_e32 v86, v[86:87]
	v_min3_f32 v85, v85, v86, v205
	v_add_f64 v[86:87], v[14:15], v[74:75]
	v_add_f64 v[88:89], v[12:13], v[72:73]
	v_cvt_f32_f64_e32 v88, v[88:89]
	v_cvt_f32_f64_e32 v86, v[86:87]
	v_min_f32_e32 v86, v88, v86
	v_min3_f32 v84, v84, v86, v85
	v_cvt_f64_f32_e32 v[84:85], v84
	v_lshl_add_u64 v[86:87], v[164:165], 3, v[80:81]
	flat_store_dwordx2 v[86:87], v[84:85]
	s_or_b64 exec, exec, s[20:21]
	s_and_b64 s[20:21], s[8:9], s[10:11]
	s_and_saveexec_b64 s[10:11], s[20:21]
	s_cbranch_execz .LBB114_261
.LBB114_257:
	s_and_b64 vcc, exec, s[0:1]
	s_cbranch_vccnz .LBB114_259
; %bb.258:
	v_lshl_add_u64 v[82:83], v[166:167], 3, v[82:83]
	flat_load_dwordx2 v[82:83], v[82:83]
	s_waitcnt vmcnt(0) lgkmcnt(0)
	v_mul_f64 v[82:83], s[16:17], v[82:83]
	v_cvt_f32_f64_e32 v82, v[82:83]
	s_branch .LBB114_260
.LBB114_259:
	v_mov_b32_e32 v82, 0
.LBB114_260:
	v_add_f64 v[78:79], v[6:7], v[78:79]
	v_add_f64 v[76:77], v[4:5], v[76:77]
	;; [unrolled: 1-line block ×4, first 2 shown]
	v_cvt_f32_f64_e32 v76, v[76:77]
	v_cvt_f32_f64_e32 v77, v[78:79]
	;; [unrolled: 1-line block ×4, first 2 shown]
	v_min3_f32 v76, v76, v77, v204
	v_min_f32_e32 v72, v72, v73
	v_min3_f32 v72, v82, v72, v76
	v_cvt_f64_f32_e32 v[72:73], v72
	v_lshl_add_u64 v[74:75], v[166:167], 3, v[80:81]
	flat_store_dwordx2 v[74:75], v[72:73]
.LBB114_261:
	s_or_b64 exec, exec, s[10:11]
	v_add_u32_e32 v76, 0x58, v172
	v_mad_i64_i32 v[72:73], s[20:21], v76, s23, 0
	v_cmp_gt_i32_e64 s[10:11], s13, v76
	v_lshl_add_u64 v[74:75], v[72:73], 3, s[18:19]
	v_mad_i64_i32 v[72:73], s[20:21], v76, s22, 0
	v_lshl_add_u64 v[72:73], v[72:73], 3, s[14:15]
	s_and_b64 s[24:25], s[2:3], s[10:11]
	s_and_saveexec_b64 s[20:21], s[24:25]
	s_cbranch_execnz .LBB114_265
; %bb.262:
	s_or_b64 exec, exec, s[20:21]
	s_and_b64 s[24:25], s[4:5], s[10:11]
	s_and_saveexec_b64 s[20:21], s[24:25]
	s_cbranch_execnz .LBB114_269
.LBB114_263:
	s_or_b64 exec, exec, s[20:21]
	s_and_b64 s[24:25], s[6:7], s[10:11]
	s_and_saveexec_b64 s[20:21], s[24:25]
	s_cbranch_execnz .LBB114_273
.LBB114_264:
	s_or_b64 exec, exec, s[20:21]
	s_and_b64 s[20:21], s[8:9], s[10:11]
	s_and_saveexec_b64 s[10:11], s[20:21]
	s_cbranch_execnz .LBB114_277
	s_branch .LBB114_281
.LBB114_265:
	s_and_b64 vcc, exec, s[0:1]
	s_cbranch_vccnz .LBB114_267
; %bb.266:
	v_lshl_add_u64 v[76:77], v[160:161], 3, v[74:75]
	flat_load_dwordx2 v[76:77], v[76:77]
	s_waitcnt vmcnt(0) lgkmcnt(0)
	v_mul_f64 v[76:77], s[16:17], v[76:77]
	v_cvt_f32_f64_e32 v76, v[76:77]
	s_branch .LBB114_268
.LBB114_267:
	v_mov_b32_e32 v76, 0
.LBB114_268:
	v_add_f64 v[78:79], v[38:39], v[70:71]
	v_add_f64 v[80:81], v[36:37], v[68:69]
	v_cvt_f32_f64_e32 v77, v[80:81]
	v_cvt_f32_f64_e32 v78, v[78:79]
	v_min3_f32 v77, v77, v78, v203
	v_add_f64 v[78:79], v[34:35], v[66:67]
	v_add_f64 v[80:81], v[32:33], v[64:65]
	v_cvt_f32_f64_e32 v80, v[80:81]
	v_cvt_f32_f64_e32 v78, v[78:79]
	v_min_f32_e32 v78, v80, v78
	v_min3_f32 v76, v76, v78, v77
	v_cvt_f64_f32_e32 v[76:77], v76
	v_lshl_add_u64 v[78:79], v[160:161], 3, v[72:73]
	flat_store_dwordx2 v[78:79], v[76:77]
	s_or_b64 exec, exec, s[20:21]
	s_and_b64 s[24:25], s[4:5], s[10:11]
	s_and_saveexec_b64 s[20:21], s[24:25]
	s_cbranch_execz .LBB114_263
.LBB114_269:
	s_and_b64 vcc, exec, s[0:1]
	s_cbranch_vccnz .LBB114_271
; %bb.270:
	v_lshl_add_u64 v[76:77], v[162:163], 3, v[74:75]
	flat_load_dwordx2 v[76:77], v[76:77]
	s_waitcnt vmcnt(0) lgkmcnt(0)
	v_mul_f64 v[76:77], s[16:17], v[76:77]
	v_cvt_f32_f64_e32 v76, v[76:77]
	s_branch .LBB114_272
.LBB114_271:
	v_mov_b32_e32 v76, 0
.LBB114_272:
	v_add_f64 v[78:79], v[26:27], v[70:71]
	v_add_f64 v[80:81], v[24:25], v[68:69]
	v_cvt_f32_f64_e32 v77, v[80:81]
	v_cvt_f32_f64_e32 v78, v[78:79]
	v_min3_f32 v77, v77, v78, v202
	v_add_f64 v[78:79], v[30:31], v[66:67]
	v_add_f64 v[80:81], v[28:29], v[64:65]
	v_cvt_f32_f64_e32 v80, v[80:81]
	v_cvt_f32_f64_e32 v78, v[78:79]
	v_min_f32_e32 v78, v80, v78
	v_min3_f32 v76, v76, v78, v77
	v_cvt_f64_f32_e32 v[76:77], v76
	v_lshl_add_u64 v[78:79], v[162:163], 3, v[72:73]
	flat_store_dwordx2 v[78:79], v[76:77]
	s_or_b64 exec, exec, s[20:21]
	s_and_b64 s[24:25], s[6:7], s[10:11]
	s_and_saveexec_b64 s[20:21], s[24:25]
	s_cbranch_execz .LBB114_264
.LBB114_273:
	s_and_b64 vcc, exec, s[0:1]
	s_cbranch_vccnz .LBB114_275
; %bb.274:
	v_lshl_add_u64 v[76:77], v[164:165], 3, v[74:75]
	flat_load_dwordx2 v[76:77], v[76:77]
	s_waitcnt vmcnt(0) lgkmcnt(0)
	v_mul_f64 v[76:77], s[16:17], v[76:77]
	v_cvt_f32_f64_e32 v76, v[76:77]
	s_branch .LBB114_276
.LBB114_275:
	v_mov_b32_e32 v76, 0
.LBB114_276:
	v_add_f64 v[78:79], v[22:23], v[70:71]
	v_add_f64 v[80:81], v[20:21], v[68:69]
	v_cvt_f32_f64_e32 v77, v[80:81]
	v_cvt_f32_f64_e32 v78, v[78:79]
	v_min3_f32 v77, v77, v78, v201
	v_add_f64 v[78:79], v[14:15], v[66:67]
	v_add_f64 v[80:81], v[12:13], v[64:65]
	v_cvt_f32_f64_e32 v80, v[80:81]
	v_cvt_f32_f64_e32 v78, v[78:79]
	v_min_f32_e32 v78, v80, v78
	v_min3_f32 v76, v76, v78, v77
	v_cvt_f64_f32_e32 v[76:77], v76
	v_lshl_add_u64 v[78:79], v[164:165], 3, v[72:73]
	flat_store_dwordx2 v[78:79], v[76:77]
	s_or_b64 exec, exec, s[20:21]
	s_and_b64 s[20:21], s[8:9], s[10:11]
	s_and_saveexec_b64 s[10:11], s[20:21]
	s_cbranch_execz .LBB114_281
.LBB114_277:
	s_and_b64 vcc, exec, s[0:1]
	s_cbranch_vccnz .LBB114_279
; %bb.278:
	v_lshl_add_u64 v[74:75], v[166:167], 3, v[74:75]
	flat_load_dwordx2 v[74:75], v[74:75]
	s_waitcnt vmcnt(0) lgkmcnt(0)
	v_mul_f64 v[74:75], s[16:17], v[74:75]
	v_cvt_f32_f64_e32 v74, v[74:75]
	s_branch .LBB114_280
.LBB114_279:
	v_mov_b32_e32 v74, 0
.LBB114_280:
	v_add_f64 v[70:71], v[6:7], v[70:71]
	v_add_f64 v[68:69], v[4:5], v[68:69]
	;; [unrolled: 1-line block ×4, first 2 shown]
	v_cvt_f32_f64_e32 v68, v[68:69]
	v_cvt_f32_f64_e32 v69, v[70:71]
	;; [unrolled: 1-line block ×4, first 2 shown]
	v_min3_f32 v68, v68, v69, v200
	v_min_f32_e32 v64, v64, v65
	v_min3_f32 v64, v74, v64, v68
	v_cvt_f64_f32_e32 v[64:65], v64
	v_lshl_add_u64 v[66:67], v[166:167], 3, v[72:73]
	flat_store_dwordx2 v[66:67], v[64:65]
.LBB114_281:
	s_or_b64 exec, exec, s[10:11]
	v_add_u32_e32 v68, 0x60, v172
	v_mad_i64_i32 v[64:65], s[20:21], v68, s23, 0
	v_cmp_gt_i32_e64 s[10:11], s13, v68
	v_lshl_add_u64 v[66:67], v[64:65], 3, s[18:19]
	v_mad_i64_i32 v[64:65], s[20:21], v68, s22, 0
	v_lshl_add_u64 v[64:65], v[64:65], 3, s[14:15]
	s_and_b64 s[24:25], s[2:3], s[10:11]
	s_and_saveexec_b64 s[20:21], s[24:25]
	s_cbranch_execnz .LBB114_285
; %bb.282:
	s_or_b64 exec, exec, s[20:21]
	s_and_b64 s[24:25], s[4:5], s[10:11]
	s_and_saveexec_b64 s[20:21], s[24:25]
	s_cbranch_execnz .LBB114_289
.LBB114_283:
	s_or_b64 exec, exec, s[20:21]
	s_and_b64 s[24:25], s[6:7], s[10:11]
	s_and_saveexec_b64 s[20:21], s[24:25]
	s_cbranch_execnz .LBB114_293
.LBB114_284:
	s_or_b64 exec, exec, s[20:21]
	s_and_b64 s[20:21], s[8:9], s[10:11]
	s_and_saveexec_b64 s[10:11], s[20:21]
	s_cbranch_execnz .LBB114_297
	s_branch .LBB114_301
.LBB114_285:
	s_and_b64 vcc, exec, s[0:1]
	s_cbranch_vccnz .LBB114_287
; %bb.286:
	v_lshl_add_u64 v[68:69], v[160:161], 3, v[66:67]
	flat_load_dwordx2 v[68:69], v[68:69]
	s_waitcnt vmcnt(0) lgkmcnt(0)
	v_mul_f64 v[68:69], s[16:17], v[68:69]
	v_cvt_f32_f64_e32 v68, v[68:69]
	s_branch .LBB114_288
.LBB114_287:
	v_mov_b32_e32 v68, 0
.LBB114_288:
	v_add_f64 v[70:71], v[38:39], v[62:63]
	v_add_f64 v[72:73], v[36:37], v[60:61]
	v_cvt_f32_f64_e32 v69, v[72:73]
	v_cvt_f32_f64_e32 v70, v[70:71]
	v_min3_f32 v69, v69, v70, v199
	v_add_f64 v[70:71], v[34:35], v[58:59]
	v_add_f64 v[72:73], v[32:33], v[56:57]
	v_cvt_f32_f64_e32 v72, v[72:73]
	v_cvt_f32_f64_e32 v70, v[70:71]
	v_min_f32_e32 v70, v72, v70
	v_min3_f32 v68, v68, v70, v69
	v_cvt_f64_f32_e32 v[68:69], v68
	v_lshl_add_u64 v[70:71], v[160:161], 3, v[64:65]
	flat_store_dwordx2 v[70:71], v[68:69]
	s_or_b64 exec, exec, s[20:21]
	s_and_b64 s[24:25], s[4:5], s[10:11]
	s_and_saveexec_b64 s[20:21], s[24:25]
	s_cbranch_execz .LBB114_283
.LBB114_289:
	s_and_b64 vcc, exec, s[0:1]
	s_cbranch_vccnz .LBB114_291
; %bb.290:
	v_lshl_add_u64 v[68:69], v[162:163], 3, v[66:67]
	flat_load_dwordx2 v[68:69], v[68:69]
	s_waitcnt vmcnt(0) lgkmcnt(0)
	v_mul_f64 v[68:69], s[16:17], v[68:69]
	v_cvt_f32_f64_e32 v68, v[68:69]
	s_branch .LBB114_292
.LBB114_291:
	v_mov_b32_e32 v68, 0
.LBB114_292:
	v_add_f64 v[70:71], v[26:27], v[62:63]
	v_add_f64 v[72:73], v[24:25], v[60:61]
	v_cvt_f32_f64_e32 v69, v[72:73]
	v_cvt_f32_f64_e32 v70, v[70:71]
	v_min3_f32 v69, v69, v70, v198
	v_add_f64 v[70:71], v[30:31], v[58:59]
	v_add_f64 v[72:73], v[28:29], v[56:57]
	v_cvt_f32_f64_e32 v72, v[72:73]
	v_cvt_f32_f64_e32 v70, v[70:71]
	v_min_f32_e32 v70, v72, v70
	v_min3_f32 v68, v68, v70, v69
	v_cvt_f64_f32_e32 v[68:69], v68
	v_lshl_add_u64 v[70:71], v[162:163], 3, v[64:65]
	flat_store_dwordx2 v[70:71], v[68:69]
	s_or_b64 exec, exec, s[20:21]
	s_and_b64 s[24:25], s[6:7], s[10:11]
	s_and_saveexec_b64 s[20:21], s[24:25]
	s_cbranch_execz .LBB114_284
.LBB114_293:
	s_and_b64 vcc, exec, s[0:1]
	s_cbranch_vccnz .LBB114_295
; %bb.294:
	v_lshl_add_u64 v[68:69], v[164:165], 3, v[66:67]
	flat_load_dwordx2 v[68:69], v[68:69]
	s_waitcnt vmcnt(0) lgkmcnt(0)
	v_mul_f64 v[68:69], s[16:17], v[68:69]
	v_cvt_f32_f64_e32 v68, v[68:69]
	s_branch .LBB114_296
.LBB114_295:
	v_mov_b32_e32 v68, 0
.LBB114_296:
	v_add_f64 v[70:71], v[22:23], v[62:63]
	v_add_f64 v[72:73], v[20:21], v[60:61]
	v_cvt_f32_f64_e32 v69, v[72:73]
	v_cvt_f32_f64_e32 v70, v[70:71]
	v_min3_f32 v69, v69, v70, v196
	v_add_f64 v[70:71], v[14:15], v[58:59]
	v_add_f64 v[72:73], v[12:13], v[56:57]
	v_cvt_f32_f64_e32 v72, v[72:73]
	v_cvt_f32_f64_e32 v70, v[70:71]
	v_min_f32_e32 v70, v72, v70
	v_min3_f32 v68, v68, v70, v69
	v_cvt_f64_f32_e32 v[68:69], v68
	v_lshl_add_u64 v[70:71], v[164:165], 3, v[64:65]
	flat_store_dwordx2 v[70:71], v[68:69]
	s_or_b64 exec, exec, s[20:21]
	s_and_b64 s[20:21], s[8:9], s[10:11]
	s_and_saveexec_b64 s[10:11], s[20:21]
	s_cbranch_execz .LBB114_301
.LBB114_297:
	s_and_b64 vcc, exec, s[0:1]
	s_cbranch_vccnz .LBB114_299
; %bb.298:
	v_lshl_add_u64 v[66:67], v[166:167], 3, v[66:67]
	flat_load_dwordx2 v[66:67], v[66:67]
	s_waitcnt vmcnt(0) lgkmcnt(0)
	v_mul_f64 v[66:67], s[16:17], v[66:67]
	v_cvt_f32_f64_e32 v66, v[66:67]
	s_branch .LBB114_300
.LBB114_299:
	v_mov_b32_e32 v66, 0
.LBB114_300:
	v_add_f64 v[62:63], v[6:7], v[62:63]
	v_add_f64 v[60:61], v[4:5], v[60:61]
	;; [unrolled: 1-line block ×4, first 2 shown]
	v_cvt_f32_f64_e32 v60, v[60:61]
	v_cvt_f32_f64_e32 v61, v[62:63]
	;; [unrolled: 1-line block ×4, first 2 shown]
	v_min3_f32 v60, v60, v61, v195
	v_min_f32_e32 v56, v56, v57
	v_min3_f32 v56, v66, v56, v60
	v_cvt_f64_f32_e32 v[56:57], v56
	v_lshl_add_u64 v[58:59], v[166:167], 3, v[64:65]
	flat_store_dwordx2 v[58:59], v[56:57]
.LBB114_301:
	s_or_b64 exec, exec, s[10:11]
	v_add_u32_e32 v60, 0x68, v172
	v_mad_i64_i32 v[56:57], s[20:21], v60, s23, 0
	v_cmp_gt_i32_e64 s[10:11], s13, v60
	v_lshl_add_u64 v[58:59], v[56:57], 3, s[18:19]
	v_mad_i64_i32 v[56:57], s[20:21], v60, s22, 0
	v_lshl_add_u64 v[56:57], v[56:57], 3, s[14:15]
	s_and_b64 s[24:25], s[2:3], s[10:11]
	s_and_saveexec_b64 s[20:21], s[24:25]
	s_cbranch_execnz .LBB114_305
; %bb.302:
	s_or_b64 exec, exec, s[20:21]
	s_and_b64 s[24:25], s[4:5], s[10:11]
	s_and_saveexec_b64 s[20:21], s[24:25]
	s_cbranch_execnz .LBB114_309
.LBB114_303:
	s_or_b64 exec, exec, s[20:21]
	s_and_b64 s[24:25], s[6:7], s[10:11]
	s_and_saveexec_b64 s[20:21], s[24:25]
	s_cbranch_execnz .LBB114_313
.LBB114_304:
	s_or_b64 exec, exec, s[20:21]
	s_and_b64 s[20:21], s[8:9], s[10:11]
	s_and_saveexec_b64 s[10:11], s[20:21]
	s_cbranch_execnz .LBB114_317
	s_branch .LBB114_321
.LBB114_305:
	s_and_b64 vcc, exec, s[0:1]
	s_cbranch_vccnz .LBB114_307
; %bb.306:
	v_lshl_add_u64 v[60:61], v[160:161], 3, v[58:59]
	flat_load_dwordx2 v[60:61], v[60:61]
	s_waitcnt vmcnt(0) lgkmcnt(0)
	v_mul_f64 v[60:61], s[16:17], v[60:61]
	v_cvt_f32_f64_e32 v60, v[60:61]
	s_branch .LBB114_308
.LBB114_307:
	v_mov_b32_e32 v60, 0
.LBB114_308:
	v_add_f64 v[62:63], v[38:39], v[54:55]
	v_add_f64 v[64:65], v[36:37], v[52:53]
	v_cvt_f32_f64_e32 v61, v[64:65]
	v_cvt_f32_f64_e32 v62, v[62:63]
	v_min3_f32 v61, v61, v62, v194
	v_add_f64 v[62:63], v[34:35], v[50:51]
	v_add_f64 v[64:65], v[32:33], v[48:49]
	v_cvt_f32_f64_e32 v64, v[64:65]
	v_cvt_f32_f64_e32 v62, v[62:63]
	v_min_f32_e32 v62, v64, v62
	v_min3_f32 v60, v60, v62, v61
	v_cvt_f64_f32_e32 v[60:61], v60
	v_lshl_add_u64 v[62:63], v[160:161], 3, v[56:57]
	flat_store_dwordx2 v[62:63], v[60:61]
	s_or_b64 exec, exec, s[20:21]
	s_and_b64 s[24:25], s[4:5], s[10:11]
	s_and_saveexec_b64 s[20:21], s[24:25]
	s_cbranch_execz .LBB114_303
.LBB114_309:
	s_and_b64 vcc, exec, s[0:1]
	s_cbranch_vccnz .LBB114_311
; %bb.310:
	v_lshl_add_u64 v[60:61], v[162:163], 3, v[58:59]
	flat_load_dwordx2 v[60:61], v[60:61]
	s_waitcnt vmcnt(0) lgkmcnt(0)
	v_mul_f64 v[60:61], s[16:17], v[60:61]
	v_cvt_f32_f64_e32 v60, v[60:61]
	s_branch .LBB114_312
.LBB114_311:
	v_mov_b32_e32 v60, 0
.LBB114_312:
	v_add_f64 v[62:63], v[26:27], v[54:55]
	v_add_f64 v[64:65], v[24:25], v[52:53]
	v_cvt_f32_f64_e32 v61, v[64:65]
	v_cvt_f32_f64_e32 v62, v[62:63]
	v_min3_f32 v61, v61, v62, v193
	v_add_f64 v[62:63], v[30:31], v[50:51]
	v_add_f64 v[64:65], v[28:29], v[48:49]
	v_cvt_f32_f64_e32 v64, v[64:65]
	v_cvt_f32_f64_e32 v62, v[62:63]
	v_min_f32_e32 v62, v64, v62
	v_min3_f32 v60, v60, v62, v61
	v_cvt_f64_f32_e32 v[60:61], v60
	v_lshl_add_u64 v[62:63], v[162:163], 3, v[56:57]
	flat_store_dwordx2 v[62:63], v[60:61]
	s_or_b64 exec, exec, s[20:21]
	s_and_b64 s[24:25], s[6:7], s[10:11]
	s_and_saveexec_b64 s[20:21], s[24:25]
	s_cbranch_execz .LBB114_304
.LBB114_313:
	s_and_b64 vcc, exec, s[0:1]
	s_cbranch_vccnz .LBB114_315
; %bb.314:
	v_lshl_add_u64 v[60:61], v[164:165], 3, v[58:59]
	flat_load_dwordx2 v[60:61], v[60:61]
	s_waitcnt vmcnt(0) lgkmcnt(0)
	v_mul_f64 v[60:61], s[16:17], v[60:61]
	v_cvt_f32_f64_e32 v60, v[60:61]
	s_branch .LBB114_316
.LBB114_315:
	v_mov_b32_e32 v60, 0
.LBB114_316:
	v_add_f64 v[62:63], v[22:23], v[54:55]
	v_add_f64 v[64:65], v[20:21], v[52:53]
	v_cvt_f32_f64_e32 v61, v[64:65]
	v_cvt_f32_f64_e32 v62, v[62:63]
	v_min3_f32 v61, v61, v62, v191
	v_add_f64 v[62:63], v[14:15], v[50:51]
	v_add_f64 v[64:65], v[12:13], v[48:49]
	v_cvt_f32_f64_e32 v64, v[64:65]
	v_cvt_f32_f64_e32 v62, v[62:63]
	v_min_f32_e32 v62, v64, v62
	v_min3_f32 v60, v60, v62, v61
	v_cvt_f64_f32_e32 v[60:61], v60
	v_lshl_add_u64 v[62:63], v[164:165], 3, v[56:57]
	flat_store_dwordx2 v[62:63], v[60:61]
	s_or_b64 exec, exec, s[20:21]
	s_and_b64 s[20:21], s[8:9], s[10:11]
	s_and_saveexec_b64 s[10:11], s[20:21]
	s_cbranch_execz .LBB114_321
.LBB114_317:
	s_and_b64 vcc, exec, s[0:1]
	s_cbranch_vccnz .LBB114_319
; %bb.318:
	v_lshl_add_u64 v[58:59], v[166:167], 3, v[58:59]
	flat_load_dwordx2 v[58:59], v[58:59]
	s_waitcnt vmcnt(0) lgkmcnt(0)
	v_mul_f64 v[58:59], s[16:17], v[58:59]
	v_cvt_f32_f64_e32 v58, v[58:59]
	s_branch .LBB114_320
.LBB114_319:
	v_mov_b32_e32 v58, 0
.LBB114_320:
	v_add_f64 v[54:55], v[6:7], v[54:55]
	v_add_f64 v[52:53], v[4:5], v[52:53]
	;; [unrolled: 1-line block ×4, first 2 shown]
	v_cvt_f32_f64_e32 v52, v[52:53]
	v_cvt_f32_f64_e32 v53, v[54:55]
	;; [unrolled: 1-line block ×4, first 2 shown]
	v_min3_f32 v52, v52, v53, v188
	v_min_f32_e32 v48, v48, v49
	v_min3_f32 v48, v58, v48, v52
	v_cvt_f64_f32_e32 v[48:49], v48
	v_lshl_add_u64 v[50:51], v[166:167], 3, v[56:57]
	flat_store_dwordx2 v[50:51], v[48:49]
.LBB114_321:
	s_or_b64 exec, exec, s[10:11]
	v_add_u32_e32 v52, 0x70, v172
	v_mad_i64_i32 v[48:49], s[20:21], v52, s23, 0
	v_cmp_gt_i32_e64 s[10:11], s13, v52
	v_lshl_add_u64 v[50:51], v[48:49], 3, s[18:19]
	v_mad_i64_i32 v[48:49], s[20:21], v52, s22, 0
	v_lshl_add_u64 v[48:49], v[48:49], 3, s[14:15]
	s_and_b64 s[24:25], s[2:3], s[10:11]
	s_and_saveexec_b64 s[20:21], s[24:25]
	s_cbranch_execnz .LBB114_325
; %bb.322:
	s_or_b64 exec, exec, s[20:21]
	s_and_b64 s[24:25], s[4:5], s[10:11]
	s_and_saveexec_b64 s[20:21], s[24:25]
	s_cbranch_execnz .LBB114_329
.LBB114_323:
	s_or_b64 exec, exec, s[20:21]
	s_and_b64 s[24:25], s[6:7], s[10:11]
	s_and_saveexec_b64 s[20:21], s[24:25]
	s_cbranch_execnz .LBB114_333
.LBB114_324:
	s_or_b64 exec, exec, s[20:21]
	s_and_b64 s[20:21], s[8:9], s[10:11]
	s_and_saveexec_b64 s[10:11], s[20:21]
	s_cbranch_execnz .LBB114_337
	s_branch .LBB114_341
.LBB114_325:
	s_and_b64 vcc, exec, s[0:1]
	s_cbranch_vccnz .LBB114_327
; %bb.326:
	v_lshl_add_u64 v[52:53], v[160:161], 3, v[50:51]
	flat_load_dwordx2 v[52:53], v[52:53]
	s_waitcnt vmcnt(0) lgkmcnt(0)
	v_mul_f64 v[52:53], s[16:17], v[52:53]
	v_cvt_f32_f64_e32 v52, v[52:53]
	s_branch .LBB114_328
.LBB114_327:
	v_mov_b32_e32 v52, 0
.LBB114_328:
	v_add_f64 v[54:55], v[38:39], v[46:47]
	v_add_f64 v[56:57], v[36:37], v[44:45]
	v_cvt_f32_f64_e32 v53, v[56:57]
	v_cvt_f32_f64_e32 v54, v[54:55]
	v_min3_f32 v53, v53, v54, v187
	v_add_f64 v[54:55], v[34:35], v[42:43]
	v_add_f64 v[56:57], v[32:33], v[40:41]
	v_cvt_f32_f64_e32 v56, v[56:57]
	v_cvt_f32_f64_e32 v54, v[54:55]
	v_min_f32_e32 v54, v56, v54
	v_min3_f32 v52, v52, v54, v53
	v_cvt_f64_f32_e32 v[52:53], v52
	v_lshl_add_u64 v[54:55], v[160:161], 3, v[48:49]
	flat_store_dwordx2 v[54:55], v[52:53]
	s_or_b64 exec, exec, s[20:21]
	s_and_b64 s[24:25], s[4:5], s[10:11]
	s_and_saveexec_b64 s[20:21], s[24:25]
	s_cbranch_execz .LBB114_323
.LBB114_329:
	s_and_b64 vcc, exec, s[0:1]
	s_cbranch_vccnz .LBB114_331
; %bb.330:
	v_lshl_add_u64 v[52:53], v[162:163], 3, v[50:51]
	flat_load_dwordx2 v[52:53], v[52:53]
	s_waitcnt vmcnt(0) lgkmcnt(0)
	v_mul_f64 v[52:53], s[16:17], v[52:53]
	v_cvt_f32_f64_e32 v52, v[52:53]
	s_branch .LBB114_332
.LBB114_331:
	v_mov_b32_e32 v52, 0
.LBB114_332:
	v_add_f64 v[54:55], v[26:27], v[46:47]
	v_add_f64 v[56:57], v[24:25], v[44:45]
	v_cvt_f32_f64_e32 v53, v[56:57]
	v_cvt_f32_f64_e32 v54, v[54:55]
	v_min3_f32 v53, v53, v54, v186
	v_add_f64 v[54:55], v[30:31], v[42:43]
	v_add_f64 v[56:57], v[28:29], v[40:41]
	v_cvt_f32_f64_e32 v56, v[56:57]
	v_cvt_f32_f64_e32 v54, v[54:55]
	v_min_f32_e32 v54, v56, v54
	v_min3_f32 v52, v52, v54, v53
	v_cvt_f64_f32_e32 v[52:53], v52
	v_lshl_add_u64 v[54:55], v[162:163], 3, v[48:49]
	flat_store_dwordx2 v[54:55], v[52:53]
	s_or_b64 exec, exec, s[20:21]
	s_and_b64 s[24:25], s[6:7], s[10:11]
	s_and_saveexec_b64 s[20:21], s[24:25]
	s_cbranch_execz .LBB114_324
.LBB114_333:
	s_and_b64 vcc, exec, s[0:1]
	s_cbranch_vccnz .LBB114_335
; %bb.334:
	v_lshl_add_u64 v[52:53], v[164:165], 3, v[50:51]
	flat_load_dwordx2 v[52:53], v[52:53]
	s_waitcnt vmcnt(0) lgkmcnt(0)
	v_mul_f64 v[52:53], s[16:17], v[52:53]
	v_cvt_f32_f64_e32 v52, v[52:53]
	s_branch .LBB114_336
.LBB114_335:
	v_mov_b32_e32 v52, 0
.LBB114_336:
	v_add_f64 v[54:55], v[22:23], v[46:47]
	v_add_f64 v[56:57], v[20:21], v[44:45]
	v_cvt_f32_f64_e32 v53, v[56:57]
	v_cvt_f32_f64_e32 v54, v[54:55]
	v_min3_f32 v53, v53, v54, v185
	v_add_f64 v[54:55], v[14:15], v[42:43]
	v_add_f64 v[56:57], v[12:13], v[40:41]
	v_cvt_f32_f64_e32 v56, v[56:57]
	v_cvt_f32_f64_e32 v54, v[54:55]
	v_min_f32_e32 v54, v56, v54
	v_min3_f32 v52, v52, v54, v53
	v_cvt_f64_f32_e32 v[52:53], v52
	v_lshl_add_u64 v[54:55], v[164:165], 3, v[48:49]
	flat_store_dwordx2 v[54:55], v[52:53]
	s_or_b64 exec, exec, s[20:21]
	s_and_b64 s[20:21], s[8:9], s[10:11]
	s_and_saveexec_b64 s[10:11], s[20:21]
	s_cbranch_execz .LBB114_341
.LBB114_337:
	s_and_b64 vcc, exec, s[0:1]
	s_cbranch_vccnz .LBB114_339
; %bb.338:
	v_lshl_add_u64 v[50:51], v[166:167], 3, v[50:51]
	flat_load_dwordx2 v[50:51], v[50:51]
	s_waitcnt vmcnt(0) lgkmcnt(0)
	v_mul_f64 v[50:51], s[16:17], v[50:51]
	v_cvt_f32_f64_e32 v50, v[50:51]
	s_branch .LBB114_340
.LBB114_339:
	v_mov_b32_e32 v50, 0
.LBB114_340:
	v_add_f64 v[46:47], v[6:7], v[46:47]
	v_add_f64 v[44:45], v[4:5], v[44:45]
	;; [unrolled: 1-line block ×4, first 2 shown]
	v_cvt_f32_f64_e32 v44, v[44:45]
	v_cvt_f32_f64_e32 v45, v[46:47]
	;; [unrolled: 1-line block ×4, first 2 shown]
	v_min3_f32 v44, v44, v45, v184
	v_min_f32_e32 v40, v40, v41
	v_min3_f32 v40, v50, v40, v44
	v_cvt_f64_f32_e32 v[40:41], v40
	v_lshl_add_u64 v[42:43], v[166:167], 3, v[48:49]
	flat_store_dwordx2 v[42:43], v[40:41]
.LBB114_341:
	s_or_b64 exec, exec, s[10:11]
	v_add_u32_e32 v44, 0x78, v172
	v_cmp_gt_i32_e64 s[10:11], s13, v44
	v_mad_i64_i32 v[40:41], s[12:13], v44, s23, 0
	v_lshl_add_u64 v[42:43], v[40:41], 3, s[18:19]
	v_mad_i64_i32 v[40:41], s[12:13], v44, s22, 0
	v_lshl_add_u64 v[40:41], v[40:41], 3, s[14:15]
	s_and_b64 s[12:13], s[2:3], s[10:11]
	s_and_saveexec_b64 s[2:3], s[12:13]
	s_cbranch_execnz .LBB114_346
; %bb.342:
	s_or_b64 exec, exec, s[2:3]
	s_and_b64 s[4:5], s[4:5], s[10:11]
	s_and_saveexec_b64 s[2:3], s[4:5]
	s_cbranch_execnz .LBB114_350
.LBB114_343:
	s_or_b64 exec, exec, s[2:3]
	s_and_b64 s[4:5], s[6:7], s[10:11]
	s_and_saveexec_b64 s[2:3], s[4:5]
	s_cbranch_execnz .LBB114_354
.LBB114_344:
	s_or_b64 exec, exec, s[2:3]
	s_and_b64 s[2:3], s[8:9], s[10:11]
	s_and_saveexec_b64 s[4:5], s[2:3]
	s_cbranch_execnz .LBB114_358
.LBB114_345:
	s_endpgm
.LBB114_346:
	s_and_b64 vcc, exec, s[0:1]
	s_cbranch_vccnz .LBB114_348
; %bb.347:
	v_lshl_add_u64 v[44:45], v[160:161], 3, v[42:43]
	flat_load_dwordx2 v[44:45], v[44:45]
	s_waitcnt vmcnt(0) lgkmcnt(0)
	v_mul_f64 v[44:45], s[16:17], v[44:45]
	v_cvt_f32_f64_e32 v44, v[44:45]
	s_branch .LBB114_349
.LBB114_348:
	v_mov_b32_e32 v44, 0
.LBB114_349:
	s_waitcnt lgkmcnt(0)
	v_add_f64 v[38:39], v[38:39], v[18:19]
	v_add_f64 v[36:37], v[36:37], v[16:17]
	;; [unrolled: 1-line block ×4, first 2 shown]
	v_cvt_f32_f64_e32 v36, v[36:37]
	v_cvt_f32_f64_e32 v37, v[38:39]
	;; [unrolled: 1-line block ×4, first 2 shown]
	v_min3_f32 v36, v36, v37, v181
	v_min_f32_e32 v32, v32, v33
	v_min3_f32 v32, v44, v32, v36
	v_cvt_f64_f32_e32 v[32:33], v32
	v_lshl_add_u64 v[34:35], v[160:161], 3, v[40:41]
	flat_store_dwordx2 v[34:35], v[32:33]
	s_or_b64 exec, exec, s[2:3]
	s_and_b64 s[4:5], s[4:5], s[10:11]
	s_and_saveexec_b64 s[2:3], s[4:5]
	s_cbranch_execz .LBB114_343
.LBB114_350:
	s_and_b64 vcc, exec, s[0:1]
	s_cbranch_vccnz .LBB114_352
; %bb.351:
	v_lshl_add_u64 v[32:33], v[162:163], 3, v[42:43]
	flat_load_dwordx2 v[32:33], v[32:33]
	s_waitcnt vmcnt(0) lgkmcnt(0)
	v_mul_f64 v[32:33], s[16:17], v[32:33]
	v_cvt_f32_f64_e32 v32, v[32:33]
	s_branch .LBB114_353
.LBB114_352:
	v_mov_b32_e32 v32, 0
.LBB114_353:
	s_waitcnt lgkmcnt(0)
	v_add_f64 v[26:27], v[26:27], v[18:19]
	v_add_f64 v[24:25], v[24:25], v[16:17]
	v_cvt_f32_f64_e32 v24, v[24:25]
	v_cvt_f32_f64_e32 v25, v[26:27]
	v_min3_f32 v33, v24, v25, v180
	v_add_f64 v[24:25], v[30:31], v[10:11]
	v_add_f64 v[26:27], v[28:29], v[8:9]
	v_cvt_f32_f64_e32 v26, v[26:27]
	v_cvt_f32_f64_e32 v24, v[24:25]
	v_min_f32_e32 v24, v26, v24
	v_min3_f32 v24, v32, v24, v33
	v_cvt_f64_f32_e32 v[24:25], v24
	v_lshl_add_u64 v[26:27], v[162:163], 3, v[40:41]
	flat_store_dwordx2 v[26:27], v[24:25]
	s_or_b64 exec, exec, s[2:3]
	s_and_b64 s[4:5], s[6:7], s[10:11]
	s_and_saveexec_b64 s[2:3], s[4:5]
	s_cbranch_execz .LBB114_344
.LBB114_354:
	s_and_b64 vcc, exec, s[0:1]
	s_cbranch_vccnz .LBB114_356
; %bb.355:
	v_lshl_add_u64 v[24:25], v[164:165], 3, v[42:43]
	flat_load_dwordx2 v[24:25], v[24:25]
	s_waitcnt vmcnt(0) lgkmcnt(0)
	v_mul_f64 v[24:25], s[16:17], v[24:25]
	v_cvt_f32_f64_e32 v24, v[24:25]
	s_branch .LBB114_357
.LBB114_356:
	v_mov_b32_e32 v24, 0
.LBB114_357:
	s_waitcnt lgkmcnt(0)
	v_add_f64 v[22:23], v[22:23], v[18:19]
	v_add_f64 v[20:21], v[20:21], v[16:17]
	v_add_f64 v[14:15], v[14:15], v[10:11]
	v_add_f64 v[12:13], v[12:13], v[8:9]
	v_cvt_f32_f64_e32 v20, v[20:21]
	v_cvt_f32_f64_e32 v21, v[22:23]
	;; [unrolled: 1-line block ×4, first 2 shown]
	v_min3_f32 v20, v20, v21, v179
	v_min_f32_e32 v12, v12, v13
	v_min3_f32 v12, v24, v12, v20
	v_cvt_f64_f32_e32 v[12:13], v12
	v_lshl_add_u64 v[14:15], v[164:165], 3, v[40:41]
	flat_store_dwordx2 v[14:15], v[12:13]
	s_or_b64 exec, exec, s[2:3]
	s_and_b64 s[2:3], s[8:9], s[10:11]
	s_and_saveexec_b64 s[4:5], s[2:3]
	s_cbranch_execz .LBB114_345
.LBB114_358:
	s_and_b64 vcc, exec, s[0:1]
	s_cbranch_vccnz .LBB114_360
; %bb.359:
	v_lshl_add_u64 v[12:13], v[166:167], 3, v[42:43]
	flat_load_dwordx2 v[12:13], v[12:13]
	s_waitcnt vmcnt(0) lgkmcnt(0)
	v_mul_f64 v[12:13], s[16:17], v[12:13]
	v_cvt_f32_f64_e32 v12, v[12:13]
	s_branch .LBB114_361
.LBB114_360:
	v_mov_b32_e32 v12, 0
.LBB114_361:
	s_waitcnt lgkmcnt(0)
	v_add_f64 v[6:7], v[6:7], v[18:19]
	v_add_f64 v[4:5], v[4:5], v[16:17]
	;; [unrolled: 1-line block ×4, first 2 shown]
	v_cvt_f32_f64_e32 v4, v[4:5]
	v_cvt_f32_f64_e32 v5, v[6:7]
	;; [unrolled: 1-line block ×4, first 2 shown]
	v_min3_f32 v4, v4, v5, v178
	v_min_f32_e32 v0, v0, v1
	v_min3_f32 v0, v12, v0, v4
	v_cvt_f64_f32_e32 v[0:1], v0
	v_lshl_add_u64 v[2:3], v[166:167], 3, v[40:41]
	flat_store_dwordx2 v[2:3], v[0:1]
	s_endpgm
	.section	.rodata,"a",@progbits
	.p2align	6, 0x0
	.amdhsa_kernel _ZN12_GLOBAL__N_120geam_min_plus_kernelId15HIP_vector_typeIdLj2EEdLi32ELi8ELi128ELi128ELi4ELi4ELi64ELi4ELi64ELc84ELc78ELb0ELb1ELb1EPKdKS4_KPdEEviiiT16_PT17_ilSA_ilS8_SA_ilPT18_ili26rocblas_geam_ex_operation_
		.amdhsa_group_segment_fixed_size 16384
		.amdhsa_private_segment_fixed_size 0
		.amdhsa_kernarg_size 136
		.amdhsa_user_sgpr_count 2
		.amdhsa_user_sgpr_dispatch_ptr 0
		.amdhsa_user_sgpr_queue_ptr 0
		.amdhsa_user_sgpr_kernarg_segment_ptr 1
		.amdhsa_user_sgpr_dispatch_id 0
		.amdhsa_user_sgpr_kernarg_preload_length 0
		.amdhsa_user_sgpr_kernarg_preload_offset 0
		.amdhsa_user_sgpr_private_segment_size 0
		.amdhsa_uses_dynamic_stack 0
		.amdhsa_enable_private_segment 0
		.amdhsa_system_sgpr_workgroup_id_x 1
		.amdhsa_system_sgpr_workgroup_id_y 0
		.amdhsa_system_sgpr_workgroup_id_z 1
		.amdhsa_system_sgpr_workgroup_info 0
		.amdhsa_system_vgpr_workitem_id 1
		.amdhsa_next_free_vgpr 256
		.amdhsa_next_free_sgpr 40
		.amdhsa_accum_offset 256
		.amdhsa_reserve_vcc 1
		.amdhsa_float_round_mode_32 0
		.amdhsa_float_round_mode_16_64 0
		.amdhsa_float_denorm_mode_32 3
		.amdhsa_float_denorm_mode_16_64 3
		.amdhsa_dx10_clamp 1
		.amdhsa_ieee_mode 1
		.amdhsa_fp16_overflow 0
		.amdhsa_tg_split 0
		.amdhsa_exception_fp_ieee_invalid_op 0
		.amdhsa_exception_fp_denorm_src 0
		.amdhsa_exception_fp_ieee_div_zero 0
		.amdhsa_exception_fp_ieee_overflow 0
		.amdhsa_exception_fp_ieee_underflow 0
		.amdhsa_exception_fp_ieee_inexact 0
		.amdhsa_exception_int_div_zero 0
	.end_amdhsa_kernel
	.section	.text._ZN12_GLOBAL__N_120geam_min_plus_kernelId15HIP_vector_typeIdLj2EEdLi32ELi8ELi128ELi128ELi4ELi4ELi64ELi4ELi64ELc84ELc78ELb0ELb1ELb1EPKdKS4_KPdEEviiiT16_PT17_ilSA_ilS8_SA_ilPT18_ili26rocblas_geam_ex_operation_,"axG",@progbits,_ZN12_GLOBAL__N_120geam_min_plus_kernelId15HIP_vector_typeIdLj2EEdLi32ELi8ELi128ELi128ELi4ELi4ELi64ELi4ELi64ELc84ELc78ELb0ELb1ELb1EPKdKS4_KPdEEviiiT16_PT17_ilSA_ilS8_SA_ilPT18_ili26rocblas_geam_ex_operation_,comdat
.Lfunc_end114:
	.size	_ZN12_GLOBAL__N_120geam_min_plus_kernelId15HIP_vector_typeIdLj2EEdLi32ELi8ELi128ELi128ELi4ELi4ELi64ELi4ELi64ELc84ELc78ELb0ELb1ELb1EPKdKS4_KPdEEviiiT16_PT17_ilSA_ilS8_SA_ilPT18_ili26rocblas_geam_ex_operation_, .Lfunc_end114-_ZN12_GLOBAL__N_120geam_min_plus_kernelId15HIP_vector_typeIdLj2EEdLi32ELi8ELi128ELi128ELi4ELi4ELi64ELi4ELi64ELc84ELc78ELb0ELb1ELb1EPKdKS4_KPdEEviiiT16_PT17_ilSA_ilS8_SA_ilPT18_ili26rocblas_geam_ex_operation_
                                        ; -- End function
	.set _ZN12_GLOBAL__N_120geam_min_plus_kernelId15HIP_vector_typeIdLj2EEdLi32ELi8ELi128ELi128ELi4ELi4ELi64ELi4ELi64ELc84ELc78ELb0ELb1ELb1EPKdKS4_KPdEEviiiT16_PT17_ilSA_ilS8_SA_ilPT18_ili26rocblas_geam_ex_operation_.num_vgpr, 256
	.set _ZN12_GLOBAL__N_120geam_min_plus_kernelId15HIP_vector_typeIdLj2EEdLi32ELi8ELi128ELi128ELi4ELi4ELi64ELi4ELi64ELc84ELc78ELb0ELb1ELb1EPKdKS4_KPdEEviiiT16_PT17_ilSA_ilS8_SA_ilPT18_ili26rocblas_geam_ex_operation_.num_agpr, 0
	.set _ZN12_GLOBAL__N_120geam_min_plus_kernelId15HIP_vector_typeIdLj2EEdLi32ELi8ELi128ELi128ELi4ELi4ELi64ELi4ELi64ELc84ELc78ELb0ELb1ELb1EPKdKS4_KPdEEviiiT16_PT17_ilSA_ilS8_SA_ilPT18_ili26rocblas_geam_ex_operation_.numbered_sgpr, 40
	.set _ZN12_GLOBAL__N_120geam_min_plus_kernelId15HIP_vector_typeIdLj2EEdLi32ELi8ELi128ELi128ELi4ELi4ELi64ELi4ELi64ELc84ELc78ELb0ELb1ELb1EPKdKS4_KPdEEviiiT16_PT17_ilSA_ilS8_SA_ilPT18_ili26rocblas_geam_ex_operation_.num_named_barrier, 0
	.set _ZN12_GLOBAL__N_120geam_min_plus_kernelId15HIP_vector_typeIdLj2EEdLi32ELi8ELi128ELi128ELi4ELi4ELi64ELi4ELi64ELc84ELc78ELb0ELb1ELb1EPKdKS4_KPdEEviiiT16_PT17_ilSA_ilS8_SA_ilPT18_ili26rocblas_geam_ex_operation_.private_seg_size, 0
	.set _ZN12_GLOBAL__N_120geam_min_plus_kernelId15HIP_vector_typeIdLj2EEdLi32ELi8ELi128ELi128ELi4ELi4ELi64ELi4ELi64ELc84ELc78ELb0ELb1ELb1EPKdKS4_KPdEEviiiT16_PT17_ilSA_ilS8_SA_ilPT18_ili26rocblas_geam_ex_operation_.uses_vcc, 1
	.set _ZN12_GLOBAL__N_120geam_min_plus_kernelId15HIP_vector_typeIdLj2EEdLi32ELi8ELi128ELi128ELi4ELi4ELi64ELi4ELi64ELc84ELc78ELb0ELb1ELb1EPKdKS4_KPdEEviiiT16_PT17_ilSA_ilS8_SA_ilPT18_ili26rocblas_geam_ex_operation_.uses_flat_scratch, 0
	.set _ZN12_GLOBAL__N_120geam_min_plus_kernelId15HIP_vector_typeIdLj2EEdLi32ELi8ELi128ELi128ELi4ELi4ELi64ELi4ELi64ELc84ELc78ELb0ELb1ELb1EPKdKS4_KPdEEviiiT16_PT17_ilSA_ilS8_SA_ilPT18_ili26rocblas_geam_ex_operation_.has_dyn_sized_stack, 0
	.set _ZN12_GLOBAL__N_120geam_min_plus_kernelId15HIP_vector_typeIdLj2EEdLi32ELi8ELi128ELi128ELi4ELi4ELi64ELi4ELi64ELc84ELc78ELb0ELb1ELb1EPKdKS4_KPdEEviiiT16_PT17_ilSA_ilS8_SA_ilPT18_ili26rocblas_geam_ex_operation_.has_recursion, 0
	.set _ZN12_GLOBAL__N_120geam_min_plus_kernelId15HIP_vector_typeIdLj2EEdLi32ELi8ELi128ELi128ELi4ELi4ELi64ELi4ELi64ELc84ELc78ELb0ELb1ELb1EPKdKS4_KPdEEviiiT16_PT17_ilSA_ilS8_SA_ilPT18_ili26rocblas_geam_ex_operation_.has_indirect_call, 0
	.section	.AMDGPU.csdata,"",@progbits
; Kernel info:
; codeLenInByte = 27188
; TotalNumSgprs: 46
; NumVgprs: 256
; NumAgprs: 0
; TotalNumVgprs: 256
; ScratchSize: 0
; MemoryBound: 0
; FloatMode: 240
; IeeeMode: 1
; LDSByteSize: 16384 bytes/workgroup (compile time only)
; SGPRBlocks: 5
; VGPRBlocks: 31
; NumSGPRsForWavesPerEU: 46
; NumVGPRsForWavesPerEU: 256
; AccumOffset: 256
; Occupancy: 2
; WaveLimiterHint : 1
; COMPUTE_PGM_RSRC2:SCRATCH_EN: 0
; COMPUTE_PGM_RSRC2:USER_SGPR: 2
; COMPUTE_PGM_RSRC2:TRAP_HANDLER: 0
; COMPUTE_PGM_RSRC2:TGID_X_EN: 1
; COMPUTE_PGM_RSRC2:TGID_Y_EN: 0
; COMPUTE_PGM_RSRC2:TGID_Z_EN: 1
; COMPUTE_PGM_RSRC2:TIDIG_COMP_CNT: 1
; COMPUTE_PGM_RSRC3_GFX90A:ACCUM_OFFSET: 63
; COMPUTE_PGM_RSRC3_GFX90A:TG_SPLIT: 0
	.section	.text._ZN12_GLOBAL__N_120geam_min_plus_kernelId15HIP_vector_typeIdLj2EEdLi32ELi8ELi128ELi128ELi4ELi4ELi64ELi4ELi64ELc84ELc78ELb1ELb1ELb1EdKPKdKPdEEviiiT16_PT17_ilSA_ilS8_SA_ilPT18_ili26rocblas_geam_ex_operation_,"axG",@progbits,_ZN12_GLOBAL__N_120geam_min_plus_kernelId15HIP_vector_typeIdLj2EEdLi32ELi8ELi128ELi128ELi4ELi4ELi64ELi4ELi64ELc84ELc78ELb1ELb1ELb1EdKPKdKPdEEviiiT16_PT17_ilSA_ilS8_SA_ilPT18_ili26rocblas_geam_ex_operation_,comdat
	.globl	_ZN12_GLOBAL__N_120geam_min_plus_kernelId15HIP_vector_typeIdLj2EEdLi32ELi8ELi128ELi128ELi4ELi4ELi64ELi4ELi64ELc84ELc78ELb1ELb1ELb1EdKPKdKPdEEviiiT16_PT17_ilSA_ilS8_SA_ilPT18_ili26rocblas_geam_ex_operation_ ; -- Begin function _ZN12_GLOBAL__N_120geam_min_plus_kernelId15HIP_vector_typeIdLj2EEdLi32ELi8ELi128ELi128ELi4ELi4ELi64ELi4ELi64ELc84ELc78ELb1ELb1ELb1EdKPKdKPdEEviiiT16_PT17_ilSA_ilS8_SA_ilPT18_ili26rocblas_geam_ex_operation_
	.p2align	8
	.type	_ZN12_GLOBAL__N_120geam_min_plus_kernelId15HIP_vector_typeIdLj2EEdLi32ELi8ELi128ELi128ELi4ELi4ELi64ELi4ELi64ELc84ELc78ELb1ELb1ELb1EdKPKdKPdEEviiiT16_PT17_ilSA_ilS8_SA_ilPT18_ili26rocblas_geam_ex_operation_,@function
_ZN12_GLOBAL__N_120geam_min_plus_kernelId15HIP_vector_typeIdLj2EEdLi32ELi8ELi128ELi128ELi4ELi4ELi64ELi4ELi64ELc84ELc78ELb1ELb1ELb1EdKPKdKPdEEviiiT16_PT17_ilSA_ilS8_SA_ilPT18_ili26rocblas_geam_ex_operation_: ; @_ZN12_GLOBAL__N_120geam_min_plus_kernelId15HIP_vector_typeIdLj2EEdLi32ELi8ELi128ELi128ELi4ELi4ELi64ELi4ELi64ELc84ELc78ELb1ELb1ELb1EdKPKdKPdEEviiiT16_PT17_ilSA_ilS8_SA_ilPT18_ili26rocblas_geam_ex_operation_
; %bb.0:
	s_load_dwordx4 s[8:11], s[0:1], 0x10
	s_load_dwordx4 s[4:7], s[0:1], 0x28
	s_mov_b32 s26, s3
	s_mov_b64 s[22:23], 0
	s_waitcnt lgkmcnt(0)
	v_cmp_eq_f64_e64 s[16:17], s[8:9], 0
	s_and_b64 vcc, exec, s[16:17]
	s_cbranch_vccnz .LBB115_2
; %bb.1:
	s_mov_b32 s27, 0
	s_lshl_b64 s[8:9], s[26:27], 3
	s_add_u32 s8, s10, s8
	s_addc_u32 s9, s11, s9
	s_load_dwordx2 s[8:9], s[8:9], 0x0
	s_lshl_b64 s[4:5], s[4:5], 3
	s_waitcnt lgkmcnt(0)
	s_add_u32 s22, s8, s4
	s_addc_u32 s23, s9, s5
.LBB115_2:
	s_load_dwordx4 s[12:15], s[0:1], 0x40
	s_load_dwordx2 s[8:9], s[0:1], 0x50
	s_andn2_b64 vcc, exec, s[16:17]
	s_mov_b32 s27, 0
	s_cbranch_vccnz .LBB115_4
; %bb.3:
	s_mov_b64 s[20:21], 0
	s_mov_b64 s[24:25], 0
	s_cbranch_execz .LBB115_5
	s_branch .LBB115_6
.LBB115_4:
	s_mov_b64 s[20:21], 0
	s_mov_b64 s[24:25], 0
.LBB115_5:
	s_lshl_b64 s[4:5], s[26:27], 3
	s_add_u32 s4, s6, s4
	s_addc_u32 s5, s7, s5
	s_load_dwordx2 s[4:5], s[4:5], 0x0
	s_waitcnt lgkmcnt(0)
	s_lshl_b64 s[6:7], s[12:13], 3
	s_add_u32 s24, s4, s6
	s_addc_u32 s25, s5, s7
.LBB115_6:
	s_load_dwordx4 s[4:7], s[0:1], 0x60
	s_waitcnt lgkmcnt(0)
	v_cmp_eq_f64_e64 s[10:11], s[14:15], 0
	v_cmp_neq_f64_e64 s[12:13], s[14:15], 0
	s_and_b64 vcc, exec, s[10:11]
	s_cbranch_vccnz .LBB115_8
; %bb.7:
	s_lshl_b64 s[10:11], s[26:27], 3
	s_add_u32 s8, s8, s10
	s_addc_u32 s9, s9, s11
	s_load_dwordx2 s[8:9], s[8:9], 0x0
	s_lshl_b64 s[4:5], s[4:5], 3
	s_waitcnt lgkmcnt(0)
	s_add_u32 s20, s8, s4
	s_addc_u32 s21, s9, s5
.LBB115_8:
	s_load_dwordx4 s[16:19], s[0:1], 0x0
	s_lshl_b64 s[4:5], s[26:27], 3
	s_add_u32 s10, s6, s4
	s_addc_u32 s11, s7, s5
	v_and_b32_e32 v176, 0x3ff, v0
	s_waitcnt lgkmcnt(0)
	s_add_i32 s3, s16, -1
	s_ashr_i32 s4, s3, 31
	s_lshr_b32 s4, s4, 25
	s_add_i32 s3, s3, s4
	s_ashr_i32 s3, s3, 7
	s_add_i32 s4, s3, 1
	v_cvt_f32_u32_e32 v1, s4
	s_not_b32 s3, s3
	v_bfe_u32 v177, v0, 10, 10
	s_load_dword s19, s[0:1], 0x20
	v_rcp_iflag_f32_e32 v1, v1
	v_and_b32_e32 v2, 3, v0
	v_lshl_add_u32 v0, v177, 5, v176
	v_lshrrev_b32_e32 v12, 2, v0
	v_mul_f32_e32 v1, 0x4f7ffffe, v1
	v_cvt_u32_f32_e32 v1, v1
	v_cmp_le_i32_e64 s[8:9], s18, v2
	v_mov_b32_e32 v7, 0
	v_lshlrev_b32_e32 v6, 3, v2
	v_readfirstlane_b32 s5, v1
	s_mul_i32 s3, s3, s5
	s_mul_hi_u32 s3, s5, s3
	s_add_i32 s5, s5, s3
	s_mul_hi_u32 s3, s2, s5
	s_mul_i32 s5, s3, s4
	s_sub_i32 s5, s2, s5
	s_add_i32 s6, s3, 1
	s_sub_i32 s7, s5, s4
	s_cmp_ge_u32 s5, s4
	s_cselect_b32 s3, s6, s3
	s_cselect_b32 s5, s7, s5
	s_add_i32 s6, s3, 1
	s_cmp_ge_u32 s5, s4
	s_cselect_b32 s6, s6, s3
	s_mul_i32 s3, s6, s4
	s_sub_i32 s2, s2, s3
	s_lshl_b32 s28, s2, 7
	v_add_u32_e32 v108, s28, v12
	v_cmp_le_i32_e32 vcc, s16, v108
	v_mov_b32_e32 v0, -1
	v_mov_b32_e32 v1, 0x7fefffff
	v_accvgpr_write_b32 a5, v2
	v_lshl_add_u64 v[4:5], s[22:23], 0, v[6:7]
	s_nor_b64 s[4:5], s[8:9], vcc
	v_mov_b64_e32 v[2:3], v[0:1]
	s_and_saveexec_b64 s[2:3], s[4:5]
	s_cbranch_execz .LBB115_10
; %bb.9:
	s_waitcnt lgkmcnt(0)
	v_mad_i64_i32 v[2:3], s[4:5], v108, s19, 0
	v_lshl_add_u64 v[2:3], v[2:3], 3, v[4:5]
	flat_load_dwordx2 v[2:3], v[2:3]
.LBB115_10:
	s_or_b64 exec, exec, s[2:3]
	v_add_u32_e32 v109, 64, v108
	v_cmp_le_i32_e64 s[2:3], s16, v109
	s_nor_b64 s[26:27], s[8:9], s[2:3]
	s_and_saveexec_b64 s[4:5], s[26:27]
	s_cbranch_execz .LBB115_12
; %bb.11:
	s_waitcnt lgkmcnt(0)
	v_mad_i64_i32 v[0:1], s[26:27], v109, s19, 0
	v_lshl_add_u64 v[0:1], v[0:1], 3, v[4:5]
	flat_load_dwordx2 v[0:1], v[0:1]
.LBB115_12:
	s_or_b64 exec, exec, s[4:5]
	s_load_dword s30, s[0:1], 0x38
	s_lshl_b32 s29, s6, 7
	v_add_u32_e32 v110, s29, v12
	v_mov_b32_e32 v7, 0
	v_lshl_add_u64 v[8:9], s[24:25], 0, v[6:7]
	v_cmp_le_i32_e64 s[4:5], s17, v110
	v_mov_b32_e32 v6, -1
	v_mov_b32_e32 v7, 0x7fefffff
	s_nor_b64 s[26:27], s[8:9], s[4:5]
	v_mov_b64_e32 v[10:11], v[6:7]
	s_and_saveexec_b64 s[6:7], s[26:27]
	s_cbranch_execz .LBB115_14
; %bb.13:
	s_waitcnt lgkmcnt(0)
	v_mad_i64_i32 v[10:11], s[26:27], v110, s30, 0
	v_lshl_add_u64 v[10:11], v[10:11], 3, v[8:9]
	flat_load_dwordx2 v[10:11], v[10:11]
.LBB115_14:
	s_or_b64 exec, exec, s[6:7]
	v_add_u32_e32 v111, 64, v110
	v_cmp_le_i32_e64 s[6:7], s17, v111
	s_nor_b64 s[26:27], s[8:9], s[6:7]
	s_and_saveexec_b64 s[8:9], s[26:27]
	s_cbranch_execz .LBB115_16
; %bb.15:
	s_waitcnt lgkmcnt(0)
	v_mad_i64_i32 v[6:7], s[26:27], v111, s30, 0
	v_lshl_add_u64 v[6:7], v[6:7], 3, v[8:9]
	flat_load_dwordx2 v[6:7], v[6:7]
.LBB115_16:
	s_or_b64 exec, exec, s[8:9]
	v_accvgpr_read_b32 v13, a5
	v_or_b32_e32 v13, 4, v13
	v_cmp_le_i32_e64 s[8:9], s18, v13
	v_mov_b32_e32 v100, -1
	v_mov_b32_e32 v101, 0x7fefffff
	s_nor_b64 s[34:35], s[8:9], vcc
	v_mov_b64_e32 v[102:103], v[100:101]
	s_and_saveexec_b64 s[26:27], s[34:35]
	s_cbranch_execz .LBB115_18
; %bb.17:
	s_waitcnt lgkmcnt(0)
	v_mad_i64_i32 v[14:15], s[34:35], v108, s19, 0
	v_lshl_add_u64 v[14:15], v[14:15], 3, v[4:5]
	flat_load_dwordx2 v[102:103], v[14:15] offset:32
.LBB115_18:
	s_or_b64 exec, exec, s[26:27]
	s_nor_b64 s[34:35], s[8:9], s[2:3]
	s_and_saveexec_b64 s[26:27], s[34:35]
	s_cbranch_execz .LBB115_20
; %bb.19:
	s_waitcnt lgkmcnt(0)
	v_mad_i64_i32 v[14:15], s[34:35], v109, s19, 0
	v_lshl_add_u64 v[4:5], v[14:15], 3, v[4:5]
	flat_load_dwordx2 v[100:101], v[4:5] offset:32
.LBB115_20:
	s_or_b64 exec, exec, s[26:27]
	v_mov_b32_e32 v104, -1
	v_mov_b32_e32 v105, 0x7fefffff
	s_nor_b64 s[34:35], s[8:9], s[4:5]
	v_mov_b64_e32 v[106:107], v[104:105]
	s_and_saveexec_b64 s[26:27], s[34:35]
	s_cbranch_execz .LBB115_22
; %bb.21:
	s_waitcnt lgkmcnt(0)
	v_mad_i64_i32 v[4:5], s[34:35], v110, s30, 0
	v_lshl_add_u64 v[4:5], v[4:5], 3, v[8:9]
	flat_load_dwordx2 v[106:107], v[4:5] offset:32
.LBB115_22:
	s_or_b64 exec, exec, s[26:27]
	s_nor_b64 s[26:27], s[8:9], s[6:7]
	s_and_saveexec_b64 s[8:9], s[26:27]
	s_cbranch_execz .LBB115_24
; %bb.23:
	s_waitcnt lgkmcnt(0)
	v_mad_i64_i32 v[4:5], s[26:27], v111, s30, 0
	v_lshl_add_u64 v[4:5], v[4:5], 3, v[8:9]
	flat_load_dwordx2 v[104:105], v[4:5] offset:32
.LBB115_24:
	s_or_b64 exec, exec, s[8:9]
	v_lshlrev_b32_e32 v4, 5, v12
	v_accvgpr_read_b32 v5, a5
	v_lshl_or_b32 v207, v5, 3, v4
	v_lshlrev_b32_e32 v201, 5, v176
	s_load_dwordx2 s[10:11], s[10:11], 0x0
	s_waitcnt vmcnt(0) lgkmcnt(0)
	ds_write2st64_b64 v207, v[2:3], v[0:1] offset1:4
	ds_write2st64_b64 v207, v[10:11], v[6:7] offset0:16 offset1:20
	s_waitcnt lgkmcnt(0)
	s_barrier
	v_lshlrev_b32_e32 v199, 5, v177
	ds_read_b128 v[16:19], v201 offset:1024
	ds_read_b128 v[12:15], v201 offset:2048
	;; [unrolled: 1-line block ×16, first 2 shown]
	ds_read_b128 v[24:27], v201
	ds_read_b128 v[96:99], v199 offset:8192
	ds_read_b128 v[28:31], v199 offset:11776
	;; [unrolled: 1-line block ×5, first 2 shown]
	s_waitcnt lgkmcnt(5)
	v_add_f64 v[114:115], v[26:27], v[94:95]
	v_add_f64 v[116:117], v[24:25], v[92:93]
	s_mov_b32 s8, 0x7f800000
	v_cvt_f32_f64_e32 v113, v[116:117]
	v_cvt_f32_f64_e32 v114, v[114:115]
	v_min3_f32 v172, v113, v114, s8
	v_add_f64 v[114:115], v[18:19], v[94:95]
	v_add_f64 v[116:117], v[16:17], v[92:93]
	v_cvt_f32_f64_e32 v113, v[116:117]
	v_cvt_f32_f64_e32 v114, v[114:115]
	v_min3_f32 v173, v113, v114, s8
	v_add_f64 v[114:115], v[14:15], v[94:95]
	v_add_f64 v[116:117], v[12:13], v[92:93]
	;; [unrolled: 5-line block ×36, first 2 shown]
	s_waitcnt lgkmcnt(4)
	v_add_f64 v[48:49], v[26:27], v[98:99]
	v_add_f64 v[50:51], v[24:25], v[96:97]
	v_cvt_f32_f64_e32 v113, v[116:117]
	v_cvt_f32_f64_e32 v114, v[114:115]
	;; [unrolled: 1-line block ×4, first 2 shown]
	v_min3_f32 v122, v113, v114, s8
	v_add_f64 v[114:115], v[18:19], v[34:35]
	v_add_f64 v[116:117], v[16:17], v[32:33]
	v_min3_f32 v112, v50, v48, s8
	v_add_f64 v[48:49], v[18:19], v[98:99]
	v_add_f64 v[50:51], v[16:17], v[96:97]
	v_cvt_f32_f64_e32 v113, v[116:117]
	v_cvt_f32_f64_e32 v114, v[114:115]
	v_cvt_f32_f64_e32 v50, v[50:51]
	v_cvt_f32_f64_e32 v48, v[48:49]
	v_min3_f32 v120, v113, v114, s8
	v_add_f64 v[114:115], v[14:15], v[34:35]
	v_add_f64 v[116:117], v[12:13], v[32:33]
	ds_read_b128 v[52:55], v201 offset:1040
	v_min3_f32 v165, v50, v48, s8
	v_add_f64 v[48:49], v[14:15], v[98:99]
	v_add_f64 v[50:51], v[12:13], v[96:97]
	v_cvt_f32_f64_e32 v113, v[116:117]
	v_cvt_f32_f64_e32 v114, v[114:115]
	s_waitcnt lgkmcnt(4)
	v_add_f64 v[166:167], v[26:27], v[30:31]
	v_add_f64 v[168:169], v[24:25], v[28:29]
	v_cvt_f32_f64_e32 v50, v[50:51]
	v_cvt_f32_f64_e32 v48, v[48:49]
	v_min3_f32 v117, v113, v114, s8
	v_cvt_f32_f64_e32 v113, v[168:169]
	v_cvt_f32_f64_e32 v114, v[166:167]
	v_add_f64 v[166:167], v[18:19], v[30:31]
	v_add_f64 v[168:169], v[16:17], v[28:29]
	ds_read_b128 v[56:59], v201 offset:2064
	v_min3_f32 v170, v50, v48, s8
	ds_read_b128 v[48:51], v201 offset:3088
	v_add_f64 v[98:99], v[10:11], v[98:99]
	v_add_f64 v[96:97], v[8:9], v[96:97]
	;; [unrolled: 1-line block ×28, first 2 shown]
	v_min3_f32 v118, v113, v114, s8
	v_cvt_f32_f64_e32 v113, v[168:169]
	v_cvt_f32_f64_e32 v114, v[166:167]
	v_add_f64 v[166:167], v[14:15], v[30:31]
	v_add_f64 v[168:169], v[12:13], v[28:29]
	;; [unrolled: 1-line block ×4, first 2 shown]
	s_waitcnt lgkmcnt(5)
	v_add_f64 v[14:15], v[14:15], v[22:23]
	v_add_f64 v[12:13], v[12:13], v[20:21]
	;; [unrolled: 1-line block ×4, first 2 shown]
	v_cvt_f32_f64_e32 v96, v[96:97]
	v_cvt_f32_f64_e32 v97, v[98:99]
	;; [unrolled: 1-line block ×6, first 2 shown]
	s_waitcnt lgkmcnt(3)
	v_add_f64 v[10:11], v[2:3], v[6:7]
	v_add_f64 v[14:15], v[0:1], v[4:5]
	v_min3_f32 v171, v96, v97, s8
	ds_read_b128 v[96:99], v199 offset:8464
	v_min3_f32 v116, v113, v114, s8
	v_cvt_f32_f64_e32 v113, v[168:169]
	v_cvt_f32_f64_e32 v114, v[166:167]
	;; [unrolled: 1-line block ×4, first 2 shown]
	v_min3_f32 v8, v8, v9, s8
	v_cvt_f32_f64_e32 v9, v[14:15]
	v_cvt_f32_f64_e32 v10, v[10:11]
	v_min3_f32 v114, v113, v114, s8
	v_min3_f32 v113, v28, v29, s8
	ds_read_b128 v[28:31], v199 offset:12048
	v_min3_f32 v189, v9, v10, v112
	s_waitcnt lgkmcnt(4)
	v_add_f64 v[10:11], v[54:55], v[6:7]
	v_add_f64 v[14:15], v[52:53], v[4:5]
	v_cvt_f32_f64_e32 v9, v[14:15]
	v_cvt_f32_f64_e32 v10, v[10:11]
	v_min3_f32 v188, v9, v10, v165
	s_waitcnt lgkmcnt(3)
	v_add_f64 v[10:11], v[58:59], v[6:7]
	v_add_f64 v[14:15], v[56:57], v[4:5]
	s_waitcnt lgkmcnt(2)
	v_add_f64 v[6:7], v[50:51], v[6:7]
	v_add_f64 v[4:5], v[48:49], v[4:5]
	v_cvt_f32_f64_e32 v92, v[92:93]
	v_cvt_f32_f64_e32 v93, v[94:95]
	v_cvt_f32_f64_e32 v4, v[4:5]
	v_cvt_f32_f64_e32 v5, v[6:7]
	v_min3_f32 v163, v92, v93, s8
	ds_read_b128 v[92:95], v199 offset:8720
	v_min3_f32 v193, v4, v5, v171
	s_waitcnt lgkmcnt(2)
	v_add_f64 v[4:5], v[2:3], v[98:99]
	v_add_f64 v[6:7], v[0:1], v[96:97]
	v_cvt_f32_f64_e32 v6, v[6:7]
	v_cvt_f32_f64_e32 v4, v[4:5]
	v_min3_f32 v194, v6, v4, v172
	v_add_f64 v[4:5], v[54:55], v[98:99]
	v_add_f64 v[6:7], v[52:53], v[96:97]
	v_cvt_f32_f64_e32 v6, v[6:7]
	v_cvt_f32_f64_e32 v4, v[4:5]
	v_min3_f32 v252, v6, v4, v173
	v_add_f64 v[4:5], v[58:59], v[98:99]
	v_add_f64 v[6:7], v[56:57], v[96:97]
	v_cvt_f32_f64_e32 v6, v[6:7]
	v_cvt_f32_f64_e32 v4, v[4:5]
	v_min3_f32 v251, v6, v4, v174
	v_add_f64 v[4:5], v[50:51], v[98:99]
	v_add_f64 v[6:7], v[48:49], v[96:97]
	v_cvt_f32_f64_e32 v6, v[6:7]
	v_cvt_f32_f64_e32 v4, v[4:5]
	v_min3_f32 v250, v6, v4, v163
	s_waitcnt lgkmcnt(0)
	v_add_f64 v[4:5], v[2:3], v[94:95]
	v_add_f64 v[6:7], v[0:1], v[92:93]
	v_cvt_f32_f64_e32 v6, v[6:7]
	v_cvt_f32_f64_e32 v4, v[4:5]
	v_cvt_f32_f64_e32 v88, v[88:89]
	v_cvt_f32_f64_e32 v89, v[90:91]
	v_min3_f32 v249, v6, v4, v175
	v_add_f64 v[4:5], v[54:55], v[94:95]
	v_add_f64 v[6:7], v[52:53], v[92:93]
	v_min3_f32 v159, v88, v89, s8
	ds_read_b128 v[88:91], v199 offset:8976
	v_cvt_f32_f64_e32 v6, v[6:7]
	v_cvt_f32_f64_e32 v4, v[4:5]
	v_min3_f32 v248, v6, v4, v164
	v_add_f64 v[4:5], v[58:59], v[94:95]
	v_add_f64 v[6:7], v[56:57], v[92:93]
	v_cvt_f32_f64_e32 v6, v[6:7]
	v_cvt_f32_f64_e32 v4, v[4:5]
	v_min3_f32 v247, v6, v4, v161
	v_add_f64 v[4:5], v[50:51], v[94:95]
	v_add_f64 v[6:7], v[48:49], v[92:93]
	v_cvt_f32_f64_e32 v84, v[84:85]
	v_cvt_f32_f64_e32 v85, v[86:87]
	v_cvt_f32_f64_e32 v6, v[6:7]
	v_cvt_f32_f64_e32 v4, v[4:5]
	v_min3_f32 v155, v84, v85, s8
	ds_read_b128 v[84:87], v199 offset:9232
	v_min3_f32 v246, v6, v4, v159
	s_waitcnt lgkmcnt(1)
	v_add_f64 v[4:5], v[2:3], v[90:91]
	v_add_f64 v[6:7], v[0:1], v[88:89]
	v_cvt_f32_f64_e32 v6, v[6:7]
	v_cvt_f32_f64_e32 v4, v[4:5]
	v_min3_f32 v245, v6, v4, v162
	v_add_f64 v[4:5], v[54:55], v[90:91]
	v_add_f64 v[6:7], v[52:53], v[88:89]
	v_cvt_f32_f64_e32 v6, v[6:7]
	v_cvt_f32_f64_e32 v4, v[4:5]
	v_min3_f32 v244, v6, v4, v160
	v_add_f64 v[4:5], v[58:59], v[90:91]
	v_add_f64 v[6:7], v[56:57], v[88:89]
	v_cvt_f32_f64_e32 v6, v[6:7]
	v_cvt_f32_f64_e32 v4, v[4:5]
	v_min3_f32 v243, v6, v4, v157
	v_add_f64 v[4:5], v[50:51], v[90:91]
	v_add_f64 v[6:7], v[48:49], v[88:89]
	v_cvt_f32_f64_e32 v6, v[6:7]
	v_cvt_f32_f64_e32 v4, v[4:5]
	v_min3_f32 v242, v6, v4, v155
	s_waitcnt lgkmcnt(0)
	v_add_f64 v[4:5], v[2:3], v[86:87]
	v_add_f64 v[6:7], v[0:1], v[84:85]
	v_cvt_f32_f64_e32 v6, v[6:7]
	v_cvt_f32_f64_e32 v4, v[4:5]
	v_cvt_f32_f64_e32 v80, v[80:81]
	v_cvt_f32_f64_e32 v81, v[82:83]
	v_min3_f32 v241, v6, v4, v158
	v_add_f64 v[4:5], v[54:55], v[86:87]
	v_add_f64 v[6:7], v[52:53], v[84:85]
	v_min3_f32 v151, v80, v81, s8
	ds_read_b128 v[80:83], v199 offset:9488
	v_cvt_f32_f64_e32 v6, v[6:7]
	v_cvt_f32_f64_e32 v4, v[4:5]
	v_min3_f32 v240, v6, v4, v156
	v_add_f64 v[4:5], v[58:59], v[86:87]
	v_add_f64 v[6:7], v[56:57], v[84:85]
	v_cvt_f32_f64_e32 v6, v[6:7]
	v_cvt_f32_f64_e32 v4, v[4:5]
	v_min3_f32 v239, v6, v4, v153
	;; [unrolled: 50-line block ×6, first 2 shown]
	v_add_f64 v[4:5], v[50:51], v[42:43]
	v_add_f64 v[6:7], v[48:49], v[40:41]
	v_cvt_f32_f64_e32 v32, v[32:33]
	v_cvt_f32_f64_e32 v33, v[34:35]
	;; [unrolled: 1-line block ×4, first 2 shown]
	v_min3_f32 v115, v32, v33, s8
	ds_read_b128 v[32:35], v199 offset:11792
	v_min3_f32 v205, v6, v4, v119
	s_waitcnt lgkmcnt(1)
	v_add_f64 v[4:5], v[2:3], v[38:39]
	v_add_f64 v[6:7], v[0:1], v[36:37]
	v_cvt_f32_f64_e32 v6, v[6:7]
	v_cvt_f32_f64_e32 v4, v[4:5]
	v_min3_f32 v204, v6, v4, v122
	v_add_f64 v[4:5], v[54:55], v[38:39]
	v_add_f64 v[6:7], v[52:53], v[36:37]
	v_cvt_f32_f64_e32 v6, v[6:7]
	v_cvt_f32_f64_e32 v4, v[4:5]
	v_min3_f32 v203, v6, v4, v120
	v_add_f64 v[4:5], v[58:59], v[38:39]
	v_add_f64 v[6:7], v[56:57], v[36:37]
	v_cvt_f32_f64_e32 v6, v[6:7]
	v_cvt_f32_f64_e32 v4, v[4:5]
	v_min3_f32 v200, v6, v4, v117
	v_add_f64 v[4:5], v[50:51], v[38:39]
	v_add_f64 v[6:7], v[48:49], v[36:37]
	;; [unrolled: 1-line block ×4, first 2 shown]
	v_cvt_f32_f64_e32 v6, v[6:7]
	v_cvt_f32_f64_e32 v4, v[4:5]
	v_cvt_f32_f64_e32 v24, v[24:25]
	v_cvt_f32_f64_e32 v25, v[26:27]
	v_min3_f32 v198, v6, v4, v115
	s_waitcnt lgkmcnt(0)
	v_add_f64 v[4:5], v[2:3], v[34:35]
	v_add_f64 v[6:7], v[0:1], v[32:33]
	;; [unrolled: 1-line block ×4, first 2 shown]
	v_min3_f32 v24, v24, v25, s8
	v_add_f64 v[18:19], v[18:19], v[22:23]
	v_add_f64 v[16:17], v[16:17], v[20:21]
	v_cvt_f32_f64_e32 v6, v[6:7]
	v_cvt_f32_f64_e32 v4, v[4:5]
	v_cvt_f32_f64_e32 v0, v[0:1]
	v_cvt_f32_f64_e32 v1, v[2:3]
	v_cvt_f32_f64_e32 v16, v[16:17]
	v_cvt_f32_f64_e32 v17, v[18:19]
	v_min3_f32 v197, v6, v4, v118
	v_add_f64 v[4:5], v[54:55], v[34:35]
	v_add_f64 v[6:7], v[52:53], v[32:33]
	v_min3_f32 v191, v0, v1, v24
	v_add_f64 v[0:1], v[54:55], v[30:31]
	v_add_f64 v[2:3], v[52:53], v[28:29]
	v_min3_f32 v16, v16, v17, s8
	v_cvt_f32_f64_e32 v6, v[6:7]
	v_cvt_f32_f64_e32 v4, v[4:5]
	;; [unrolled: 1-line block ×4, first 2 shown]
	v_min3_f32 v196, v6, v4, v116
	v_add_f64 v[4:5], v[58:59], v[34:35]
	v_add_f64 v[6:7], v[56:57], v[32:33]
	v_min3_f32 v182, v2, v0, v16
	v_add_f64 v[0:1], v[58:59], v[30:31]
	v_add_f64 v[2:3], v[56:57], v[28:29]
	v_min3_f32 v12, v12, v13, s8
	v_cvt_f32_f64_e32 v6, v[6:7]
	v_cvt_f32_f64_e32 v4, v[4:5]
	v_cvt_f32_f64_e32 v2, v[2:3]
	v_cvt_f32_f64_e32 v0, v[0:1]
	v_min3_f32 v195, v6, v4, v114
	v_add_f64 v[4:5], v[50:51], v[34:35]
	v_add_f64 v[6:7], v[48:49], v[32:33]
	v_min3_f32 v181, v2, v0, v12
	v_add_f64 v[0:1], v[50:51], v[30:31]
	v_add_f64 v[2:3], v[48:49], v[28:29]
	v_cvt_f32_f64_e32 v9, v[14:15]
	v_cvt_f32_f64_e32 v10, v[10:11]
	;; [unrolled: 1-line block ×6, first 2 shown]
	v_min3_f32 v202, v9, v10, v170
	v_min3_f32 v192, v6, v4, v113
	;; [unrolled: 1-line block ×3, first 2 shown]
	s_cmp_lt_i32 s18, 9
	ds_write2st64_b64 v207, v[102:103], v[100:101] offset0:8 offset1:12
	ds_write2st64_b64 v207, v[106:107], v[104:105] offset0:24 offset1:28
	s_waitcnt lgkmcnt(0)
	s_barrier
	s_cbranch_scc1 .LBB115_44
; %bb.25:
	v_mov_b32_e32 v0, 0x1000
	v_lshl_add_u32 v254, v176, 5, v0
	v_mov_b32_e32 v0, 0x3000
	v_lshl_add_u32 v255, v177, 5, v0
	v_and_b32_e32 v0, 3, v176
	v_lshlrev_b32_e32 v160, 3, v0
	v_mad_i64_i32 v[0:1], s[8:9], s30, v110, 0
	v_lshl_add_u64 v[162:163], v[0:1], 3, s[24:25]
	v_mad_i64_i32 v[0:1], s[8:9], s30, v111, 0
	v_lshl_add_u64 v[164:165], v[0:1], 3, s[24:25]
	;; [unrolled: 2-line block ×3, first 2 shown]
	v_mad_i64_i32 v[0:1], s[8:9], s19, v109, 0
	v_accvgpr_write_b32 a2, v182
	v_accvgpr_write_b32 a1, v181
	;; [unrolled: 1-line block ×3, first 2 shown]
	v_add_u32_e32 v253, 0x2000, v199
	s_add_i32 s26, s18, -8
	v_accvgpr_write_b32 a4, v177
	v_accvgpr_write_b32 a3, v176
	v_mov_b32_e32 v161, 0
	v_lshl_add_u64 v[168:169], v[0:1], 3, s[22:23]
	s_mov_b32 s19, 0
	v_mov_b32_e32 v170, -1
	v_mov_b32_e32 v171, 0x7fefffff
.LBB115_26:                             ; =>This Inner Loop Header: Depth=1
	v_accvgpr_read_b32 v0, a5
	v_add_u32_e32 v190, s19, v0
	v_add_u32_e32 v0, 8, v190
	v_cmp_le_i32_e64 s[8:9], s18, v0
	s_nor_b64 s[24:25], vcc, s[8:9]
	v_lshl_add_u64 v[174:175], v[166:167], 0, v[160:161]
	v_mov_b64_e32 v[172:173], v[170:171]
	s_and_saveexec_b64 s[22:23], s[24:25]
	s_cbranch_execz .LBB115_28
; %bb.27:                               ;   in Loop: Header=BB115_26 Depth=1
	flat_load_dwordx2 v[172:173], v[174:175] offset:64
.LBB115_28:                             ;   in Loop: Header=BB115_26 Depth=1
	s_or_b64 exec, exec, s[22:23]
	s_nor_b64 s[24:25], s[2:3], s[8:9]
	v_lshl_add_u64 v[176:177], v[168:169], 0, v[160:161]
	v_mov_b64_e32 v[182:183], v[170:171]
	s_and_saveexec_b64 s[22:23], s[24:25]
	s_cbranch_execz .LBB115_30
; %bb.29:                               ;   in Loop: Header=BB115_26 Depth=1
	flat_load_dwordx2 v[182:183], v[176:177] offset:64
.LBB115_30:                             ;   in Loop: Header=BB115_26 Depth=1
	s_or_b64 exec, exec, s[22:23]
	s_nor_b64 s[24:25], s[4:5], s[8:9]
	;; [unrolled: 9-line block ×3, first 2 shown]
	v_lshl_add_u64 v[180:181], v[164:165], 0, v[160:161]
	v_mov_b64_e32 v[186:187], v[170:171]
	s_and_saveexec_b64 s[8:9], s[22:23]
	s_cbranch_execz .LBB115_34
; %bb.33:                               ;   in Loop: Header=BB115_26 Depth=1
	flat_load_dwordx2 v[186:187], v[180:181] offset:64
.LBB115_34:                             ;   in Loop: Header=BB115_26 Depth=1
	s_or_b64 exec, exec, s[8:9]
	ds_read_b128 v[156:159], v255
	ds_read_b128 v[76:79], v255 offset:16
	ds_read_b128 v[92:95], v254
	ds_read_b128 v[12:15], v254 offset:16
	ds_read_b128 v[88:91], v254 offset:1024
	;; [unrolled: 1-line block ×37, first 2 shown]
	s_waitcnt vmcnt(0) lgkmcnt(0)
	ds_write2st64_b64 v207, v[172:173], v[182:183] offset1:4
	v_add_u32_e32 v172, 0x2000, v207
	ds_write2st64_b64 v172, v[184:185], v[186:187] offset1:4
	v_add_u32_e32 v172, 12, v190
	v_cmp_le_i32_e64 s[8:9], s18, v172
	s_nor_b64 s[24:25], vcc, s[8:9]
	v_mov_b64_e32 v[172:173], v[170:171]
	s_waitcnt lgkmcnt(0)
	s_barrier
	s_and_saveexec_b64 s[22:23], s[24:25]
	s_cbranch_execz .LBB115_36
; %bb.35:                               ;   in Loop: Header=BB115_26 Depth=1
	flat_load_dwordx2 v[172:173], v[174:175] offset:96
.LBB115_36:                             ;   in Loop: Header=BB115_26 Depth=1
	s_or_b64 exec, exec, s[22:23]
	s_nor_b64 s[24:25], s[2:3], s[8:9]
	v_mov_b64_e32 v[174:175], v[170:171]
	s_and_saveexec_b64 s[22:23], s[24:25]
	s_cbranch_execz .LBB115_38
; %bb.37:                               ;   in Loop: Header=BB115_26 Depth=1
	flat_load_dwordx2 v[174:175], v[176:177] offset:96
.LBB115_38:                             ;   in Loop: Header=BB115_26 Depth=1
	s_or_b64 exec, exec, s[22:23]
	s_nor_b64 s[24:25], s[4:5], s[8:9]
	v_mov_b64_e32 v[176:177], v[170:171]
	;; [unrolled: 8-line block ×3, first 2 shown]
	s_and_saveexec_b64 s[8:9], s[22:23]
	s_cbranch_execz .LBB115_42
; %bb.41:                               ;   in Loop: Header=BB115_26 Depth=1
	flat_load_dwordx2 v[178:179], v[180:181] offset:96
.LBB115_42:                             ;   in Loop: Header=BB115_26 Depth=1
	s_or_b64 exec, exec, s[8:9]
	v_add_f64 v[180:181], v[92:93], v[156:157]
	v_cvt_f32_f64_e32 v182, v[180:181]
	v_add_f64 v[180:181], v[94:95], v[158:159]
	v_cvt_f32_f64_e32 v180, v[180:181]
	v_min3_f32 v182, v182, v180, v189
	v_add_f64 v[180:181], v[88:89], v[156:157]
	v_cvt_f32_f64_e32 v183, v[180:181]
	v_add_f64 v[180:181], v[90:91], v[158:159]
	v_cvt_f32_f64_e32 v180, v[180:181]
	v_min3_f32 v183, v183, v180, v188
	v_add_f64 v[180:181], v[84:85], v[156:157]
	v_cvt_f32_f64_e32 v184, v[180:181]
	v_add_f64 v[180:181], v[86:87], v[158:159]
	v_add_f64 v[158:159], v[82:83], v[158:159]
	;; [unrolled: 1-line block ×3, first 2 shown]
	v_cvt_f32_f64_e32 v156, v[156:157]
	v_cvt_f32_f64_e32 v157, v[158:159]
	;; [unrolled: 1-line block ×3, first 2 shown]
	v_min3_f32 v181, v156, v157, v193
	v_add_f64 v[156:157], v[94:95], v[154:155]
	v_add_f64 v[158:159], v[92:93], v[152:153]
	v_cvt_f32_f64_e32 v158, v[158:159]
	v_cvt_f32_f64_e32 v156, v[156:157]
	v_min3_f32 v180, v184, v180, v202
	v_min3_f32 v184, v158, v156, v194
	v_add_f64 v[156:157], v[90:91], v[154:155]
	v_add_f64 v[158:159], v[88:89], v[152:153]
	v_cvt_f32_f64_e32 v158, v[158:159]
	v_cvt_f32_f64_e32 v156, v[156:157]
	v_min3_f32 v185, v158, v156, v252
	v_add_f64 v[156:157], v[86:87], v[154:155]
	v_add_f64 v[158:159], v[84:85], v[152:153]
	v_add_f64 v[154:155], v[82:83], v[154:155]
	v_add_f64 v[152:153], v[80:81], v[152:153]
	v_cvt_f32_f64_e32 v152, v[152:153]
	v_cvt_f32_f64_e32 v153, v[154:155]
	v_cvt_f32_f64_e32 v156, v[156:157]
	v_min3_f32 v157, v152, v153, v250
	v_add_f64 v[152:153], v[94:95], v[150:151]
	v_add_f64 v[154:155], v[92:93], v[148:149]
	v_cvt_f32_f64_e32 v158, v[158:159]
	v_cvt_f32_f64_e32 v154, v[154:155]
	v_cvt_f32_f64_e32 v152, v[152:153]
	v_min3_f32 v156, v158, v156, v251
	v_min3_f32 v158, v154, v152, v249
	v_add_f64 v[152:153], v[90:91], v[150:151]
	v_add_f64 v[154:155], v[88:89], v[148:149]
	v_cvt_f32_f64_e32 v154, v[154:155]
	v_cvt_f32_f64_e32 v152, v[152:153]
	v_min3_f32 v159, v154, v152, v248
	v_add_f64 v[152:153], v[86:87], v[150:151]
	v_add_f64 v[154:155], v[84:85], v[148:149]
	v_add_f64 v[150:151], v[82:83], v[150:151]
	v_add_f64 v[148:149], v[80:81], v[148:149]
	v_cvt_f32_f64_e32 v148, v[148:149]
	v_cvt_f32_f64_e32 v149, v[150:151]
	v_cvt_f32_f64_e32 v152, v[152:153]
	v_min3_f32 v153, v148, v149, v246
	v_add_f64 v[148:149], v[94:95], v[146:147]
	v_add_f64 v[150:151], v[92:93], v[144:145]
	v_cvt_f32_f64_e32 v154, v[154:155]
	;; [unrolled: 20-line block ×7, first 2 shown]
	v_cvt_f32_f64_e32 v130, v[130:131]
	v_cvt_f32_f64_e32 v128, v[128:129]
	v_min3_f32 v132, v134, v132, v227
	v_min3_f32 v134, v130, v128, v225
	v_add_f64 v[128:129], v[90:91], v[126:127]
	v_add_f64 v[130:131], v[88:89], v[124:125]
	v_cvt_f32_f64_e32 v130, v[130:131]
	v_cvt_f32_f64_e32 v128, v[128:129]
	v_min3_f32 v135, v130, v128, v224
	v_add_f64 v[128:129], v[86:87], v[126:127]
	v_add_f64 v[130:131], v[84:85], v[124:125]
	v_add_f64 v[126:127], v[82:83], v[126:127]
	v_add_f64 v[124:125], v[80:81], v[124:125]
	v_cvt_f32_f64_e32 v124, v[124:125]
	v_cvt_f32_f64_e32 v125, v[126:127]
	v_min3_f32 v187, v124, v125, v222
	v_add_f64 v[124:125], v[94:95], v[122:123]
	v_add_f64 v[126:127], v[92:93], v[120:121]
	v_cvt_f32_f64_e32 v126, v[126:127]
	v_cvt_f32_f64_e32 v124, v[124:125]
	v_min3_f32 v188, v126, v124, v221
	v_add_f64 v[124:125], v[90:91], v[122:123]
	v_add_f64 v[126:127], v[88:89], v[120:121]
	v_cvt_f32_f64_e32 v126, v[126:127]
	v_cvt_f32_f64_e32 v124, v[124:125]
	v_min3_f32 v189, v126, v124, v220
	v_add_f64 v[124:125], v[86:87], v[122:123]
	v_add_f64 v[126:127], v[84:85], v[120:121]
	v_add_f64 v[122:123], v[82:83], v[122:123]
	v_add_f64 v[120:121], v[80:81], v[120:121]
	v_cvt_f32_f64_e32 v120, v[120:121]
	v_cvt_f32_f64_e32 v121, v[122:123]
	v_min3_f32 v193, v120, v121, v218
	v_add_f64 v[120:121], v[94:95], v[118:119]
	v_add_f64 v[122:123], v[92:93], v[116:117]
	v_cvt_f32_f64_e32 v122, v[122:123]
	v_cvt_f32_f64_e32 v120, v[120:121]
	;; [unrolled: 17-line block ×6, first 2 shown]
	v_min3_f32 v197, v106, v104, v197
	v_add_f64 v[104:105], v[90:91], v[102:103]
	v_add_f64 v[106:107], v[88:89], v[100:101]
	v_cvt_f32_f64_e32 v106, v[106:107]
	v_cvt_f32_f64_e32 v104, v[104:105]
	v_min3_f32 v196, v106, v104, v196
	v_add_f64 v[104:105], v[86:87], v[102:103]
	v_add_f64 v[106:107], v[84:85], v[100:101]
	;; [unrolled: 1-line block ×8, first 2 shown]
	v_cvt_f32_f64_e32 v84, v[84:85]
	v_cvt_f32_f64_e32 v85, v[86:87]
	v_accvgpr_read_b32 v86, a1
	v_cvt_f32_f64_e32 v80, v[80:81]
	v_cvt_f32_f64_e32 v81, v[82:83]
	v_accvgpr_read_b32 v82, a0
	v_add_f64 v[94:95], v[94:95], v[98:99]
	v_add_f64 v[92:93], v[92:93], v[96:97]
	v_min3_f32 v84, v84, v85, v86
	v_min3_f32 v85, v80, v81, v82
	v_add_f64 v[80:81], v[14:15], v[78:79]
	v_add_f64 v[82:83], v[12:13], v[76:77]
	v_cvt_f32_f64_e32 v92, v[92:93]
	v_cvt_f32_f64_e32 v93, v[94:95]
	;; [unrolled: 1-line block ×4, first 2 shown]
	v_min3_f32 v92, v92, v93, v191
	v_min3_f32 v191, v82, v80, v182
	v_add_f64 v[80:81], v[10:11], v[78:79]
	v_add_f64 v[82:83], v[8:9], v[76:77]
	v_cvt_f32_f64_e32 v100, v[100:101]
	v_cvt_f32_f64_e32 v101, v[102:103]
	v_cvt_f32_f64_e32 v82, v[82:83]
	v_cvt_f32_f64_e32 v80, v[80:81]
	v_min3_f32 v192, v100, v101, v192
	v_min3_f32 v100, v82, v80, v183
	v_add_f64 v[80:81], v[6:7], v[78:79]
	v_add_f64 v[82:83], v[4:5], v[76:77]
	v_add_f64 v[78:79], v[2:3], v[78:79]
	v_add_f64 v[76:77], v[0:1], v[76:77]
	v_cvt_f32_f64_e32 v76, v[76:77]
	v_cvt_f32_f64_e32 v77, v[78:79]
	v_min3_f32 v102, v76, v77, v181
	v_add_f64 v[76:77], v[14:15], v[74:75]
	v_add_f64 v[78:79], v[12:13], v[72:73]
	v_cvt_f32_f64_e32 v78, v[78:79]
	v_cvt_f32_f64_e32 v76, v[76:77]
	v_min3_f32 v103, v78, v76, v184
	v_add_f64 v[76:77], v[10:11], v[74:75]
	v_add_f64 v[78:79], v[8:9], v[72:73]
	v_cvt_f32_f64_e32 v106, v[106:107]
	v_cvt_f32_f64_e32 v104, v[104:105]
	v_cvt_f32_f64_e32 v78, v[78:79]
	v_cvt_f32_f64_e32 v76, v[76:77]
	v_min3_f32 v195, v106, v104, v195
	v_min3_f32 v104, v78, v76, v185
	v_add_f64 v[76:77], v[6:7], v[74:75]
	v_add_f64 v[78:79], v[4:5], v[72:73]
	v_add_f64 v[74:75], v[2:3], v[74:75]
	v_add_f64 v[72:73], v[0:1], v[72:73]
	v_cvt_f32_f64_e32 v72, v[72:73]
	v_cvt_f32_f64_e32 v73, v[74:75]
	v_min3_f32 v106, v72, v73, v157
	v_add_f64 v[72:73], v[14:15], v[70:71]
	v_add_f64 v[74:75], v[12:13], v[68:69]
	v_cvt_f32_f64_e32 v74, v[74:75]
	v_cvt_f32_f64_e32 v72, v[72:73]
	;; [unrolled: 20-line block ×14, first 2 shown]
	v_min3_f32 v155, v26, v24, v197
	v_add_f64 v[24:25], v[10:11], v[22:23]
	v_add_f64 v[26:27], v[8:9], v[20:21]
	;; [unrolled: 1-line block ×4, first 2 shown]
	v_cvt_f32_f64_e32 v78, v[78:79]
	v_cvt_f32_f64_e32 v76, v[76:77]
	;; [unrolled: 1-line block ×6, first 2 shown]
	v_accvgpr_read_b32 v90, a2
	v_min3_f32 v105, v78, v76, v156
	v_min3_f32 v156, v26, v24, v196
	v_add_f64 v[24:25], v[6:7], v[22:23]
	v_add_f64 v[26:27], v[4:5], v[20:21]
	;; [unrolled: 1-line block ×12, first 2 shown]
	v_min3_f32 v88, v88, v89, v90
	v_cvt_f32_f64_e32 v82, v[82:83]
	v_cvt_f32_f64_e32 v80, v[80:81]
	;; [unrolled: 1-line block ×24, first 2 shown]
	v_min3_f32 v101, v82, v80, v180
	v_min3_f32 v133, v50, v48, v186
	;; [unrolled: 1-line block ×7, first 2 shown]
	v_cvt_f32_f64_e32 v26, v[26:27]
	v_cvt_f32_f64_e32 v24, v[24:25]
	v_min3_f32 v158, v20, v21, v192
	v_min3_f32 v159, v12, v13, v92
	;; [unrolled: 1-line block ×5, first 2 shown]
	ds_read_b128 v[16:19], v201 offset:1024
	ds_read_b128 v[12:15], v201 offset:2048
	ds_read_b128 v[8:11], v201 offset:3072
	ds_read_b128 v[92:95], v253 offset:256
	ds_read_b128 v[88:91], v253 offset:512
	ds_read_b128 v[84:87], v253 offset:768
	ds_read_b128 v[80:83], v253 offset:1024
	ds_read_b128 v[76:79], v253 offset:1280
	ds_read_b128 v[72:75], v253 offset:1536
	ds_read_b128 v[68:71], v253 offset:1792
	ds_read_b128 v[64:67], v253 offset:2048
	ds_read_b128 v[60:63], v253 offset:2304
	ds_read_b128 v[56:59], v253 offset:2560
	ds_read_b128 v[52:55], v253 offset:2816
	ds_read_b128 v[48:51], v253 offset:3072
	ds_read_b128 v[44:47], v253 offset:3328
	ds_read_b128 v[96:99], v253
	ds_read_b128 v[32:35], v201
	ds_read_b128 v[40:43], v253 offset:3584
	ds_read_b128 v[20:23], v253 offset:3840
	;; [unrolled: 1-line block ×4, first 2 shown]
	s_waitcnt lgkmcnt(0)
	v_add_f64 v[28:29], v[18:19], v[98:99]
	v_add_f64 v[30:31], v[16:17], v[96:97]
	;; [unrolled: 1-line block ×4, first 2 shown]
	v_min3_f32 v157, v26, v24, v195
	v_add_f64 v[24:25], v[34:35], v[98:99]
	v_add_f64 v[26:27], v[32:33], v[96:97]
	v_cvt_f32_f64_e32 v30, v[30:31]
	v_cvt_f32_f64_e32 v28, v[28:29]
	;; [unrolled: 1-line block ×4, first 2 shown]
	v_add_f64 v[98:99], v[10:11], v[98:99]
	v_add_f64 v[96:97], v[8:9], v[96:97]
	v_min3_f32 v186, v30, v28, v100
	v_min3_f32 v187, v38, v36, v101
	v_cvt_f32_f64_e32 v96, v[96:97]
	v_cvt_f32_f64_e32 v97, v[98:99]
	v_add_f64 v[100:101], v[34:35], v[94:95]
	v_add_f64 v[184:185], v[32:33], v[92:93]
	v_min3_f32 v190, v96, v97, v102
	v_cvt_f32_f64_e32 v102, v[184:185]
	v_cvt_f32_f64_e32 v100, v[100:101]
	v_min3_f32 v184, v102, v100, v103
	v_add_f64 v[100:101], v[18:19], v[94:95]
	v_add_f64 v[102:103], v[16:17], v[92:93]
	v_cvt_f32_f64_e32 v102, v[102:103]
	v_cvt_f32_f64_e32 v100, v[100:101]
	v_min3_f32 v104, v102, v100, v104
	v_add_f64 v[100:101], v[14:15], v[94:95]
	v_add_f64 v[102:103], v[12:13], v[92:93]
	;; [unrolled: 5-line block ×39, first 2 shown]
	v_cvt_f32_f64_e32 v102, v[102:103]
	v_cvt_f32_f64_e32 v100, v[100:101]
	;; [unrolled: 1-line block ×4, first 2 shown]
	v_min3_f32 v155, v102, v100, v155
	v_add_f64 v[100:101], v[18:19], v[42:43]
	v_add_f64 v[102:103], v[16:17], v[40:41]
	v_min3_f32 v183, v26, v24, v191
	ds_read_b128 v[24:27], v201 offset:1040
	ds_read_b128 v[28:31], v201 offset:2064
	v_cvt_f32_f64_e32 v102, v[102:103]
	v_cvt_f32_f64_e32 v100, v[100:101]
	v_add_f64 v[94:95], v[10:11], v[94:95]
	v_add_f64 v[92:93], v[8:9], v[92:93]
	;; [unrolled: 1-line block ×26, first 2 shown]
	v_min3_f32 v156, v102, v100, v156
	v_add_f64 v[100:101], v[14:15], v[42:43]
	v_add_f64 v[102:103], v[12:13], v[40:41]
	;; [unrolled: 1-line block ×8, first 2 shown]
	ds_read_b128 v[36:39], v201 offset:3088
	ds_read_b128 v[96:99], v253 offset:272
	v_cvt_f32_f64_e32 v12, v[12:13]
	v_cvt_f32_f64_e32 v13, v[14:15]
	;; [unrolled: 1-line block ×4, first 2 shown]
	v_min3_f32 v12, v12, v13, v181
	v_min3_f32 v13, v8, v9, v182
	v_add_f64 v[8:9], v[2:3], v[6:7]
	v_add_f64 v[10:11], v[0:1], v[4:5]
	v_cvt_f32_f64_e32 v10, v[10:11]
	v_cvt_f32_f64_e32 v8, v[8:9]
	v_min3_f32 v189, v10, v8, v183
	s_waitcnt lgkmcnt(0)
	v_add_f64 v[8:9], v[26:27], v[6:7]
	v_add_f64 v[10:11], v[24:25], v[4:5]
	v_cvt_f32_f64_e32 v10, v[10:11]
	v_cvt_f32_f64_e32 v8, v[8:9]
	v_min3_f32 v188, v10, v8, v186
	v_add_f64 v[8:9], v[30:31], v[6:7]
	v_add_f64 v[10:11], v[28:29], v[4:5]
	;; [unrolled: 1-line block ×4, first 2 shown]
	v_cvt_f32_f64_e32 v4, v[4:5]
	v_cvt_f32_f64_e32 v5, v[6:7]
	v_min3_f32 v193, v4, v5, v190
	v_add_f64 v[4:5], v[2:3], v[98:99]
	v_add_f64 v[6:7], v[0:1], v[96:97]
	v_cvt_f32_f64_e32 v6, v[6:7]
	v_cvt_f32_f64_e32 v4, v[4:5]
	v_cvt_f32_f64_e32 v92, v[92:93]
	v_cvt_f32_f64_e32 v93, v[94:95]
	v_min3_f32 v194, v6, v4, v184
	v_add_f64 v[4:5], v[26:27], v[98:99]
	v_add_f64 v[6:7], v[24:25], v[96:97]
	v_min3_f32 v106, v92, v93, v106
	ds_read_b128 v[92:95], v253 offset:528
	v_cvt_f32_f64_e32 v6, v[6:7]
	v_cvt_f32_f64_e32 v4, v[4:5]
	v_min3_f32 v252, v6, v4, v104
	v_add_f64 v[4:5], v[30:31], v[98:99]
	v_add_f64 v[6:7], v[28:29], v[96:97]
	v_cvt_f32_f64_e32 v6, v[6:7]
	v_cvt_f32_f64_e32 v4, v[4:5]
	v_min3_f32 v251, v6, v4, v105
	v_add_f64 v[4:5], v[38:39], v[98:99]
	v_add_f64 v[6:7], v[36:37], v[96:97]
	v_cvt_f32_f64_e32 v88, v[88:89]
	v_cvt_f32_f64_e32 v89, v[90:91]
	v_cvt_f32_f64_e32 v6, v[6:7]
	v_cvt_f32_f64_e32 v4, v[4:5]
	v_min3_f32 v110, v88, v89, v110
	ds_read_b128 v[88:91], v253 offset:784
	v_min3_f32 v250, v6, v4, v106
	s_waitcnt lgkmcnt(0)
	v_add_f64 v[4:5], v[2:3], v[94:95]
	v_add_f64 v[6:7], v[0:1], v[92:93]
	v_cvt_f32_f64_e32 v6, v[6:7]
	v_cvt_f32_f64_e32 v4, v[4:5]
	v_min3_f32 v249, v6, v4, v107
	v_add_f64 v[4:5], v[26:27], v[94:95]
	v_add_f64 v[6:7], v[24:25], v[92:93]
	v_cvt_f32_f64_e32 v6, v[6:7]
	v_cvt_f32_f64_e32 v4, v[4:5]
	v_min3_f32 v248, v6, v4, v108
	v_add_f64 v[4:5], v[30:31], v[94:95]
	v_add_f64 v[6:7], v[28:29], v[92:93]
	v_cvt_f32_f64_e32 v6, v[6:7]
	v_cvt_f32_f64_e32 v4, v[4:5]
	v_min3_f32 v247, v6, v4, v109
	v_add_f64 v[4:5], v[38:39], v[94:95]
	v_add_f64 v[6:7], v[36:37], v[92:93]
	v_cvt_f32_f64_e32 v6, v[6:7]
	v_cvt_f32_f64_e32 v4, v[4:5]
	v_min3_f32 v246, v6, v4, v110
	v_add_f64 v[4:5], v[2:3], v[90:91]
	v_add_f64 v[6:7], v[0:1], v[88:89]
	v_cvt_f32_f64_e32 v6, v[6:7]
	v_cvt_f32_f64_e32 v4, v[4:5]
	v_cvt_f32_f64_e32 v84, v[84:85]
	v_cvt_f32_f64_e32 v85, v[86:87]
	v_min3_f32 v245, v6, v4, v111
	v_add_f64 v[4:5], v[26:27], v[90:91]
	v_add_f64 v[6:7], v[24:25], v[88:89]
	v_min3_f32 v114, v84, v85, v114
	ds_read_b128 v[84:87], v253 offset:1040
	v_cvt_f32_f64_e32 v6, v[6:7]
	v_cvt_f32_f64_e32 v4, v[4:5]
	v_min3_f32 v244, v6, v4, v112
	v_add_f64 v[4:5], v[30:31], v[90:91]
	v_add_f64 v[6:7], v[28:29], v[88:89]
	v_cvt_f32_f64_e32 v6, v[6:7]
	v_cvt_f32_f64_e32 v4, v[4:5]
	v_min3_f32 v243, v6, v4, v113
	v_add_f64 v[4:5], v[38:39], v[90:91]
	v_add_f64 v[6:7], v[36:37], v[88:89]
	v_cvt_f32_f64_e32 v80, v[80:81]
	v_cvt_f32_f64_e32 v81, v[82:83]
	v_cvt_f32_f64_e32 v6, v[6:7]
	v_cvt_f32_f64_e32 v4, v[4:5]
	v_min3_f32 v118, v80, v81, v118
	ds_read_b128 v[80:83], v253 offset:1296
	v_min3_f32 v242, v6, v4, v114
	s_waitcnt lgkmcnt(0)
	v_add_f64 v[4:5], v[2:3], v[86:87]
	v_add_f64 v[6:7], v[0:1], v[84:85]
	v_cvt_f32_f64_e32 v6, v[6:7]
	v_cvt_f32_f64_e32 v4, v[4:5]
	v_min3_f32 v241, v6, v4, v115
	v_add_f64 v[4:5], v[26:27], v[86:87]
	v_add_f64 v[6:7], v[24:25], v[84:85]
	v_cvt_f32_f64_e32 v6, v[6:7]
	v_cvt_f32_f64_e32 v4, v[4:5]
	v_min3_f32 v240, v6, v4, v116
	v_add_f64 v[4:5], v[30:31], v[86:87]
	v_add_f64 v[6:7], v[28:29], v[84:85]
	v_cvt_f32_f64_e32 v6, v[6:7]
	v_cvt_f32_f64_e32 v4, v[4:5]
	v_min3_f32 v239, v6, v4, v117
	v_add_f64 v[4:5], v[38:39], v[86:87]
	v_add_f64 v[6:7], v[36:37], v[84:85]
	;; [unrolled: 49-line block ×6, first 2 shown]
	v_cvt_f32_f64_e32 v6, v[6:7]
	v_cvt_f32_f64_e32 v4, v[4:5]
	v_min3_f32 v205, v6, v4, v150
	v_add_f64 v[4:5], v[2:3], v[50:51]
	v_add_f64 v[6:7], v[0:1], v[48:49]
	v_cvt_f32_f64_e32 v6, v[6:7]
	v_cvt_f32_f64_e32 v4, v[4:5]
	;; [unrolled: 1-line block ×6, first 2 shown]
	v_min3_f32 v204, v6, v4, v151
	v_add_f64 v[4:5], v[26:27], v[50:51]
	v_add_f64 v[6:7], v[24:25], v[48:49]
	v_min3_f32 v154, v44, v45, v154
	ds_read_b128 v[44:47], v253 offset:3600
	v_cvt_f32_f64_e32 v100, v[100:101]
	v_min3_f32 v101, v40, v41, v158
	ds_read_b128 v[40:43], v253 offset:3856
	v_cvt_f32_f64_e32 v6, v[6:7]
	v_cvt_f32_f64_e32 v4, v[4:5]
	v_min3_f32 v203, v6, v4, v152
	v_add_f64 v[4:5], v[30:31], v[50:51]
	v_add_f64 v[6:7], v[28:29], v[48:49]
	v_cvt_f32_f64_e32 v6, v[6:7]
	v_cvt_f32_f64_e32 v4, v[4:5]
	v_min3_f32 v200, v6, v4, v153
	v_add_f64 v[4:5], v[38:39], v[50:51]
	v_add_f64 v[6:7], v[36:37], v[48:49]
	;; [unrolled: 1-line block ×4, first 2 shown]
	v_cvt_f32_f64_e32 v6, v[6:7]
	v_cvt_f32_f64_e32 v4, v[4:5]
	;; [unrolled: 1-line block ×4, first 2 shown]
	v_min3_f32 v198, v6, v4, v154
	s_waitcnt lgkmcnt(0)
	v_add_f64 v[4:5], v[2:3], v[46:47]
	v_add_f64 v[6:7], v[0:1], v[44:45]
	v_add_f64 v[2:3], v[2:3], v[42:43]
	v_add_f64 v[0:1], v[0:1], v[40:41]
	v_min3_f32 v32, v32, v33, v159
	v_add_f64 v[18:19], v[18:19], v[22:23]
	v_add_f64 v[16:17], v[16:17], v[20:21]
	v_cvt_f32_f64_e32 v0, v[0:1]
	v_cvt_f32_f64_e32 v1, v[2:3]
	;; [unrolled: 1-line block ×6, first 2 shown]
	v_min3_f32 v191, v0, v1, v32
	v_add_f64 v[0:1], v[26:27], v[42:43]
	v_add_f64 v[2:3], v[24:25], v[40:41]
	v_min3_f32 v16, v16, v17, v180
	v_min3_f32 v197, v6, v4, v155
	v_add_f64 v[4:5], v[26:27], v[46:47]
	v_add_f64 v[6:7], v[24:25], v[44:45]
	v_cvt_f32_f64_e32 v2, v[2:3]
	v_cvt_f32_f64_e32 v0, v[0:1]
	;; [unrolled: 1-line block ×4, first 2 shown]
	v_min3_f32 v182, v2, v0, v16
	v_add_f64 v[0:1], v[30:31], v[42:43]
	v_add_f64 v[2:3], v[28:29], v[40:41]
	v_cvt_f32_f64_e32 v102, v[102:103]
	v_min3_f32 v196, v6, v4, v156
	v_add_f64 v[4:5], v[30:31], v[46:47]
	v_add_f64 v[6:7], v[28:29], v[44:45]
	v_cvt_f32_f64_e32 v2, v[2:3]
	v_cvt_f32_f64_e32 v0, v[0:1]
	v_min3_f32 v100, v102, v100, v157
	v_cvt_f32_f64_e32 v6, v[6:7]
	v_cvt_f32_f64_e32 v4, v[4:5]
	v_min3_f32 v181, v2, v0, v12
	v_add_f64 v[0:1], v[38:39], v[42:43]
	v_add_f64 v[2:3], v[36:37], v[40:41]
	v_min3_f32 v195, v6, v4, v100
	v_add_f64 v[4:5], v[38:39], v[46:47]
	v_add_f64 v[6:7], v[36:37], v[44:45]
	v_cvt_f32_f64_e32 v2, v[2:3]
	v_cvt_f32_f64_e32 v0, v[0:1]
	;; [unrolled: 1-line block ×6, first 2 shown]
	v_min3_f32 v180, v2, v0, v13
	v_add_u32_e32 v0, 0x1000, v207
	s_add_i32 s19, s19, 8
	v_min3_f32 v202, v10, v8, v187
	v_min3_f32 v192, v6, v4, v101
	s_waitcnt vmcnt(0)
	ds_write2st64_b64 v0, v[172:173], v[174:175] offset1:4
	v_add_u32_e32 v0, 0x3000, v207
	v_lshl_add_u64 v[162:163], v[162:163], 0, 64
	v_lshl_add_u64 v[164:165], v[164:165], 0, 64
	;; [unrolled: 1-line block ×3, first 2 shown]
	s_cmp_ge_i32 s19, s26
	v_lshl_add_u64 v[168:169], v[168:169], 0, 64
	ds_write2st64_b64 v0, v[176:177], v[178:179] offset1:4
	s_waitcnt lgkmcnt(0)
	s_barrier
	s_cbranch_scc1 .LBB115_45
; %bb.43:                               ;   in Loop: Header=BB115_26 Depth=1
	v_accvgpr_write_b32 a2, v182
	v_accvgpr_write_b32 a1, v181
	;; [unrolled: 1-line block ×3, first 2 shown]
	s_branch .LBB115_26
.LBB115_44:
	v_accvgpr_write_b32 a4, v177
	v_accvgpr_write_b32 a3, v176
.LBB115_45:
	s_load_dwordx2 s[2:3], s[0:1], 0x78
	s_load_dword s23, s[0:1], 0x58
	s_load_dword s22, s[0:1], 0x70
	ds_read_b128 v[36:39], v201 offset:4096
	ds_read_b128 v[32:35], v201 offset:4112
	;; [unrolled: 1-line block ×38, first 2 shown]
	v_accvgpr_read_b32 v8, a3
	s_waitcnt lgkmcnt(0)
	s_lshl_b64 s[0:1], s[2:3], 3
	v_add_u32_e32 v160, s28, v8
	v_accvgpr_read_b32 v8, a4
	s_add_u32 s18, s10, s0
	v_add_u32_e32 v172, s29, v8
	s_addc_u32 s19, s11, s1
	v_mad_i64_i32 v[8:9], s[0:1], v172, s23, 0
	v_lshl_add_u64 v[170:171], v[8:9], 3, s[20:21]
	ds_read_b128 v[16:19], v199 offset:16128
	ds_read_b128 v[8:11], v199 offset:16144
	v_mad_i64_i32 v[162:163], s[0:1], v172, s22, 0
	v_cmp_gt_i32_e64 s[2:3], s16, v160
	v_cmp_gt_i32_e64 s[10:11], s17, v172
	v_lshl_add_u64 v[168:169], v[162:163], 3, s[18:19]
	v_cndmask_b32_e64 v162, 0, 1, s[12:13]
	v_ashrrev_i32_e32 v161, 31, v160
	s_and_b64 s[6:7], s[2:3], s[10:11]
	v_cmp_ne_u32_e64 s[0:1], 1, v162
	s_and_saveexec_b64 s[4:5], s[6:7]
	s_cbranch_execz .LBB115_50
; %bb.46:
	s_and_b64 vcc, exec, s[0:1]
	s_cbranch_vccnz .LBB115_48
; %bb.47:
	v_lshl_add_u64 v[162:163], v[160:161], 3, v[170:171]
	flat_load_dwordx2 v[162:163], v[162:163]
	s_waitcnt vmcnt(0) lgkmcnt(0)
	v_mul_f64 v[162:163], s[14:15], v[162:163]
	v_cvt_f32_f64_e32 v162, v[162:163]
	s_branch .LBB115_49
.LBB115_48:
	v_mov_b32_e32 v162, 0
.LBB115_49:
	v_add_f64 v[164:165], v[38:39], v[158:159]
	v_add_f64 v[166:167], v[36:37], v[156:157]
	v_cvt_f32_f64_e32 v163, v[166:167]
	v_cvt_f32_f64_e32 v164, v[164:165]
	v_min3_f32 v163, v163, v164, v189
	v_add_f64 v[164:165], v[34:35], v[154:155]
	v_add_f64 v[166:167], v[32:33], v[152:153]
	v_cvt_f32_f64_e32 v166, v[166:167]
	v_cvt_f32_f64_e32 v164, v[164:165]
	v_min_f32_e32 v164, v166, v164
	v_min3_f32 v162, v162, v164, v163
	v_cvt_f64_f32_e32 v[162:163], v162
	v_lshl_add_u64 v[164:165], v[160:161], 3, v[168:169]
	flat_store_dwordx2 v[164:165], v[162:163]
.LBB115_50:
	s_or_b64 exec, exec, s[4:5]
	v_add_u32_e32 v162, 32, v160
	v_cmp_gt_i32_e64 s[4:5], s16, v162
	v_ashrrev_i32_e32 v163, 31, v162
	s_and_b64 s[8:9], s[4:5], s[10:11]
	s_and_saveexec_b64 s[6:7], s[8:9]
	s_cbranch_execz .LBB115_55
; %bb.51:
	s_and_b64 vcc, exec, s[0:1]
	s_cbranch_vccnz .LBB115_53
; %bb.52:
	v_lshl_add_u64 v[164:165], v[162:163], 3, v[170:171]
	flat_load_dwordx2 v[164:165], v[164:165]
	s_waitcnt vmcnt(0) lgkmcnt(0)
	v_mul_f64 v[164:165], s[14:15], v[164:165]
	v_cvt_f32_f64_e32 v164, v[164:165]
	s_branch .LBB115_54
.LBB115_53:
	v_mov_b32_e32 v164, 0
.LBB115_54:
	v_add_f64 v[166:167], v[26:27], v[158:159]
	v_add_f64 v[174:175], v[24:25], v[156:157]
	v_cvt_f32_f64_e32 v165, v[174:175]
	v_cvt_f32_f64_e32 v166, v[166:167]
	v_min3_f32 v165, v165, v166, v188
	v_add_f64 v[166:167], v[30:31], v[154:155]
	v_add_f64 v[174:175], v[28:29], v[152:153]
	v_cvt_f32_f64_e32 v173, v[174:175]
	v_cvt_f32_f64_e32 v166, v[166:167]
	v_min_f32_e32 v166, v173, v166
	v_min3_f32 v164, v164, v166, v165
	v_cvt_f64_f32_e32 v[164:165], v164
	v_lshl_add_u64 v[166:167], v[162:163], 3, v[168:169]
	flat_store_dwordx2 v[166:167], v[164:165]
.LBB115_55:
	s_or_b64 exec, exec, s[6:7]
	v_add_u32_e32 v164, 64, v160
	v_cmp_gt_i32_e64 s[6:7], s16, v164
	v_ashrrev_i32_e32 v165, 31, v164
	s_and_b64 s[12:13], s[6:7], s[10:11]
	s_and_saveexec_b64 s[8:9], s[12:13]
	s_cbranch_execz .LBB115_60
; %bb.56:
	s_and_b64 vcc, exec, s[0:1]
	s_cbranch_vccnz .LBB115_58
; %bb.57:
	v_lshl_add_u64 v[166:167], v[164:165], 3, v[170:171]
	flat_load_dwordx2 v[166:167], v[166:167]
	s_waitcnt vmcnt(0) lgkmcnt(0)
	v_mul_f64 v[166:167], s[14:15], v[166:167]
	v_cvt_f32_f64_e32 v166, v[166:167]
	s_branch .LBB115_59
.LBB115_58:
	v_mov_b32_e32 v166, 0
.LBB115_59:
	v_add_f64 v[174:175], v[22:23], v[158:159]
	v_add_f64 v[176:177], v[20:21], v[156:157]
	v_cvt_f32_f64_e32 v167, v[176:177]
	v_cvt_f32_f64_e32 v173, v[174:175]
	v_add_f64 v[174:175], v[14:15], v[154:155]
	v_add_f64 v[176:177], v[12:13], v[152:153]
	v_min3_f32 v167, v167, v173, v202
	v_cvt_f32_f64_e32 v173, v[176:177]
	v_cvt_f32_f64_e32 v174, v[174:175]
	v_min_f32_e32 v173, v173, v174
	v_min3_f32 v166, v166, v173, v167
	v_cvt_f64_f32_e32 v[166:167], v166
	v_lshl_add_u64 v[174:175], v[164:165], 3, v[168:169]
	flat_store_dwordx2 v[174:175], v[166:167]
.LBB115_60:
	s_or_b64 exec, exec, s[8:9]
	v_add_u32_e32 v166, 0x60, v160
	v_cmp_gt_i32_e64 s[8:9], s16, v166
	v_ashrrev_i32_e32 v167, 31, v166
	s_and_b64 s[12:13], s[8:9], s[10:11]
	s_and_saveexec_b64 s[10:11], s[12:13]
	s_cbranch_execz .LBB115_65
; %bb.61:
	s_and_b64 vcc, exec, s[0:1]
	s_cbranch_vccnz .LBB115_63
; %bb.62:
	v_lshl_add_u64 v[170:171], v[166:167], 3, v[170:171]
	flat_load_dwordx2 v[170:171], v[170:171]
	s_waitcnt vmcnt(0) lgkmcnt(0)
	v_mul_f64 v[170:171], s[14:15], v[170:171]
	v_cvt_f32_f64_e32 v170, v[170:171]
	s_branch .LBB115_64
.LBB115_63:
	v_mov_b32_e32 v170, 0
.LBB115_64:
	v_add_f64 v[158:159], v[6:7], v[158:159]
	v_add_f64 v[156:157], v[4:5], v[156:157]
	;; [unrolled: 1-line block ×4, first 2 shown]
	v_cvt_f32_f64_e32 v156, v[156:157]
	v_cvt_f32_f64_e32 v157, v[158:159]
	;; [unrolled: 1-line block ×4, first 2 shown]
	v_min3_f32 v156, v156, v157, v193
	v_min_f32_e32 v152, v152, v153
	v_min3_f32 v152, v170, v152, v156
	v_cvt_f64_f32_e32 v[152:153], v152
	v_lshl_add_u64 v[154:155], v[166:167], 3, v[168:169]
	flat_store_dwordx2 v[154:155], v[152:153]
.LBB115_65:
	s_or_b64 exec, exec, s[10:11]
	v_add_u32_e32 v156, 8, v172
	v_mad_i64_i32 v[152:153], s[12:13], v156, s23, 0
	v_cmp_gt_i32_e64 s[10:11], s17, v156
	v_lshl_add_u64 v[154:155], v[152:153], 3, s[20:21]
	v_mad_i64_i32 v[152:153], s[12:13], v156, s22, 0
	v_lshl_add_u64 v[152:153], v[152:153], 3, s[18:19]
	s_and_b64 s[24:25], s[2:3], s[10:11]
	s_and_saveexec_b64 s[12:13], s[24:25]
	s_cbranch_execnz .LBB115_69
; %bb.66:
	s_or_b64 exec, exec, s[12:13]
	s_and_b64 s[24:25], s[4:5], s[10:11]
	s_and_saveexec_b64 s[12:13], s[24:25]
	s_cbranch_execnz .LBB115_73
.LBB115_67:
	s_or_b64 exec, exec, s[12:13]
	s_and_b64 s[24:25], s[6:7], s[10:11]
	s_and_saveexec_b64 s[12:13], s[24:25]
	s_cbranch_execnz .LBB115_77
.LBB115_68:
	s_or_b64 exec, exec, s[12:13]
	s_and_b64 s[12:13], s[8:9], s[10:11]
	s_and_saveexec_b64 s[10:11], s[12:13]
	s_cbranch_execnz .LBB115_81
	s_branch .LBB115_85
.LBB115_69:
	s_and_b64 vcc, exec, s[0:1]
	s_cbranch_vccnz .LBB115_71
; %bb.70:
	v_lshl_add_u64 v[156:157], v[160:161], 3, v[154:155]
	flat_load_dwordx2 v[156:157], v[156:157]
	s_waitcnt vmcnt(0) lgkmcnt(0)
	v_mul_f64 v[156:157], s[14:15], v[156:157]
	v_cvt_f32_f64_e32 v156, v[156:157]
	s_branch .LBB115_72
.LBB115_71:
	v_mov_b32_e32 v156, 0
.LBB115_72:
	v_add_f64 v[158:159], v[38:39], v[150:151]
	v_add_f64 v[168:169], v[36:37], v[148:149]
	v_cvt_f32_f64_e32 v157, v[168:169]
	v_cvt_f32_f64_e32 v158, v[158:159]
	v_min3_f32 v157, v157, v158, v194
	v_add_f64 v[158:159], v[34:35], v[146:147]
	v_add_f64 v[168:169], v[32:33], v[144:145]
	v_cvt_f32_f64_e32 v168, v[168:169]
	v_cvt_f32_f64_e32 v158, v[158:159]
	v_min_f32_e32 v158, v168, v158
	v_min3_f32 v156, v156, v158, v157
	v_cvt_f64_f32_e32 v[156:157], v156
	v_lshl_add_u64 v[158:159], v[160:161], 3, v[152:153]
	flat_store_dwordx2 v[158:159], v[156:157]
	s_or_b64 exec, exec, s[12:13]
	s_and_b64 s[24:25], s[4:5], s[10:11]
	s_and_saveexec_b64 s[12:13], s[24:25]
	s_cbranch_execz .LBB115_67
.LBB115_73:
	s_and_b64 vcc, exec, s[0:1]
	s_cbranch_vccnz .LBB115_75
; %bb.74:
	v_lshl_add_u64 v[156:157], v[162:163], 3, v[154:155]
	flat_load_dwordx2 v[156:157], v[156:157]
	s_waitcnt vmcnt(0) lgkmcnt(0)
	v_mul_f64 v[156:157], s[14:15], v[156:157]
	v_cvt_f32_f64_e32 v156, v[156:157]
	s_branch .LBB115_76
.LBB115_75:
	v_mov_b32_e32 v156, 0
.LBB115_76:
	v_add_f64 v[158:159], v[26:27], v[150:151]
	v_add_f64 v[168:169], v[24:25], v[148:149]
	v_cvt_f32_f64_e32 v157, v[168:169]
	v_cvt_f32_f64_e32 v158, v[158:159]
	v_min3_f32 v157, v157, v158, v252
	v_add_f64 v[158:159], v[30:31], v[146:147]
	v_add_f64 v[168:169], v[28:29], v[144:145]
	v_cvt_f32_f64_e32 v168, v[168:169]
	v_cvt_f32_f64_e32 v158, v[158:159]
	v_min_f32_e32 v158, v168, v158
	v_min3_f32 v156, v156, v158, v157
	v_cvt_f64_f32_e32 v[156:157], v156
	v_lshl_add_u64 v[158:159], v[162:163], 3, v[152:153]
	flat_store_dwordx2 v[158:159], v[156:157]
	s_or_b64 exec, exec, s[12:13]
	s_and_b64 s[24:25], s[6:7], s[10:11]
	s_and_saveexec_b64 s[12:13], s[24:25]
	s_cbranch_execz .LBB115_68
.LBB115_77:
	s_and_b64 vcc, exec, s[0:1]
	s_cbranch_vccnz .LBB115_79
; %bb.78:
	v_lshl_add_u64 v[156:157], v[164:165], 3, v[154:155]
	flat_load_dwordx2 v[156:157], v[156:157]
	s_waitcnt vmcnt(0) lgkmcnt(0)
	v_mul_f64 v[156:157], s[14:15], v[156:157]
	v_cvt_f32_f64_e32 v156, v[156:157]
	s_branch .LBB115_80
.LBB115_79:
	v_mov_b32_e32 v156, 0
.LBB115_80:
	v_add_f64 v[158:159], v[22:23], v[150:151]
	v_add_f64 v[168:169], v[20:21], v[148:149]
	v_cvt_f32_f64_e32 v157, v[168:169]
	v_cvt_f32_f64_e32 v158, v[158:159]
	v_min3_f32 v157, v157, v158, v251
	v_add_f64 v[158:159], v[14:15], v[146:147]
	v_add_f64 v[168:169], v[12:13], v[144:145]
	v_cvt_f32_f64_e32 v168, v[168:169]
	v_cvt_f32_f64_e32 v158, v[158:159]
	v_min_f32_e32 v158, v168, v158
	v_min3_f32 v156, v156, v158, v157
	v_cvt_f64_f32_e32 v[156:157], v156
	v_lshl_add_u64 v[158:159], v[164:165], 3, v[152:153]
	flat_store_dwordx2 v[158:159], v[156:157]
	s_or_b64 exec, exec, s[12:13]
	s_and_b64 s[12:13], s[8:9], s[10:11]
	s_and_saveexec_b64 s[10:11], s[12:13]
	s_cbranch_execz .LBB115_85
.LBB115_81:
	s_and_b64 vcc, exec, s[0:1]
	s_cbranch_vccnz .LBB115_83
; %bb.82:
	v_lshl_add_u64 v[154:155], v[166:167], 3, v[154:155]
	flat_load_dwordx2 v[154:155], v[154:155]
	s_waitcnt vmcnt(0) lgkmcnt(0)
	v_mul_f64 v[154:155], s[14:15], v[154:155]
	v_cvt_f32_f64_e32 v154, v[154:155]
	s_branch .LBB115_84
.LBB115_83:
	v_mov_b32_e32 v154, 0
.LBB115_84:
	v_add_f64 v[150:151], v[6:7], v[150:151]
	v_add_f64 v[148:149], v[4:5], v[148:149]
	;; [unrolled: 1-line block ×4, first 2 shown]
	v_cvt_f32_f64_e32 v148, v[148:149]
	v_cvt_f32_f64_e32 v149, v[150:151]
	;; [unrolled: 1-line block ×4, first 2 shown]
	v_min3_f32 v148, v148, v149, v250
	v_min_f32_e32 v144, v144, v145
	v_min3_f32 v144, v154, v144, v148
	v_cvt_f64_f32_e32 v[144:145], v144
	v_lshl_add_u64 v[146:147], v[166:167], 3, v[152:153]
	flat_store_dwordx2 v[146:147], v[144:145]
.LBB115_85:
	s_or_b64 exec, exec, s[10:11]
	v_add_u32_e32 v148, 16, v172
	v_mad_i64_i32 v[144:145], s[12:13], v148, s23, 0
	v_cmp_gt_i32_e64 s[10:11], s17, v148
	v_lshl_add_u64 v[146:147], v[144:145], 3, s[20:21]
	v_mad_i64_i32 v[144:145], s[12:13], v148, s22, 0
	v_lshl_add_u64 v[144:145], v[144:145], 3, s[18:19]
	s_and_b64 s[24:25], s[2:3], s[10:11]
	s_and_saveexec_b64 s[12:13], s[24:25]
	s_cbranch_execnz .LBB115_89
; %bb.86:
	s_or_b64 exec, exec, s[12:13]
	s_and_b64 s[24:25], s[4:5], s[10:11]
	s_and_saveexec_b64 s[12:13], s[24:25]
	s_cbranch_execnz .LBB115_93
.LBB115_87:
	s_or_b64 exec, exec, s[12:13]
	s_and_b64 s[24:25], s[6:7], s[10:11]
	s_and_saveexec_b64 s[12:13], s[24:25]
	s_cbranch_execnz .LBB115_97
.LBB115_88:
	s_or_b64 exec, exec, s[12:13]
	s_and_b64 s[12:13], s[8:9], s[10:11]
	s_and_saveexec_b64 s[10:11], s[12:13]
	s_cbranch_execnz .LBB115_101
	s_branch .LBB115_105
.LBB115_89:
	s_and_b64 vcc, exec, s[0:1]
	s_cbranch_vccnz .LBB115_91
; %bb.90:
	v_lshl_add_u64 v[148:149], v[160:161], 3, v[146:147]
	flat_load_dwordx2 v[148:149], v[148:149]
	s_waitcnt vmcnt(0) lgkmcnt(0)
	v_mul_f64 v[148:149], s[14:15], v[148:149]
	v_cvt_f32_f64_e32 v148, v[148:149]
	s_branch .LBB115_92
.LBB115_91:
	v_mov_b32_e32 v148, 0
.LBB115_92:
	v_add_f64 v[150:151], v[38:39], v[142:143]
	v_add_f64 v[152:153], v[36:37], v[140:141]
	v_cvt_f32_f64_e32 v149, v[152:153]
	v_cvt_f32_f64_e32 v150, v[150:151]
	v_min3_f32 v149, v149, v150, v249
	v_add_f64 v[150:151], v[34:35], v[138:139]
	v_add_f64 v[152:153], v[32:33], v[136:137]
	v_cvt_f32_f64_e32 v152, v[152:153]
	v_cvt_f32_f64_e32 v150, v[150:151]
	v_min_f32_e32 v150, v152, v150
	v_min3_f32 v148, v148, v150, v149
	v_cvt_f64_f32_e32 v[148:149], v148
	v_lshl_add_u64 v[150:151], v[160:161], 3, v[144:145]
	flat_store_dwordx2 v[150:151], v[148:149]
	s_or_b64 exec, exec, s[12:13]
	s_and_b64 s[24:25], s[4:5], s[10:11]
	s_and_saveexec_b64 s[12:13], s[24:25]
	s_cbranch_execz .LBB115_87
.LBB115_93:
	s_and_b64 vcc, exec, s[0:1]
	s_cbranch_vccnz .LBB115_95
; %bb.94:
	v_lshl_add_u64 v[148:149], v[162:163], 3, v[146:147]
	flat_load_dwordx2 v[148:149], v[148:149]
	s_waitcnt vmcnt(0) lgkmcnt(0)
	v_mul_f64 v[148:149], s[14:15], v[148:149]
	v_cvt_f32_f64_e32 v148, v[148:149]
	s_branch .LBB115_96
.LBB115_95:
	v_mov_b32_e32 v148, 0
.LBB115_96:
	v_add_f64 v[150:151], v[26:27], v[142:143]
	v_add_f64 v[152:153], v[24:25], v[140:141]
	v_cvt_f32_f64_e32 v149, v[152:153]
	v_cvt_f32_f64_e32 v150, v[150:151]
	v_min3_f32 v149, v149, v150, v248
	v_add_f64 v[150:151], v[30:31], v[138:139]
	v_add_f64 v[152:153], v[28:29], v[136:137]
	v_cvt_f32_f64_e32 v152, v[152:153]
	v_cvt_f32_f64_e32 v150, v[150:151]
	v_min_f32_e32 v150, v152, v150
	v_min3_f32 v148, v148, v150, v149
	v_cvt_f64_f32_e32 v[148:149], v148
	v_lshl_add_u64 v[150:151], v[162:163], 3, v[144:145]
	flat_store_dwordx2 v[150:151], v[148:149]
	s_or_b64 exec, exec, s[12:13]
	s_and_b64 s[24:25], s[6:7], s[10:11]
	s_and_saveexec_b64 s[12:13], s[24:25]
	s_cbranch_execz .LBB115_88
.LBB115_97:
	s_and_b64 vcc, exec, s[0:1]
	s_cbranch_vccnz .LBB115_99
; %bb.98:
	v_lshl_add_u64 v[148:149], v[164:165], 3, v[146:147]
	flat_load_dwordx2 v[148:149], v[148:149]
	s_waitcnt vmcnt(0) lgkmcnt(0)
	v_mul_f64 v[148:149], s[14:15], v[148:149]
	v_cvt_f32_f64_e32 v148, v[148:149]
	s_branch .LBB115_100
.LBB115_99:
	v_mov_b32_e32 v148, 0
.LBB115_100:
	v_add_f64 v[150:151], v[22:23], v[142:143]
	v_add_f64 v[152:153], v[20:21], v[140:141]
	v_cvt_f32_f64_e32 v149, v[152:153]
	v_cvt_f32_f64_e32 v150, v[150:151]
	v_min3_f32 v149, v149, v150, v247
	v_add_f64 v[150:151], v[14:15], v[138:139]
	v_add_f64 v[152:153], v[12:13], v[136:137]
	v_cvt_f32_f64_e32 v152, v[152:153]
	v_cvt_f32_f64_e32 v150, v[150:151]
	v_min_f32_e32 v150, v152, v150
	v_min3_f32 v148, v148, v150, v149
	v_cvt_f64_f32_e32 v[148:149], v148
	v_lshl_add_u64 v[150:151], v[164:165], 3, v[144:145]
	flat_store_dwordx2 v[150:151], v[148:149]
	s_or_b64 exec, exec, s[12:13]
	s_and_b64 s[12:13], s[8:9], s[10:11]
	s_and_saveexec_b64 s[10:11], s[12:13]
	s_cbranch_execz .LBB115_105
.LBB115_101:
	s_and_b64 vcc, exec, s[0:1]
	s_cbranch_vccnz .LBB115_103
; %bb.102:
	v_lshl_add_u64 v[146:147], v[166:167], 3, v[146:147]
	flat_load_dwordx2 v[146:147], v[146:147]
	s_waitcnt vmcnt(0) lgkmcnt(0)
	v_mul_f64 v[146:147], s[14:15], v[146:147]
	v_cvt_f32_f64_e32 v146, v[146:147]
	s_branch .LBB115_104
.LBB115_103:
	v_mov_b32_e32 v146, 0
.LBB115_104:
	v_add_f64 v[142:143], v[6:7], v[142:143]
	v_add_f64 v[140:141], v[4:5], v[140:141]
	;; [unrolled: 1-line block ×4, first 2 shown]
	v_cvt_f32_f64_e32 v140, v[140:141]
	v_cvt_f32_f64_e32 v141, v[142:143]
	;; [unrolled: 1-line block ×4, first 2 shown]
	v_min3_f32 v140, v140, v141, v246
	v_min_f32_e32 v136, v136, v137
	v_min3_f32 v136, v146, v136, v140
	v_cvt_f64_f32_e32 v[136:137], v136
	v_lshl_add_u64 v[138:139], v[166:167], 3, v[144:145]
	flat_store_dwordx2 v[138:139], v[136:137]
.LBB115_105:
	s_or_b64 exec, exec, s[10:11]
	v_add_u32_e32 v140, 24, v172
	v_mad_i64_i32 v[136:137], s[12:13], v140, s23, 0
	v_cmp_gt_i32_e64 s[10:11], s17, v140
	v_lshl_add_u64 v[138:139], v[136:137], 3, s[20:21]
	v_mad_i64_i32 v[136:137], s[12:13], v140, s22, 0
	v_lshl_add_u64 v[136:137], v[136:137], 3, s[18:19]
	s_and_b64 s[24:25], s[2:3], s[10:11]
	s_and_saveexec_b64 s[12:13], s[24:25]
	s_cbranch_execnz .LBB115_109
; %bb.106:
	s_or_b64 exec, exec, s[12:13]
	s_and_b64 s[24:25], s[4:5], s[10:11]
	s_and_saveexec_b64 s[12:13], s[24:25]
	s_cbranch_execnz .LBB115_113
.LBB115_107:
	s_or_b64 exec, exec, s[12:13]
	s_and_b64 s[24:25], s[6:7], s[10:11]
	s_and_saveexec_b64 s[12:13], s[24:25]
	s_cbranch_execnz .LBB115_117
.LBB115_108:
	s_or_b64 exec, exec, s[12:13]
	s_and_b64 s[12:13], s[8:9], s[10:11]
	s_and_saveexec_b64 s[10:11], s[12:13]
	s_cbranch_execnz .LBB115_121
	s_branch .LBB115_125
.LBB115_109:
	s_and_b64 vcc, exec, s[0:1]
	s_cbranch_vccnz .LBB115_111
; %bb.110:
	v_lshl_add_u64 v[140:141], v[160:161], 3, v[138:139]
	flat_load_dwordx2 v[140:141], v[140:141]
	s_waitcnt vmcnt(0) lgkmcnt(0)
	v_mul_f64 v[140:141], s[14:15], v[140:141]
	v_cvt_f32_f64_e32 v140, v[140:141]
	s_branch .LBB115_112
.LBB115_111:
	v_mov_b32_e32 v140, 0
.LBB115_112:
	v_add_f64 v[142:143], v[38:39], v[134:135]
	v_add_f64 v[144:145], v[36:37], v[132:133]
	v_cvt_f32_f64_e32 v141, v[144:145]
	v_cvt_f32_f64_e32 v142, v[142:143]
	v_min3_f32 v141, v141, v142, v245
	v_add_f64 v[142:143], v[34:35], v[130:131]
	v_add_f64 v[144:145], v[32:33], v[128:129]
	v_cvt_f32_f64_e32 v144, v[144:145]
	v_cvt_f32_f64_e32 v142, v[142:143]
	v_min_f32_e32 v142, v144, v142
	v_min3_f32 v140, v140, v142, v141
	v_cvt_f64_f32_e32 v[140:141], v140
	v_lshl_add_u64 v[142:143], v[160:161], 3, v[136:137]
	flat_store_dwordx2 v[142:143], v[140:141]
	s_or_b64 exec, exec, s[12:13]
	s_and_b64 s[24:25], s[4:5], s[10:11]
	s_and_saveexec_b64 s[12:13], s[24:25]
	s_cbranch_execz .LBB115_107
.LBB115_113:
	s_and_b64 vcc, exec, s[0:1]
	s_cbranch_vccnz .LBB115_115
; %bb.114:
	v_lshl_add_u64 v[140:141], v[162:163], 3, v[138:139]
	flat_load_dwordx2 v[140:141], v[140:141]
	s_waitcnt vmcnt(0) lgkmcnt(0)
	v_mul_f64 v[140:141], s[14:15], v[140:141]
	v_cvt_f32_f64_e32 v140, v[140:141]
	s_branch .LBB115_116
.LBB115_115:
	v_mov_b32_e32 v140, 0
.LBB115_116:
	v_add_f64 v[142:143], v[26:27], v[134:135]
	v_add_f64 v[144:145], v[24:25], v[132:133]
	v_cvt_f32_f64_e32 v141, v[144:145]
	v_cvt_f32_f64_e32 v142, v[142:143]
	v_min3_f32 v141, v141, v142, v244
	v_add_f64 v[142:143], v[30:31], v[130:131]
	v_add_f64 v[144:145], v[28:29], v[128:129]
	v_cvt_f32_f64_e32 v144, v[144:145]
	v_cvt_f32_f64_e32 v142, v[142:143]
	v_min_f32_e32 v142, v144, v142
	v_min3_f32 v140, v140, v142, v141
	v_cvt_f64_f32_e32 v[140:141], v140
	v_lshl_add_u64 v[142:143], v[162:163], 3, v[136:137]
	flat_store_dwordx2 v[142:143], v[140:141]
	s_or_b64 exec, exec, s[12:13]
	s_and_b64 s[24:25], s[6:7], s[10:11]
	s_and_saveexec_b64 s[12:13], s[24:25]
	s_cbranch_execz .LBB115_108
.LBB115_117:
	s_and_b64 vcc, exec, s[0:1]
	s_cbranch_vccnz .LBB115_119
; %bb.118:
	v_lshl_add_u64 v[140:141], v[164:165], 3, v[138:139]
	flat_load_dwordx2 v[140:141], v[140:141]
	s_waitcnt vmcnt(0) lgkmcnt(0)
	v_mul_f64 v[140:141], s[14:15], v[140:141]
	v_cvt_f32_f64_e32 v140, v[140:141]
	s_branch .LBB115_120
.LBB115_119:
	v_mov_b32_e32 v140, 0
.LBB115_120:
	v_add_f64 v[142:143], v[22:23], v[134:135]
	v_add_f64 v[144:145], v[20:21], v[132:133]
	v_cvt_f32_f64_e32 v141, v[144:145]
	v_cvt_f32_f64_e32 v142, v[142:143]
	v_min3_f32 v141, v141, v142, v243
	v_add_f64 v[142:143], v[14:15], v[130:131]
	v_add_f64 v[144:145], v[12:13], v[128:129]
	v_cvt_f32_f64_e32 v144, v[144:145]
	v_cvt_f32_f64_e32 v142, v[142:143]
	v_min_f32_e32 v142, v144, v142
	v_min3_f32 v140, v140, v142, v141
	v_cvt_f64_f32_e32 v[140:141], v140
	v_lshl_add_u64 v[142:143], v[164:165], 3, v[136:137]
	flat_store_dwordx2 v[142:143], v[140:141]
	s_or_b64 exec, exec, s[12:13]
	s_and_b64 s[12:13], s[8:9], s[10:11]
	s_and_saveexec_b64 s[10:11], s[12:13]
	s_cbranch_execz .LBB115_125
.LBB115_121:
	s_and_b64 vcc, exec, s[0:1]
	s_cbranch_vccnz .LBB115_123
; %bb.122:
	v_lshl_add_u64 v[138:139], v[166:167], 3, v[138:139]
	flat_load_dwordx2 v[138:139], v[138:139]
	s_waitcnt vmcnt(0) lgkmcnt(0)
	v_mul_f64 v[138:139], s[14:15], v[138:139]
	v_cvt_f32_f64_e32 v138, v[138:139]
	s_branch .LBB115_124
.LBB115_123:
	v_mov_b32_e32 v138, 0
.LBB115_124:
	v_add_f64 v[134:135], v[6:7], v[134:135]
	v_add_f64 v[132:133], v[4:5], v[132:133]
	;; [unrolled: 1-line block ×4, first 2 shown]
	v_cvt_f32_f64_e32 v132, v[132:133]
	v_cvt_f32_f64_e32 v133, v[134:135]
	;; [unrolled: 1-line block ×4, first 2 shown]
	v_min3_f32 v132, v132, v133, v242
	v_min_f32_e32 v128, v128, v129
	v_min3_f32 v128, v138, v128, v132
	v_cvt_f64_f32_e32 v[128:129], v128
	v_lshl_add_u64 v[130:131], v[166:167], 3, v[136:137]
	flat_store_dwordx2 v[130:131], v[128:129]
.LBB115_125:
	s_or_b64 exec, exec, s[10:11]
	v_add_u32_e32 v132, 32, v172
	v_mad_i64_i32 v[128:129], s[12:13], v132, s23, 0
	v_cmp_gt_i32_e64 s[10:11], s17, v132
	v_lshl_add_u64 v[130:131], v[128:129], 3, s[20:21]
	v_mad_i64_i32 v[128:129], s[12:13], v132, s22, 0
	v_lshl_add_u64 v[128:129], v[128:129], 3, s[18:19]
	s_and_b64 s[24:25], s[2:3], s[10:11]
	s_and_saveexec_b64 s[12:13], s[24:25]
	s_cbranch_execnz .LBB115_129
; %bb.126:
	s_or_b64 exec, exec, s[12:13]
	s_and_b64 s[24:25], s[4:5], s[10:11]
	s_and_saveexec_b64 s[12:13], s[24:25]
	s_cbranch_execnz .LBB115_133
.LBB115_127:
	s_or_b64 exec, exec, s[12:13]
	s_and_b64 s[24:25], s[6:7], s[10:11]
	s_and_saveexec_b64 s[12:13], s[24:25]
	s_cbranch_execnz .LBB115_137
.LBB115_128:
	s_or_b64 exec, exec, s[12:13]
	s_and_b64 s[12:13], s[8:9], s[10:11]
	s_and_saveexec_b64 s[10:11], s[12:13]
	s_cbranch_execnz .LBB115_141
	s_branch .LBB115_145
.LBB115_129:
	s_and_b64 vcc, exec, s[0:1]
	s_cbranch_vccnz .LBB115_131
; %bb.130:
	v_lshl_add_u64 v[132:133], v[160:161], 3, v[130:131]
	flat_load_dwordx2 v[132:133], v[132:133]
	s_waitcnt vmcnt(0) lgkmcnt(0)
	v_mul_f64 v[132:133], s[14:15], v[132:133]
	v_cvt_f32_f64_e32 v132, v[132:133]
	s_branch .LBB115_132
.LBB115_131:
	v_mov_b32_e32 v132, 0
.LBB115_132:
	v_add_f64 v[134:135], v[38:39], v[126:127]
	v_add_f64 v[136:137], v[36:37], v[124:125]
	v_cvt_f32_f64_e32 v133, v[136:137]
	v_cvt_f32_f64_e32 v134, v[134:135]
	v_min3_f32 v133, v133, v134, v241
	v_add_f64 v[134:135], v[34:35], v[122:123]
	v_add_f64 v[136:137], v[32:33], v[120:121]
	v_cvt_f32_f64_e32 v136, v[136:137]
	v_cvt_f32_f64_e32 v134, v[134:135]
	v_min_f32_e32 v134, v136, v134
	v_min3_f32 v132, v132, v134, v133
	v_cvt_f64_f32_e32 v[132:133], v132
	v_lshl_add_u64 v[134:135], v[160:161], 3, v[128:129]
	flat_store_dwordx2 v[134:135], v[132:133]
	s_or_b64 exec, exec, s[12:13]
	s_and_b64 s[24:25], s[4:5], s[10:11]
	s_and_saveexec_b64 s[12:13], s[24:25]
	s_cbranch_execz .LBB115_127
.LBB115_133:
	s_and_b64 vcc, exec, s[0:1]
	s_cbranch_vccnz .LBB115_135
; %bb.134:
	v_lshl_add_u64 v[132:133], v[162:163], 3, v[130:131]
	flat_load_dwordx2 v[132:133], v[132:133]
	s_waitcnt vmcnt(0) lgkmcnt(0)
	v_mul_f64 v[132:133], s[14:15], v[132:133]
	v_cvt_f32_f64_e32 v132, v[132:133]
	s_branch .LBB115_136
.LBB115_135:
	v_mov_b32_e32 v132, 0
.LBB115_136:
	v_add_f64 v[134:135], v[26:27], v[126:127]
	v_add_f64 v[136:137], v[24:25], v[124:125]
	v_cvt_f32_f64_e32 v133, v[136:137]
	v_cvt_f32_f64_e32 v134, v[134:135]
	v_min3_f32 v133, v133, v134, v240
	v_add_f64 v[134:135], v[30:31], v[122:123]
	v_add_f64 v[136:137], v[28:29], v[120:121]
	v_cvt_f32_f64_e32 v136, v[136:137]
	v_cvt_f32_f64_e32 v134, v[134:135]
	v_min_f32_e32 v134, v136, v134
	v_min3_f32 v132, v132, v134, v133
	v_cvt_f64_f32_e32 v[132:133], v132
	v_lshl_add_u64 v[134:135], v[162:163], 3, v[128:129]
	flat_store_dwordx2 v[134:135], v[132:133]
	s_or_b64 exec, exec, s[12:13]
	s_and_b64 s[24:25], s[6:7], s[10:11]
	s_and_saveexec_b64 s[12:13], s[24:25]
	s_cbranch_execz .LBB115_128
.LBB115_137:
	s_and_b64 vcc, exec, s[0:1]
	s_cbranch_vccnz .LBB115_139
; %bb.138:
	v_lshl_add_u64 v[132:133], v[164:165], 3, v[130:131]
	flat_load_dwordx2 v[132:133], v[132:133]
	s_waitcnt vmcnt(0) lgkmcnt(0)
	v_mul_f64 v[132:133], s[14:15], v[132:133]
	v_cvt_f32_f64_e32 v132, v[132:133]
	s_branch .LBB115_140
.LBB115_139:
	v_mov_b32_e32 v132, 0
.LBB115_140:
	v_add_f64 v[134:135], v[22:23], v[126:127]
	v_add_f64 v[136:137], v[20:21], v[124:125]
	v_cvt_f32_f64_e32 v133, v[136:137]
	v_cvt_f32_f64_e32 v134, v[134:135]
	v_min3_f32 v133, v133, v134, v239
	v_add_f64 v[134:135], v[14:15], v[122:123]
	v_add_f64 v[136:137], v[12:13], v[120:121]
	v_cvt_f32_f64_e32 v136, v[136:137]
	v_cvt_f32_f64_e32 v134, v[134:135]
	v_min_f32_e32 v134, v136, v134
	v_min3_f32 v132, v132, v134, v133
	v_cvt_f64_f32_e32 v[132:133], v132
	v_lshl_add_u64 v[134:135], v[164:165], 3, v[128:129]
	flat_store_dwordx2 v[134:135], v[132:133]
	s_or_b64 exec, exec, s[12:13]
	s_and_b64 s[12:13], s[8:9], s[10:11]
	s_and_saveexec_b64 s[10:11], s[12:13]
	s_cbranch_execz .LBB115_145
.LBB115_141:
	s_and_b64 vcc, exec, s[0:1]
	s_cbranch_vccnz .LBB115_143
; %bb.142:
	v_lshl_add_u64 v[130:131], v[166:167], 3, v[130:131]
	flat_load_dwordx2 v[130:131], v[130:131]
	s_waitcnt vmcnt(0) lgkmcnt(0)
	v_mul_f64 v[130:131], s[14:15], v[130:131]
	v_cvt_f32_f64_e32 v130, v[130:131]
	s_branch .LBB115_144
.LBB115_143:
	v_mov_b32_e32 v130, 0
.LBB115_144:
	v_add_f64 v[126:127], v[6:7], v[126:127]
	v_add_f64 v[124:125], v[4:5], v[124:125]
	;; [unrolled: 1-line block ×4, first 2 shown]
	v_cvt_f32_f64_e32 v124, v[124:125]
	v_cvt_f32_f64_e32 v125, v[126:127]
	;; [unrolled: 1-line block ×4, first 2 shown]
	v_min3_f32 v124, v124, v125, v238
	v_min_f32_e32 v120, v120, v121
	v_min3_f32 v120, v130, v120, v124
	v_cvt_f64_f32_e32 v[120:121], v120
	v_lshl_add_u64 v[122:123], v[166:167], 3, v[128:129]
	flat_store_dwordx2 v[122:123], v[120:121]
.LBB115_145:
	s_or_b64 exec, exec, s[10:11]
	v_add_u32_e32 v124, 40, v172
	v_mad_i64_i32 v[120:121], s[12:13], v124, s23, 0
	v_cmp_gt_i32_e64 s[10:11], s17, v124
	v_lshl_add_u64 v[122:123], v[120:121], 3, s[20:21]
	v_mad_i64_i32 v[120:121], s[12:13], v124, s22, 0
	v_lshl_add_u64 v[120:121], v[120:121], 3, s[18:19]
	s_and_b64 s[24:25], s[2:3], s[10:11]
	s_and_saveexec_b64 s[12:13], s[24:25]
	s_cbranch_execnz .LBB115_149
; %bb.146:
	s_or_b64 exec, exec, s[12:13]
	s_and_b64 s[24:25], s[4:5], s[10:11]
	s_and_saveexec_b64 s[12:13], s[24:25]
	s_cbranch_execnz .LBB115_153
.LBB115_147:
	s_or_b64 exec, exec, s[12:13]
	s_and_b64 s[24:25], s[6:7], s[10:11]
	s_and_saveexec_b64 s[12:13], s[24:25]
	s_cbranch_execnz .LBB115_157
.LBB115_148:
	s_or_b64 exec, exec, s[12:13]
	s_and_b64 s[12:13], s[8:9], s[10:11]
	s_and_saveexec_b64 s[10:11], s[12:13]
	s_cbranch_execnz .LBB115_161
	s_branch .LBB115_165
.LBB115_149:
	s_and_b64 vcc, exec, s[0:1]
	s_cbranch_vccnz .LBB115_151
; %bb.150:
	v_lshl_add_u64 v[124:125], v[160:161], 3, v[122:123]
	flat_load_dwordx2 v[124:125], v[124:125]
	s_waitcnt vmcnt(0) lgkmcnt(0)
	v_mul_f64 v[124:125], s[14:15], v[124:125]
	v_cvt_f32_f64_e32 v124, v[124:125]
	s_branch .LBB115_152
.LBB115_151:
	v_mov_b32_e32 v124, 0
.LBB115_152:
	v_add_f64 v[126:127], v[38:39], v[118:119]
	v_add_f64 v[128:129], v[36:37], v[116:117]
	v_cvt_f32_f64_e32 v125, v[128:129]
	v_cvt_f32_f64_e32 v126, v[126:127]
	v_min3_f32 v125, v125, v126, v237
	v_add_f64 v[126:127], v[34:35], v[114:115]
	v_add_f64 v[128:129], v[32:33], v[112:113]
	v_cvt_f32_f64_e32 v128, v[128:129]
	v_cvt_f32_f64_e32 v126, v[126:127]
	v_min_f32_e32 v126, v128, v126
	v_min3_f32 v124, v124, v126, v125
	v_cvt_f64_f32_e32 v[124:125], v124
	v_lshl_add_u64 v[126:127], v[160:161], 3, v[120:121]
	flat_store_dwordx2 v[126:127], v[124:125]
	s_or_b64 exec, exec, s[12:13]
	s_and_b64 s[24:25], s[4:5], s[10:11]
	s_and_saveexec_b64 s[12:13], s[24:25]
	s_cbranch_execz .LBB115_147
.LBB115_153:
	s_and_b64 vcc, exec, s[0:1]
	s_cbranch_vccnz .LBB115_155
; %bb.154:
	v_lshl_add_u64 v[124:125], v[162:163], 3, v[122:123]
	flat_load_dwordx2 v[124:125], v[124:125]
	s_waitcnt vmcnt(0) lgkmcnt(0)
	v_mul_f64 v[124:125], s[14:15], v[124:125]
	v_cvt_f32_f64_e32 v124, v[124:125]
	s_branch .LBB115_156
.LBB115_155:
	v_mov_b32_e32 v124, 0
.LBB115_156:
	v_add_f64 v[126:127], v[26:27], v[118:119]
	v_add_f64 v[128:129], v[24:25], v[116:117]
	v_cvt_f32_f64_e32 v125, v[128:129]
	v_cvt_f32_f64_e32 v126, v[126:127]
	v_min3_f32 v125, v125, v126, v236
	v_add_f64 v[126:127], v[30:31], v[114:115]
	v_add_f64 v[128:129], v[28:29], v[112:113]
	v_cvt_f32_f64_e32 v128, v[128:129]
	v_cvt_f32_f64_e32 v126, v[126:127]
	v_min_f32_e32 v126, v128, v126
	v_min3_f32 v124, v124, v126, v125
	v_cvt_f64_f32_e32 v[124:125], v124
	v_lshl_add_u64 v[126:127], v[162:163], 3, v[120:121]
	flat_store_dwordx2 v[126:127], v[124:125]
	s_or_b64 exec, exec, s[12:13]
	s_and_b64 s[24:25], s[6:7], s[10:11]
	s_and_saveexec_b64 s[12:13], s[24:25]
	s_cbranch_execz .LBB115_148
.LBB115_157:
	s_and_b64 vcc, exec, s[0:1]
	s_cbranch_vccnz .LBB115_159
; %bb.158:
	v_lshl_add_u64 v[124:125], v[164:165], 3, v[122:123]
	flat_load_dwordx2 v[124:125], v[124:125]
	s_waitcnt vmcnt(0) lgkmcnt(0)
	v_mul_f64 v[124:125], s[14:15], v[124:125]
	v_cvt_f32_f64_e32 v124, v[124:125]
	s_branch .LBB115_160
.LBB115_159:
	v_mov_b32_e32 v124, 0
.LBB115_160:
	v_add_f64 v[126:127], v[22:23], v[118:119]
	v_add_f64 v[128:129], v[20:21], v[116:117]
	v_cvt_f32_f64_e32 v125, v[128:129]
	v_cvt_f32_f64_e32 v126, v[126:127]
	v_min3_f32 v125, v125, v126, v235
	v_add_f64 v[126:127], v[14:15], v[114:115]
	v_add_f64 v[128:129], v[12:13], v[112:113]
	v_cvt_f32_f64_e32 v128, v[128:129]
	v_cvt_f32_f64_e32 v126, v[126:127]
	v_min_f32_e32 v126, v128, v126
	v_min3_f32 v124, v124, v126, v125
	v_cvt_f64_f32_e32 v[124:125], v124
	v_lshl_add_u64 v[126:127], v[164:165], 3, v[120:121]
	flat_store_dwordx2 v[126:127], v[124:125]
	s_or_b64 exec, exec, s[12:13]
	s_and_b64 s[12:13], s[8:9], s[10:11]
	s_and_saveexec_b64 s[10:11], s[12:13]
	s_cbranch_execz .LBB115_165
.LBB115_161:
	s_and_b64 vcc, exec, s[0:1]
	s_cbranch_vccnz .LBB115_163
; %bb.162:
	v_lshl_add_u64 v[122:123], v[166:167], 3, v[122:123]
	flat_load_dwordx2 v[122:123], v[122:123]
	s_waitcnt vmcnt(0) lgkmcnt(0)
	v_mul_f64 v[122:123], s[14:15], v[122:123]
	v_cvt_f32_f64_e32 v122, v[122:123]
	s_branch .LBB115_164
.LBB115_163:
	v_mov_b32_e32 v122, 0
.LBB115_164:
	v_add_f64 v[118:119], v[6:7], v[118:119]
	v_add_f64 v[116:117], v[4:5], v[116:117]
	v_add_f64 v[114:115], v[2:3], v[114:115]
	v_add_f64 v[112:113], v[0:1], v[112:113]
	v_cvt_f32_f64_e32 v116, v[116:117]
	v_cvt_f32_f64_e32 v117, v[118:119]
	;; [unrolled: 1-line block ×4, first 2 shown]
	v_min3_f32 v116, v116, v117, v234
	v_min_f32_e32 v112, v112, v113
	v_min3_f32 v112, v122, v112, v116
	v_cvt_f64_f32_e32 v[112:113], v112
	v_lshl_add_u64 v[114:115], v[166:167], 3, v[120:121]
	flat_store_dwordx2 v[114:115], v[112:113]
.LBB115_165:
	s_or_b64 exec, exec, s[10:11]
	v_add_u32_e32 v116, 48, v172
	v_mad_i64_i32 v[112:113], s[12:13], v116, s23, 0
	v_cmp_gt_i32_e64 s[10:11], s17, v116
	v_lshl_add_u64 v[114:115], v[112:113], 3, s[20:21]
	v_mad_i64_i32 v[112:113], s[12:13], v116, s22, 0
	v_lshl_add_u64 v[112:113], v[112:113], 3, s[18:19]
	s_and_b64 s[24:25], s[2:3], s[10:11]
	s_and_saveexec_b64 s[12:13], s[24:25]
	s_cbranch_execnz .LBB115_169
; %bb.166:
	s_or_b64 exec, exec, s[12:13]
	s_and_b64 s[24:25], s[4:5], s[10:11]
	s_and_saveexec_b64 s[12:13], s[24:25]
	s_cbranch_execnz .LBB115_173
.LBB115_167:
	s_or_b64 exec, exec, s[12:13]
	s_and_b64 s[24:25], s[6:7], s[10:11]
	s_and_saveexec_b64 s[12:13], s[24:25]
	s_cbranch_execnz .LBB115_177
.LBB115_168:
	s_or_b64 exec, exec, s[12:13]
	s_and_b64 s[12:13], s[8:9], s[10:11]
	s_and_saveexec_b64 s[10:11], s[12:13]
	s_cbranch_execnz .LBB115_181
	s_branch .LBB115_185
.LBB115_169:
	s_and_b64 vcc, exec, s[0:1]
	s_cbranch_vccnz .LBB115_171
; %bb.170:
	v_lshl_add_u64 v[116:117], v[160:161], 3, v[114:115]
	flat_load_dwordx2 v[116:117], v[116:117]
	s_waitcnt vmcnt(0) lgkmcnt(0)
	v_mul_f64 v[116:117], s[14:15], v[116:117]
	v_cvt_f32_f64_e32 v116, v[116:117]
	s_branch .LBB115_172
.LBB115_171:
	v_mov_b32_e32 v116, 0
.LBB115_172:
	v_add_f64 v[118:119], v[38:39], v[110:111]
	v_add_f64 v[120:121], v[36:37], v[108:109]
	v_cvt_f32_f64_e32 v117, v[120:121]
	v_cvt_f32_f64_e32 v118, v[118:119]
	v_min3_f32 v117, v117, v118, v233
	v_add_f64 v[118:119], v[34:35], v[106:107]
	v_add_f64 v[120:121], v[32:33], v[104:105]
	v_cvt_f32_f64_e32 v120, v[120:121]
	v_cvt_f32_f64_e32 v118, v[118:119]
	v_min_f32_e32 v118, v120, v118
	v_min3_f32 v116, v116, v118, v117
	v_cvt_f64_f32_e32 v[116:117], v116
	v_lshl_add_u64 v[118:119], v[160:161], 3, v[112:113]
	flat_store_dwordx2 v[118:119], v[116:117]
	s_or_b64 exec, exec, s[12:13]
	s_and_b64 s[24:25], s[4:5], s[10:11]
	s_and_saveexec_b64 s[12:13], s[24:25]
	s_cbranch_execz .LBB115_167
.LBB115_173:
	s_and_b64 vcc, exec, s[0:1]
	s_cbranch_vccnz .LBB115_175
; %bb.174:
	v_lshl_add_u64 v[116:117], v[162:163], 3, v[114:115]
	flat_load_dwordx2 v[116:117], v[116:117]
	s_waitcnt vmcnt(0) lgkmcnt(0)
	v_mul_f64 v[116:117], s[14:15], v[116:117]
	v_cvt_f32_f64_e32 v116, v[116:117]
	s_branch .LBB115_176
.LBB115_175:
	v_mov_b32_e32 v116, 0
.LBB115_176:
	v_add_f64 v[118:119], v[26:27], v[110:111]
	v_add_f64 v[120:121], v[24:25], v[108:109]
	v_cvt_f32_f64_e32 v117, v[120:121]
	v_cvt_f32_f64_e32 v118, v[118:119]
	v_min3_f32 v117, v117, v118, v232
	v_add_f64 v[118:119], v[30:31], v[106:107]
	v_add_f64 v[120:121], v[28:29], v[104:105]
	v_cvt_f32_f64_e32 v120, v[120:121]
	v_cvt_f32_f64_e32 v118, v[118:119]
	v_min_f32_e32 v118, v120, v118
	v_min3_f32 v116, v116, v118, v117
	v_cvt_f64_f32_e32 v[116:117], v116
	v_lshl_add_u64 v[118:119], v[162:163], 3, v[112:113]
	flat_store_dwordx2 v[118:119], v[116:117]
	s_or_b64 exec, exec, s[12:13]
	s_and_b64 s[24:25], s[6:7], s[10:11]
	s_and_saveexec_b64 s[12:13], s[24:25]
	s_cbranch_execz .LBB115_168
.LBB115_177:
	s_and_b64 vcc, exec, s[0:1]
	s_cbranch_vccnz .LBB115_179
; %bb.178:
	v_lshl_add_u64 v[116:117], v[164:165], 3, v[114:115]
	flat_load_dwordx2 v[116:117], v[116:117]
	s_waitcnt vmcnt(0) lgkmcnt(0)
	v_mul_f64 v[116:117], s[14:15], v[116:117]
	v_cvt_f32_f64_e32 v116, v[116:117]
	s_branch .LBB115_180
.LBB115_179:
	v_mov_b32_e32 v116, 0
.LBB115_180:
	v_add_f64 v[118:119], v[22:23], v[110:111]
	v_add_f64 v[120:121], v[20:21], v[108:109]
	v_cvt_f32_f64_e32 v117, v[120:121]
	v_cvt_f32_f64_e32 v118, v[118:119]
	v_min3_f32 v117, v117, v118, v231
	v_add_f64 v[118:119], v[14:15], v[106:107]
	v_add_f64 v[120:121], v[12:13], v[104:105]
	v_cvt_f32_f64_e32 v120, v[120:121]
	v_cvt_f32_f64_e32 v118, v[118:119]
	v_min_f32_e32 v118, v120, v118
	v_min3_f32 v116, v116, v118, v117
	v_cvt_f64_f32_e32 v[116:117], v116
	v_lshl_add_u64 v[118:119], v[164:165], 3, v[112:113]
	flat_store_dwordx2 v[118:119], v[116:117]
	s_or_b64 exec, exec, s[12:13]
	s_and_b64 s[12:13], s[8:9], s[10:11]
	s_and_saveexec_b64 s[10:11], s[12:13]
	s_cbranch_execz .LBB115_185
.LBB115_181:
	s_and_b64 vcc, exec, s[0:1]
	s_cbranch_vccnz .LBB115_183
; %bb.182:
	v_lshl_add_u64 v[114:115], v[166:167], 3, v[114:115]
	flat_load_dwordx2 v[114:115], v[114:115]
	s_waitcnt vmcnt(0) lgkmcnt(0)
	v_mul_f64 v[114:115], s[14:15], v[114:115]
	v_cvt_f32_f64_e32 v114, v[114:115]
	s_branch .LBB115_184
.LBB115_183:
	v_mov_b32_e32 v114, 0
.LBB115_184:
	v_add_f64 v[110:111], v[6:7], v[110:111]
	v_add_f64 v[108:109], v[4:5], v[108:109]
	;; [unrolled: 1-line block ×4, first 2 shown]
	v_cvt_f32_f64_e32 v108, v[108:109]
	v_cvt_f32_f64_e32 v109, v[110:111]
	;; [unrolled: 1-line block ×4, first 2 shown]
	v_min3_f32 v108, v108, v109, v230
	v_min_f32_e32 v104, v104, v105
	v_min3_f32 v104, v114, v104, v108
	v_cvt_f64_f32_e32 v[104:105], v104
	v_lshl_add_u64 v[106:107], v[166:167], 3, v[112:113]
	flat_store_dwordx2 v[106:107], v[104:105]
.LBB115_185:
	s_or_b64 exec, exec, s[10:11]
	v_add_u32_e32 v108, 56, v172
	v_mad_i64_i32 v[104:105], s[12:13], v108, s23, 0
	v_cmp_gt_i32_e64 s[10:11], s17, v108
	v_lshl_add_u64 v[106:107], v[104:105], 3, s[20:21]
	v_mad_i64_i32 v[104:105], s[12:13], v108, s22, 0
	v_lshl_add_u64 v[104:105], v[104:105], 3, s[18:19]
	s_and_b64 s[24:25], s[2:3], s[10:11]
	s_and_saveexec_b64 s[12:13], s[24:25]
	s_cbranch_execnz .LBB115_189
; %bb.186:
	s_or_b64 exec, exec, s[12:13]
	s_and_b64 s[24:25], s[4:5], s[10:11]
	s_and_saveexec_b64 s[12:13], s[24:25]
	s_cbranch_execnz .LBB115_193
.LBB115_187:
	s_or_b64 exec, exec, s[12:13]
	s_and_b64 s[24:25], s[6:7], s[10:11]
	s_and_saveexec_b64 s[12:13], s[24:25]
	s_cbranch_execnz .LBB115_197
.LBB115_188:
	s_or_b64 exec, exec, s[12:13]
	s_and_b64 s[12:13], s[8:9], s[10:11]
	s_and_saveexec_b64 s[10:11], s[12:13]
	s_cbranch_execnz .LBB115_201
	s_branch .LBB115_205
.LBB115_189:
	s_and_b64 vcc, exec, s[0:1]
	s_cbranch_vccnz .LBB115_191
; %bb.190:
	v_lshl_add_u64 v[108:109], v[160:161], 3, v[106:107]
	flat_load_dwordx2 v[108:109], v[108:109]
	s_waitcnt vmcnt(0) lgkmcnt(0)
	v_mul_f64 v[108:109], s[14:15], v[108:109]
	v_cvt_f32_f64_e32 v108, v[108:109]
	s_branch .LBB115_192
.LBB115_191:
	v_mov_b32_e32 v108, 0
.LBB115_192:
	v_add_f64 v[110:111], v[38:39], v[102:103]
	v_add_f64 v[112:113], v[36:37], v[100:101]
	v_cvt_f32_f64_e32 v109, v[112:113]
	v_cvt_f32_f64_e32 v110, v[110:111]
	v_min3_f32 v109, v109, v110, v229
	v_add_f64 v[110:111], v[34:35], v[98:99]
	v_add_f64 v[112:113], v[32:33], v[96:97]
	v_cvt_f32_f64_e32 v112, v[112:113]
	v_cvt_f32_f64_e32 v110, v[110:111]
	v_min_f32_e32 v110, v112, v110
	v_min3_f32 v108, v108, v110, v109
	v_cvt_f64_f32_e32 v[108:109], v108
	v_lshl_add_u64 v[110:111], v[160:161], 3, v[104:105]
	flat_store_dwordx2 v[110:111], v[108:109]
	s_or_b64 exec, exec, s[12:13]
	s_and_b64 s[24:25], s[4:5], s[10:11]
	s_and_saveexec_b64 s[12:13], s[24:25]
	s_cbranch_execz .LBB115_187
.LBB115_193:
	s_and_b64 vcc, exec, s[0:1]
	s_cbranch_vccnz .LBB115_195
; %bb.194:
	v_lshl_add_u64 v[108:109], v[162:163], 3, v[106:107]
	flat_load_dwordx2 v[108:109], v[108:109]
	s_waitcnt vmcnt(0) lgkmcnt(0)
	v_mul_f64 v[108:109], s[14:15], v[108:109]
	v_cvt_f32_f64_e32 v108, v[108:109]
	s_branch .LBB115_196
.LBB115_195:
	v_mov_b32_e32 v108, 0
.LBB115_196:
	v_add_f64 v[110:111], v[26:27], v[102:103]
	v_add_f64 v[112:113], v[24:25], v[100:101]
	v_cvt_f32_f64_e32 v109, v[112:113]
	v_cvt_f32_f64_e32 v110, v[110:111]
	v_min3_f32 v109, v109, v110, v228
	v_add_f64 v[110:111], v[30:31], v[98:99]
	v_add_f64 v[112:113], v[28:29], v[96:97]
	v_cvt_f32_f64_e32 v112, v[112:113]
	v_cvt_f32_f64_e32 v110, v[110:111]
	v_min_f32_e32 v110, v112, v110
	v_min3_f32 v108, v108, v110, v109
	v_cvt_f64_f32_e32 v[108:109], v108
	v_lshl_add_u64 v[110:111], v[162:163], 3, v[104:105]
	flat_store_dwordx2 v[110:111], v[108:109]
	s_or_b64 exec, exec, s[12:13]
	s_and_b64 s[24:25], s[6:7], s[10:11]
	s_and_saveexec_b64 s[12:13], s[24:25]
	s_cbranch_execz .LBB115_188
.LBB115_197:
	s_and_b64 vcc, exec, s[0:1]
	s_cbranch_vccnz .LBB115_199
; %bb.198:
	v_lshl_add_u64 v[108:109], v[164:165], 3, v[106:107]
	flat_load_dwordx2 v[108:109], v[108:109]
	s_waitcnt vmcnt(0) lgkmcnt(0)
	v_mul_f64 v[108:109], s[14:15], v[108:109]
	v_cvt_f32_f64_e32 v108, v[108:109]
	s_branch .LBB115_200
.LBB115_199:
	v_mov_b32_e32 v108, 0
.LBB115_200:
	v_add_f64 v[110:111], v[22:23], v[102:103]
	v_add_f64 v[112:113], v[20:21], v[100:101]
	v_cvt_f32_f64_e32 v109, v[112:113]
	v_cvt_f32_f64_e32 v110, v[110:111]
	v_min3_f32 v109, v109, v110, v227
	v_add_f64 v[110:111], v[14:15], v[98:99]
	v_add_f64 v[112:113], v[12:13], v[96:97]
	v_cvt_f32_f64_e32 v112, v[112:113]
	v_cvt_f32_f64_e32 v110, v[110:111]
	v_min_f32_e32 v110, v112, v110
	v_min3_f32 v108, v108, v110, v109
	v_cvt_f64_f32_e32 v[108:109], v108
	v_lshl_add_u64 v[110:111], v[164:165], 3, v[104:105]
	flat_store_dwordx2 v[110:111], v[108:109]
	s_or_b64 exec, exec, s[12:13]
	s_and_b64 s[12:13], s[8:9], s[10:11]
	s_and_saveexec_b64 s[10:11], s[12:13]
	s_cbranch_execz .LBB115_205
.LBB115_201:
	s_and_b64 vcc, exec, s[0:1]
	s_cbranch_vccnz .LBB115_203
; %bb.202:
	v_lshl_add_u64 v[106:107], v[166:167], 3, v[106:107]
	flat_load_dwordx2 v[106:107], v[106:107]
	s_waitcnt vmcnt(0) lgkmcnt(0)
	v_mul_f64 v[106:107], s[14:15], v[106:107]
	v_cvt_f32_f64_e32 v106, v[106:107]
	s_branch .LBB115_204
.LBB115_203:
	v_mov_b32_e32 v106, 0
.LBB115_204:
	v_add_f64 v[102:103], v[6:7], v[102:103]
	v_add_f64 v[100:101], v[4:5], v[100:101]
	v_add_f64 v[98:99], v[2:3], v[98:99]
	v_add_f64 v[96:97], v[0:1], v[96:97]
	v_cvt_f32_f64_e32 v100, v[100:101]
	v_cvt_f32_f64_e32 v101, v[102:103]
	;; [unrolled: 1-line block ×4, first 2 shown]
	v_min3_f32 v100, v100, v101, v226
	v_min_f32_e32 v96, v96, v97
	v_min3_f32 v96, v106, v96, v100
	v_cvt_f64_f32_e32 v[96:97], v96
	v_lshl_add_u64 v[98:99], v[166:167], 3, v[104:105]
	flat_store_dwordx2 v[98:99], v[96:97]
.LBB115_205:
	s_or_b64 exec, exec, s[10:11]
	v_add_u32_e32 v100, 64, v172
	v_mad_i64_i32 v[96:97], s[12:13], v100, s23, 0
	v_cmp_gt_i32_e64 s[10:11], s17, v100
	v_lshl_add_u64 v[98:99], v[96:97], 3, s[20:21]
	v_mad_i64_i32 v[96:97], s[12:13], v100, s22, 0
	v_lshl_add_u64 v[96:97], v[96:97], 3, s[18:19]
	s_and_b64 s[24:25], s[2:3], s[10:11]
	s_and_saveexec_b64 s[12:13], s[24:25]
	s_cbranch_execnz .LBB115_209
; %bb.206:
	s_or_b64 exec, exec, s[12:13]
	s_and_b64 s[24:25], s[4:5], s[10:11]
	s_and_saveexec_b64 s[12:13], s[24:25]
	s_cbranch_execnz .LBB115_213
.LBB115_207:
	s_or_b64 exec, exec, s[12:13]
	s_and_b64 s[24:25], s[6:7], s[10:11]
	s_and_saveexec_b64 s[12:13], s[24:25]
	s_cbranch_execnz .LBB115_217
.LBB115_208:
	s_or_b64 exec, exec, s[12:13]
	s_and_b64 s[12:13], s[8:9], s[10:11]
	s_and_saveexec_b64 s[10:11], s[12:13]
	s_cbranch_execnz .LBB115_221
	s_branch .LBB115_225
.LBB115_209:
	s_and_b64 vcc, exec, s[0:1]
	s_cbranch_vccnz .LBB115_211
; %bb.210:
	v_lshl_add_u64 v[100:101], v[160:161], 3, v[98:99]
	flat_load_dwordx2 v[100:101], v[100:101]
	s_waitcnt vmcnt(0) lgkmcnt(0)
	v_mul_f64 v[100:101], s[14:15], v[100:101]
	v_cvt_f32_f64_e32 v100, v[100:101]
	s_branch .LBB115_212
.LBB115_211:
	v_mov_b32_e32 v100, 0
.LBB115_212:
	v_add_f64 v[102:103], v[38:39], v[94:95]
	v_add_f64 v[104:105], v[36:37], v[92:93]
	v_cvt_f32_f64_e32 v101, v[104:105]
	v_cvt_f32_f64_e32 v102, v[102:103]
	v_min3_f32 v101, v101, v102, v225
	v_add_f64 v[102:103], v[34:35], v[90:91]
	v_add_f64 v[104:105], v[32:33], v[88:89]
	v_cvt_f32_f64_e32 v104, v[104:105]
	v_cvt_f32_f64_e32 v102, v[102:103]
	v_min_f32_e32 v102, v104, v102
	v_min3_f32 v100, v100, v102, v101
	v_cvt_f64_f32_e32 v[100:101], v100
	v_lshl_add_u64 v[102:103], v[160:161], 3, v[96:97]
	flat_store_dwordx2 v[102:103], v[100:101]
	s_or_b64 exec, exec, s[12:13]
	s_and_b64 s[24:25], s[4:5], s[10:11]
	s_and_saveexec_b64 s[12:13], s[24:25]
	s_cbranch_execz .LBB115_207
.LBB115_213:
	s_and_b64 vcc, exec, s[0:1]
	s_cbranch_vccnz .LBB115_215
; %bb.214:
	v_lshl_add_u64 v[100:101], v[162:163], 3, v[98:99]
	flat_load_dwordx2 v[100:101], v[100:101]
	s_waitcnt vmcnt(0) lgkmcnt(0)
	v_mul_f64 v[100:101], s[14:15], v[100:101]
	v_cvt_f32_f64_e32 v100, v[100:101]
	s_branch .LBB115_216
.LBB115_215:
	v_mov_b32_e32 v100, 0
.LBB115_216:
	v_add_f64 v[102:103], v[26:27], v[94:95]
	v_add_f64 v[104:105], v[24:25], v[92:93]
	v_cvt_f32_f64_e32 v101, v[104:105]
	v_cvt_f32_f64_e32 v102, v[102:103]
	v_min3_f32 v101, v101, v102, v224
	v_add_f64 v[102:103], v[30:31], v[90:91]
	v_add_f64 v[104:105], v[28:29], v[88:89]
	v_cvt_f32_f64_e32 v104, v[104:105]
	v_cvt_f32_f64_e32 v102, v[102:103]
	v_min_f32_e32 v102, v104, v102
	v_min3_f32 v100, v100, v102, v101
	v_cvt_f64_f32_e32 v[100:101], v100
	v_lshl_add_u64 v[102:103], v[162:163], 3, v[96:97]
	flat_store_dwordx2 v[102:103], v[100:101]
	s_or_b64 exec, exec, s[12:13]
	s_and_b64 s[24:25], s[6:7], s[10:11]
	s_and_saveexec_b64 s[12:13], s[24:25]
	s_cbranch_execz .LBB115_208
.LBB115_217:
	s_and_b64 vcc, exec, s[0:1]
	s_cbranch_vccnz .LBB115_219
; %bb.218:
	v_lshl_add_u64 v[100:101], v[164:165], 3, v[98:99]
	flat_load_dwordx2 v[100:101], v[100:101]
	s_waitcnt vmcnt(0) lgkmcnt(0)
	v_mul_f64 v[100:101], s[14:15], v[100:101]
	v_cvt_f32_f64_e32 v100, v[100:101]
	s_branch .LBB115_220
.LBB115_219:
	v_mov_b32_e32 v100, 0
.LBB115_220:
	v_add_f64 v[102:103], v[22:23], v[94:95]
	v_add_f64 v[104:105], v[20:21], v[92:93]
	v_cvt_f32_f64_e32 v101, v[104:105]
	v_cvt_f32_f64_e32 v102, v[102:103]
	v_min3_f32 v101, v101, v102, v223
	v_add_f64 v[102:103], v[14:15], v[90:91]
	v_add_f64 v[104:105], v[12:13], v[88:89]
	v_cvt_f32_f64_e32 v104, v[104:105]
	v_cvt_f32_f64_e32 v102, v[102:103]
	v_min_f32_e32 v102, v104, v102
	v_min3_f32 v100, v100, v102, v101
	v_cvt_f64_f32_e32 v[100:101], v100
	v_lshl_add_u64 v[102:103], v[164:165], 3, v[96:97]
	flat_store_dwordx2 v[102:103], v[100:101]
	s_or_b64 exec, exec, s[12:13]
	s_and_b64 s[12:13], s[8:9], s[10:11]
	s_and_saveexec_b64 s[10:11], s[12:13]
	s_cbranch_execz .LBB115_225
.LBB115_221:
	s_and_b64 vcc, exec, s[0:1]
	s_cbranch_vccnz .LBB115_223
; %bb.222:
	v_lshl_add_u64 v[98:99], v[166:167], 3, v[98:99]
	flat_load_dwordx2 v[98:99], v[98:99]
	s_waitcnt vmcnt(0) lgkmcnt(0)
	v_mul_f64 v[98:99], s[14:15], v[98:99]
	v_cvt_f32_f64_e32 v98, v[98:99]
	s_branch .LBB115_224
.LBB115_223:
	v_mov_b32_e32 v98, 0
.LBB115_224:
	v_add_f64 v[94:95], v[6:7], v[94:95]
	v_add_f64 v[92:93], v[4:5], v[92:93]
	;; [unrolled: 1-line block ×4, first 2 shown]
	v_cvt_f32_f64_e32 v92, v[92:93]
	v_cvt_f32_f64_e32 v93, v[94:95]
	;; [unrolled: 1-line block ×4, first 2 shown]
	v_min3_f32 v92, v92, v93, v222
	v_min_f32_e32 v88, v88, v89
	v_min3_f32 v88, v98, v88, v92
	v_cvt_f64_f32_e32 v[88:89], v88
	v_lshl_add_u64 v[90:91], v[166:167], 3, v[96:97]
	flat_store_dwordx2 v[90:91], v[88:89]
.LBB115_225:
	s_or_b64 exec, exec, s[10:11]
	v_add_u32_e32 v92, 0x48, v172
	v_mad_i64_i32 v[88:89], s[12:13], v92, s23, 0
	v_cmp_gt_i32_e64 s[10:11], s17, v92
	v_lshl_add_u64 v[90:91], v[88:89], 3, s[20:21]
	v_mad_i64_i32 v[88:89], s[12:13], v92, s22, 0
	v_lshl_add_u64 v[88:89], v[88:89], 3, s[18:19]
	s_and_b64 s[24:25], s[2:3], s[10:11]
	s_and_saveexec_b64 s[12:13], s[24:25]
	s_cbranch_execnz .LBB115_229
; %bb.226:
	s_or_b64 exec, exec, s[12:13]
	s_and_b64 s[24:25], s[4:5], s[10:11]
	s_and_saveexec_b64 s[12:13], s[24:25]
	s_cbranch_execnz .LBB115_233
.LBB115_227:
	s_or_b64 exec, exec, s[12:13]
	s_and_b64 s[24:25], s[6:7], s[10:11]
	s_and_saveexec_b64 s[12:13], s[24:25]
	s_cbranch_execnz .LBB115_237
.LBB115_228:
	s_or_b64 exec, exec, s[12:13]
	s_and_b64 s[12:13], s[8:9], s[10:11]
	s_and_saveexec_b64 s[10:11], s[12:13]
	s_cbranch_execnz .LBB115_241
	s_branch .LBB115_245
.LBB115_229:
	s_and_b64 vcc, exec, s[0:1]
	s_cbranch_vccnz .LBB115_231
; %bb.230:
	v_lshl_add_u64 v[92:93], v[160:161], 3, v[90:91]
	flat_load_dwordx2 v[92:93], v[92:93]
	s_waitcnt vmcnt(0) lgkmcnt(0)
	v_mul_f64 v[92:93], s[14:15], v[92:93]
	v_cvt_f32_f64_e32 v92, v[92:93]
	s_branch .LBB115_232
.LBB115_231:
	v_mov_b32_e32 v92, 0
.LBB115_232:
	v_add_f64 v[94:95], v[38:39], v[86:87]
	v_add_f64 v[96:97], v[36:37], v[84:85]
	v_cvt_f32_f64_e32 v93, v[96:97]
	v_cvt_f32_f64_e32 v94, v[94:95]
	v_min3_f32 v93, v93, v94, v221
	v_add_f64 v[94:95], v[34:35], v[82:83]
	v_add_f64 v[96:97], v[32:33], v[80:81]
	v_cvt_f32_f64_e32 v96, v[96:97]
	v_cvt_f32_f64_e32 v94, v[94:95]
	v_min_f32_e32 v94, v96, v94
	v_min3_f32 v92, v92, v94, v93
	v_cvt_f64_f32_e32 v[92:93], v92
	v_lshl_add_u64 v[94:95], v[160:161], 3, v[88:89]
	flat_store_dwordx2 v[94:95], v[92:93]
	s_or_b64 exec, exec, s[12:13]
	s_and_b64 s[24:25], s[4:5], s[10:11]
	s_and_saveexec_b64 s[12:13], s[24:25]
	s_cbranch_execz .LBB115_227
.LBB115_233:
	s_and_b64 vcc, exec, s[0:1]
	s_cbranch_vccnz .LBB115_235
; %bb.234:
	v_lshl_add_u64 v[92:93], v[162:163], 3, v[90:91]
	flat_load_dwordx2 v[92:93], v[92:93]
	s_waitcnt vmcnt(0) lgkmcnt(0)
	v_mul_f64 v[92:93], s[14:15], v[92:93]
	v_cvt_f32_f64_e32 v92, v[92:93]
	s_branch .LBB115_236
.LBB115_235:
	v_mov_b32_e32 v92, 0
.LBB115_236:
	v_add_f64 v[94:95], v[26:27], v[86:87]
	v_add_f64 v[96:97], v[24:25], v[84:85]
	v_cvt_f32_f64_e32 v93, v[96:97]
	v_cvt_f32_f64_e32 v94, v[94:95]
	v_min3_f32 v93, v93, v94, v220
	v_add_f64 v[94:95], v[30:31], v[82:83]
	v_add_f64 v[96:97], v[28:29], v[80:81]
	v_cvt_f32_f64_e32 v96, v[96:97]
	v_cvt_f32_f64_e32 v94, v[94:95]
	v_min_f32_e32 v94, v96, v94
	v_min3_f32 v92, v92, v94, v93
	v_cvt_f64_f32_e32 v[92:93], v92
	v_lshl_add_u64 v[94:95], v[162:163], 3, v[88:89]
	flat_store_dwordx2 v[94:95], v[92:93]
	s_or_b64 exec, exec, s[12:13]
	s_and_b64 s[24:25], s[6:7], s[10:11]
	s_and_saveexec_b64 s[12:13], s[24:25]
	s_cbranch_execz .LBB115_228
.LBB115_237:
	s_and_b64 vcc, exec, s[0:1]
	s_cbranch_vccnz .LBB115_239
; %bb.238:
	v_lshl_add_u64 v[92:93], v[164:165], 3, v[90:91]
	flat_load_dwordx2 v[92:93], v[92:93]
	s_waitcnt vmcnt(0) lgkmcnt(0)
	v_mul_f64 v[92:93], s[14:15], v[92:93]
	v_cvt_f32_f64_e32 v92, v[92:93]
	s_branch .LBB115_240
.LBB115_239:
	v_mov_b32_e32 v92, 0
.LBB115_240:
	v_add_f64 v[94:95], v[22:23], v[86:87]
	v_add_f64 v[96:97], v[20:21], v[84:85]
	v_cvt_f32_f64_e32 v93, v[96:97]
	v_cvt_f32_f64_e32 v94, v[94:95]
	v_min3_f32 v93, v93, v94, v219
	v_add_f64 v[94:95], v[14:15], v[82:83]
	v_add_f64 v[96:97], v[12:13], v[80:81]
	v_cvt_f32_f64_e32 v96, v[96:97]
	v_cvt_f32_f64_e32 v94, v[94:95]
	v_min_f32_e32 v94, v96, v94
	v_min3_f32 v92, v92, v94, v93
	v_cvt_f64_f32_e32 v[92:93], v92
	v_lshl_add_u64 v[94:95], v[164:165], 3, v[88:89]
	flat_store_dwordx2 v[94:95], v[92:93]
	s_or_b64 exec, exec, s[12:13]
	s_and_b64 s[12:13], s[8:9], s[10:11]
	s_and_saveexec_b64 s[10:11], s[12:13]
	s_cbranch_execz .LBB115_245
.LBB115_241:
	s_and_b64 vcc, exec, s[0:1]
	s_cbranch_vccnz .LBB115_243
; %bb.242:
	v_lshl_add_u64 v[90:91], v[166:167], 3, v[90:91]
	flat_load_dwordx2 v[90:91], v[90:91]
	s_waitcnt vmcnt(0) lgkmcnt(0)
	v_mul_f64 v[90:91], s[14:15], v[90:91]
	v_cvt_f32_f64_e32 v90, v[90:91]
	s_branch .LBB115_244
.LBB115_243:
	v_mov_b32_e32 v90, 0
.LBB115_244:
	v_add_f64 v[86:87], v[6:7], v[86:87]
	v_add_f64 v[84:85], v[4:5], v[84:85]
	;; [unrolled: 1-line block ×4, first 2 shown]
	v_cvt_f32_f64_e32 v84, v[84:85]
	v_cvt_f32_f64_e32 v85, v[86:87]
	;; [unrolled: 1-line block ×4, first 2 shown]
	v_min3_f32 v84, v84, v85, v218
	v_min_f32_e32 v80, v80, v81
	v_min3_f32 v80, v90, v80, v84
	v_cvt_f64_f32_e32 v[80:81], v80
	v_lshl_add_u64 v[82:83], v[166:167], 3, v[88:89]
	flat_store_dwordx2 v[82:83], v[80:81]
.LBB115_245:
	s_or_b64 exec, exec, s[10:11]
	v_add_u32_e32 v84, 0x50, v172
	v_mad_i64_i32 v[80:81], s[12:13], v84, s23, 0
	v_cmp_gt_i32_e64 s[10:11], s17, v84
	v_lshl_add_u64 v[82:83], v[80:81], 3, s[20:21]
	v_mad_i64_i32 v[80:81], s[12:13], v84, s22, 0
	v_lshl_add_u64 v[80:81], v[80:81], 3, s[18:19]
	s_and_b64 s[24:25], s[2:3], s[10:11]
	s_and_saveexec_b64 s[12:13], s[24:25]
	s_cbranch_execnz .LBB115_249
; %bb.246:
	s_or_b64 exec, exec, s[12:13]
	s_and_b64 s[24:25], s[4:5], s[10:11]
	s_and_saveexec_b64 s[12:13], s[24:25]
	s_cbranch_execnz .LBB115_253
.LBB115_247:
	s_or_b64 exec, exec, s[12:13]
	s_and_b64 s[24:25], s[6:7], s[10:11]
	s_and_saveexec_b64 s[12:13], s[24:25]
	s_cbranch_execnz .LBB115_257
.LBB115_248:
	s_or_b64 exec, exec, s[12:13]
	s_and_b64 s[12:13], s[8:9], s[10:11]
	s_and_saveexec_b64 s[10:11], s[12:13]
	s_cbranch_execnz .LBB115_261
	s_branch .LBB115_265
.LBB115_249:
	s_and_b64 vcc, exec, s[0:1]
	s_cbranch_vccnz .LBB115_251
; %bb.250:
	v_lshl_add_u64 v[84:85], v[160:161], 3, v[82:83]
	flat_load_dwordx2 v[84:85], v[84:85]
	s_waitcnt vmcnt(0) lgkmcnt(0)
	v_mul_f64 v[84:85], s[14:15], v[84:85]
	v_cvt_f32_f64_e32 v84, v[84:85]
	s_branch .LBB115_252
.LBB115_251:
	v_mov_b32_e32 v84, 0
.LBB115_252:
	v_add_f64 v[86:87], v[38:39], v[78:79]
	v_add_f64 v[88:89], v[36:37], v[76:77]
	v_cvt_f32_f64_e32 v85, v[88:89]
	v_cvt_f32_f64_e32 v86, v[86:87]
	v_min3_f32 v85, v85, v86, v217
	v_add_f64 v[86:87], v[34:35], v[74:75]
	v_add_f64 v[88:89], v[32:33], v[72:73]
	v_cvt_f32_f64_e32 v88, v[88:89]
	v_cvt_f32_f64_e32 v86, v[86:87]
	v_min_f32_e32 v86, v88, v86
	v_min3_f32 v84, v84, v86, v85
	v_cvt_f64_f32_e32 v[84:85], v84
	v_lshl_add_u64 v[86:87], v[160:161], 3, v[80:81]
	flat_store_dwordx2 v[86:87], v[84:85]
	s_or_b64 exec, exec, s[12:13]
	s_and_b64 s[24:25], s[4:5], s[10:11]
	s_and_saveexec_b64 s[12:13], s[24:25]
	s_cbranch_execz .LBB115_247
.LBB115_253:
	s_and_b64 vcc, exec, s[0:1]
	s_cbranch_vccnz .LBB115_255
; %bb.254:
	v_lshl_add_u64 v[84:85], v[162:163], 3, v[82:83]
	flat_load_dwordx2 v[84:85], v[84:85]
	s_waitcnt vmcnt(0) lgkmcnt(0)
	v_mul_f64 v[84:85], s[14:15], v[84:85]
	v_cvt_f32_f64_e32 v84, v[84:85]
	s_branch .LBB115_256
.LBB115_255:
	v_mov_b32_e32 v84, 0
.LBB115_256:
	v_add_f64 v[86:87], v[26:27], v[78:79]
	v_add_f64 v[88:89], v[24:25], v[76:77]
	v_cvt_f32_f64_e32 v85, v[88:89]
	v_cvt_f32_f64_e32 v86, v[86:87]
	v_min3_f32 v85, v85, v86, v216
	v_add_f64 v[86:87], v[30:31], v[74:75]
	v_add_f64 v[88:89], v[28:29], v[72:73]
	v_cvt_f32_f64_e32 v88, v[88:89]
	v_cvt_f32_f64_e32 v86, v[86:87]
	v_min_f32_e32 v86, v88, v86
	v_min3_f32 v84, v84, v86, v85
	v_cvt_f64_f32_e32 v[84:85], v84
	v_lshl_add_u64 v[86:87], v[162:163], 3, v[80:81]
	flat_store_dwordx2 v[86:87], v[84:85]
	s_or_b64 exec, exec, s[12:13]
	s_and_b64 s[24:25], s[6:7], s[10:11]
	s_and_saveexec_b64 s[12:13], s[24:25]
	s_cbranch_execz .LBB115_248
.LBB115_257:
	s_and_b64 vcc, exec, s[0:1]
	s_cbranch_vccnz .LBB115_259
; %bb.258:
	v_lshl_add_u64 v[84:85], v[164:165], 3, v[82:83]
	flat_load_dwordx2 v[84:85], v[84:85]
	s_waitcnt vmcnt(0) lgkmcnt(0)
	v_mul_f64 v[84:85], s[14:15], v[84:85]
	v_cvt_f32_f64_e32 v84, v[84:85]
	s_branch .LBB115_260
.LBB115_259:
	v_mov_b32_e32 v84, 0
.LBB115_260:
	v_add_f64 v[86:87], v[22:23], v[78:79]
	v_add_f64 v[88:89], v[20:21], v[76:77]
	v_cvt_f32_f64_e32 v85, v[88:89]
	v_cvt_f32_f64_e32 v86, v[86:87]
	v_min3_f32 v85, v85, v86, v215
	v_add_f64 v[86:87], v[14:15], v[74:75]
	v_add_f64 v[88:89], v[12:13], v[72:73]
	v_cvt_f32_f64_e32 v88, v[88:89]
	v_cvt_f32_f64_e32 v86, v[86:87]
	v_min_f32_e32 v86, v88, v86
	v_min3_f32 v84, v84, v86, v85
	v_cvt_f64_f32_e32 v[84:85], v84
	v_lshl_add_u64 v[86:87], v[164:165], 3, v[80:81]
	flat_store_dwordx2 v[86:87], v[84:85]
	s_or_b64 exec, exec, s[12:13]
	s_and_b64 s[12:13], s[8:9], s[10:11]
	s_and_saveexec_b64 s[10:11], s[12:13]
	s_cbranch_execz .LBB115_265
.LBB115_261:
	s_and_b64 vcc, exec, s[0:1]
	s_cbranch_vccnz .LBB115_263
; %bb.262:
	v_lshl_add_u64 v[82:83], v[166:167], 3, v[82:83]
	flat_load_dwordx2 v[82:83], v[82:83]
	s_waitcnt vmcnt(0) lgkmcnt(0)
	v_mul_f64 v[82:83], s[14:15], v[82:83]
	v_cvt_f32_f64_e32 v82, v[82:83]
	s_branch .LBB115_264
.LBB115_263:
	v_mov_b32_e32 v82, 0
.LBB115_264:
	v_add_f64 v[78:79], v[6:7], v[78:79]
	v_add_f64 v[76:77], v[4:5], v[76:77]
	;; [unrolled: 1-line block ×4, first 2 shown]
	v_cvt_f32_f64_e32 v76, v[76:77]
	v_cvt_f32_f64_e32 v77, v[78:79]
	;; [unrolled: 1-line block ×4, first 2 shown]
	v_min3_f32 v76, v76, v77, v214
	v_min_f32_e32 v72, v72, v73
	v_min3_f32 v72, v82, v72, v76
	v_cvt_f64_f32_e32 v[72:73], v72
	v_lshl_add_u64 v[74:75], v[166:167], 3, v[80:81]
	flat_store_dwordx2 v[74:75], v[72:73]
.LBB115_265:
	s_or_b64 exec, exec, s[10:11]
	v_add_u32_e32 v76, 0x58, v172
	v_mad_i64_i32 v[72:73], s[12:13], v76, s23, 0
	v_cmp_gt_i32_e64 s[10:11], s17, v76
	v_lshl_add_u64 v[74:75], v[72:73], 3, s[20:21]
	v_mad_i64_i32 v[72:73], s[12:13], v76, s22, 0
	v_lshl_add_u64 v[72:73], v[72:73], 3, s[18:19]
	s_and_b64 s[24:25], s[2:3], s[10:11]
	s_and_saveexec_b64 s[12:13], s[24:25]
	s_cbranch_execnz .LBB115_269
; %bb.266:
	s_or_b64 exec, exec, s[12:13]
	s_and_b64 s[24:25], s[4:5], s[10:11]
	s_and_saveexec_b64 s[12:13], s[24:25]
	s_cbranch_execnz .LBB115_273
.LBB115_267:
	s_or_b64 exec, exec, s[12:13]
	s_and_b64 s[24:25], s[6:7], s[10:11]
	s_and_saveexec_b64 s[12:13], s[24:25]
	s_cbranch_execnz .LBB115_277
.LBB115_268:
	s_or_b64 exec, exec, s[12:13]
	s_and_b64 s[12:13], s[8:9], s[10:11]
	s_and_saveexec_b64 s[10:11], s[12:13]
	s_cbranch_execnz .LBB115_281
	s_branch .LBB115_285
.LBB115_269:
	s_and_b64 vcc, exec, s[0:1]
	s_cbranch_vccnz .LBB115_271
; %bb.270:
	v_lshl_add_u64 v[76:77], v[160:161], 3, v[74:75]
	flat_load_dwordx2 v[76:77], v[76:77]
	s_waitcnt vmcnt(0) lgkmcnt(0)
	v_mul_f64 v[76:77], s[14:15], v[76:77]
	v_cvt_f32_f64_e32 v76, v[76:77]
	s_branch .LBB115_272
.LBB115_271:
	v_mov_b32_e32 v76, 0
.LBB115_272:
	v_add_f64 v[78:79], v[38:39], v[70:71]
	v_add_f64 v[80:81], v[36:37], v[68:69]
	v_cvt_f32_f64_e32 v77, v[80:81]
	v_cvt_f32_f64_e32 v78, v[78:79]
	v_min3_f32 v77, v77, v78, v213
	v_add_f64 v[78:79], v[34:35], v[66:67]
	v_add_f64 v[80:81], v[32:33], v[64:65]
	v_cvt_f32_f64_e32 v80, v[80:81]
	v_cvt_f32_f64_e32 v78, v[78:79]
	v_min_f32_e32 v78, v80, v78
	v_min3_f32 v76, v76, v78, v77
	v_cvt_f64_f32_e32 v[76:77], v76
	v_lshl_add_u64 v[78:79], v[160:161], 3, v[72:73]
	flat_store_dwordx2 v[78:79], v[76:77]
	s_or_b64 exec, exec, s[12:13]
	s_and_b64 s[24:25], s[4:5], s[10:11]
	s_and_saveexec_b64 s[12:13], s[24:25]
	s_cbranch_execz .LBB115_267
.LBB115_273:
	s_and_b64 vcc, exec, s[0:1]
	s_cbranch_vccnz .LBB115_275
; %bb.274:
	v_lshl_add_u64 v[76:77], v[162:163], 3, v[74:75]
	flat_load_dwordx2 v[76:77], v[76:77]
	s_waitcnt vmcnt(0) lgkmcnt(0)
	v_mul_f64 v[76:77], s[14:15], v[76:77]
	v_cvt_f32_f64_e32 v76, v[76:77]
	s_branch .LBB115_276
.LBB115_275:
	v_mov_b32_e32 v76, 0
.LBB115_276:
	v_add_f64 v[78:79], v[26:27], v[70:71]
	v_add_f64 v[80:81], v[24:25], v[68:69]
	v_cvt_f32_f64_e32 v77, v[80:81]
	v_cvt_f32_f64_e32 v78, v[78:79]
	v_min3_f32 v77, v77, v78, v212
	v_add_f64 v[78:79], v[30:31], v[66:67]
	v_add_f64 v[80:81], v[28:29], v[64:65]
	v_cvt_f32_f64_e32 v80, v[80:81]
	v_cvt_f32_f64_e32 v78, v[78:79]
	v_min_f32_e32 v78, v80, v78
	v_min3_f32 v76, v76, v78, v77
	v_cvt_f64_f32_e32 v[76:77], v76
	v_lshl_add_u64 v[78:79], v[162:163], 3, v[72:73]
	flat_store_dwordx2 v[78:79], v[76:77]
	s_or_b64 exec, exec, s[12:13]
	s_and_b64 s[24:25], s[6:7], s[10:11]
	s_and_saveexec_b64 s[12:13], s[24:25]
	s_cbranch_execz .LBB115_268
.LBB115_277:
	s_and_b64 vcc, exec, s[0:1]
	s_cbranch_vccnz .LBB115_279
; %bb.278:
	v_lshl_add_u64 v[76:77], v[164:165], 3, v[74:75]
	flat_load_dwordx2 v[76:77], v[76:77]
	s_waitcnt vmcnt(0) lgkmcnt(0)
	v_mul_f64 v[76:77], s[14:15], v[76:77]
	v_cvt_f32_f64_e32 v76, v[76:77]
	s_branch .LBB115_280
.LBB115_279:
	v_mov_b32_e32 v76, 0
.LBB115_280:
	v_add_f64 v[78:79], v[22:23], v[70:71]
	v_add_f64 v[80:81], v[20:21], v[68:69]
	v_cvt_f32_f64_e32 v77, v[80:81]
	v_cvt_f32_f64_e32 v78, v[78:79]
	v_min3_f32 v77, v77, v78, v211
	v_add_f64 v[78:79], v[14:15], v[66:67]
	v_add_f64 v[80:81], v[12:13], v[64:65]
	v_cvt_f32_f64_e32 v80, v[80:81]
	v_cvt_f32_f64_e32 v78, v[78:79]
	v_min_f32_e32 v78, v80, v78
	v_min3_f32 v76, v76, v78, v77
	v_cvt_f64_f32_e32 v[76:77], v76
	v_lshl_add_u64 v[78:79], v[164:165], 3, v[72:73]
	flat_store_dwordx2 v[78:79], v[76:77]
	s_or_b64 exec, exec, s[12:13]
	s_and_b64 s[12:13], s[8:9], s[10:11]
	s_and_saveexec_b64 s[10:11], s[12:13]
	s_cbranch_execz .LBB115_285
.LBB115_281:
	s_and_b64 vcc, exec, s[0:1]
	s_cbranch_vccnz .LBB115_283
; %bb.282:
	v_lshl_add_u64 v[74:75], v[166:167], 3, v[74:75]
	flat_load_dwordx2 v[74:75], v[74:75]
	s_waitcnt vmcnt(0) lgkmcnt(0)
	v_mul_f64 v[74:75], s[14:15], v[74:75]
	v_cvt_f32_f64_e32 v74, v[74:75]
	s_branch .LBB115_284
.LBB115_283:
	v_mov_b32_e32 v74, 0
.LBB115_284:
	v_add_f64 v[70:71], v[6:7], v[70:71]
	v_add_f64 v[68:69], v[4:5], v[68:69]
	;; [unrolled: 1-line block ×4, first 2 shown]
	v_cvt_f32_f64_e32 v68, v[68:69]
	v_cvt_f32_f64_e32 v69, v[70:71]
	;; [unrolled: 1-line block ×4, first 2 shown]
	v_min3_f32 v68, v68, v69, v210
	v_min_f32_e32 v64, v64, v65
	v_min3_f32 v64, v74, v64, v68
	v_cvt_f64_f32_e32 v[64:65], v64
	v_lshl_add_u64 v[66:67], v[166:167], 3, v[72:73]
	flat_store_dwordx2 v[66:67], v[64:65]
.LBB115_285:
	s_or_b64 exec, exec, s[10:11]
	v_add_u32_e32 v68, 0x60, v172
	v_mad_i64_i32 v[64:65], s[12:13], v68, s23, 0
	v_cmp_gt_i32_e64 s[10:11], s17, v68
	v_lshl_add_u64 v[66:67], v[64:65], 3, s[20:21]
	v_mad_i64_i32 v[64:65], s[12:13], v68, s22, 0
	v_lshl_add_u64 v[64:65], v[64:65], 3, s[18:19]
	s_and_b64 s[24:25], s[2:3], s[10:11]
	s_and_saveexec_b64 s[12:13], s[24:25]
	s_cbranch_execnz .LBB115_289
; %bb.286:
	s_or_b64 exec, exec, s[12:13]
	s_and_b64 s[24:25], s[4:5], s[10:11]
	s_and_saveexec_b64 s[12:13], s[24:25]
	s_cbranch_execnz .LBB115_293
.LBB115_287:
	s_or_b64 exec, exec, s[12:13]
	s_and_b64 s[24:25], s[6:7], s[10:11]
	s_and_saveexec_b64 s[12:13], s[24:25]
	s_cbranch_execnz .LBB115_297
.LBB115_288:
	s_or_b64 exec, exec, s[12:13]
	s_and_b64 s[12:13], s[8:9], s[10:11]
	s_and_saveexec_b64 s[10:11], s[12:13]
	s_cbranch_execnz .LBB115_301
	s_branch .LBB115_305
.LBB115_289:
	s_and_b64 vcc, exec, s[0:1]
	s_cbranch_vccnz .LBB115_291
; %bb.290:
	v_lshl_add_u64 v[68:69], v[160:161], 3, v[66:67]
	flat_load_dwordx2 v[68:69], v[68:69]
	s_waitcnt vmcnt(0) lgkmcnt(0)
	v_mul_f64 v[68:69], s[14:15], v[68:69]
	v_cvt_f32_f64_e32 v68, v[68:69]
	s_branch .LBB115_292
.LBB115_291:
	v_mov_b32_e32 v68, 0
.LBB115_292:
	v_add_f64 v[70:71], v[38:39], v[62:63]
	v_add_f64 v[72:73], v[36:37], v[60:61]
	v_cvt_f32_f64_e32 v69, v[72:73]
	v_cvt_f32_f64_e32 v70, v[70:71]
	v_min3_f32 v69, v69, v70, v209
	v_add_f64 v[70:71], v[34:35], v[58:59]
	v_add_f64 v[72:73], v[32:33], v[56:57]
	v_cvt_f32_f64_e32 v72, v[72:73]
	v_cvt_f32_f64_e32 v70, v[70:71]
	v_min_f32_e32 v70, v72, v70
	v_min3_f32 v68, v68, v70, v69
	v_cvt_f64_f32_e32 v[68:69], v68
	v_lshl_add_u64 v[70:71], v[160:161], 3, v[64:65]
	flat_store_dwordx2 v[70:71], v[68:69]
	s_or_b64 exec, exec, s[12:13]
	s_and_b64 s[24:25], s[4:5], s[10:11]
	s_and_saveexec_b64 s[12:13], s[24:25]
	s_cbranch_execz .LBB115_287
.LBB115_293:
	s_and_b64 vcc, exec, s[0:1]
	s_cbranch_vccnz .LBB115_295
; %bb.294:
	v_lshl_add_u64 v[68:69], v[162:163], 3, v[66:67]
	flat_load_dwordx2 v[68:69], v[68:69]
	s_waitcnt vmcnt(0) lgkmcnt(0)
	v_mul_f64 v[68:69], s[14:15], v[68:69]
	v_cvt_f32_f64_e32 v68, v[68:69]
	s_branch .LBB115_296
.LBB115_295:
	v_mov_b32_e32 v68, 0
.LBB115_296:
	v_add_f64 v[70:71], v[26:27], v[62:63]
	v_add_f64 v[72:73], v[24:25], v[60:61]
	v_cvt_f32_f64_e32 v69, v[72:73]
	v_cvt_f32_f64_e32 v70, v[70:71]
	v_min3_f32 v69, v69, v70, v208
	v_add_f64 v[70:71], v[30:31], v[58:59]
	v_add_f64 v[72:73], v[28:29], v[56:57]
	v_cvt_f32_f64_e32 v72, v[72:73]
	v_cvt_f32_f64_e32 v70, v[70:71]
	v_min_f32_e32 v70, v72, v70
	v_min3_f32 v68, v68, v70, v69
	v_cvt_f64_f32_e32 v[68:69], v68
	v_lshl_add_u64 v[70:71], v[162:163], 3, v[64:65]
	flat_store_dwordx2 v[70:71], v[68:69]
	s_or_b64 exec, exec, s[12:13]
	s_and_b64 s[24:25], s[6:7], s[10:11]
	s_and_saveexec_b64 s[12:13], s[24:25]
	s_cbranch_execz .LBB115_288
.LBB115_297:
	s_and_b64 vcc, exec, s[0:1]
	s_cbranch_vccnz .LBB115_299
; %bb.298:
	v_lshl_add_u64 v[68:69], v[164:165], 3, v[66:67]
	flat_load_dwordx2 v[68:69], v[68:69]
	s_waitcnt vmcnt(0) lgkmcnt(0)
	v_mul_f64 v[68:69], s[14:15], v[68:69]
	v_cvt_f32_f64_e32 v68, v[68:69]
	s_branch .LBB115_300
.LBB115_299:
	v_mov_b32_e32 v68, 0
.LBB115_300:
	v_add_f64 v[70:71], v[22:23], v[62:63]
	v_add_f64 v[72:73], v[20:21], v[60:61]
	v_cvt_f32_f64_e32 v69, v[72:73]
	v_cvt_f32_f64_e32 v70, v[70:71]
	v_min3_f32 v69, v69, v70, v206
	v_add_f64 v[70:71], v[14:15], v[58:59]
	v_add_f64 v[72:73], v[12:13], v[56:57]
	v_cvt_f32_f64_e32 v72, v[72:73]
	v_cvt_f32_f64_e32 v70, v[70:71]
	v_min_f32_e32 v70, v72, v70
	v_min3_f32 v68, v68, v70, v69
	v_cvt_f64_f32_e32 v[68:69], v68
	v_lshl_add_u64 v[70:71], v[164:165], 3, v[64:65]
	flat_store_dwordx2 v[70:71], v[68:69]
	s_or_b64 exec, exec, s[12:13]
	s_and_b64 s[12:13], s[8:9], s[10:11]
	s_and_saveexec_b64 s[10:11], s[12:13]
	s_cbranch_execz .LBB115_305
.LBB115_301:
	s_and_b64 vcc, exec, s[0:1]
	s_cbranch_vccnz .LBB115_303
; %bb.302:
	v_lshl_add_u64 v[66:67], v[166:167], 3, v[66:67]
	flat_load_dwordx2 v[66:67], v[66:67]
	s_waitcnt vmcnt(0) lgkmcnt(0)
	v_mul_f64 v[66:67], s[14:15], v[66:67]
	v_cvt_f32_f64_e32 v66, v[66:67]
	s_branch .LBB115_304
.LBB115_303:
	v_mov_b32_e32 v66, 0
.LBB115_304:
	v_add_f64 v[62:63], v[6:7], v[62:63]
	v_add_f64 v[60:61], v[4:5], v[60:61]
	;; [unrolled: 1-line block ×4, first 2 shown]
	v_cvt_f32_f64_e32 v60, v[60:61]
	v_cvt_f32_f64_e32 v61, v[62:63]
	;; [unrolled: 1-line block ×4, first 2 shown]
	v_min3_f32 v60, v60, v61, v205
	v_min_f32_e32 v56, v56, v57
	v_min3_f32 v56, v66, v56, v60
	v_cvt_f64_f32_e32 v[56:57], v56
	v_lshl_add_u64 v[58:59], v[166:167], 3, v[64:65]
	flat_store_dwordx2 v[58:59], v[56:57]
.LBB115_305:
	s_or_b64 exec, exec, s[10:11]
	v_add_u32_e32 v60, 0x68, v172
	v_mad_i64_i32 v[56:57], s[12:13], v60, s23, 0
	v_cmp_gt_i32_e64 s[10:11], s17, v60
	v_lshl_add_u64 v[58:59], v[56:57], 3, s[20:21]
	v_mad_i64_i32 v[56:57], s[12:13], v60, s22, 0
	v_lshl_add_u64 v[56:57], v[56:57], 3, s[18:19]
	s_and_b64 s[24:25], s[2:3], s[10:11]
	s_and_saveexec_b64 s[12:13], s[24:25]
	s_cbranch_execnz .LBB115_309
; %bb.306:
	s_or_b64 exec, exec, s[12:13]
	s_and_b64 s[24:25], s[4:5], s[10:11]
	s_and_saveexec_b64 s[12:13], s[24:25]
	s_cbranch_execnz .LBB115_313
.LBB115_307:
	s_or_b64 exec, exec, s[12:13]
	s_and_b64 s[24:25], s[6:7], s[10:11]
	s_and_saveexec_b64 s[12:13], s[24:25]
	s_cbranch_execnz .LBB115_317
.LBB115_308:
	s_or_b64 exec, exec, s[12:13]
	s_and_b64 s[12:13], s[8:9], s[10:11]
	s_and_saveexec_b64 s[10:11], s[12:13]
	s_cbranch_execnz .LBB115_321
	s_branch .LBB115_325
.LBB115_309:
	s_and_b64 vcc, exec, s[0:1]
	s_cbranch_vccnz .LBB115_311
; %bb.310:
	v_lshl_add_u64 v[60:61], v[160:161], 3, v[58:59]
	flat_load_dwordx2 v[60:61], v[60:61]
	s_waitcnt vmcnt(0) lgkmcnt(0)
	v_mul_f64 v[60:61], s[14:15], v[60:61]
	v_cvt_f32_f64_e32 v60, v[60:61]
	s_branch .LBB115_312
.LBB115_311:
	v_mov_b32_e32 v60, 0
.LBB115_312:
	v_add_f64 v[62:63], v[38:39], v[54:55]
	v_add_f64 v[64:65], v[36:37], v[52:53]
	v_cvt_f32_f64_e32 v61, v[64:65]
	v_cvt_f32_f64_e32 v62, v[62:63]
	v_min3_f32 v61, v61, v62, v204
	v_add_f64 v[62:63], v[34:35], v[50:51]
	v_add_f64 v[64:65], v[32:33], v[48:49]
	v_cvt_f32_f64_e32 v64, v[64:65]
	v_cvt_f32_f64_e32 v62, v[62:63]
	v_min_f32_e32 v62, v64, v62
	v_min3_f32 v60, v60, v62, v61
	v_cvt_f64_f32_e32 v[60:61], v60
	v_lshl_add_u64 v[62:63], v[160:161], 3, v[56:57]
	flat_store_dwordx2 v[62:63], v[60:61]
	s_or_b64 exec, exec, s[12:13]
	s_and_b64 s[24:25], s[4:5], s[10:11]
	s_and_saveexec_b64 s[12:13], s[24:25]
	s_cbranch_execz .LBB115_307
.LBB115_313:
	s_and_b64 vcc, exec, s[0:1]
	s_cbranch_vccnz .LBB115_315
; %bb.314:
	v_lshl_add_u64 v[60:61], v[162:163], 3, v[58:59]
	flat_load_dwordx2 v[60:61], v[60:61]
	s_waitcnt vmcnt(0) lgkmcnt(0)
	v_mul_f64 v[60:61], s[14:15], v[60:61]
	v_cvt_f32_f64_e32 v60, v[60:61]
	s_branch .LBB115_316
.LBB115_315:
	v_mov_b32_e32 v60, 0
.LBB115_316:
	v_add_f64 v[62:63], v[26:27], v[54:55]
	v_add_f64 v[64:65], v[24:25], v[52:53]
	v_cvt_f32_f64_e32 v61, v[64:65]
	v_cvt_f32_f64_e32 v62, v[62:63]
	v_min3_f32 v61, v61, v62, v203
	v_add_f64 v[62:63], v[30:31], v[50:51]
	v_add_f64 v[64:65], v[28:29], v[48:49]
	v_cvt_f32_f64_e32 v64, v[64:65]
	v_cvt_f32_f64_e32 v62, v[62:63]
	v_min_f32_e32 v62, v64, v62
	v_min3_f32 v60, v60, v62, v61
	v_cvt_f64_f32_e32 v[60:61], v60
	v_lshl_add_u64 v[62:63], v[162:163], 3, v[56:57]
	flat_store_dwordx2 v[62:63], v[60:61]
	s_or_b64 exec, exec, s[12:13]
	s_and_b64 s[24:25], s[6:7], s[10:11]
	s_and_saveexec_b64 s[12:13], s[24:25]
	s_cbranch_execz .LBB115_308
.LBB115_317:
	s_and_b64 vcc, exec, s[0:1]
	s_cbranch_vccnz .LBB115_319
; %bb.318:
	v_lshl_add_u64 v[60:61], v[164:165], 3, v[58:59]
	flat_load_dwordx2 v[60:61], v[60:61]
	s_waitcnt vmcnt(0) lgkmcnt(0)
	v_mul_f64 v[60:61], s[14:15], v[60:61]
	v_cvt_f32_f64_e32 v60, v[60:61]
	s_branch .LBB115_320
.LBB115_319:
	v_mov_b32_e32 v60, 0
.LBB115_320:
	v_add_f64 v[62:63], v[22:23], v[54:55]
	v_add_f64 v[64:65], v[20:21], v[52:53]
	v_cvt_f32_f64_e32 v61, v[64:65]
	v_cvt_f32_f64_e32 v62, v[62:63]
	v_min3_f32 v61, v61, v62, v200
	v_add_f64 v[62:63], v[14:15], v[50:51]
	v_add_f64 v[64:65], v[12:13], v[48:49]
	v_cvt_f32_f64_e32 v64, v[64:65]
	v_cvt_f32_f64_e32 v62, v[62:63]
	v_min_f32_e32 v62, v64, v62
	v_min3_f32 v60, v60, v62, v61
	v_cvt_f64_f32_e32 v[60:61], v60
	v_lshl_add_u64 v[62:63], v[164:165], 3, v[56:57]
	flat_store_dwordx2 v[62:63], v[60:61]
	s_or_b64 exec, exec, s[12:13]
	s_and_b64 s[12:13], s[8:9], s[10:11]
	s_and_saveexec_b64 s[10:11], s[12:13]
	s_cbranch_execz .LBB115_325
.LBB115_321:
	s_and_b64 vcc, exec, s[0:1]
	s_cbranch_vccnz .LBB115_323
; %bb.322:
	v_lshl_add_u64 v[58:59], v[166:167], 3, v[58:59]
	flat_load_dwordx2 v[58:59], v[58:59]
	s_waitcnt vmcnt(0) lgkmcnt(0)
	v_mul_f64 v[58:59], s[14:15], v[58:59]
	v_cvt_f32_f64_e32 v58, v[58:59]
	s_branch .LBB115_324
.LBB115_323:
	v_mov_b32_e32 v58, 0
.LBB115_324:
	v_add_f64 v[54:55], v[6:7], v[54:55]
	v_add_f64 v[52:53], v[4:5], v[52:53]
	v_add_f64 v[50:51], v[2:3], v[50:51]
	v_add_f64 v[48:49], v[0:1], v[48:49]
	v_cvt_f32_f64_e32 v52, v[52:53]
	v_cvt_f32_f64_e32 v53, v[54:55]
	;; [unrolled: 1-line block ×4, first 2 shown]
	v_min3_f32 v52, v52, v53, v198
	v_min_f32_e32 v48, v48, v49
	v_min3_f32 v48, v58, v48, v52
	v_cvt_f64_f32_e32 v[48:49], v48
	v_lshl_add_u64 v[50:51], v[166:167], 3, v[56:57]
	flat_store_dwordx2 v[50:51], v[48:49]
.LBB115_325:
	s_or_b64 exec, exec, s[10:11]
	v_add_u32_e32 v52, 0x70, v172
	v_mad_i64_i32 v[48:49], s[12:13], v52, s23, 0
	v_cmp_gt_i32_e64 s[10:11], s17, v52
	v_lshl_add_u64 v[50:51], v[48:49], 3, s[20:21]
	v_mad_i64_i32 v[48:49], s[12:13], v52, s22, 0
	v_lshl_add_u64 v[48:49], v[48:49], 3, s[18:19]
	s_and_b64 s[24:25], s[2:3], s[10:11]
	s_and_saveexec_b64 s[12:13], s[24:25]
	s_cbranch_execnz .LBB115_329
; %bb.326:
	s_or_b64 exec, exec, s[12:13]
	s_and_b64 s[24:25], s[4:5], s[10:11]
	s_and_saveexec_b64 s[12:13], s[24:25]
	s_cbranch_execnz .LBB115_333
.LBB115_327:
	s_or_b64 exec, exec, s[12:13]
	s_and_b64 s[24:25], s[6:7], s[10:11]
	s_and_saveexec_b64 s[12:13], s[24:25]
	s_cbranch_execnz .LBB115_337
.LBB115_328:
	s_or_b64 exec, exec, s[12:13]
	s_and_b64 s[12:13], s[8:9], s[10:11]
	s_and_saveexec_b64 s[10:11], s[12:13]
	s_cbranch_execnz .LBB115_341
	s_branch .LBB115_345
.LBB115_329:
	s_and_b64 vcc, exec, s[0:1]
	s_cbranch_vccnz .LBB115_331
; %bb.330:
	v_lshl_add_u64 v[52:53], v[160:161], 3, v[50:51]
	flat_load_dwordx2 v[52:53], v[52:53]
	s_waitcnt vmcnt(0) lgkmcnt(0)
	v_mul_f64 v[52:53], s[14:15], v[52:53]
	v_cvt_f32_f64_e32 v52, v[52:53]
	s_branch .LBB115_332
.LBB115_331:
	v_mov_b32_e32 v52, 0
.LBB115_332:
	v_add_f64 v[54:55], v[38:39], v[46:47]
	v_add_f64 v[56:57], v[36:37], v[44:45]
	v_cvt_f32_f64_e32 v53, v[56:57]
	v_cvt_f32_f64_e32 v54, v[54:55]
	v_min3_f32 v53, v53, v54, v197
	v_add_f64 v[54:55], v[34:35], v[42:43]
	v_add_f64 v[56:57], v[32:33], v[40:41]
	v_cvt_f32_f64_e32 v56, v[56:57]
	v_cvt_f32_f64_e32 v54, v[54:55]
	v_min_f32_e32 v54, v56, v54
	v_min3_f32 v52, v52, v54, v53
	v_cvt_f64_f32_e32 v[52:53], v52
	v_lshl_add_u64 v[54:55], v[160:161], 3, v[48:49]
	flat_store_dwordx2 v[54:55], v[52:53]
	s_or_b64 exec, exec, s[12:13]
	s_and_b64 s[24:25], s[4:5], s[10:11]
	s_and_saveexec_b64 s[12:13], s[24:25]
	s_cbranch_execz .LBB115_327
.LBB115_333:
	s_and_b64 vcc, exec, s[0:1]
	s_cbranch_vccnz .LBB115_335
; %bb.334:
	v_lshl_add_u64 v[52:53], v[162:163], 3, v[50:51]
	flat_load_dwordx2 v[52:53], v[52:53]
	s_waitcnt vmcnt(0) lgkmcnt(0)
	v_mul_f64 v[52:53], s[14:15], v[52:53]
	v_cvt_f32_f64_e32 v52, v[52:53]
	s_branch .LBB115_336
.LBB115_335:
	v_mov_b32_e32 v52, 0
.LBB115_336:
	v_add_f64 v[54:55], v[26:27], v[46:47]
	v_add_f64 v[56:57], v[24:25], v[44:45]
	v_cvt_f32_f64_e32 v53, v[56:57]
	v_cvt_f32_f64_e32 v54, v[54:55]
	v_min3_f32 v53, v53, v54, v196
	v_add_f64 v[54:55], v[30:31], v[42:43]
	v_add_f64 v[56:57], v[28:29], v[40:41]
	v_cvt_f32_f64_e32 v56, v[56:57]
	v_cvt_f32_f64_e32 v54, v[54:55]
	v_min_f32_e32 v54, v56, v54
	v_min3_f32 v52, v52, v54, v53
	v_cvt_f64_f32_e32 v[52:53], v52
	v_lshl_add_u64 v[54:55], v[162:163], 3, v[48:49]
	flat_store_dwordx2 v[54:55], v[52:53]
	s_or_b64 exec, exec, s[12:13]
	s_and_b64 s[24:25], s[6:7], s[10:11]
	s_and_saveexec_b64 s[12:13], s[24:25]
	s_cbranch_execz .LBB115_328
.LBB115_337:
	s_and_b64 vcc, exec, s[0:1]
	s_cbranch_vccnz .LBB115_339
; %bb.338:
	v_lshl_add_u64 v[52:53], v[164:165], 3, v[50:51]
	flat_load_dwordx2 v[52:53], v[52:53]
	s_waitcnt vmcnt(0) lgkmcnt(0)
	v_mul_f64 v[52:53], s[14:15], v[52:53]
	v_cvt_f32_f64_e32 v52, v[52:53]
	s_branch .LBB115_340
.LBB115_339:
	v_mov_b32_e32 v52, 0
.LBB115_340:
	v_add_f64 v[54:55], v[22:23], v[46:47]
	v_add_f64 v[56:57], v[20:21], v[44:45]
	v_cvt_f32_f64_e32 v53, v[56:57]
	v_cvt_f32_f64_e32 v54, v[54:55]
	v_min3_f32 v53, v53, v54, v195
	v_add_f64 v[54:55], v[14:15], v[42:43]
	v_add_f64 v[56:57], v[12:13], v[40:41]
	v_cvt_f32_f64_e32 v56, v[56:57]
	v_cvt_f32_f64_e32 v54, v[54:55]
	v_min_f32_e32 v54, v56, v54
	v_min3_f32 v52, v52, v54, v53
	v_cvt_f64_f32_e32 v[52:53], v52
	v_lshl_add_u64 v[54:55], v[164:165], 3, v[48:49]
	flat_store_dwordx2 v[54:55], v[52:53]
	s_or_b64 exec, exec, s[12:13]
	s_and_b64 s[12:13], s[8:9], s[10:11]
	s_and_saveexec_b64 s[10:11], s[12:13]
	s_cbranch_execz .LBB115_345
.LBB115_341:
	s_and_b64 vcc, exec, s[0:1]
	s_cbranch_vccnz .LBB115_343
; %bb.342:
	v_lshl_add_u64 v[50:51], v[166:167], 3, v[50:51]
	flat_load_dwordx2 v[50:51], v[50:51]
	s_waitcnt vmcnt(0) lgkmcnt(0)
	v_mul_f64 v[50:51], s[14:15], v[50:51]
	v_cvt_f32_f64_e32 v50, v[50:51]
	s_branch .LBB115_344
.LBB115_343:
	v_mov_b32_e32 v50, 0
.LBB115_344:
	v_add_f64 v[46:47], v[6:7], v[46:47]
	v_add_f64 v[44:45], v[4:5], v[44:45]
	v_add_f64 v[42:43], v[2:3], v[42:43]
	v_add_f64 v[40:41], v[0:1], v[40:41]
	v_cvt_f32_f64_e32 v44, v[44:45]
	v_cvt_f32_f64_e32 v45, v[46:47]
	;; [unrolled: 1-line block ×4, first 2 shown]
	v_min3_f32 v44, v44, v45, v192
	v_min_f32_e32 v40, v40, v41
	v_min3_f32 v40, v50, v40, v44
	v_cvt_f64_f32_e32 v[40:41], v40
	v_lshl_add_u64 v[42:43], v[166:167], 3, v[48:49]
	flat_store_dwordx2 v[42:43], v[40:41]
.LBB115_345:
	s_or_b64 exec, exec, s[10:11]
	v_add_u32_e32 v44, 0x78, v172
	v_mad_i64_i32 v[40:41], s[12:13], v44, s23, 0
	v_cmp_gt_i32_e64 s[10:11], s17, v44
	v_lshl_add_u64 v[42:43], v[40:41], 3, s[20:21]
	v_mad_i64_i32 v[40:41], s[12:13], v44, s22, 0
	v_lshl_add_u64 v[40:41], v[40:41], 3, s[18:19]
	s_and_b64 s[12:13], s[2:3], s[10:11]
	s_and_saveexec_b64 s[2:3], s[12:13]
	s_cbranch_execnz .LBB115_350
; %bb.346:
	s_or_b64 exec, exec, s[2:3]
	s_and_b64 s[4:5], s[4:5], s[10:11]
	s_and_saveexec_b64 s[2:3], s[4:5]
	s_cbranch_execnz .LBB115_354
.LBB115_347:
	s_or_b64 exec, exec, s[2:3]
	s_and_b64 s[4:5], s[6:7], s[10:11]
	s_and_saveexec_b64 s[2:3], s[4:5]
	s_cbranch_execnz .LBB115_358
.LBB115_348:
	s_or_b64 exec, exec, s[2:3]
	s_and_b64 s[2:3], s[8:9], s[10:11]
	s_and_saveexec_b64 s[4:5], s[2:3]
	s_cbranch_execnz .LBB115_362
.LBB115_349:
	s_endpgm
.LBB115_350:
	s_and_b64 vcc, exec, s[0:1]
	s_cbranch_vccnz .LBB115_352
; %bb.351:
	v_lshl_add_u64 v[44:45], v[160:161], 3, v[42:43]
	flat_load_dwordx2 v[44:45], v[44:45]
	s_waitcnt vmcnt(0) lgkmcnt(0)
	v_mul_f64 v[44:45], s[14:15], v[44:45]
	v_cvt_f32_f64_e32 v44, v[44:45]
	s_branch .LBB115_353
.LBB115_352:
	v_mov_b32_e32 v44, 0
.LBB115_353:
	s_waitcnt lgkmcnt(0)
	v_add_f64 v[38:39], v[38:39], v[18:19]
	v_add_f64 v[36:37], v[36:37], v[16:17]
	;; [unrolled: 1-line block ×4, first 2 shown]
	v_cvt_f32_f64_e32 v36, v[36:37]
	v_cvt_f32_f64_e32 v37, v[38:39]
	;; [unrolled: 1-line block ×4, first 2 shown]
	v_min3_f32 v36, v36, v37, v191
	v_min_f32_e32 v32, v32, v33
	v_min3_f32 v32, v44, v32, v36
	v_cvt_f64_f32_e32 v[32:33], v32
	v_lshl_add_u64 v[34:35], v[160:161], 3, v[40:41]
	flat_store_dwordx2 v[34:35], v[32:33]
	s_or_b64 exec, exec, s[2:3]
	s_and_b64 s[4:5], s[4:5], s[10:11]
	s_and_saveexec_b64 s[2:3], s[4:5]
	s_cbranch_execz .LBB115_347
.LBB115_354:
	s_and_b64 vcc, exec, s[0:1]
	s_cbranch_vccnz .LBB115_356
; %bb.355:
	v_lshl_add_u64 v[32:33], v[162:163], 3, v[42:43]
	flat_load_dwordx2 v[32:33], v[32:33]
	s_waitcnt vmcnt(0) lgkmcnt(0)
	v_mul_f64 v[32:33], s[14:15], v[32:33]
	v_cvt_f32_f64_e32 v32, v[32:33]
	s_branch .LBB115_357
.LBB115_356:
	v_mov_b32_e32 v32, 0
.LBB115_357:
	s_waitcnt lgkmcnt(0)
	v_add_f64 v[26:27], v[26:27], v[18:19]
	v_add_f64 v[24:25], v[24:25], v[16:17]
	v_cvt_f32_f64_e32 v24, v[24:25]
	v_cvt_f32_f64_e32 v25, v[26:27]
	v_min3_f32 v33, v24, v25, v182
	v_add_f64 v[24:25], v[30:31], v[10:11]
	v_add_f64 v[26:27], v[28:29], v[8:9]
	v_cvt_f32_f64_e32 v26, v[26:27]
	v_cvt_f32_f64_e32 v24, v[24:25]
	v_min_f32_e32 v24, v26, v24
	v_min3_f32 v24, v32, v24, v33
	v_cvt_f64_f32_e32 v[24:25], v24
	v_lshl_add_u64 v[26:27], v[162:163], 3, v[40:41]
	flat_store_dwordx2 v[26:27], v[24:25]
	s_or_b64 exec, exec, s[2:3]
	s_and_b64 s[4:5], s[6:7], s[10:11]
	s_and_saveexec_b64 s[2:3], s[4:5]
	s_cbranch_execz .LBB115_348
.LBB115_358:
	s_and_b64 vcc, exec, s[0:1]
	s_cbranch_vccnz .LBB115_360
; %bb.359:
	v_lshl_add_u64 v[24:25], v[164:165], 3, v[42:43]
	flat_load_dwordx2 v[24:25], v[24:25]
	s_waitcnt vmcnt(0) lgkmcnt(0)
	v_mul_f64 v[24:25], s[14:15], v[24:25]
	v_cvt_f32_f64_e32 v24, v[24:25]
	s_branch .LBB115_361
.LBB115_360:
	v_mov_b32_e32 v24, 0
.LBB115_361:
	s_waitcnt lgkmcnt(0)
	v_add_f64 v[22:23], v[22:23], v[18:19]
	v_add_f64 v[20:21], v[20:21], v[16:17]
	;; [unrolled: 1-line block ×4, first 2 shown]
	v_cvt_f32_f64_e32 v20, v[20:21]
	v_cvt_f32_f64_e32 v21, v[22:23]
	;; [unrolled: 1-line block ×4, first 2 shown]
	v_min3_f32 v20, v20, v21, v181
	v_min_f32_e32 v12, v12, v13
	v_min3_f32 v12, v24, v12, v20
	v_cvt_f64_f32_e32 v[12:13], v12
	v_lshl_add_u64 v[14:15], v[164:165], 3, v[40:41]
	flat_store_dwordx2 v[14:15], v[12:13]
	s_or_b64 exec, exec, s[2:3]
	s_and_b64 s[2:3], s[8:9], s[10:11]
	s_and_saveexec_b64 s[4:5], s[2:3]
	s_cbranch_execz .LBB115_349
.LBB115_362:
	s_and_b64 vcc, exec, s[0:1]
	s_cbranch_vccnz .LBB115_364
; %bb.363:
	v_lshl_add_u64 v[12:13], v[166:167], 3, v[42:43]
	flat_load_dwordx2 v[12:13], v[12:13]
	s_waitcnt vmcnt(0) lgkmcnt(0)
	v_mul_f64 v[12:13], s[14:15], v[12:13]
	v_cvt_f32_f64_e32 v12, v[12:13]
	s_branch .LBB115_365
.LBB115_364:
	v_mov_b32_e32 v12, 0
.LBB115_365:
	s_waitcnt lgkmcnt(0)
	v_add_f64 v[6:7], v[6:7], v[18:19]
	v_add_f64 v[4:5], v[4:5], v[16:17]
	;; [unrolled: 1-line block ×4, first 2 shown]
	v_cvt_f32_f64_e32 v4, v[4:5]
	v_cvt_f32_f64_e32 v5, v[6:7]
	;; [unrolled: 1-line block ×4, first 2 shown]
	v_min3_f32 v4, v4, v5, v180
	v_min_f32_e32 v0, v0, v1
	v_min3_f32 v0, v12, v0, v4
	v_cvt_f64_f32_e32 v[0:1], v0
	v_lshl_add_u64 v[2:3], v[166:167], 3, v[40:41]
	flat_store_dwordx2 v[2:3], v[0:1]
	s_endpgm
	.section	.rodata,"a",@progbits
	.p2align	6, 0x0
	.amdhsa_kernel _ZN12_GLOBAL__N_120geam_min_plus_kernelId15HIP_vector_typeIdLj2EEdLi32ELi8ELi128ELi128ELi4ELi4ELi64ELi4ELi64ELc84ELc78ELb1ELb1ELb1EdKPKdKPdEEviiiT16_PT17_ilSA_ilS8_SA_ilPT18_ili26rocblas_geam_ex_operation_
		.amdhsa_group_segment_fixed_size 16384
		.amdhsa_private_segment_fixed_size 0
		.amdhsa_kernarg_size 136
		.amdhsa_user_sgpr_count 2
		.amdhsa_user_sgpr_dispatch_ptr 0
		.amdhsa_user_sgpr_queue_ptr 0
		.amdhsa_user_sgpr_kernarg_segment_ptr 1
		.amdhsa_user_sgpr_dispatch_id 0
		.amdhsa_user_sgpr_kernarg_preload_length 0
		.amdhsa_user_sgpr_kernarg_preload_offset 0
		.amdhsa_user_sgpr_private_segment_size 0
		.amdhsa_uses_dynamic_stack 0
		.amdhsa_enable_private_segment 0
		.amdhsa_system_sgpr_workgroup_id_x 1
		.amdhsa_system_sgpr_workgroup_id_y 0
		.amdhsa_system_sgpr_workgroup_id_z 1
		.amdhsa_system_sgpr_workgroup_info 0
		.amdhsa_system_vgpr_workitem_id 1
		.amdhsa_next_free_vgpr 262
		.amdhsa_next_free_sgpr 36
		.amdhsa_accum_offset 256
		.amdhsa_reserve_vcc 1
		.amdhsa_float_round_mode_32 0
		.amdhsa_float_round_mode_16_64 0
		.amdhsa_float_denorm_mode_32 3
		.amdhsa_float_denorm_mode_16_64 3
		.amdhsa_dx10_clamp 1
		.amdhsa_ieee_mode 1
		.amdhsa_fp16_overflow 0
		.amdhsa_tg_split 0
		.amdhsa_exception_fp_ieee_invalid_op 0
		.amdhsa_exception_fp_denorm_src 0
		.amdhsa_exception_fp_ieee_div_zero 0
		.amdhsa_exception_fp_ieee_overflow 0
		.amdhsa_exception_fp_ieee_underflow 0
		.amdhsa_exception_fp_ieee_inexact 0
		.amdhsa_exception_int_div_zero 0
	.end_amdhsa_kernel
	.section	.text._ZN12_GLOBAL__N_120geam_min_plus_kernelId15HIP_vector_typeIdLj2EEdLi32ELi8ELi128ELi128ELi4ELi4ELi64ELi4ELi64ELc84ELc78ELb1ELb1ELb1EdKPKdKPdEEviiiT16_PT17_ilSA_ilS8_SA_ilPT18_ili26rocblas_geam_ex_operation_,"axG",@progbits,_ZN12_GLOBAL__N_120geam_min_plus_kernelId15HIP_vector_typeIdLj2EEdLi32ELi8ELi128ELi128ELi4ELi4ELi64ELi4ELi64ELc84ELc78ELb1ELb1ELb1EdKPKdKPdEEviiiT16_PT17_ilSA_ilS8_SA_ilPT18_ili26rocblas_geam_ex_operation_,comdat
.Lfunc_end115:
	.size	_ZN12_GLOBAL__N_120geam_min_plus_kernelId15HIP_vector_typeIdLj2EEdLi32ELi8ELi128ELi128ELi4ELi4ELi64ELi4ELi64ELc84ELc78ELb1ELb1ELb1EdKPKdKPdEEviiiT16_PT17_ilSA_ilS8_SA_ilPT18_ili26rocblas_geam_ex_operation_, .Lfunc_end115-_ZN12_GLOBAL__N_120geam_min_plus_kernelId15HIP_vector_typeIdLj2EEdLi32ELi8ELi128ELi128ELi4ELi4ELi64ELi4ELi64ELc84ELc78ELb1ELb1ELb1EdKPKdKPdEEviiiT16_PT17_ilSA_ilS8_SA_ilPT18_ili26rocblas_geam_ex_operation_
                                        ; -- End function
	.set _ZN12_GLOBAL__N_120geam_min_plus_kernelId15HIP_vector_typeIdLj2EEdLi32ELi8ELi128ELi128ELi4ELi4ELi64ELi4ELi64ELc84ELc78ELb1ELb1ELb1EdKPKdKPdEEviiiT16_PT17_ilSA_ilS8_SA_ilPT18_ili26rocblas_geam_ex_operation_.num_vgpr, 256
	.set _ZN12_GLOBAL__N_120geam_min_plus_kernelId15HIP_vector_typeIdLj2EEdLi32ELi8ELi128ELi128ELi4ELi4ELi64ELi4ELi64ELc84ELc78ELb1ELb1ELb1EdKPKdKPdEEviiiT16_PT17_ilSA_ilS8_SA_ilPT18_ili26rocblas_geam_ex_operation_.num_agpr, 6
	.set _ZN12_GLOBAL__N_120geam_min_plus_kernelId15HIP_vector_typeIdLj2EEdLi32ELi8ELi128ELi128ELi4ELi4ELi64ELi4ELi64ELc84ELc78ELb1ELb1ELb1EdKPKdKPdEEviiiT16_PT17_ilSA_ilS8_SA_ilPT18_ili26rocblas_geam_ex_operation_.numbered_sgpr, 36
	.set _ZN12_GLOBAL__N_120geam_min_plus_kernelId15HIP_vector_typeIdLj2EEdLi32ELi8ELi128ELi128ELi4ELi4ELi64ELi4ELi64ELc84ELc78ELb1ELb1ELb1EdKPKdKPdEEviiiT16_PT17_ilSA_ilS8_SA_ilPT18_ili26rocblas_geam_ex_operation_.num_named_barrier, 0
	.set _ZN12_GLOBAL__N_120geam_min_plus_kernelId15HIP_vector_typeIdLj2EEdLi32ELi8ELi128ELi128ELi4ELi4ELi64ELi4ELi64ELc84ELc78ELb1ELb1ELb1EdKPKdKPdEEviiiT16_PT17_ilSA_ilS8_SA_ilPT18_ili26rocblas_geam_ex_operation_.private_seg_size, 0
	.set _ZN12_GLOBAL__N_120geam_min_plus_kernelId15HIP_vector_typeIdLj2EEdLi32ELi8ELi128ELi128ELi4ELi4ELi64ELi4ELi64ELc84ELc78ELb1ELb1ELb1EdKPKdKPdEEviiiT16_PT17_ilSA_ilS8_SA_ilPT18_ili26rocblas_geam_ex_operation_.uses_vcc, 1
	.set _ZN12_GLOBAL__N_120geam_min_plus_kernelId15HIP_vector_typeIdLj2EEdLi32ELi8ELi128ELi128ELi4ELi4ELi64ELi4ELi64ELc84ELc78ELb1ELb1ELb1EdKPKdKPdEEviiiT16_PT17_ilSA_ilS8_SA_ilPT18_ili26rocblas_geam_ex_operation_.uses_flat_scratch, 0
	.set _ZN12_GLOBAL__N_120geam_min_plus_kernelId15HIP_vector_typeIdLj2EEdLi32ELi8ELi128ELi128ELi4ELi4ELi64ELi4ELi64ELc84ELc78ELb1ELb1ELb1EdKPKdKPdEEviiiT16_PT17_ilSA_ilS8_SA_ilPT18_ili26rocblas_geam_ex_operation_.has_dyn_sized_stack, 0
	.set _ZN12_GLOBAL__N_120geam_min_plus_kernelId15HIP_vector_typeIdLj2EEdLi32ELi8ELi128ELi128ELi4ELi4ELi64ELi4ELi64ELc84ELc78ELb1ELb1ELb1EdKPKdKPdEEviiiT16_PT17_ilSA_ilS8_SA_ilPT18_ili26rocblas_geam_ex_operation_.has_recursion, 0
	.set _ZN12_GLOBAL__N_120geam_min_plus_kernelId15HIP_vector_typeIdLj2EEdLi32ELi8ELi128ELi128ELi4ELi4ELi64ELi4ELi64ELc84ELc78ELb1ELb1ELb1EdKPKdKPdEEviiiT16_PT17_ilSA_ilS8_SA_ilPT18_ili26rocblas_geam_ex_operation_.has_indirect_call, 0
	.section	.AMDGPU.csdata,"",@progbits
; Kernel info:
; codeLenInByte = 26816
; TotalNumSgprs: 42
; NumVgprs: 256
; NumAgprs: 6
; TotalNumVgprs: 262
; ScratchSize: 0
; MemoryBound: 0
; FloatMode: 240
; IeeeMode: 1
; LDSByteSize: 16384 bytes/workgroup (compile time only)
; SGPRBlocks: 5
; VGPRBlocks: 32
; NumSGPRsForWavesPerEU: 42
; NumVGPRsForWavesPerEU: 262
; AccumOffset: 256
; Occupancy: 1
; WaveLimiterHint : 1
; COMPUTE_PGM_RSRC2:SCRATCH_EN: 0
; COMPUTE_PGM_RSRC2:USER_SGPR: 2
; COMPUTE_PGM_RSRC2:TRAP_HANDLER: 0
; COMPUTE_PGM_RSRC2:TGID_X_EN: 1
; COMPUTE_PGM_RSRC2:TGID_Y_EN: 0
; COMPUTE_PGM_RSRC2:TGID_Z_EN: 1
; COMPUTE_PGM_RSRC2:TIDIG_COMP_CNT: 1
; COMPUTE_PGM_RSRC3_GFX90A:ACCUM_OFFSET: 63
; COMPUTE_PGM_RSRC3_GFX90A:TG_SPLIT: 0
	.section	.text._ZN12_GLOBAL__N_120geam_min_plus_kernelId15HIP_vector_typeIdLj2EEdLi32ELi8ELi128ELi128ELi4ELi4ELi64ELi4ELi64ELc84ELc78ELb0ELb1ELb1EdKPKdKPdEEviiiT16_PT17_ilSA_ilS8_SA_ilPT18_ili26rocblas_geam_ex_operation_,"axG",@progbits,_ZN12_GLOBAL__N_120geam_min_plus_kernelId15HIP_vector_typeIdLj2EEdLi32ELi8ELi128ELi128ELi4ELi4ELi64ELi4ELi64ELc84ELc78ELb0ELb1ELb1EdKPKdKPdEEviiiT16_PT17_ilSA_ilS8_SA_ilPT18_ili26rocblas_geam_ex_operation_,comdat
	.globl	_ZN12_GLOBAL__N_120geam_min_plus_kernelId15HIP_vector_typeIdLj2EEdLi32ELi8ELi128ELi128ELi4ELi4ELi64ELi4ELi64ELc84ELc78ELb0ELb1ELb1EdKPKdKPdEEviiiT16_PT17_ilSA_ilS8_SA_ilPT18_ili26rocblas_geam_ex_operation_ ; -- Begin function _ZN12_GLOBAL__N_120geam_min_plus_kernelId15HIP_vector_typeIdLj2EEdLi32ELi8ELi128ELi128ELi4ELi4ELi64ELi4ELi64ELc84ELc78ELb0ELb1ELb1EdKPKdKPdEEviiiT16_PT17_ilSA_ilS8_SA_ilPT18_ili26rocblas_geam_ex_operation_
	.p2align	8
	.type	_ZN12_GLOBAL__N_120geam_min_plus_kernelId15HIP_vector_typeIdLj2EEdLi32ELi8ELi128ELi128ELi4ELi4ELi64ELi4ELi64ELc84ELc78ELb0ELb1ELb1EdKPKdKPdEEviiiT16_PT17_ilSA_ilS8_SA_ilPT18_ili26rocblas_geam_ex_operation_,@function
_ZN12_GLOBAL__N_120geam_min_plus_kernelId15HIP_vector_typeIdLj2EEdLi32ELi8ELi128ELi128ELi4ELi4ELi64ELi4ELi64ELc84ELc78ELb0ELb1ELb1EdKPKdKPdEEviiiT16_PT17_ilSA_ilS8_SA_ilPT18_ili26rocblas_geam_ex_operation_: ; @_ZN12_GLOBAL__N_120geam_min_plus_kernelId15HIP_vector_typeIdLj2EEdLi32ELi8ELi128ELi128ELi4ELi4ELi64ELi4ELi64ELc84ELc78ELb0ELb1ELb1EdKPKdKPdEEviiiT16_PT17_ilSA_ilS8_SA_ilPT18_ili26rocblas_geam_ex_operation_
; %bb.0:
	s_load_dwordx4 s[20:23], s[0:1], 0x10
	s_load_dwordx4 s[4:7], s[0:1], 0x28
	s_mov_b32 s8, s3
	s_mov_b64 s[24:25], 0
	s_waitcnt lgkmcnt(0)
	v_cmp_eq_f64_e64 s[16:17], s[20:21], 0
	s_and_b64 vcc, exec, s[16:17]
	s_cbranch_vccnz .LBB116_2
; %bb.1:
	s_mov_b32 s9, 0
	s_lshl_b64 s[10:11], s[8:9], 3
	s_add_u32 s10, s22, s10
	s_addc_u32 s11, s23, s11
	s_load_dwordx2 s[10:11], s[10:11], 0x0
	s_lshl_b64 s[4:5], s[4:5], 3
	s_waitcnt lgkmcnt(0)
	s_add_u32 s24, s10, s4
	s_addc_u32 s25, s11, s5
.LBB116_2:
	s_load_dwordx4 s[12:15], s[0:1], 0x40
	s_load_dwordx2 s[10:11], s[0:1], 0x50
	s_andn2_b64 vcc, exec, s[16:17]
	s_mov_b32 s9, 0
	s_cbranch_vccnz .LBB116_4
; %bb.3:
	s_mov_b64 s[22:23], 0
	s_mov_b64 s[26:27], 0
	s_cbranch_execz .LBB116_5
	s_branch .LBB116_6
.LBB116_4:
	s_mov_b64 s[22:23], 0
	s_mov_b64 s[26:27], 0
.LBB116_5:
	s_lshl_b64 s[4:5], s[8:9], 3
	s_add_u32 s4, s6, s4
	s_addc_u32 s5, s7, s5
	s_load_dwordx2 s[4:5], s[4:5], 0x0
	s_waitcnt lgkmcnt(0)
	s_lshl_b64 s[6:7], s[12:13], 3
	s_add_u32 s26, s4, s6
	s_addc_u32 s27, s5, s7
.LBB116_6:
	s_load_dwordx4 s[4:7], s[0:1], 0x60
	s_waitcnt lgkmcnt(0)
	v_cmp_eq_f64_e64 s[16:17], s[14:15], 0
	v_cmp_neq_f64_e64 s[12:13], s[14:15], 0
	s_and_b64 vcc, exec, s[16:17]
	s_cbranch_vccnz .LBB116_8
; %bb.7:
	s_lshl_b64 s[16:17], s[8:9], 3
	s_add_u32 s10, s10, s16
	s_addc_u32 s11, s11, s17
	s_load_dwordx2 s[10:11], s[10:11], 0x0
	s_lshl_b64 s[4:5], s[4:5], 3
	s_waitcnt lgkmcnt(0)
	s_add_u32 s22, s10, s4
	s_addc_u32 s23, s11, s5
.LBB116_8:
	s_load_dwordx4 s[16:19], s[0:1], 0x0
	s_load_dword s35, s[0:1], 0x20
	s_lshl_b64 s[4:5], s[8:9], 3
	s_add_u32 s30, s6, s4
	s_addc_u32 s31, s7, s5
	s_waitcnt lgkmcnt(0)
	s_add_i32 s3, s16, -1
	s_ashr_i32 s4, s3, 31
	s_lshr_b32 s4, s4, 25
	s_add_i32 s3, s3, s4
	s_ashr_i32 s3, s3, 7
	s_add_i32 s4, s3, 1
	v_cvt_f32_u32_e32 v1, s4
	s_not_b32 s3, s3
	v_and_b32_e32 v182, 0x3ff, v0
	v_bfe_u32 v183, v0, 10, 10
	v_rcp_iflag_f32_e32 v1, v1
	v_and_b32_e32 v190, 3, v0
	v_lshl_add_u32 v0, v183, 5, v182
	v_lshrrev_b32_e32 v12, 2, v0
	v_mul_f32_e32 v1, 0x4f7ffffe, v1
	v_cvt_u32_f32_e32 v1, v1
	v_cmp_le_i32_e64 s[8:9], s18, v190
	v_cmp_eq_f64_e64 s[28:29], s[20:21], 0
	v_mov_b32_e32 v2, 0x7fefffff
	v_readfirstlane_b32 s5, v1
	s_mul_i32 s3, s3, s5
	s_mul_hi_u32 s3, s5, s3
	s_add_i32 s5, s5, s3
	s_mul_hi_u32 s3, s2, s5
	s_mul_i32 s5, s3, s4
	s_sub_i32 s5, s2, s5
	s_add_i32 s6, s3, 1
	s_sub_i32 s7, s5, s4
	s_cmp_ge_u32 s5, s4
	s_cselect_b32 s3, s6, s3
	s_cselect_b32 s5, s7, s5
	s_add_i32 s6, s3, 1
	s_cmp_ge_u32 s5, s4
	s_cselect_b32 s6, s6, s3
	s_mul_i32 s3, s6, s4
	s_sub_i32 s2, s2, s3
	s_lshl_b32 s33, s2, 7
	v_add_u32_e32 v108, s33, v12
	s_add_i32 s19, s18, -1
	v_min_i32_e32 v4, s19, v190
	v_cmp_le_i32_e32 vcc, s16, v108
	v_ashrrev_i32_e32 v5, 31, v4
	s_or_b64 s[2:3], s[8:9], vcc
	v_lshl_add_u64 v[6:7], v[4:5], 3, s[24:25]
	v_cndmask_b32_e64 v1, 0, v2, s[2:3]
	s_nor_b64 s[4:5], s[28:29], s[2:3]
	v_cndmask_b32_e64 v0, 0, -1, s[2:3]
	s_and_saveexec_b64 s[2:3], s[4:5]
	s_cbranch_execz .LBB116_10
; %bb.9:
	v_mad_i64_i32 v[0:1], s[4:5], v108, s35, 0
	v_lshl_add_u64 v[0:1], v[0:1], 3, v[6:7]
	flat_load_dwordx2 v[0:1], v[0:1]
	s_waitcnt vmcnt(0) lgkmcnt(0)
	v_mul_f64 v[0:1], s[20:21], v[0:1]
.LBB116_10:
	s_or_b64 exec, exec, s[2:3]
	v_add_u32_e32 v109, 64, v108
	v_cmp_le_i32_e64 s[2:3], s16, v109
	s_or_b64 s[4:5], s[8:9], s[2:3]
	v_cndmask_b32_e64 v3, 0, v2, s[4:5]
	s_nor_b64 s[10:11], s[28:29], s[4:5]
	v_cndmask_b32_e64 v2, 0, -1, s[4:5]
	s_and_saveexec_b64 s[4:5], s[10:11]
	s_cbranch_execz .LBB116_12
; %bb.11:
	v_mad_i64_i32 v[2:3], s[10:11], v109, s35, 0
	v_lshl_add_u64 v[2:3], v[2:3], 3, v[6:7]
	flat_load_dwordx2 v[2:3], v[2:3]
	s_waitcnt vmcnt(0) lgkmcnt(0)
	v_mul_f64 v[2:3], s[20:21], v[2:3]
.LBB116_12:
	s_or_b64 exec, exec, s[4:5]
	s_load_dword s37, s[0:1], 0x38
	s_lshl_b32 s34, s6, 7
	v_add_u32_e32 v110, s34, v12
	v_cmp_le_i32_e64 s[4:5], s17, v110
	v_mov_b32_e32 v6, 0x7fefffff
	s_or_b64 s[6:7], s[8:9], s[4:5]
	v_lshl_add_u64 v[8:9], v[4:5], 3, s[26:27]
	v_cndmask_b32_e64 v5, 0, v6, s[6:7]
	s_nor_b64 s[10:11], s[28:29], s[6:7]
	v_cndmask_b32_e64 v4, 0, -1, s[6:7]
	s_and_saveexec_b64 s[6:7], s[10:11]
	s_cbranch_execz .LBB116_14
; %bb.13:
	s_waitcnt lgkmcnt(0)
	v_mad_i64_i32 v[4:5], s[10:11], v110, s37, 0
	v_lshl_add_u64 v[4:5], v[4:5], 3, v[8:9]
	flat_load_dwordx2 v[4:5], v[4:5]
	s_waitcnt vmcnt(0) lgkmcnt(0)
	v_mul_f64 v[4:5], s[20:21], v[4:5]
.LBB116_14:
	s_or_b64 exec, exec, s[6:7]
	v_add_u32_e32 v111, 64, v110
	v_cmp_le_i32_e64 s[6:7], s17, v111
	s_or_b64 s[8:9], s[8:9], s[6:7]
	v_cndmask_b32_e64 v7, 0, v6, s[8:9]
	s_nor_b64 s[10:11], s[28:29], s[8:9]
	v_cndmask_b32_e64 v6, 0, -1, s[8:9]
	s_and_saveexec_b64 s[8:9], s[10:11]
	s_cbranch_execz .LBB116_16
; %bb.15:
	s_waitcnt lgkmcnt(0)
	v_mad_i64_i32 v[6:7], s[10:11], v111, s37, 0
	v_lshl_add_u64 v[6:7], v[6:7], 3, v[8:9]
	flat_load_dwordx2 v[6:7], v[6:7]
	s_waitcnt vmcnt(0) lgkmcnt(0)
	v_mul_f64 v[6:7], s[20:21], v[6:7]
.LBB116_16:
	s_or_b64 exec, exec, s[8:9]
	v_or_b32_e32 v8, 4, v190
	v_cmp_le_i32_e64 s[8:9], s18, v8
	v_min_i32_e32 v8, s19, v8
	v_ashrrev_i32_e32 v9, 31, v8
	v_mov_b32_e32 v13, 0x7fefffff
	s_or_b64 s[10:11], s[8:9], vcc
	v_lshl_add_u64 v[10:11], v[8:9], 3, s[24:25]
	v_cndmask_b32_e64 v101, 0, v13, s[10:11]
	s_nor_b64 s[38:39], s[28:29], s[10:11]
	v_cndmask_b32_e64 v100, 0, -1, s[10:11]
	s_and_saveexec_b64 s[10:11], s[38:39]
	s_cbranch_execz .LBB116_18
; %bb.17:
	v_mad_i64_i32 v[14:15], s[38:39], v108, s35, 0
	v_lshl_add_u64 v[14:15], v[14:15], 3, v[10:11]
	flat_load_dwordx2 v[14:15], v[14:15]
	s_waitcnt vmcnt(0) lgkmcnt(0)
	v_mul_f64 v[100:101], s[20:21], v[14:15]
.LBB116_18:
	s_or_b64 exec, exec, s[10:11]
	s_or_b64 s[10:11], s[8:9], s[2:3]
	v_cndmask_b32_e64 v103, 0, v13, s[10:11]
	s_nor_b64 s[38:39], s[28:29], s[10:11]
	v_cndmask_b32_e64 v102, 0, -1, s[10:11]
	s_and_saveexec_b64 s[10:11], s[38:39]
	s_cbranch_execz .LBB116_20
; %bb.19:
	v_mad_i64_i32 v[14:15], s[38:39], v109, s35, 0
	v_lshl_add_u64 v[10:11], v[14:15], 3, v[10:11]
	flat_load_dwordx2 v[10:11], v[10:11]
	s_waitcnt vmcnt(0) lgkmcnt(0)
	v_mul_f64 v[102:103], s[20:21], v[10:11]
.LBB116_20:
	s_or_b64 exec, exec, s[10:11]
	v_mov_b32_e32 v10, 0x7fefffff
	s_or_b64 s[10:11], s[8:9], s[4:5]
	v_lshl_add_u64 v[8:9], v[8:9], 3, s[26:27]
	v_cndmask_b32_e64 v105, 0, v10, s[10:11]
	s_nor_b64 s[38:39], s[28:29], s[10:11]
	v_cndmask_b32_e64 v104, 0, -1, s[10:11]
	s_and_saveexec_b64 s[10:11], s[38:39]
	s_cbranch_execz .LBB116_22
; %bb.21:
	s_waitcnt lgkmcnt(0)
	v_mad_i64_i32 v[14:15], s[38:39], v110, s37, 0
	v_lshl_add_u64 v[14:15], v[14:15], 3, v[8:9]
	flat_load_dwordx2 v[14:15], v[14:15]
	s_waitcnt vmcnt(0) lgkmcnt(0)
	v_mul_f64 v[104:105], s[20:21], v[14:15]
.LBB116_22:
	s_or_b64 exec, exec, s[10:11]
	s_or_b64 s[8:9], s[8:9], s[6:7]
	v_cndmask_b32_e64 v107, 0, v10, s[8:9]
	s_nor_b64 s[10:11], s[28:29], s[8:9]
	v_cndmask_b32_e64 v106, 0, -1, s[8:9]
	s_and_saveexec_b64 s[8:9], s[10:11]
	s_cbranch_execz .LBB116_24
; %bb.23:
	s_waitcnt lgkmcnt(0)
	v_mad_i64_i32 v[10:11], s[10:11], v111, s37, 0
	v_lshl_add_u64 v[8:9], v[10:11], 3, v[8:9]
	flat_load_dwordx2 v[8:9], v[8:9]
	s_waitcnt vmcnt(0) lgkmcnt(0)
	v_mul_f64 v[106:107], s[20:21], v[8:9]
.LBB116_24:
	s_or_b64 exec, exec, s[8:9]
	v_lshlrev_b32_e32 v8, 5, v12
	v_lshl_or_b32 v197, v190, 3, v8
	v_lshlrev_b32_e32 v192, 5, v182
	s_load_dwordx2 s[30:31], s[30:31], 0x0
	ds_write2st64_b64 v197, v[0:1], v[2:3] offset1:4
	ds_write2st64_b64 v197, v[4:5], v[6:7] offset0:16 offset1:20
	s_waitcnt lgkmcnt(0)
	s_barrier
	v_lshlrev_b32_e32 v189, 5, v183
	ds_read_b128 v[16:19], v192 offset:1024
	ds_read_b128 v[12:15], v192 offset:2048
	;; [unrolled: 1-line block ×16, first 2 shown]
	ds_read_b128 v[24:27], v192
	ds_read_b128 v[96:99], v189 offset:8192
	ds_read_b128 v[28:31], v189 offset:11776
	;; [unrolled: 1-line block ×5, first 2 shown]
	s_waitcnt lgkmcnt(5)
	v_add_f64 v[114:115], v[26:27], v[94:95]
	v_add_f64 v[116:117], v[24:25], v[92:93]
	s_mov_b32 s8, 0x7f800000
	v_cvt_f32_f64_e32 v113, v[116:117]
	v_cvt_f32_f64_e32 v114, v[114:115]
	v_min3_f32 v172, v113, v114, s8
	v_add_f64 v[114:115], v[18:19], v[94:95]
	v_add_f64 v[116:117], v[16:17], v[92:93]
	v_cvt_f32_f64_e32 v113, v[116:117]
	v_cvt_f32_f64_e32 v114, v[114:115]
	v_min3_f32 v173, v113, v114, s8
	v_add_f64 v[114:115], v[14:15], v[94:95]
	v_add_f64 v[116:117], v[12:13], v[92:93]
	;; [unrolled: 5-line block ×36, first 2 shown]
	s_waitcnt lgkmcnt(4)
	v_add_f64 v[48:49], v[26:27], v[98:99]
	v_add_f64 v[50:51], v[24:25], v[96:97]
	v_cvt_f32_f64_e32 v113, v[116:117]
	v_cvt_f32_f64_e32 v114, v[114:115]
	;; [unrolled: 1-line block ×4, first 2 shown]
	v_min3_f32 v122, v113, v114, s8
	v_add_f64 v[114:115], v[18:19], v[34:35]
	v_add_f64 v[116:117], v[16:17], v[32:33]
	v_min3_f32 v112, v50, v48, s8
	v_add_f64 v[48:49], v[18:19], v[98:99]
	v_add_f64 v[50:51], v[16:17], v[96:97]
	v_cvt_f32_f64_e32 v113, v[116:117]
	v_cvt_f32_f64_e32 v114, v[114:115]
	;; [unrolled: 1-line block ×4, first 2 shown]
	v_min3_f32 v120, v113, v114, s8
	v_add_f64 v[114:115], v[14:15], v[34:35]
	v_add_f64 v[116:117], v[12:13], v[32:33]
	ds_read_b128 v[52:55], v192 offset:1040
	v_min3_f32 v165, v50, v48, s8
	v_add_f64 v[48:49], v[14:15], v[98:99]
	v_add_f64 v[50:51], v[12:13], v[96:97]
	v_cvt_f32_f64_e32 v113, v[116:117]
	v_cvt_f32_f64_e32 v114, v[114:115]
	s_waitcnt lgkmcnt(4)
	v_add_f64 v[166:167], v[26:27], v[30:31]
	v_add_f64 v[168:169], v[24:25], v[28:29]
	v_cvt_f32_f64_e32 v50, v[50:51]
	v_cvt_f32_f64_e32 v48, v[48:49]
	v_min3_f32 v117, v113, v114, s8
	v_cvt_f32_f64_e32 v113, v[168:169]
	v_cvt_f32_f64_e32 v114, v[166:167]
	v_add_f64 v[166:167], v[18:19], v[30:31]
	v_add_f64 v[168:169], v[16:17], v[28:29]
	ds_read_b128 v[56:59], v192 offset:2064
	v_min3_f32 v170, v50, v48, s8
	ds_read_b128 v[48:51], v192 offset:3088
	v_add_f64 v[98:99], v[10:11], v[98:99]
	v_add_f64 v[96:97], v[8:9], v[96:97]
	;; [unrolled: 1-line block ×28, first 2 shown]
	v_min3_f32 v118, v113, v114, s8
	v_cvt_f32_f64_e32 v113, v[168:169]
	v_cvt_f32_f64_e32 v114, v[166:167]
	v_add_f64 v[166:167], v[14:15], v[30:31]
	v_add_f64 v[168:169], v[12:13], v[28:29]
	;; [unrolled: 1-line block ×4, first 2 shown]
	s_waitcnt lgkmcnt(5)
	v_add_f64 v[14:15], v[14:15], v[22:23]
	v_add_f64 v[12:13], v[12:13], v[20:21]
	;; [unrolled: 1-line block ×4, first 2 shown]
	v_cvt_f32_f64_e32 v96, v[96:97]
	v_cvt_f32_f64_e32 v97, v[98:99]
	;; [unrolled: 1-line block ×6, first 2 shown]
	s_waitcnt lgkmcnt(3)
	v_add_f64 v[10:11], v[2:3], v[6:7]
	v_add_f64 v[14:15], v[0:1], v[4:5]
	v_min3_f32 v171, v96, v97, s8
	ds_read_b128 v[96:99], v189 offset:8464
	v_min3_f32 v116, v113, v114, s8
	v_cvt_f32_f64_e32 v113, v[168:169]
	v_cvt_f32_f64_e32 v114, v[166:167]
	;; [unrolled: 1-line block ×4, first 2 shown]
	v_min3_f32 v8, v8, v9, s8
	v_cvt_f32_f64_e32 v9, v[14:15]
	v_cvt_f32_f64_e32 v10, v[10:11]
	v_min3_f32 v114, v113, v114, s8
	v_min3_f32 v113, v28, v29, s8
	ds_read_b128 v[28:31], v189 offset:12048
	v_min3_f32 v252, v9, v10, v112
	s_waitcnt lgkmcnt(4)
	v_add_f64 v[10:11], v[54:55], v[6:7]
	v_add_f64 v[14:15], v[52:53], v[4:5]
	v_cvt_f32_f64_e32 v9, v[14:15]
	v_cvt_f32_f64_e32 v10, v[10:11]
	v_min3_f32 v251, v9, v10, v165
	s_waitcnt lgkmcnt(3)
	v_add_f64 v[10:11], v[58:59], v[6:7]
	v_add_f64 v[14:15], v[56:57], v[4:5]
	s_waitcnt lgkmcnt(2)
	v_add_f64 v[6:7], v[50:51], v[6:7]
	v_add_f64 v[4:5], v[48:49], v[4:5]
	v_cvt_f32_f64_e32 v92, v[92:93]
	v_cvt_f32_f64_e32 v93, v[94:95]
	v_cvt_f32_f64_e32 v4, v[4:5]
	v_cvt_f32_f64_e32 v5, v[6:7]
	v_min3_f32 v163, v92, v93, s8
	ds_read_b128 v[92:95], v189 offset:8720
	v_min3_f32 v249, v4, v5, v171
	s_waitcnt lgkmcnt(2)
	v_add_f64 v[4:5], v[2:3], v[98:99]
	v_add_f64 v[6:7], v[0:1], v[96:97]
	v_cvt_f32_f64_e32 v6, v[6:7]
	v_cvt_f32_f64_e32 v4, v[4:5]
	v_min3_f32 v248, v6, v4, v172
	v_add_f64 v[4:5], v[54:55], v[98:99]
	v_add_f64 v[6:7], v[52:53], v[96:97]
	v_cvt_f32_f64_e32 v6, v[6:7]
	v_cvt_f32_f64_e32 v4, v[4:5]
	v_min3_f32 v242, v6, v4, v173
	v_add_f64 v[4:5], v[58:59], v[98:99]
	v_add_f64 v[6:7], v[56:57], v[96:97]
	v_cvt_f32_f64_e32 v6, v[6:7]
	v_cvt_f32_f64_e32 v4, v[4:5]
	v_min3_f32 v241, v6, v4, v174
	v_add_f64 v[4:5], v[50:51], v[98:99]
	v_add_f64 v[6:7], v[48:49], v[96:97]
	v_cvt_f32_f64_e32 v6, v[6:7]
	v_cvt_f32_f64_e32 v4, v[4:5]
	v_min3_f32 v240, v6, v4, v163
	s_waitcnt lgkmcnt(0)
	v_add_f64 v[4:5], v[2:3], v[94:95]
	v_add_f64 v[6:7], v[0:1], v[92:93]
	v_cvt_f32_f64_e32 v6, v[6:7]
	v_cvt_f32_f64_e32 v4, v[4:5]
	v_cvt_f32_f64_e32 v88, v[88:89]
	v_cvt_f32_f64_e32 v89, v[90:91]
	v_min3_f32 v239, v6, v4, v175
	v_add_f64 v[4:5], v[54:55], v[94:95]
	v_add_f64 v[6:7], v[52:53], v[92:93]
	v_min3_f32 v159, v88, v89, s8
	ds_read_b128 v[88:91], v189 offset:8976
	v_cvt_f32_f64_e32 v6, v[6:7]
	v_cvt_f32_f64_e32 v4, v[4:5]
	v_min3_f32 v238, v6, v4, v164
	v_add_f64 v[4:5], v[58:59], v[94:95]
	v_add_f64 v[6:7], v[56:57], v[92:93]
	v_cvt_f32_f64_e32 v6, v[6:7]
	v_cvt_f32_f64_e32 v4, v[4:5]
	v_min3_f32 v237, v6, v4, v161
	v_add_f64 v[4:5], v[50:51], v[94:95]
	v_add_f64 v[6:7], v[48:49], v[92:93]
	v_cvt_f32_f64_e32 v84, v[84:85]
	v_cvt_f32_f64_e32 v85, v[86:87]
	v_cvt_f32_f64_e32 v6, v[6:7]
	v_cvt_f32_f64_e32 v4, v[4:5]
	v_min3_f32 v155, v84, v85, s8
	ds_read_b128 v[84:87], v189 offset:9232
	v_min3_f32 v236, v6, v4, v159
	s_waitcnt lgkmcnt(1)
	v_add_f64 v[4:5], v[2:3], v[90:91]
	v_add_f64 v[6:7], v[0:1], v[88:89]
	v_cvt_f32_f64_e32 v6, v[6:7]
	v_cvt_f32_f64_e32 v4, v[4:5]
	v_min3_f32 v235, v6, v4, v162
	v_add_f64 v[4:5], v[54:55], v[90:91]
	v_add_f64 v[6:7], v[52:53], v[88:89]
	v_cvt_f32_f64_e32 v6, v[6:7]
	v_cvt_f32_f64_e32 v4, v[4:5]
	v_min3_f32 v234, v6, v4, v160
	v_add_f64 v[4:5], v[58:59], v[90:91]
	v_add_f64 v[6:7], v[56:57], v[88:89]
	v_cvt_f32_f64_e32 v6, v[6:7]
	v_cvt_f32_f64_e32 v4, v[4:5]
	v_min3_f32 v233, v6, v4, v157
	v_add_f64 v[4:5], v[50:51], v[90:91]
	v_add_f64 v[6:7], v[48:49], v[88:89]
	v_cvt_f32_f64_e32 v6, v[6:7]
	v_cvt_f32_f64_e32 v4, v[4:5]
	v_min3_f32 v232, v6, v4, v155
	s_waitcnt lgkmcnt(0)
	v_add_f64 v[4:5], v[2:3], v[86:87]
	v_add_f64 v[6:7], v[0:1], v[84:85]
	v_cvt_f32_f64_e32 v6, v[6:7]
	v_cvt_f32_f64_e32 v4, v[4:5]
	v_cvt_f32_f64_e32 v80, v[80:81]
	v_cvt_f32_f64_e32 v81, v[82:83]
	v_min3_f32 v231, v6, v4, v158
	v_add_f64 v[4:5], v[54:55], v[86:87]
	v_add_f64 v[6:7], v[52:53], v[84:85]
	v_min3_f32 v151, v80, v81, s8
	ds_read_b128 v[80:83], v189 offset:9488
	v_cvt_f32_f64_e32 v6, v[6:7]
	v_cvt_f32_f64_e32 v4, v[4:5]
	v_min3_f32 v230, v6, v4, v156
	v_add_f64 v[4:5], v[58:59], v[86:87]
	v_add_f64 v[6:7], v[56:57], v[84:85]
	v_cvt_f32_f64_e32 v6, v[6:7]
	v_cvt_f32_f64_e32 v4, v[4:5]
	v_min3_f32 v229, v6, v4, v153
	v_add_f64 v[4:5], v[50:51], v[86:87]
	v_add_f64 v[6:7], v[48:49], v[84:85]
	v_cvt_f32_f64_e32 v76, v[76:77]
	v_cvt_f32_f64_e32 v77, v[78:79]
	v_cvt_f32_f64_e32 v6, v[6:7]
	v_cvt_f32_f64_e32 v4, v[4:5]
	v_min3_f32 v147, v76, v77, s8
	ds_read_b128 v[76:79], v189 offset:9744
	v_min3_f32 v228, v6, v4, v151
	s_waitcnt lgkmcnt(1)
	v_add_f64 v[4:5], v[2:3], v[82:83]
	v_add_f64 v[6:7], v[0:1], v[80:81]
	v_cvt_f32_f64_e32 v6, v[6:7]
	v_cvt_f32_f64_e32 v4, v[4:5]
	v_min3_f32 v227, v6, v4, v154
	v_add_f64 v[4:5], v[54:55], v[82:83]
	v_add_f64 v[6:7], v[52:53], v[80:81]
	v_cvt_f32_f64_e32 v6, v[6:7]
	v_cvt_f32_f64_e32 v4, v[4:5]
	v_min3_f32 v226, v6, v4, v152
	v_add_f64 v[4:5], v[58:59], v[82:83]
	v_add_f64 v[6:7], v[56:57], v[80:81]
	v_cvt_f32_f64_e32 v6, v[6:7]
	v_cvt_f32_f64_e32 v4, v[4:5]
	v_min3_f32 v225, v6, v4, v149
	v_add_f64 v[4:5], v[50:51], v[82:83]
	v_add_f64 v[6:7], v[48:49], v[80:81]
	v_cvt_f32_f64_e32 v6, v[6:7]
	v_cvt_f32_f64_e32 v4, v[4:5]
	v_min3_f32 v224, v6, v4, v147
	s_waitcnt lgkmcnt(0)
	v_add_f64 v[4:5], v[2:3], v[78:79]
	v_add_f64 v[6:7], v[0:1], v[76:77]
	v_cvt_f32_f64_e32 v6, v[6:7]
	v_cvt_f32_f64_e32 v4, v[4:5]
	v_cvt_f32_f64_e32 v72, v[72:73]
	v_cvt_f32_f64_e32 v73, v[74:75]
	v_min3_f32 v223, v6, v4, v150
	v_add_f64 v[4:5], v[54:55], v[78:79]
	v_add_f64 v[6:7], v[52:53], v[76:77]
	v_min3_f32 v143, v72, v73, s8
	ds_read_b128 v[72:75], v189 offset:10000
	v_cvt_f32_f64_e32 v6, v[6:7]
	v_cvt_f32_f64_e32 v4, v[4:5]
	v_min3_f32 v222, v6, v4, v148
	v_add_f64 v[4:5], v[58:59], v[78:79]
	v_add_f64 v[6:7], v[56:57], v[76:77]
	v_cvt_f32_f64_e32 v6, v[6:7]
	v_cvt_f32_f64_e32 v4, v[4:5]
	v_min3_f32 v221, v6, v4, v145
	v_add_f64 v[4:5], v[50:51], v[78:79]
	v_add_f64 v[6:7], v[48:49], v[76:77]
	v_cvt_f32_f64_e32 v68, v[68:69]
	v_cvt_f32_f64_e32 v69, v[70:71]
	v_cvt_f32_f64_e32 v6, v[6:7]
	v_cvt_f32_f64_e32 v4, v[4:5]
	v_min3_f32 v139, v68, v69, s8
	ds_read_b128 v[68:71], v189 offset:10256
	v_min3_f32 v220, v6, v4, v143
	s_waitcnt lgkmcnt(1)
	v_add_f64 v[4:5], v[2:3], v[74:75]
	v_add_f64 v[6:7], v[0:1], v[72:73]
	v_cvt_f32_f64_e32 v6, v[6:7]
	v_cvt_f32_f64_e32 v4, v[4:5]
	v_min3_f32 v219, v6, v4, v146
	v_add_f64 v[4:5], v[54:55], v[74:75]
	v_add_f64 v[6:7], v[52:53], v[72:73]
	v_cvt_f32_f64_e32 v6, v[6:7]
	v_cvt_f32_f64_e32 v4, v[4:5]
	v_min3_f32 v218, v6, v4, v144
	v_add_f64 v[4:5], v[58:59], v[74:75]
	v_add_f64 v[6:7], v[56:57], v[72:73]
	v_cvt_f32_f64_e32 v6, v[6:7]
	v_cvt_f32_f64_e32 v4, v[4:5]
	v_min3_f32 v217, v6, v4, v141
	v_add_f64 v[4:5], v[50:51], v[74:75]
	v_add_f64 v[6:7], v[48:49], v[72:73]
	v_cvt_f32_f64_e32 v6, v[6:7]
	v_cvt_f32_f64_e32 v4, v[4:5]
	v_min3_f32 v216, v6, v4, v139
	s_waitcnt lgkmcnt(0)
	v_add_f64 v[4:5], v[2:3], v[70:71]
	v_add_f64 v[6:7], v[0:1], v[68:69]
	v_cvt_f32_f64_e32 v6, v[6:7]
	v_cvt_f32_f64_e32 v4, v[4:5]
	v_cvt_f32_f64_e32 v64, v[64:65]
	v_cvt_f32_f64_e32 v65, v[66:67]
	v_min3_f32 v215, v6, v4, v142
	v_add_f64 v[4:5], v[54:55], v[70:71]
	v_add_f64 v[6:7], v[52:53], v[68:69]
	v_min3_f32 v135, v64, v65, s8
	ds_read_b128 v[64:67], v189 offset:10512
	v_cvt_f32_f64_e32 v6, v[6:7]
	v_cvt_f32_f64_e32 v4, v[4:5]
	v_min3_f32 v214, v6, v4, v140
	v_add_f64 v[4:5], v[58:59], v[70:71]
	v_add_f64 v[6:7], v[56:57], v[68:69]
	v_cvt_f32_f64_e32 v6, v[6:7]
	v_cvt_f32_f64_e32 v4, v[4:5]
	v_min3_f32 v213, v6, v4, v137
	v_add_f64 v[4:5], v[50:51], v[70:71]
	v_add_f64 v[6:7], v[48:49], v[68:69]
	v_cvt_f32_f64_e32 v60, v[60:61]
	v_cvt_f32_f64_e32 v61, v[62:63]
	v_cvt_f32_f64_e32 v6, v[6:7]
	v_cvt_f32_f64_e32 v4, v[4:5]
	v_min3_f32 v131, v60, v61, s8
	ds_read_b128 v[60:63], v189 offset:10768
	v_min3_f32 v212, v6, v4, v135
	s_waitcnt lgkmcnt(1)
	v_add_f64 v[4:5], v[2:3], v[66:67]
	v_add_f64 v[6:7], v[0:1], v[64:65]
	v_cvt_f32_f64_e32 v6, v[6:7]
	v_cvt_f32_f64_e32 v4, v[4:5]
	v_min3_f32 v211, v6, v4, v138
	v_add_f64 v[4:5], v[54:55], v[66:67]
	v_add_f64 v[6:7], v[52:53], v[64:65]
	v_cvt_f32_f64_e32 v6, v[6:7]
	v_cvt_f32_f64_e32 v4, v[4:5]
	v_min3_f32 v210, v6, v4, v136
	v_add_f64 v[4:5], v[58:59], v[66:67]
	v_add_f64 v[6:7], v[56:57], v[64:65]
	v_cvt_f32_f64_e32 v6, v[6:7]
	v_cvt_f32_f64_e32 v4, v[4:5]
	v_min3_f32 v209, v6, v4, v133
	v_add_f64 v[4:5], v[50:51], v[66:67]
	v_add_f64 v[6:7], v[48:49], v[64:65]
	v_cvt_f32_f64_e32 v6, v[6:7]
	v_cvt_f32_f64_e32 v4, v[4:5]
	v_min3_f32 v208, v6, v4, v131
	s_waitcnt lgkmcnt(0)
	v_add_f64 v[4:5], v[2:3], v[62:63]
	v_add_f64 v[6:7], v[0:1], v[60:61]
	v_cvt_f32_f64_e32 v6, v[6:7]
	v_cvt_f32_f64_e32 v4, v[4:5]
	v_cvt_f32_f64_e32 v44, v[44:45]
	v_cvt_f32_f64_e32 v45, v[46:47]
	v_min3_f32 v207, v6, v4, v134
	v_add_f64 v[4:5], v[54:55], v[62:63]
	v_add_f64 v[6:7], v[52:53], v[60:61]
	v_min3_f32 v127, v44, v45, s8
	ds_read_b128 v[44:47], v189 offset:11024
	v_cvt_f32_f64_e32 v6, v[6:7]
	v_cvt_f32_f64_e32 v4, v[4:5]
	v_min3_f32 v206, v6, v4, v132
	v_add_f64 v[4:5], v[58:59], v[62:63]
	v_add_f64 v[6:7], v[56:57], v[60:61]
	v_cvt_f32_f64_e32 v6, v[6:7]
	v_cvt_f32_f64_e32 v4, v[4:5]
	v_min3_f32 v205, v6, v4, v129
	v_add_f64 v[4:5], v[50:51], v[62:63]
	v_add_f64 v[6:7], v[48:49], v[60:61]
	v_cvt_f32_f64_e32 v40, v[40:41]
	v_cvt_f32_f64_e32 v41, v[42:43]
	v_cvt_f32_f64_e32 v6, v[6:7]
	v_cvt_f32_f64_e32 v4, v[4:5]
	v_min3_f32 v123, v40, v41, s8
	ds_read_b128 v[40:43], v189 offset:11280
	v_min3_f32 v204, v6, v4, v127
	s_waitcnt lgkmcnt(1)
	v_add_f64 v[4:5], v[2:3], v[46:47]
	v_add_f64 v[6:7], v[0:1], v[44:45]
	v_cvt_f32_f64_e32 v6, v[6:7]
	v_cvt_f32_f64_e32 v4, v[4:5]
	v_min3_f32 v203, v6, v4, v130
	v_add_f64 v[4:5], v[54:55], v[46:47]
	v_add_f64 v[6:7], v[52:53], v[44:45]
	v_cvt_f32_f64_e32 v6, v[6:7]
	v_cvt_f32_f64_e32 v4, v[4:5]
	v_min3_f32 v202, v6, v4, v128
	v_add_f64 v[4:5], v[58:59], v[46:47]
	v_add_f64 v[6:7], v[56:57], v[44:45]
	v_cvt_f32_f64_e32 v6, v[6:7]
	v_cvt_f32_f64_e32 v4, v[4:5]
	v_min3_f32 v201, v6, v4, v125
	v_add_f64 v[4:5], v[50:51], v[46:47]
	v_add_f64 v[6:7], v[48:49], v[44:45]
	v_cvt_f32_f64_e32 v6, v[6:7]
	v_cvt_f32_f64_e32 v4, v[4:5]
	v_min3_f32 v200, v6, v4, v123
	s_waitcnt lgkmcnt(0)
	v_add_f64 v[4:5], v[2:3], v[42:43]
	v_add_f64 v[6:7], v[0:1], v[40:41]
	v_cvt_f32_f64_e32 v6, v[6:7]
	v_cvt_f32_f64_e32 v4, v[4:5]
	v_cvt_f32_f64_e32 v36, v[36:37]
	v_cvt_f32_f64_e32 v37, v[38:39]
	v_min3_f32 v199, v6, v4, v126
	v_add_f64 v[4:5], v[54:55], v[42:43]
	v_add_f64 v[6:7], v[52:53], v[40:41]
	v_min3_f32 v119, v36, v37, s8
	ds_read_b128 v[36:39], v189 offset:11536
	v_cvt_f32_f64_e32 v6, v[6:7]
	v_cvt_f32_f64_e32 v4, v[4:5]
	v_min3_f32 v198, v6, v4, v124
	v_add_f64 v[4:5], v[58:59], v[42:43]
	v_add_f64 v[6:7], v[56:57], v[40:41]
	v_cvt_f32_f64_e32 v6, v[6:7]
	v_cvt_f32_f64_e32 v4, v[4:5]
	v_min3_f32 v196, v6, v4, v121
	v_add_f64 v[4:5], v[50:51], v[42:43]
	v_add_f64 v[6:7], v[48:49], v[40:41]
	v_cvt_f32_f64_e32 v32, v[32:33]
	v_cvt_f32_f64_e32 v33, v[34:35]
	;; [unrolled: 1-line block ×4, first 2 shown]
	v_min3_f32 v115, v32, v33, s8
	ds_read_b128 v[32:35], v189 offset:11792
	v_min3_f32 v195, v6, v4, v119
	s_waitcnt lgkmcnt(1)
	v_add_f64 v[4:5], v[2:3], v[38:39]
	v_add_f64 v[6:7], v[0:1], v[36:37]
	v_cvt_f32_f64_e32 v6, v[6:7]
	v_cvt_f32_f64_e32 v4, v[4:5]
	v_min3_f32 v194, v6, v4, v122
	v_add_f64 v[4:5], v[54:55], v[38:39]
	v_add_f64 v[6:7], v[52:53], v[36:37]
	v_cvt_f32_f64_e32 v6, v[6:7]
	v_cvt_f32_f64_e32 v4, v[4:5]
	v_min3_f32 v193, v6, v4, v120
	;; [unrolled: 5-line block ×3, first 2 shown]
	v_add_f64 v[4:5], v[50:51], v[38:39]
	v_add_f64 v[6:7], v[48:49], v[36:37]
	;; [unrolled: 1-line block ×4, first 2 shown]
	v_cvt_f32_f64_e32 v6, v[6:7]
	v_cvt_f32_f64_e32 v4, v[4:5]
	;; [unrolled: 1-line block ×4, first 2 shown]
	v_min3_f32 v188, v6, v4, v115
	s_waitcnt lgkmcnt(0)
	v_add_f64 v[4:5], v[2:3], v[34:35]
	v_add_f64 v[6:7], v[0:1], v[32:33]
	;; [unrolled: 1-line block ×4, first 2 shown]
	v_min3_f32 v24, v24, v25, s8
	v_add_f64 v[18:19], v[18:19], v[22:23]
	v_add_f64 v[16:17], v[16:17], v[20:21]
	v_cvt_f32_f64_e32 v6, v[6:7]
	v_cvt_f32_f64_e32 v4, v[4:5]
	;; [unrolled: 1-line block ×6, first 2 shown]
	v_min3_f32 v187, v6, v4, v118
	v_add_f64 v[4:5], v[54:55], v[34:35]
	v_add_f64 v[6:7], v[52:53], v[32:33]
	v_min3_f32 v181, v0, v1, v24
	v_add_f64 v[0:1], v[54:55], v[30:31]
	v_add_f64 v[2:3], v[52:53], v[28:29]
	v_min3_f32 v16, v16, v17, s8
	v_cvt_f32_f64_e32 v6, v[6:7]
	v_cvt_f32_f64_e32 v4, v[4:5]
	;; [unrolled: 1-line block ×4, first 2 shown]
	v_min3_f32 v186, v6, v4, v116
	v_add_f64 v[4:5], v[58:59], v[34:35]
	v_add_f64 v[6:7], v[56:57], v[32:33]
	v_min3_f32 v180, v2, v0, v16
	v_add_f64 v[0:1], v[58:59], v[30:31]
	v_add_f64 v[2:3], v[56:57], v[28:29]
	v_min3_f32 v12, v12, v13, s8
	v_cvt_f32_f64_e32 v6, v[6:7]
	v_cvt_f32_f64_e32 v4, v[4:5]
	;; [unrolled: 1-line block ×4, first 2 shown]
	v_min3_f32 v185, v6, v4, v114
	v_add_f64 v[4:5], v[50:51], v[34:35]
	v_add_f64 v[6:7], v[48:49], v[32:33]
	v_min3_f32 v179, v2, v0, v12
	v_add_f64 v[0:1], v[50:51], v[30:31]
	v_add_f64 v[2:3], v[48:49], v[28:29]
	v_cvt_f32_f64_e32 v9, v[14:15]
	v_cvt_f32_f64_e32 v10, v[10:11]
	;; [unrolled: 1-line block ×6, first 2 shown]
	v_min3_f32 v250, v9, v10, v170
	v_min3_f32 v184, v6, v4, v113
	;; [unrolled: 1-line block ×3, first 2 shown]
	s_cmp_lt_i32 s18, 9
	ds_write2st64_b64 v197, v[100:101], v[102:103] offset0:8 offset1:12
	ds_write2st64_b64 v197, v[104:105], v[106:107] offset0:24 offset1:28
	s_waitcnt lgkmcnt(0)
	s_barrier
	s_cbranch_scc1 .LBB116_43
; %bb.25:
	v_mov_b32_e32 v0, 0x1000
	v_lshl_add_u32 v245, v182, 5, v0
	v_mov_b32_e32 v0, 0x3000
	v_add_u32_e32 v243, 0x2000, v189
	v_add_u32_e32 v244, 0x3000, v197
	s_add_i32 s36, s18, -8
	v_mad_i64_i32 v[160:161], s[8:9], v108, s35, 0
	v_mad_i64_i32 v[162:163], s[8:9], v109, s35, 0
	;; [unrolled: 1-line block ×4, first 2 shown]
	v_lshl_add_u32 v246, v183, 5, v0
	s_mov_b32 s35, 0
	v_mov_b32_e32 v247, 0x7fefffff
	s_branch .LBB116_27
.LBB116_26:                             ;   in Loop: Header=BB116_27 Depth=1
	s_or_b64 exec, exec, s[8:9]
	v_add_f64 v[176:177], v[94:95], v[158:159]
	v_add_f64 v[254:255], v[92:93], v[156:157]
	v_cvt_f32_f64_e32 v253, v[254:255]
	v_cvt_f32_f64_e32 v176, v[176:177]
	v_min3_f32 v254, v253, v176, v252
	v_add_f64 v[176:177], v[90:91], v[158:159]
	v_add_f64 v[252:253], v[88:89], v[156:157]
	v_cvt_f32_f64_e32 v252, v[252:253]
	v_cvt_f32_f64_e32 v176, v[176:177]
	v_min3_f32 v251, v252, v176, v251
	v_add_f64 v[176:177], v[86:87], v[158:159]
	v_add_f64 v[252:253], v[84:85], v[156:157]
	;; [unrolled: 1-line block ×4, first 2 shown]
	v_cvt_f32_f64_e32 v156, v[156:157]
	v_cvt_f32_f64_e32 v157, v[158:159]
	;; [unrolled: 1-line block ×3, first 2 shown]
	v_min3_f32 v177, v156, v157, v249
	v_add_f64 v[156:157], v[94:95], v[154:155]
	v_add_f64 v[158:159], v[92:93], v[152:153]
	v_cvt_f32_f64_e32 v158, v[158:159]
	v_cvt_f32_f64_e32 v156, v[156:157]
	v_min3_f32 v248, v158, v156, v248
	v_add_f64 v[156:157], v[90:91], v[154:155]
	v_add_f64 v[158:159], v[88:89], v[152:153]
	v_cvt_f32_f64_e32 v158, v[158:159]
	v_cvt_f32_f64_e32 v156, v[156:157]
	v_min3_f32 v242, v158, v156, v242
	v_add_f64 v[156:157], v[86:87], v[154:155]
	v_add_f64 v[158:159], v[84:85], v[152:153]
	v_add_f64 v[154:155], v[82:83], v[154:155]
	v_add_f64 v[152:153], v[80:81], v[152:153]
	v_cvt_f32_f64_e32 v152, v[152:153]
	v_cvt_f32_f64_e32 v153, v[154:155]
	v_cvt_f32_f64_e32 v156, v[156:157]
	v_min3_f32 v157, v152, v153, v240
	v_add_f64 v[152:153], v[94:95], v[150:151]
	v_add_f64 v[154:155], v[92:93], v[148:149]
	v_cvt_f32_f64_e32 v158, v[158:159]
	v_cvt_f32_f64_e32 v154, v[154:155]
	v_cvt_f32_f64_e32 v152, v[152:153]
	v_min3_f32 v156, v158, v156, v241
	v_min3_f32 v158, v154, v152, v239
	v_add_f64 v[152:153], v[90:91], v[150:151]
	v_add_f64 v[154:155], v[88:89], v[148:149]
	v_cvt_f32_f64_e32 v154, v[154:155]
	v_cvt_f32_f64_e32 v152, v[152:153]
	v_min3_f32 v159, v154, v152, v238
	v_add_f64 v[152:153], v[86:87], v[150:151]
	v_add_f64 v[154:155], v[84:85], v[148:149]
	v_add_f64 v[150:151], v[82:83], v[150:151]
	v_add_f64 v[148:149], v[80:81], v[148:149]
	v_cvt_f32_f64_e32 v148, v[148:149]
	v_cvt_f32_f64_e32 v149, v[150:151]
	v_cvt_f32_f64_e32 v152, v[152:153]
	v_min3_f32 v153, v148, v149, v236
	v_add_f64 v[148:149], v[94:95], v[146:147]
	v_add_f64 v[150:151], v[92:93], v[144:145]
	v_cvt_f32_f64_e32 v154, v[154:155]
	v_cvt_f32_f64_e32 v150, v[150:151]
	v_cvt_f32_f64_e32 v148, v[148:149]
	v_min3_f32 v152, v154, v152, v237
	;; [unrolled: 20-line block ×7, first 2 shown]
	v_min3_f32 v134, v130, v128, v215
	v_add_f64 v[128:129], v[90:91], v[126:127]
	v_add_f64 v[130:131], v[88:89], v[124:125]
	v_cvt_f32_f64_e32 v130, v[130:131]
	v_cvt_f32_f64_e32 v128, v[128:129]
	v_min3_f32 v135, v130, v128, v214
	v_add_f64 v[128:129], v[86:87], v[126:127]
	v_add_f64 v[130:131], v[84:85], v[124:125]
	v_add_f64 v[126:127], v[82:83], v[126:127]
	v_add_f64 v[124:125], v[80:81], v[124:125]
	v_cvt_f32_f64_e32 v124, v[124:125]
	v_cvt_f32_f64_e32 v125, v[126:127]
	v_min3_f32 v212, v124, v125, v212
	v_add_f64 v[124:125], v[94:95], v[122:123]
	v_add_f64 v[126:127], v[92:93], v[120:121]
	v_cvt_f32_f64_e32 v126, v[126:127]
	v_cvt_f32_f64_e32 v124, v[124:125]
	v_min3_f32 v211, v126, v124, v211
	v_add_f64 v[124:125], v[90:91], v[122:123]
	v_add_f64 v[126:127], v[88:89], v[120:121]
	v_cvt_f32_f64_e32 v126, v[126:127]
	v_cvt_f32_f64_e32 v124, v[124:125]
	v_min3_f32 v210, v126, v124, v210
	v_add_f64 v[124:125], v[86:87], v[122:123]
	v_add_f64 v[126:127], v[84:85], v[120:121]
	v_add_f64 v[122:123], v[82:83], v[122:123]
	v_add_f64 v[120:121], v[80:81], v[120:121]
	v_cvt_f32_f64_e32 v120, v[120:121]
	v_cvt_f32_f64_e32 v121, v[122:123]
	v_min3_f32 v208, v120, v121, v208
	v_add_f64 v[120:121], v[94:95], v[118:119]
	v_add_f64 v[122:123], v[92:93], v[116:117]
	v_cvt_f32_f64_e32 v122, v[122:123]
	v_cvt_f32_f64_e32 v120, v[120:121]
	;; [unrolled: 17-line block ×6, first 2 shown]
	v_min3_f32 v187, v106, v104, v187
	v_add_f64 v[104:105], v[90:91], v[102:103]
	v_add_f64 v[106:107], v[88:89], v[100:101]
	v_cvt_f32_f64_e32 v106, v[106:107]
	v_cvt_f32_f64_e32 v104, v[104:105]
	v_min3_f32 v186, v106, v104, v186
	v_add_f64 v[104:105], v[86:87], v[102:103]
	v_add_f64 v[106:107], v[84:85], v[100:101]
	;; [unrolled: 1-line block ×8, first 2 shown]
	v_cvt_f32_f64_e32 v84, v[84:85]
	v_cvt_f32_f64_e32 v85, v[86:87]
	;; [unrolled: 1-line block ×4, first 2 shown]
	v_min3_f32 v84, v84, v85, v179
	v_min3_f32 v85, v80, v81, v178
	v_add_f64 v[80:81], v[14:15], v[78:79]
	v_add_f64 v[82:83], v[12:13], v[76:77]
	v_cvt_f32_f64_e32 v82, v[82:83]
	v_cvt_f32_f64_e32 v80, v[80:81]
	v_min3_f32 v179, v82, v80, v254
	v_add_f64 v[80:81], v[10:11], v[78:79]
	v_add_f64 v[82:83], v[8:9], v[76:77]
	v_cvt_f32_f64_e32 v100, v[100:101]
	v_cvt_f32_f64_e32 v101, v[102:103]
	v_cvt_f32_f64_e32 v82, v[82:83]
	v_cvt_f32_f64_e32 v80, v[80:81]
	v_min3_f32 v184, v100, v101, v184
	v_min3_f32 v100, v82, v80, v251
	v_add_f64 v[80:81], v[6:7], v[78:79]
	v_add_f64 v[82:83], v[4:5], v[76:77]
	v_add_f64 v[78:79], v[2:3], v[78:79]
	v_add_f64 v[76:77], v[0:1], v[76:77]
	v_cvt_f32_f64_e32 v76, v[76:77]
	v_cvt_f32_f64_e32 v77, v[78:79]
	v_min3_f32 v102, v76, v77, v177
	v_add_f64 v[76:77], v[14:15], v[74:75]
	v_add_f64 v[78:79], v[12:13], v[72:73]
	v_cvt_f32_f64_e32 v78, v[78:79]
	v_cvt_f32_f64_e32 v76, v[76:77]
	v_min3_f32 v103, v78, v76, v248
	v_add_f64 v[76:77], v[10:11], v[74:75]
	v_add_f64 v[78:79], v[8:9], v[72:73]
	v_cvt_f32_f64_e32 v106, v[106:107]
	v_cvt_f32_f64_e32 v104, v[104:105]
	v_cvt_f32_f64_e32 v78, v[78:79]
	v_cvt_f32_f64_e32 v76, v[76:77]
	v_min3_f32 v185, v106, v104, v185
	v_min3_f32 v104, v78, v76, v242
	v_add_f64 v[76:77], v[6:7], v[74:75]
	v_add_f64 v[78:79], v[4:5], v[72:73]
	v_add_f64 v[74:75], v[2:3], v[74:75]
	v_add_f64 v[72:73], v[0:1], v[72:73]
	v_cvt_f32_f64_e32 v72, v[72:73]
	v_cvt_f32_f64_e32 v73, v[74:75]
	;; [unrolled: 20-line block ×14, first 2 shown]
	v_min3_f32 v154, v24, v25, v188
	v_add_f64 v[24:25], v[14:15], v[22:23]
	v_add_f64 v[26:27], v[12:13], v[20:21]
	v_cvt_f32_f64_e32 v26, v[26:27]
	v_cvt_f32_f64_e32 v24, v[24:25]
	v_min3_f32 v155, v26, v24, v187
	v_add_f64 v[24:25], v[10:11], v[22:23]
	v_add_f64 v[26:27], v[8:9], v[20:21]
	;; [unrolled: 1-line block ×6, first 2 shown]
	v_cvt_f32_f64_e32 v78, v[78:79]
	v_cvt_f32_f64_e32 v76, v[76:77]
	;; [unrolled: 1-line block ×9, first 2 shown]
	v_min3_f32 v105, v78, v76, v156
	v_min3_f32 v156, v26, v24, v186
	v_add_f64 v[24:25], v[6:7], v[22:23]
	v_add_f64 v[26:27], v[4:5], v[20:21]
	;; [unrolled: 1-line block ×12, first 2 shown]
	v_min3_f32 v176, v252, v176, v250
	v_min3_f32 v92, v92, v93, v181
	;; [unrolled: 1-line block ×3, first 2 shown]
	v_cvt_f32_f64_e32 v82, v[82:83]
	v_cvt_f32_f64_e32 v80, v[80:81]
	;; [unrolled: 1-line block ×24, first 2 shown]
	v_min3_f32 v101, v82, v80, v176
	v_min3_f32 v133, v50, v48, v213
	;; [unrolled: 1-line block ×7, first 2 shown]
	v_cvt_f32_f64_e32 v26, v[26:27]
	v_cvt_f32_f64_e32 v24, v[24:25]
	v_min3_f32 v158, v20, v21, v184
	v_min3_f32 v159, v12, v13, v92
	;; [unrolled: 1-line block ×5, first 2 shown]
	ds_read_b128 v[16:19], v192 offset:1024
	ds_read_b128 v[12:15], v192 offset:2048
	;; [unrolled: 1-line block ×16, first 2 shown]
	ds_read_b128 v[96:99], v243
	ds_read_b128 v[32:35], v192
	ds_read_b128 v[40:43], v243 offset:3584
	ds_read_b128 v[20:23], v243 offset:3840
	;; [unrolled: 1-line block ×4, first 2 shown]
	s_waitcnt lgkmcnt(5)
	v_add_f64 v[28:29], v[18:19], v[98:99]
	v_add_f64 v[30:31], v[16:17], v[96:97]
	;; [unrolled: 1-line block ×4, first 2 shown]
	v_min3_f32 v157, v26, v24, v185
	s_waitcnt lgkmcnt(4)
	v_add_f64 v[24:25], v[34:35], v[98:99]
	v_add_f64 v[26:27], v[32:33], v[96:97]
	v_cvt_f32_f64_e32 v30, v[30:31]
	v_cvt_f32_f64_e32 v28, v[28:29]
	;; [unrolled: 1-line block ×4, first 2 shown]
	v_add_f64 v[98:99], v[10:11], v[98:99]
	v_add_f64 v[96:97], v[8:9], v[96:97]
	v_min3_f32 v184, v30, v28, v100
	v_min3_f32 v185, v38, v36, v101
	v_cvt_f32_f64_e32 v96, v[96:97]
	v_cvt_f32_f64_e32 v97, v[98:99]
	v_add_f64 v[100:101], v[34:35], v[94:95]
	v_add_f64 v[180:181], v[32:33], v[92:93]
	v_min3_f32 v186, v96, v97, v102
	v_cvt_f32_f64_e32 v102, v[180:181]
	v_cvt_f32_f64_e32 v100, v[100:101]
	v_min3_f32 v180, v102, v100, v103
	v_add_f64 v[100:101], v[18:19], v[94:95]
	v_add_f64 v[102:103], v[16:17], v[92:93]
	v_cvt_f32_f64_e32 v102, v[102:103]
	v_cvt_f32_f64_e32 v100, v[100:101]
	v_min3_f32 v104, v102, v100, v104
	v_add_f64 v[100:101], v[14:15], v[94:95]
	v_add_f64 v[102:103], v[12:13], v[92:93]
	;; [unrolled: 5-line block ×38, first 2 shown]
	v_cvt_f32_f64_e32 v102, v[102:103]
	v_cvt_f32_f64_e32 v100, v[100:101]
	v_min3_f32 v153, v102, v100, v153
	s_waitcnt lgkmcnt(3)
	v_add_f64 v[100:101], v[34:35], v[42:43]
	v_add_f64 v[102:103], v[32:33], v[40:41]
	v_cvt_f32_f64_e32 v102, v[102:103]
	v_cvt_f32_f64_e32 v100, v[100:101]
	;; [unrolled: 1-line block ×4, first 2 shown]
	v_min3_f32 v155, v102, v100, v155
	v_add_f64 v[100:101], v[18:19], v[42:43]
	v_add_f64 v[102:103], v[16:17], v[40:41]
	v_min3_f32 v179, v26, v24, v179
	ds_read_b128 v[24:27], v192 offset:1040
	ds_read_b128 v[28:31], v192 offset:2064
	v_cvt_f32_f64_e32 v102, v[102:103]
	v_cvt_f32_f64_e32 v100, v[100:101]
	v_add_f64 v[94:95], v[10:11], v[94:95]
	v_add_f64 v[92:93], v[8:9], v[92:93]
	;; [unrolled: 1-line block ×26, first 2 shown]
	v_min3_f32 v156, v102, v100, v156
	v_add_f64 v[100:101], v[14:15], v[42:43]
	v_add_f64 v[102:103], v[12:13], v[40:41]
	;; [unrolled: 1-line block ×4, first 2 shown]
	s_waitcnt lgkmcnt(4)
	v_add_f64 v[14:15], v[14:15], v[22:23]
	v_add_f64 v[12:13], v[12:13], v[20:21]
	v_add_f64 v[10:11], v[10:11], v[22:23]
	v_add_f64 v[8:9], v[8:9], v[20:21]
	ds_read_b128 v[36:39], v192 offset:3088
	ds_read_b128 v[96:99], v243 offset:272
	v_cvt_f32_f64_e32 v12, v[12:13]
	v_cvt_f32_f64_e32 v13, v[14:15]
	;; [unrolled: 1-line block ×4, first 2 shown]
	v_min3_f32 v12, v12, v13, v177
	v_min3_f32 v13, v8, v9, v178
	s_waitcnt lgkmcnt(4)
	v_add_f64 v[8:9], v[2:3], v[6:7]
	v_add_f64 v[10:11], v[0:1], v[4:5]
	v_cvt_f32_f64_e32 v10, v[10:11]
	v_cvt_f32_f64_e32 v8, v[8:9]
	v_min3_f32 v252, v10, v8, v179
	s_waitcnt lgkmcnt(3)
	v_add_f64 v[8:9], v[26:27], v[6:7]
	v_add_f64 v[10:11], v[24:25], v[4:5]
	v_cvt_f32_f64_e32 v10, v[10:11]
	v_cvt_f32_f64_e32 v8, v[8:9]
	v_min3_f32 v251, v10, v8, v184
	s_waitcnt lgkmcnt(2)
	v_add_f64 v[8:9], v[30:31], v[6:7]
	v_add_f64 v[10:11], v[28:29], v[4:5]
	s_waitcnt lgkmcnt(1)
	v_add_f64 v[6:7], v[38:39], v[6:7]
	v_add_f64 v[4:5], v[36:37], v[4:5]
	v_cvt_f32_f64_e32 v4, v[4:5]
	v_cvt_f32_f64_e32 v5, v[6:7]
	v_min3_f32 v249, v4, v5, v186
	s_waitcnt lgkmcnt(0)
	v_add_f64 v[4:5], v[2:3], v[98:99]
	v_add_f64 v[6:7], v[0:1], v[96:97]
	v_cvt_f32_f64_e32 v6, v[6:7]
	v_cvt_f32_f64_e32 v4, v[4:5]
	v_cvt_f32_f64_e32 v92, v[92:93]
	v_cvt_f32_f64_e32 v93, v[94:95]
	v_min3_f32 v248, v6, v4, v180
	v_add_f64 v[4:5], v[26:27], v[98:99]
	v_add_f64 v[6:7], v[24:25], v[96:97]
	v_min3_f32 v106, v92, v93, v106
	ds_read_b128 v[92:95], v243 offset:528
	v_cvt_f32_f64_e32 v6, v[6:7]
	v_cvt_f32_f64_e32 v4, v[4:5]
	v_min3_f32 v242, v6, v4, v104
	v_add_f64 v[4:5], v[30:31], v[98:99]
	v_add_f64 v[6:7], v[28:29], v[96:97]
	v_cvt_f32_f64_e32 v6, v[6:7]
	v_cvt_f32_f64_e32 v4, v[4:5]
	v_min3_f32 v241, v6, v4, v105
	v_add_f64 v[4:5], v[38:39], v[98:99]
	v_add_f64 v[6:7], v[36:37], v[96:97]
	v_cvt_f32_f64_e32 v88, v[88:89]
	v_cvt_f32_f64_e32 v89, v[90:91]
	v_cvt_f32_f64_e32 v6, v[6:7]
	v_cvt_f32_f64_e32 v4, v[4:5]
	v_min3_f32 v110, v88, v89, v110
	ds_read_b128 v[88:91], v243 offset:784
	v_min3_f32 v240, v6, v4, v106
	s_waitcnt lgkmcnt(1)
	v_add_f64 v[4:5], v[2:3], v[94:95]
	v_add_f64 v[6:7], v[0:1], v[92:93]
	v_cvt_f32_f64_e32 v6, v[6:7]
	v_cvt_f32_f64_e32 v4, v[4:5]
	v_min3_f32 v239, v6, v4, v107
	v_add_f64 v[4:5], v[26:27], v[94:95]
	v_add_f64 v[6:7], v[24:25], v[92:93]
	v_cvt_f32_f64_e32 v6, v[6:7]
	v_cvt_f32_f64_e32 v4, v[4:5]
	v_min3_f32 v238, v6, v4, v108
	v_add_f64 v[4:5], v[30:31], v[94:95]
	v_add_f64 v[6:7], v[28:29], v[92:93]
	v_cvt_f32_f64_e32 v6, v[6:7]
	v_cvt_f32_f64_e32 v4, v[4:5]
	v_min3_f32 v237, v6, v4, v109
	v_add_f64 v[4:5], v[38:39], v[94:95]
	v_add_f64 v[6:7], v[36:37], v[92:93]
	v_cvt_f32_f64_e32 v6, v[6:7]
	v_cvt_f32_f64_e32 v4, v[4:5]
	v_min3_f32 v236, v6, v4, v110
	s_waitcnt lgkmcnt(0)
	v_add_f64 v[4:5], v[2:3], v[90:91]
	v_add_f64 v[6:7], v[0:1], v[88:89]
	v_cvt_f32_f64_e32 v6, v[6:7]
	v_cvt_f32_f64_e32 v4, v[4:5]
	v_cvt_f32_f64_e32 v84, v[84:85]
	v_cvt_f32_f64_e32 v85, v[86:87]
	v_min3_f32 v235, v6, v4, v111
	v_add_f64 v[4:5], v[26:27], v[90:91]
	v_add_f64 v[6:7], v[24:25], v[88:89]
	v_min3_f32 v114, v84, v85, v114
	ds_read_b128 v[84:87], v243 offset:1040
	v_cvt_f32_f64_e32 v6, v[6:7]
	v_cvt_f32_f64_e32 v4, v[4:5]
	v_min3_f32 v234, v6, v4, v112
	v_add_f64 v[4:5], v[30:31], v[90:91]
	v_add_f64 v[6:7], v[28:29], v[88:89]
	v_cvt_f32_f64_e32 v6, v[6:7]
	v_cvt_f32_f64_e32 v4, v[4:5]
	v_min3_f32 v233, v6, v4, v113
	v_add_f64 v[4:5], v[38:39], v[90:91]
	v_add_f64 v[6:7], v[36:37], v[88:89]
	v_cvt_f32_f64_e32 v80, v[80:81]
	v_cvt_f32_f64_e32 v81, v[82:83]
	v_cvt_f32_f64_e32 v6, v[6:7]
	v_cvt_f32_f64_e32 v4, v[4:5]
	v_min3_f32 v118, v80, v81, v118
	ds_read_b128 v[80:83], v243 offset:1296
	v_min3_f32 v232, v6, v4, v114
	s_waitcnt lgkmcnt(1)
	v_add_f64 v[4:5], v[2:3], v[86:87]
	v_add_f64 v[6:7], v[0:1], v[84:85]
	v_cvt_f32_f64_e32 v6, v[6:7]
	v_cvt_f32_f64_e32 v4, v[4:5]
	v_min3_f32 v231, v6, v4, v115
	v_add_f64 v[4:5], v[26:27], v[86:87]
	v_add_f64 v[6:7], v[24:25], v[84:85]
	v_cvt_f32_f64_e32 v6, v[6:7]
	v_cvt_f32_f64_e32 v4, v[4:5]
	v_min3_f32 v230, v6, v4, v116
	v_add_f64 v[4:5], v[30:31], v[86:87]
	v_add_f64 v[6:7], v[28:29], v[84:85]
	v_cvt_f32_f64_e32 v6, v[6:7]
	v_cvt_f32_f64_e32 v4, v[4:5]
	v_min3_f32 v229, v6, v4, v117
	v_add_f64 v[4:5], v[38:39], v[86:87]
	v_add_f64 v[6:7], v[36:37], v[84:85]
	v_cvt_f32_f64_e32 v6, v[6:7]
	v_cvt_f32_f64_e32 v4, v[4:5]
	v_min3_f32 v228, v6, v4, v118
	s_waitcnt lgkmcnt(0)
	v_add_f64 v[4:5], v[2:3], v[82:83]
	v_add_f64 v[6:7], v[0:1], v[80:81]
	v_cvt_f32_f64_e32 v6, v[6:7]
	v_cvt_f32_f64_e32 v4, v[4:5]
	v_cvt_f32_f64_e32 v76, v[76:77]
	v_cvt_f32_f64_e32 v77, v[78:79]
	v_min3_f32 v227, v6, v4, v119
	v_add_f64 v[4:5], v[26:27], v[82:83]
	v_add_f64 v[6:7], v[24:25], v[80:81]
	v_min3_f32 v122, v76, v77, v122
	ds_read_b128 v[76:79], v243 offset:1552
	v_cvt_f32_f64_e32 v6, v[6:7]
	v_cvt_f32_f64_e32 v4, v[4:5]
	v_min3_f32 v226, v6, v4, v120
	v_add_f64 v[4:5], v[30:31], v[82:83]
	v_add_f64 v[6:7], v[28:29], v[80:81]
	v_cvt_f32_f64_e32 v6, v[6:7]
	v_cvt_f32_f64_e32 v4, v[4:5]
	v_min3_f32 v225, v6, v4, v121
	v_add_f64 v[4:5], v[38:39], v[82:83]
	v_add_f64 v[6:7], v[36:37], v[80:81]
	v_cvt_f32_f64_e32 v72, v[72:73]
	v_cvt_f32_f64_e32 v73, v[74:75]
	v_cvt_f32_f64_e32 v6, v[6:7]
	v_cvt_f32_f64_e32 v4, v[4:5]
	v_min3_f32 v126, v72, v73, v126
	ds_read_b128 v[72:75], v243 offset:1808
	v_min3_f32 v224, v6, v4, v122
	s_waitcnt lgkmcnt(1)
	v_add_f64 v[4:5], v[2:3], v[78:79]
	v_add_f64 v[6:7], v[0:1], v[76:77]
	v_cvt_f32_f64_e32 v6, v[6:7]
	v_cvt_f32_f64_e32 v4, v[4:5]
	v_min3_f32 v223, v6, v4, v123
	v_add_f64 v[4:5], v[26:27], v[78:79]
	v_add_f64 v[6:7], v[24:25], v[76:77]
	v_cvt_f32_f64_e32 v6, v[6:7]
	v_cvt_f32_f64_e32 v4, v[4:5]
	v_min3_f32 v222, v6, v4, v124
	v_add_f64 v[4:5], v[30:31], v[78:79]
	v_add_f64 v[6:7], v[28:29], v[76:77]
	v_cvt_f32_f64_e32 v6, v[6:7]
	v_cvt_f32_f64_e32 v4, v[4:5]
	v_min3_f32 v221, v6, v4, v125
	v_add_f64 v[4:5], v[38:39], v[78:79]
	v_add_f64 v[6:7], v[36:37], v[76:77]
	v_cvt_f32_f64_e32 v6, v[6:7]
	v_cvt_f32_f64_e32 v4, v[4:5]
	v_min3_f32 v220, v6, v4, v126
	s_waitcnt lgkmcnt(0)
	v_add_f64 v[4:5], v[2:3], v[74:75]
	v_add_f64 v[6:7], v[0:1], v[72:73]
	v_cvt_f32_f64_e32 v6, v[6:7]
	v_cvt_f32_f64_e32 v4, v[4:5]
	v_cvt_f32_f64_e32 v68, v[68:69]
	v_cvt_f32_f64_e32 v69, v[70:71]
	v_min3_f32 v219, v6, v4, v127
	v_add_f64 v[4:5], v[26:27], v[74:75]
	v_add_f64 v[6:7], v[24:25], v[72:73]
	v_min3_f32 v130, v68, v69, v130
	ds_read_b128 v[68:71], v243 offset:2064
	v_cvt_f32_f64_e32 v6, v[6:7]
	v_cvt_f32_f64_e32 v4, v[4:5]
	v_min3_f32 v218, v6, v4, v128
	v_add_f64 v[4:5], v[30:31], v[74:75]
	v_add_f64 v[6:7], v[28:29], v[72:73]
	v_cvt_f32_f64_e32 v6, v[6:7]
	v_cvt_f32_f64_e32 v4, v[4:5]
	v_min3_f32 v217, v6, v4, v129
	v_add_f64 v[4:5], v[38:39], v[74:75]
	v_add_f64 v[6:7], v[36:37], v[72:73]
	v_cvt_f32_f64_e32 v64, v[64:65]
	v_cvt_f32_f64_e32 v65, v[66:67]
	v_cvt_f32_f64_e32 v6, v[6:7]
	v_cvt_f32_f64_e32 v4, v[4:5]
	v_min3_f32 v134, v64, v65, v134
	ds_read_b128 v[64:67], v243 offset:2320
	v_min3_f32 v216, v6, v4, v130
	s_waitcnt lgkmcnt(1)
	v_add_f64 v[4:5], v[2:3], v[70:71]
	v_add_f64 v[6:7], v[0:1], v[68:69]
	v_cvt_f32_f64_e32 v6, v[6:7]
	v_cvt_f32_f64_e32 v4, v[4:5]
	v_min3_f32 v215, v6, v4, v131
	v_add_f64 v[4:5], v[26:27], v[70:71]
	v_add_f64 v[6:7], v[24:25], v[68:69]
	v_cvt_f32_f64_e32 v6, v[6:7]
	v_cvt_f32_f64_e32 v4, v[4:5]
	v_min3_f32 v214, v6, v4, v132
	v_add_f64 v[4:5], v[30:31], v[70:71]
	v_add_f64 v[6:7], v[28:29], v[68:69]
	v_cvt_f32_f64_e32 v6, v[6:7]
	v_cvt_f32_f64_e32 v4, v[4:5]
	v_min3_f32 v213, v6, v4, v133
	v_add_f64 v[4:5], v[38:39], v[70:71]
	v_add_f64 v[6:7], v[36:37], v[68:69]
	v_cvt_f32_f64_e32 v6, v[6:7]
	v_cvt_f32_f64_e32 v4, v[4:5]
	v_min3_f32 v212, v6, v4, v134
	s_waitcnt lgkmcnt(0)
	v_add_f64 v[4:5], v[2:3], v[66:67]
	v_add_f64 v[6:7], v[0:1], v[64:65]
	v_cvt_f32_f64_e32 v6, v[6:7]
	v_cvt_f32_f64_e32 v4, v[4:5]
	v_cvt_f32_f64_e32 v60, v[60:61]
	v_cvt_f32_f64_e32 v61, v[62:63]
	v_min3_f32 v211, v6, v4, v135
	v_add_f64 v[4:5], v[26:27], v[66:67]
	v_add_f64 v[6:7], v[24:25], v[64:65]
	v_min3_f32 v138, v60, v61, v138
	ds_read_b128 v[60:63], v243 offset:2576
	v_cvt_f32_f64_e32 v6, v[6:7]
	v_cvt_f32_f64_e32 v4, v[4:5]
	v_min3_f32 v210, v6, v4, v136
	v_add_f64 v[4:5], v[30:31], v[66:67]
	v_add_f64 v[6:7], v[28:29], v[64:65]
	v_cvt_f32_f64_e32 v6, v[6:7]
	v_cvt_f32_f64_e32 v4, v[4:5]
	v_min3_f32 v209, v6, v4, v137
	v_add_f64 v[4:5], v[38:39], v[66:67]
	v_add_f64 v[6:7], v[36:37], v[64:65]
	v_cvt_f32_f64_e32 v56, v[56:57]
	v_cvt_f32_f64_e32 v57, v[58:59]
	v_cvt_f32_f64_e32 v6, v[6:7]
	v_cvt_f32_f64_e32 v4, v[4:5]
	v_min3_f32 v142, v56, v57, v142
	ds_read_b128 v[56:59], v243 offset:2832
	v_min3_f32 v208, v6, v4, v138
	s_waitcnt lgkmcnt(1)
	v_add_f64 v[4:5], v[2:3], v[62:63]
	v_add_f64 v[6:7], v[0:1], v[60:61]
	v_cvt_f32_f64_e32 v6, v[6:7]
	v_cvt_f32_f64_e32 v4, v[4:5]
	v_min3_f32 v207, v6, v4, v139
	v_add_f64 v[4:5], v[26:27], v[62:63]
	v_add_f64 v[6:7], v[24:25], v[60:61]
	v_cvt_f32_f64_e32 v6, v[6:7]
	v_cvt_f32_f64_e32 v4, v[4:5]
	v_min3_f32 v206, v6, v4, v140
	v_add_f64 v[4:5], v[30:31], v[62:63]
	v_add_f64 v[6:7], v[28:29], v[60:61]
	v_cvt_f32_f64_e32 v6, v[6:7]
	v_cvt_f32_f64_e32 v4, v[4:5]
	v_min3_f32 v205, v6, v4, v141
	v_add_f64 v[4:5], v[38:39], v[62:63]
	v_add_f64 v[6:7], v[36:37], v[60:61]
	v_cvt_f32_f64_e32 v6, v[6:7]
	v_cvt_f32_f64_e32 v4, v[4:5]
	v_min3_f32 v204, v6, v4, v142
	s_waitcnt lgkmcnt(0)
	v_add_f64 v[4:5], v[2:3], v[58:59]
	v_add_f64 v[6:7], v[0:1], v[56:57]
	v_cvt_f32_f64_e32 v6, v[6:7]
	v_cvt_f32_f64_e32 v4, v[4:5]
	v_cvt_f32_f64_e32 v52, v[52:53]
	v_cvt_f32_f64_e32 v53, v[54:55]
	v_min3_f32 v203, v6, v4, v143
	v_add_f64 v[4:5], v[26:27], v[58:59]
	v_add_f64 v[6:7], v[24:25], v[56:57]
	v_min3_f32 v146, v52, v53, v146
	ds_read_b128 v[52:55], v243 offset:3088
	v_cvt_f32_f64_e32 v6, v[6:7]
	v_cvt_f32_f64_e32 v4, v[4:5]
	v_min3_f32 v202, v6, v4, v144
	v_add_f64 v[4:5], v[30:31], v[58:59]
	v_add_f64 v[6:7], v[28:29], v[56:57]
	v_cvt_f32_f64_e32 v6, v[6:7]
	v_cvt_f32_f64_e32 v4, v[4:5]
	v_min3_f32 v201, v6, v4, v145
	v_add_f64 v[4:5], v[38:39], v[58:59]
	v_add_f64 v[6:7], v[36:37], v[56:57]
	v_cvt_f32_f64_e32 v48, v[48:49]
	v_cvt_f32_f64_e32 v49, v[50:51]
	v_cvt_f32_f64_e32 v6, v[6:7]
	v_cvt_f32_f64_e32 v4, v[4:5]
	v_min3_f32 v150, v48, v49, v150
	ds_read_b128 v[48:51], v243 offset:3344
	v_min3_f32 v200, v6, v4, v146
	s_waitcnt lgkmcnt(1)
	v_add_f64 v[4:5], v[2:3], v[54:55]
	v_add_f64 v[6:7], v[0:1], v[52:53]
	v_cvt_f32_f64_e32 v6, v[6:7]
	v_cvt_f32_f64_e32 v4, v[4:5]
	v_min3_f32 v199, v6, v4, v147
	v_add_f64 v[4:5], v[26:27], v[54:55]
	v_add_f64 v[6:7], v[24:25], v[52:53]
	v_cvt_f32_f64_e32 v6, v[6:7]
	v_cvt_f32_f64_e32 v4, v[4:5]
	v_min3_f32 v198, v6, v4, v148
	v_add_f64 v[4:5], v[30:31], v[54:55]
	v_add_f64 v[6:7], v[28:29], v[52:53]
	v_cvt_f32_f64_e32 v6, v[6:7]
	v_cvt_f32_f64_e32 v4, v[4:5]
	v_min3_f32 v196, v6, v4, v149
	v_add_f64 v[4:5], v[38:39], v[54:55]
	v_add_f64 v[6:7], v[36:37], v[52:53]
	v_cvt_f32_f64_e32 v6, v[6:7]
	v_cvt_f32_f64_e32 v4, v[4:5]
	v_min3_f32 v195, v6, v4, v150
	s_waitcnt lgkmcnt(0)
	v_add_f64 v[4:5], v[2:3], v[50:51]
	v_add_f64 v[6:7], v[0:1], v[48:49]
	v_cvt_f32_f64_e32 v6, v[6:7]
	v_cvt_f32_f64_e32 v4, v[4:5]
	;; [unrolled: 1-line block ×6, first 2 shown]
	v_min3_f32 v194, v6, v4, v151
	v_add_f64 v[4:5], v[26:27], v[50:51]
	v_add_f64 v[6:7], v[24:25], v[48:49]
	v_min3_f32 v154, v44, v45, v154
	ds_read_b128 v[44:47], v243 offset:3600
	v_cvt_f32_f64_e32 v100, v[100:101]
	v_min3_f32 v101, v40, v41, v158
	ds_read_b128 v[40:43], v243 offset:3856
	v_cvt_f32_f64_e32 v6, v[6:7]
	v_cvt_f32_f64_e32 v4, v[4:5]
	v_min3_f32 v193, v6, v4, v152
	v_add_f64 v[4:5], v[30:31], v[50:51]
	v_add_f64 v[6:7], v[28:29], v[48:49]
	v_cvt_f32_f64_e32 v6, v[6:7]
	v_cvt_f32_f64_e32 v4, v[4:5]
	v_min3_f32 v191, v6, v4, v153
	v_add_f64 v[4:5], v[38:39], v[50:51]
	v_add_f64 v[6:7], v[36:37], v[48:49]
	;; [unrolled: 1-line block ×4, first 2 shown]
	v_cvt_f32_f64_e32 v6, v[6:7]
	v_cvt_f32_f64_e32 v4, v[4:5]
	;; [unrolled: 1-line block ×4, first 2 shown]
	v_min3_f32 v188, v6, v4, v154
	s_waitcnt lgkmcnt(1)
	v_add_f64 v[4:5], v[2:3], v[46:47]
	v_add_f64 v[6:7], v[0:1], v[44:45]
	s_waitcnt lgkmcnt(0)
	v_add_f64 v[2:3], v[2:3], v[42:43]
	v_add_f64 v[0:1], v[0:1], v[40:41]
	v_min3_f32 v32, v32, v33, v159
	v_add_f64 v[18:19], v[18:19], v[22:23]
	v_add_f64 v[16:17], v[16:17], v[20:21]
	v_cvt_f32_f64_e32 v6, v[6:7]
	v_cvt_f32_f64_e32 v4, v[4:5]
	;; [unrolled: 1-line block ×6, first 2 shown]
	v_min3_f32 v187, v6, v4, v155
	v_add_f64 v[4:5], v[26:27], v[46:47]
	v_add_f64 v[6:7], v[24:25], v[44:45]
	v_min3_f32 v181, v0, v1, v32
	v_add_f64 v[0:1], v[26:27], v[42:43]
	v_add_f64 v[2:3], v[24:25], v[40:41]
	v_min3_f32 v16, v16, v17, v176
	v_cvt_f32_f64_e32 v6, v[6:7]
	v_cvt_f32_f64_e32 v4, v[4:5]
	v_cvt_f32_f64_e32 v2, v[2:3]
	v_cvt_f32_f64_e32 v0, v[0:1]
	v_cvt_f32_f64_e32 v102, v[102:103]
	v_min3_f32 v186, v6, v4, v156
	v_add_f64 v[4:5], v[30:31], v[46:47]
	v_add_f64 v[6:7], v[28:29], v[44:45]
	v_min3_f32 v180, v2, v0, v16
	v_add_f64 v[0:1], v[30:31], v[42:43]
	v_add_f64 v[2:3], v[28:29], v[40:41]
	v_min3_f32 v100, v102, v100, v157
	v_cvt_f32_f64_e32 v10, v[10:11]
	v_cvt_f32_f64_e32 v8, v[8:9]
	;; [unrolled: 1-line block ×6, first 2 shown]
	v_min3_f32 v250, v10, v8, v185
	v_min3_f32 v185, v6, v4, v100
	v_add_f64 v[4:5], v[38:39], v[46:47]
	v_add_f64 v[6:7], v[36:37], v[44:45]
	v_min3_f32 v179, v2, v0, v12
	v_add_f64 v[0:1], v[38:39], v[42:43]
	v_add_f64 v[2:3], v[36:37], v[40:41]
	v_cvt_f32_f64_e32 v6, v[6:7]
	v_cvt_f32_f64_e32 v4, v[4:5]
	;; [unrolled: 1-line block ×4, first 2 shown]
	s_add_i32 s35, s35, 8
	v_min3_f32 v184, v6, v4, v101
	v_min3_f32 v178, v2, v0, v13
	v_add_u32_e32 v0, 0x1000, v197
	s_cmp_ge_i32 s35, s36
	ds_write2st64_b64 v0, v[168:169], v[170:171] offset1:4
	ds_write2st64_b64 v244, v[172:173], v[174:175] offset1:4
	s_waitcnt lgkmcnt(0)
	s_barrier
	s_cbranch_scc1 .LBB116_43
.LBB116_27:                             ; =>This Inner Loop Header: Depth=1
	v_add_u32_e32 v176, s35, v190
	v_add_u32_e32 v0, 8, v176
	v_cmp_le_i32_e64 s[8:9], s18, v0
	v_min_i32_e32 v0, s19, v0
	v_ashrrev_i32_e32 v1, 31, v0
	s_or_b64 s[10:11], vcc, s[8:9]
	v_lshl_add_u64 v[2:3], v[0:1], 3, s[24:25]
	v_cndmask_b32_e64 v169, 0, v247, s[10:11]
	s_nor_b64 s[38:39], s[28:29], s[10:11]
	v_cndmask_b32_e64 v168, 0, -1, s[10:11]
	s_and_saveexec_b64 s[10:11], s[38:39]
	s_cbranch_execz .LBB116_29
; %bb.28:                               ;   in Loop: Header=BB116_27 Depth=1
	v_lshl_add_u64 v[4:5], v[160:161], 3, v[2:3]
	flat_load_dwordx2 v[4:5], v[4:5]
	s_waitcnt vmcnt(0) lgkmcnt(0)
	v_mul_f64 v[168:169], s[20:21], v[4:5]
.LBB116_29:                             ;   in Loop: Header=BB116_27 Depth=1
	s_or_b64 exec, exec, s[10:11]
	s_or_b64 s[10:11], s[2:3], s[8:9]
	v_cndmask_b32_e64 v171, 0, v247, s[10:11]
	s_nor_b64 s[38:39], s[28:29], s[10:11]
	v_cndmask_b32_e64 v170, 0, -1, s[10:11]
	s_and_saveexec_b64 s[10:11], s[38:39]
	s_cbranch_execz .LBB116_31
; %bb.30:                               ;   in Loop: Header=BB116_27 Depth=1
	v_lshl_add_u64 v[2:3], v[162:163], 3, v[2:3]
	flat_load_dwordx2 v[2:3], v[2:3]
	s_waitcnt vmcnt(0) lgkmcnt(0)
	v_mul_f64 v[170:171], s[20:21], v[2:3]
.LBB116_31:                             ;   in Loop: Header=BB116_27 Depth=1
	s_or_b64 exec, exec, s[10:11]
	s_or_b64 s[10:11], s[4:5], s[8:9]
	v_lshl_add_u64 v[0:1], v[0:1], 3, s[26:27]
	v_cndmask_b32_e64 v173, 0, v247, s[10:11]
	s_nor_b64 s[38:39], s[28:29], s[10:11]
	v_cndmask_b32_e64 v172, 0, -1, s[10:11]
	s_and_saveexec_b64 s[10:11], s[38:39]
	s_cbranch_execz .LBB116_33
; %bb.32:                               ;   in Loop: Header=BB116_27 Depth=1
	v_lshl_add_u64 v[2:3], v[164:165], 3, v[0:1]
	flat_load_dwordx2 v[2:3], v[2:3]
	s_waitcnt vmcnt(0) lgkmcnt(0)
	v_mul_f64 v[172:173], s[20:21], v[2:3]
.LBB116_33:                             ;   in Loop: Header=BB116_27 Depth=1
	s_or_b64 exec, exec, s[10:11]
	s_or_b64 s[8:9], s[6:7], s[8:9]
	v_cndmask_b32_e64 v175, 0, v247, s[8:9]
	s_nor_b64 s[10:11], s[28:29], s[8:9]
	v_cndmask_b32_e64 v174, 0, -1, s[8:9]
	s_and_saveexec_b64 s[8:9], s[10:11]
	s_cbranch_execz .LBB116_35
; %bb.34:                               ;   in Loop: Header=BB116_27 Depth=1
	v_lshl_add_u64 v[0:1], v[166:167], 3, v[0:1]
	flat_load_dwordx2 v[0:1], v[0:1]
	s_waitcnt vmcnt(0) lgkmcnt(0)
	v_mul_f64 v[174:175], s[20:21], v[0:1]
.LBB116_35:                             ;   in Loop: Header=BB116_27 Depth=1
	s_or_b64 exec, exec, s[8:9]
	ds_read_b128 v[156:159], v246
	ds_read_b128 v[76:79], v246 offset:16
	ds_read_b128 v[92:95], v245
	ds_read_b128 v[12:15], v245 offset:16
	ds_read_b128 v[88:91], v245 offset:1024
	;; [unrolled: 1-line block ×37, first 2 shown]
	ds_write2st64_b64 v197, v[168:169], v[170:171] offset1:4
	v_add_u32_e32 v168, 0x2000, v197
	ds_write2st64_b64 v168, v[172:173], v[174:175] offset1:4
	v_add_u32_e32 v168, 12, v176
	v_cmp_le_i32_e64 s[8:9], s18, v168
	v_min_i32_e32 v172, s19, v168
	v_ashrrev_i32_e32 v173, 31, v172
	s_or_b64 s[10:11], vcc, s[8:9]
	v_lshl_add_u64 v[174:175], v[172:173], 3, s[24:25]
	v_cndmask_b32_e64 v169, 0, v247, s[10:11]
	s_nor_b64 s[38:39], s[28:29], s[10:11]
	v_cndmask_b32_e64 v168, 0, -1, s[10:11]
	s_waitcnt lgkmcnt(0)
	s_barrier
	s_and_saveexec_b64 s[10:11], s[38:39]
	s_cbranch_execz .LBB116_37
; %bb.36:                               ;   in Loop: Header=BB116_27 Depth=1
	v_lshl_add_u64 v[168:169], v[160:161], 3, v[174:175]
	flat_load_dwordx2 v[168:169], v[168:169]
	s_waitcnt vmcnt(0) lgkmcnt(0)
	v_mul_f64 v[168:169], s[20:21], v[168:169]
.LBB116_37:                             ;   in Loop: Header=BB116_27 Depth=1
	s_or_b64 exec, exec, s[10:11]
	s_or_b64 s[10:11], s[2:3], s[8:9]
	v_cndmask_b32_e64 v171, 0, v247, s[10:11]
	s_nor_b64 s[38:39], s[28:29], s[10:11]
	v_cndmask_b32_e64 v170, 0, -1, s[10:11]
	s_and_saveexec_b64 s[10:11], s[38:39]
	s_cbranch_execz .LBB116_39
; %bb.38:                               ;   in Loop: Header=BB116_27 Depth=1
	v_lshl_add_u64 v[170:171], v[162:163], 3, v[174:175]
	flat_load_dwordx2 v[170:171], v[170:171]
	s_waitcnt vmcnt(0) lgkmcnt(0)
	v_mul_f64 v[170:171], s[20:21], v[170:171]
.LBB116_39:                             ;   in Loop: Header=BB116_27 Depth=1
	s_or_b64 exec, exec, s[10:11]
	s_or_b64 s[10:11], s[4:5], s[8:9]
	v_lshl_add_u64 v[176:177], v[172:173], 3, s[26:27]
	v_cndmask_b32_e64 v173, 0, v247, s[10:11]
	s_nor_b64 s[38:39], s[28:29], s[10:11]
	v_cndmask_b32_e64 v172, 0, -1, s[10:11]
	s_and_saveexec_b64 s[10:11], s[38:39]
	s_cbranch_execz .LBB116_41
; %bb.40:                               ;   in Loop: Header=BB116_27 Depth=1
	v_lshl_add_u64 v[172:173], v[164:165], 3, v[176:177]
	flat_load_dwordx2 v[172:173], v[172:173]
	s_waitcnt vmcnt(0) lgkmcnt(0)
	v_mul_f64 v[172:173], s[20:21], v[172:173]
.LBB116_41:                             ;   in Loop: Header=BB116_27 Depth=1
	s_or_b64 exec, exec, s[10:11]
	s_or_b64 s[8:9], s[6:7], s[8:9]
	v_cndmask_b32_e64 v175, 0, v247, s[8:9]
	s_nor_b64 s[10:11], s[28:29], s[8:9]
	v_cndmask_b32_e64 v174, 0, -1, s[8:9]
	s_and_saveexec_b64 s[8:9], s[10:11]
	s_cbranch_execz .LBB116_26
; %bb.42:                               ;   in Loop: Header=BB116_27 Depth=1
	v_lshl_add_u64 v[174:175], v[166:167], 3, v[176:177]
	flat_load_dwordx2 v[174:175], v[174:175]
	s_waitcnt vmcnt(0) lgkmcnt(0)
	v_mul_f64 v[174:175], s[20:21], v[174:175]
	s_branch .LBB116_26
.LBB116_43:
	s_load_dwordx2 s[2:3], s[0:1], 0x78
	s_load_dword s21, s[0:1], 0x58
	s_load_dword s20, s[0:1], 0x70
	ds_read_b128 v[36:39], v192 offset:4096
	ds_read_b128 v[32:35], v192 offset:4112
	;; [unrolled: 1-line block ×38, first 2 shown]
	s_waitcnt lgkmcnt(0)
	s_lshl_b64 s[0:1], s[2:3], 3
	s_add_u32 s18, s30, s0
	v_add_u32_e32 v172, s34, v183
	s_addc_u32 s19, s31, s1
	v_mad_i64_i32 v[8:9], s[0:1], v172, s21, 0
	v_lshl_add_u64 v[170:171], v[8:9], 3, s[22:23]
	ds_read_b128 v[16:19], v189 offset:16128
	ds_read_b128 v[8:11], v189 offset:16144
	v_add_u32_e32 v160, s33, v182
	v_mad_i64_i32 v[162:163], s[0:1], v172, s20, 0
	v_cmp_gt_i32_e64 s[2:3], s16, v160
	v_cmp_gt_i32_e64 s[10:11], s17, v172
	v_lshl_add_u64 v[168:169], v[162:163], 3, s[18:19]
	v_cndmask_b32_e64 v162, 0, 1, s[12:13]
	v_ashrrev_i32_e32 v161, 31, v160
	s_and_b64 s[6:7], s[2:3], s[10:11]
	v_cmp_ne_u32_e64 s[0:1], 1, v162
	s_and_saveexec_b64 s[4:5], s[6:7]
	s_cbranch_execz .LBB116_48
; %bb.44:
	s_and_b64 vcc, exec, s[0:1]
	s_cbranch_vccnz .LBB116_46
; %bb.45:
	v_lshl_add_u64 v[162:163], v[160:161], 3, v[170:171]
	flat_load_dwordx2 v[162:163], v[162:163]
	s_waitcnt vmcnt(0) lgkmcnt(0)
	v_mul_f64 v[162:163], s[14:15], v[162:163]
	v_cvt_f32_f64_e32 v162, v[162:163]
	s_branch .LBB116_47
.LBB116_46:
	v_mov_b32_e32 v162, 0
.LBB116_47:
	v_add_f64 v[164:165], v[38:39], v[158:159]
	v_add_f64 v[166:167], v[36:37], v[156:157]
	v_cvt_f32_f64_e32 v163, v[166:167]
	v_cvt_f32_f64_e32 v164, v[164:165]
	v_min3_f32 v163, v163, v164, v252
	v_add_f64 v[164:165], v[34:35], v[154:155]
	v_add_f64 v[166:167], v[32:33], v[152:153]
	v_cvt_f32_f64_e32 v166, v[166:167]
	v_cvt_f32_f64_e32 v164, v[164:165]
	v_min_f32_e32 v164, v166, v164
	v_min3_f32 v162, v162, v164, v163
	v_cvt_f64_f32_e32 v[162:163], v162
	v_lshl_add_u64 v[164:165], v[160:161], 3, v[168:169]
	flat_store_dwordx2 v[164:165], v[162:163]
.LBB116_48:
	s_or_b64 exec, exec, s[4:5]
	v_add_u32_e32 v162, 32, v160
	v_cmp_gt_i32_e64 s[4:5], s16, v162
	v_ashrrev_i32_e32 v163, 31, v162
	s_and_b64 s[8:9], s[4:5], s[10:11]
	s_and_saveexec_b64 s[6:7], s[8:9]
	s_cbranch_execz .LBB116_53
; %bb.49:
	s_and_b64 vcc, exec, s[0:1]
	s_cbranch_vccnz .LBB116_51
; %bb.50:
	v_lshl_add_u64 v[164:165], v[162:163], 3, v[170:171]
	flat_load_dwordx2 v[164:165], v[164:165]
	s_waitcnt vmcnt(0) lgkmcnt(0)
	v_mul_f64 v[164:165], s[14:15], v[164:165]
	v_cvt_f32_f64_e32 v164, v[164:165]
	s_branch .LBB116_52
.LBB116_51:
	v_mov_b32_e32 v164, 0
.LBB116_52:
	v_add_f64 v[166:167], v[26:27], v[158:159]
	v_add_f64 v[174:175], v[24:25], v[156:157]
	v_cvt_f32_f64_e32 v165, v[174:175]
	v_cvt_f32_f64_e32 v166, v[166:167]
	v_min3_f32 v165, v165, v166, v251
	v_add_f64 v[166:167], v[30:31], v[154:155]
	v_add_f64 v[174:175], v[28:29], v[152:153]
	v_cvt_f32_f64_e32 v173, v[174:175]
	v_cvt_f32_f64_e32 v166, v[166:167]
	v_min_f32_e32 v166, v173, v166
	v_min3_f32 v164, v164, v166, v165
	v_cvt_f64_f32_e32 v[164:165], v164
	v_lshl_add_u64 v[166:167], v[162:163], 3, v[168:169]
	flat_store_dwordx2 v[166:167], v[164:165]
.LBB116_53:
	s_or_b64 exec, exec, s[6:7]
	v_add_u32_e32 v164, 64, v160
	v_cmp_gt_i32_e64 s[6:7], s16, v164
	v_ashrrev_i32_e32 v165, 31, v164
	s_and_b64 s[12:13], s[6:7], s[10:11]
	s_and_saveexec_b64 s[8:9], s[12:13]
	s_cbranch_execz .LBB116_58
; %bb.54:
	s_and_b64 vcc, exec, s[0:1]
	s_cbranch_vccnz .LBB116_56
; %bb.55:
	v_lshl_add_u64 v[166:167], v[164:165], 3, v[170:171]
	flat_load_dwordx2 v[166:167], v[166:167]
	s_waitcnt vmcnt(0) lgkmcnt(0)
	v_mul_f64 v[166:167], s[14:15], v[166:167]
	v_cvt_f32_f64_e32 v166, v[166:167]
	s_branch .LBB116_57
.LBB116_56:
	v_mov_b32_e32 v166, 0
.LBB116_57:
	v_add_f64 v[174:175], v[22:23], v[158:159]
	v_add_f64 v[176:177], v[20:21], v[156:157]
	v_cvt_f32_f64_e32 v167, v[176:177]
	v_cvt_f32_f64_e32 v173, v[174:175]
	v_add_f64 v[174:175], v[14:15], v[154:155]
	v_add_f64 v[176:177], v[12:13], v[152:153]
	v_min3_f32 v167, v167, v173, v250
	v_cvt_f32_f64_e32 v173, v[176:177]
	v_cvt_f32_f64_e32 v174, v[174:175]
	v_min_f32_e32 v173, v173, v174
	v_min3_f32 v166, v166, v173, v167
	v_cvt_f64_f32_e32 v[166:167], v166
	v_lshl_add_u64 v[174:175], v[164:165], 3, v[168:169]
	flat_store_dwordx2 v[174:175], v[166:167]
.LBB116_58:
	s_or_b64 exec, exec, s[8:9]
	v_add_u32_e32 v166, 0x60, v160
	v_cmp_gt_i32_e64 s[8:9], s16, v166
	v_ashrrev_i32_e32 v167, 31, v166
	s_and_b64 s[12:13], s[8:9], s[10:11]
	s_and_saveexec_b64 s[10:11], s[12:13]
	s_cbranch_execz .LBB116_63
; %bb.59:
	s_and_b64 vcc, exec, s[0:1]
	s_cbranch_vccnz .LBB116_61
; %bb.60:
	v_lshl_add_u64 v[170:171], v[166:167], 3, v[170:171]
	flat_load_dwordx2 v[170:171], v[170:171]
	s_waitcnt vmcnt(0) lgkmcnt(0)
	v_mul_f64 v[170:171], s[14:15], v[170:171]
	v_cvt_f32_f64_e32 v170, v[170:171]
	s_branch .LBB116_62
.LBB116_61:
	v_mov_b32_e32 v170, 0
.LBB116_62:
	v_add_f64 v[158:159], v[6:7], v[158:159]
	v_add_f64 v[156:157], v[4:5], v[156:157]
	;; [unrolled: 1-line block ×4, first 2 shown]
	v_cvt_f32_f64_e32 v156, v[156:157]
	v_cvt_f32_f64_e32 v157, v[158:159]
	v_cvt_f32_f64_e32 v152, v[152:153]
	v_cvt_f32_f64_e32 v153, v[154:155]
	v_min3_f32 v156, v156, v157, v249
	v_min_f32_e32 v152, v152, v153
	v_min3_f32 v152, v170, v152, v156
	v_cvt_f64_f32_e32 v[152:153], v152
	v_lshl_add_u64 v[154:155], v[166:167], 3, v[168:169]
	flat_store_dwordx2 v[154:155], v[152:153]
.LBB116_63:
	s_or_b64 exec, exec, s[10:11]
	v_add_u32_e32 v156, 8, v172
	v_mad_i64_i32 v[152:153], s[12:13], v156, s21, 0
	v_cmp_gt_i32_e64 s[10:11], s17, v156
	v_lshl_add_u64 v[154:155], v[152:153], 3, s[22:23]
	v_mad_i64_i32 v[152:153], s[12:13], v156, s20, 0
	v_lshl_add_u64 v[152:153], v[152:153], 3, s[18:19]
	s_and_b64 s[24:25], s[2:3], s[10:11]
	s_and_saveexec_b64 s[12:13], s[24:25]
	s_cbranch_execnz .LBB116_67
; %bb.64:
	s_or_b64 exec, exec, s[12:13]
	s_and_b64 s[24:25], s[4:5], s[10:11]
	s_and_saveexec_b64 s[12:13], s[24:25]
	s_cbranch_execnz .LBB116_71
.LBB116_65:
	s_or_b64 exec, exec, s[12:13]
	s_and_b64 s[24:25], s[6:7], s[10:11]
	s_and_saveexec_b64 s[12:13], s[24:25]
	s_cbranch_execnz .LBB116_75
.LBB116_66:
	s_or_b64 exec, exec, s[12:13]
	s_and_b64 s[12:13], s[8:9], s[10:11]
	s_and_saveexec_b64 s[10:11], s[12:13]
	s_cbranch_execnz .LBB116_79
	s_branch .LBB116_83
.LBB116_67:
	s_and_b64 vcc, exec, s[0:1]
	s_cbranch_vccnz .LBB116_69
; %bb.68:
	v_lshl_add_u64 v[156:157], v[160:161], 3, v[154:155]
	flat_load_dwordx2 v[156:157], v[156:157]
	s_waitcnt vmcnt(0) lgkmcnt(0)
	v_mul_f64 v[156:157], s[14:15], v[156:157]
	v_cvt_f32_f64_e32 v156, v[156:157]
	s_branch .LBB116_70
.LBB116_69:
	v_mov_b32_e32 v156, 0
.LBB116_70:
	v_add_f64 v[158:159], v[38:39], v[150:151]
	v_add_f64 v[168:169], v[36:37], v[148:149]
	v_cvt_f32_f64_e32 v157, v[168:169]
	v_cvt_f32_f64_e32 v158, v[158:159]
	v_min3_f32 v157, v157, v158, v248
	v_add_f64 v[158:159], v[34:35], v[146:147]
	v_add_f64 v[168:169], v[32:33], v[144:145]
	v_cvt_f32_f64_e32 v168, v[168:169]
	v_cvt_f32_f64_e32 v158, v[158:159]
	v_min_f32_e32 v158, v168, v158
	v_min3_f32 v156, v156, v158, v157
	v_cvt_f64_f32_e32 v[156:157], v156
	v_lshl_add_u64 v[158:159], v[160:161], 3, v[152:153]
	flat_store_dwordx2 v[158:159], v[156:157]
	s_or_b64 exec, exec, s[12:13]
	s_and_b64 s[24:25], s[4:5], s[10:11]
	s_and_saveexec_b64 s[12:13], s[24:25]
	s_cbranch_execz .LBB116_65
.LBB116_71:
	s_and_b64 vcc, exec, s[0:1]
	s_cbranch_vccnz .LBB116_73
; %bb.72:
	v_lshl_add_u64 v[156:157], v[162:163], 3, v[154:155]
	flat_load_dwordx2 v[156:157], v[156:157]
	s_waitcnt vmcnt(0) lgkmcnt(0)
	v_mul_f64 v[156:157], s[14:15], v[156:157]
	v_cvt_f32_f64_e32 v156, v[156:157]
	s_branch .LBB116_74
.LBB116_73:
	v_mov_b32_e32 v156, 0
.LBB116_74:
	v_add_f64 v[158:159], v[26:27], v[150:151]
	v_add_f64 v[168:169], v[24:25], v[148:149]
	v_cvt_f32_f64_e32 v157, v[168:169]
	v_cvt_f32_f64_e32 v158, v[158:159]
	v_min3_f32 v157, v157, v158, v242
	v_add_f64 v[158:159], v[30:31], v[146:147]
	v_add_f64 v[168:169], v[28:29], v[144:145]
	v_cvt_f32_f64_e32 v168, v[168:169]
	v_cvt_f32_f64_e32 v158, v[158:159]
	v_min_f32_e32 v158, v168, v158
	v_min3_f32 v156, v156, v158, v157
	v_cvt_f64_f32_e32 v[156:157], v156
	v_lshl_add_u64 v[158:159], v[162:163], 3, v[152:153]
	flat_store_dwordx2 v[158:159], v[156:157]
	s_or_b64 exec, exec, s[12:13]
	s_and_b64 s[24:25], s[6:7], s[10:11]
	s_and_saveexec_b64 s[12:13], s[24:25]
	s_cbranch_execz .LBB116_66
.LBB116_75:
	s_and_b64 vcc, exec, s[0:1]
	s_cbranch_vccnz .LBB116_77
; %bb.76:
	v_lshl_add_u64 v[156:157], v[164:165], 3, v[154:155]
	flat_load_dwordx2 v[156:157], v[156:157]
	s_waitcnt vmcnt(0) lgkmcnt(0)
	v_mul_f64 v[156:157], s[14:15], v[156:157]
	v_cvt_f32_f64_e32 v156, v[156:157]
	s_branch .LBB116_78
.LBB116_77:
	v_mov_b32_e32 v156, 0
.LBB116_78:
	v_add_f64 v[158:159], v[22:23], v[150:151]
	v_add_f64 v[168:169], v[20:21], v[148:149]
	v_cvt_f32_f64_e32 v157, v[168:169]
	v_cvt_f32_f64_e32 v158, v[158:159]
	v_min3_f32 v157, v157, v158, v241
	v_add_f64 v[158:159], v[14:15], v[146:147]
	v_add_f64 v[168:169], v[12:13], v[144:145]
	v_cvt_f32_f64_e32 v168, v[168:169]
	v_cvt_f32_f64_e32 v158, v[158:159]
	v_min_f32_e32 v158, v168, v158
	v_min3_f32 v156, v156, v158, v157
	v_cvt_f64_f32_e32 v[156:157], v156
	v_lshl_add_u64 v[158:159], v[164:165], 3, v[152:153]
	flat_store_dwordx2 v[158:159], v[156:157]
	s_or_b64 exec, exec, s[12:13]
	s_and_b64 s[12:13], s[8:9], s[10:11]
	s_and_saveexec_b64 s[10:11], s[12:13]
	s_cbranch_execz .LBB116_83
.LBB116_79:
	s_and_b64 vcc, exec, s[0:1]
	s_cbranch_vccnz .LBB116_81
; %bb.80:
	v_lshl_add_u64 v[154:155], v[166:167], 3, v[154:155]
	flat_load_dwordx2 v[154:155], v[154:155]
	s_waitcnt vmcnt(0) lgkmcnt(0)
	v_mul_f64 v[154:155], s[14:15], v[154:155]
	v_cvt_f32_f64_e32 v154, v[154:155]
	s_branch .LBB116_82
.LBB116_81:
	v_mov_b32_e32 v154, 0
.LBB116_82:
	v_add_f64 v[150:151], v[6:7], v[150:151]
	v_add_f64 v[148:149], v[4:5], v[148:149]
	;; [unrolled: 1-line block ×4, first 2 shown]
	v_cvt_f32_f64_e32 v148, v[148:149]
	v_cvt_f32_f64_e32 v149, v[150:151]
	;; [unrolled: 1-line block ×4, first 2 shown]
	v_min3_f32 v148, v148, v149, v240
	v_min_f32_e32 v144, v144, v145
	v_min3_f32 v144, v154, v144, v148
	v_cvt_f64_f32_e32 v[144:145], v144
	v_lshl_add_u64 v[146:147], v[166:167], 3, v[152:153]
	flat_store_dwordx2 v[146:147], v[144:145]
.LBB116_83:
	s_or_b64 exec, exec, s[10:11]
	v_add_u32_e32 v148, 16, v172
	v_mad_i64_i32 v[144:145], s[12:13], v148, s21, 0
	v_cmp_gt_i32_e64 s[10:11], s17, v148
	v_lshl_add_u64 v[146:147], v[144:145], 3, s[22:23]
	v_mad_i64_i32 v[144:145], s[12:13], v148, s20, 0
	v_lshl_add_u64 v[144:145], v[144:145], 3, s[18:19]
	s_and_b64 s[24:25], s[2:3], s[10:11]
	s_and_saveexec_b64 s[12:13], s[24:25]
	s_cbranch_execnz .LBB116_87
; %bb.84:
	s_or_b64 exec, exec, s[12:13]
	s_and_b64 s[24:25], s[4:5], s[10:11]
	s_and_saveexec_b64 s[12:13], s[24:25]
	s_cbranch_execnz .LBB116_91
.LBB116_85:
	s_or_b64 exec, exec, s[12:13]
	s_and_b64 s[24:25], s[6:7], s[10:11]
	s_and_saveexec_b64 s[12:13], s[24:25]
	s_cbranch_execnz .LBB116_95
.LBB116_86:
	s_or_b64 exec, exec, s[12:13]
	s_and_b64 s[12:13], s[8:9], s[10:11]
	s_and_saveexec_b64 s[10:11], s[12:13]
	s_cbranch_execnz .LBB116_99
	s_branch .LBB116_103
.LBB116_87:
	s_and_b64 vcc, exec, s[0:1]
	s_cbranch_vccnz .LBB116_89
; %bb.88:
	v_lshl_add_u64 v[148:149], v[160:161], 3, v[146:147]
	flat_load_dwordx2 v[148:149], v[148:149]
	s_waitcnt vmcnt(0) lgkmcnt(0)
	v_mul_f64 v[148:149], s[14:15], v[148:149]
	v_cvt_f32_f64_e32 v148, v[148:149]
	s_branch .LBB116_90
.LBB116_89:
	v_mov_b32_e32 v148, 0
.LBB116_90:
	v_add_f64 v[150:151], v[38:39], v[142:143]
	v_add_f64 v[152:153], v[36:37], v[140:141]
	v_cvt_f32_f64_e32 v149, v[152:153]
	v_cvt_f32_f64_e32 v150, v[150:151]
	v_min3_f32 v149, v149, v150, v239
	v_add_f64 v[150:151], v[34:35], v[138:139]
	v_add_f64 v[152:153], v[32:33], v[136:137]
	v_cvt_f32_f64_e32 v152, v[152:153]
	v_cvt_f32_f64_e32 v150, v[150:151]
	v_min_f32_e32 v150, v152, v150
	v_min3_f32 v148, v148, v150, v149
	v_cvt_f64_f32_e32 v[148:149], v148
	v_lshl_add_u64 v[150:151], v[160:161], 3, v[144:145]
	flat_store_dwordx2 v[150:151], v[148:149]
	s_or_b64 exec, exec, s[12:13]
	s_and_b64 s[24:25], s[4:5], s[10:11]
	s_and_saveexec_b64 s[12:13], s[24:25]
	s_cbranch_execz .LBB116_85
.LBB116_91:
	s_and_b64 vcc, exec, s[0:1]
	s_cbranch_vccnz .LBB116_93
; %bb.92:
	v_lshl_add_u64 v[148:149], v[162:163], 3, v[146:147]
	flat_load_dwordx2 v[148:149], v[148:149]
	s_waitcnt vmcnt(0) lgkmcnt(0)
	v_mul_f64 v[148:149], s[14:15], v[148:149]
	v_cvt_f32_f64_e32 v148, v[148:149]
	s_branch .LBB116_94
.LBB116_93:
	v_mov_b32_e32 v148, 0
.LBB116_94:
	v_add_f64 v[150:151], v[26:27], v[142:143]
	v_add_f64 v[152:153], v[24:25], v[140:141]
	v_cvt_f32_f64_e32 v149, v[152:153]
	v_cvt_f32_f64_e32 v150, v[150:151]
	v_min3_f32 v149, v149, v150, v238
	v_add_f64 v[150:151], v[30:31], v[138:139]
	v_add_f64 v[152:153], v[28:29], v[136:137]
	v_cvt_f32_f64_e32 v152, v[152:153]
	v_cvt_f32_f64_e32 v150, v[150:151]
	v_min_f32_e32 v150, v152, v150
	v_min3_f32 v148, v148, v150, v149
	v_cvt_f64_f32_e32 v[148:149], v148
	v_lshl_add_u64 v[150:151], v[162:163], 3, v[144:145]
	flat_store_dwordx2 v[150:151], v[148:149]
	s_or_b64 exec, exec, s[12:13]
	s_and_b64 s[24:25], s[6:7], s[10:11]
	s_and_saveexec_b64 s[12:13], s[24:25]
	s_cbranch_execz .LBB116_86
.LBB116_95:
	s_and_b64 vcc, exec, s[0:1]
	s_cbranch_vccnz .LBB116_97
; %bb.96:
	v_lshl_add_u64 v[148:149], v[164:165], 3, v[146:147]
	flat_load_dwordx2 v[148:149], v[148:149]
	s_waitcnt vmcnt(0) lgkmcnt(0)
	v_mul_f64 v[148:149], s[14:15], v[148:149]
	v_cvt_f32_f64_e32 v148, v[148:149]
	s_branch .LBB116_98
.LBB116_97:
	v_mov_b32_e32 v148, 0
.LBB116_98:
	v_add_f64 v[150:151], v[22:23], v[142:143]
	v_add_f64 v[152:153], v[20:21], v[140:141]
	v_cvt_f32_f64_e32 v149, v[152:153]
	v_cvt_f32_f64_e32 v150, v[150:151]
	v_min3_f32 v149, v149, v150, v237
	v_add_f64 v[150:151], v[14:15], v[138:139]
	v_add_f64 v[152:153], v[12:13], v[136:137]
	v_cvt_f32_f64_e32 v152, v[152:153]
	v_cvt_f32_f64_e32 v150, v[150:151]
	v_min_f32_e32 v150, v152, v150
	v_min3_f32 v148, v148, v150, v149
	v_cvt_f64_f32_e32 v[148:149], v148
	v_lshl_add_u64 v[150:151], v[164:165], 3, v[144:145]
	flat_store_dwordx2 v[150:151], v[148:149]
	s_or_b64 exec, exec, s[12:13]
	s_and_b64 s[12:13], s[8:9], s[10:11]
	s_and_saveexec_b64 s[10:11], s[12:13]
	s_cbranch_execz .LBB116_103
.LBB116_99:
	s_and_b64 vcc, exec, s[0:1]
	s_cbranch_vccnz .LBB116_101
; %bb.100:
	v_lshl_add_u64 v[146:147], v[166:167], 3, v[146:147]
	flat_load_dwordx2 v[146:147], v[146:147]
	s_waitcnt vmcnt(0) lgkmcnt(0)
	v_mul_f64 v[146:147], s[14:15], v[146:147]
	v_cvt_f32_f64_e32 v146, v[146:147]
	s_branch .LBB116_102
.LBB116_101:
	v_mov_b32_e32 v146, 0
.LBB116_102:
	v_add_f64 v[142:143], v[6:7], v[142:143]
	v_add_f64 v[140:141], v[4:5], v[140:141]
	;; [unrolled: 1-line block ×4, first 2 shown]
	v_cvt_f32_f64_e32 v140, v[140:141]
	v_cvt_f32_f64_e32 v141, v[142:143]
	;; [unrolled: 1-line block ×4, first 2 shown]
	v_min3_f32 v140, v140, v141, v236
	v_min_f32_e32 v136, v136, v137
	v_min3_f32 v136, v146, v136, v140
	v_cvt_f64_f32_e32 v[136:137], v136
	v_lshl_add_u64 v[138:139], v[166:167], 3, v[144:145]
	flat_store_dwordx2 v[138:139], v[136:137]
.LBB116_103:
	s_or_b64 exec, exec, s[10:11]
	v_add_u32_e32 v140, 24, v172
	v_mad_i64_i32 v[136:137], s[12:13], v140, s21, 0
	v_cmp_gt_i32_e64 s[10:11], s17, v140
	v_lshl_add_u64 v[138:139], v[136:137], 3, s[22:23]
	v_mad_i64_i32 v[136:137], s[12:13], v140, s20, 0
	v_lshl_add_u64 v[136:137], v[136:137], 3, s[18:19]
	s_and_b64 s[24:25], s[2:3], s[10:11]
	s_and_saveexec_b64 s[12:13], s[24:25]
	s_cbranch_execnz .LBB116_107
; %bb.104:
	s_or_b64 exec, exec, s[12:13]
	s_and_b64 s[24:25], s[4:5], s[10:11]
	s_and_saveexec_b64 s[12:13], s[24:25]
	s_cbranch_execnz .LBB116_111
.LBB116_105:
	s_or_b64 exec, exec, s[12:13]
	s_and_b64 s[24:25], s[6:7], s[10:11]
	s_and_saveexec_b64 s[12:13], s[24:25]
	s_cbranch_execnz .LBB116_115
.LBB116_106:
	s_or_b64 exec, exec, s[12:13]
	s_and_b64 s[12:13], s[8:9], s[10:11]
	s_and_saveexec_b64 s[10:11], s[12:13]
	s_cbranch_execnz .LBB116_119
	s_branch .LBB116_123
.LBB116_107:
	s_and_b64 vcc, exec, s[0:1]
	s_cbranch_vccnz .LBB116_109
; %bb.108:
	v_lshl_add_u64 v[140:141], v[160:161], 3, v[138:139]
	flat_load_dwordx2 v[140:141], v[140:141]
	s_waitcnt vmcnt(0) lgkmcnt(0)
	v_mul_f64 v[140:141], s[14:15], v[140:141]
	v_cvt_f32_f64_e32 v140, v[140:141]
	s_branch .LBB116_110
.LBB116_109:
	v_mov_b32_e32 v140, 0
.LBB116_110:
	v_add_f64 v[142:143], v[38:39], v[134:135]
	v_add_f64 v[144:145], v[36:37], v[132:133]
	v_cvt_f32_f64_e32 v141, v[144:145]
	v_cvt_f32_f64_e32 v142, v[142:143]
	v_min3_f32 v141, v141, v142, v235
	v_add_f64 v[142:143], v[34:35], v[130:131]
	v_add_f64 v[144:145], v[32:33], v[128:129]
	v_cvt_f32_f64_e32 v144, v[144:145]
	v_cvt_f32_f64_e32 v142, v[142:143]
	v_min_f32_e32 v142, v144, v142
	v_min3_f32 v140, v140, v142, v141
	v_cvt_f64_f32_e32 v[140:141], v140
	v_lshl_add_u64 v[142:143], v[160:161], 3, v[136:137]
	flat_store_dwordx2 v[142:143], v[140:141]
	s_or_b64 exec, exec, s[12:13]
	s_and_b64 s[24:25], s[4:5], s[10:11]
	s_and_saveexec_b64 s[12:13], s[24:25]
	s_cbranch_execz .LBB116_105
.LBB116_111:
	s_and_b64 vcc, exec, s[0:1]
	s_cbranch_vccnz .LBB116_113
; %bb.112:
	v_lshl_add_u64 v[140:141], v[162:163], 3, v[138:139]
	flat_load_dwordx2 v[140:141], v[140:141]
	s_waitcnt vmcnt(0) lgkmcnt(0)
	v_mul_f64 v[140:141], s[14:15], v[140:141]
	v_cvt_f32_f64_e32 v140, v[140:141]
	s_branch .LBB116_114
.LBB116_113:
	v_mov_b32_e32 v140, 0
.LBB116_114:
	v_add_f64 v[142:143], v[26:27], v[134:135]
	v_add_f64 v[144:145], v[24:25], v[132:133]
	v_cvt_f32_f64_e32 v141, v[144:145]
	v_cvt_f32_f64_e32 v142, v[142:143]
	v_min3_f32 v141, v141, v142, v234
	v_add_f64 v[142:143], v[30:31], v[130:131]
	v_add_f64 v[144:145], v[28:29], v[128:129]
	v_cvt_f32_f64_e32 v144, v[144:145]
	v_cvt_f32_f64_e32 v142, v[142:143]
	v_min_f32_e32 v142, v144, v142
	v_min3_f32 v140, v140, v142, v141
	v_cvt_f64_f32_e32 v[140:141], v140
	v_lshl_add_u64 v[142:143], v[162:163], 3, v[136:137]
	flat_store_dwordx2 v[142:143], v[140:141]
	s_or_b64 exec, exec, s[12:13]
	s_and_b64 s[24:25], s[6:7], s[10:11]
	s_and_saveexec_b64 s[12:13], s[24:25]
	s_cbranch_execz .LBB116_106
.LBB116_115:
	s_and_b64 vcc, exec, s[0:1]
	s_cbranch_vccnz .LBB116_117
; %bb.116:
	v_lshl_add_u64 v[140:141], v[164:165], 3, v[138:139]
	flat_load_dwordx2 v[140:141], v[140:141]
	s_waitcnt vmcnt(0) lgkmcnt(0)
	v_mul_f64 v[140:141], s[14:15], v[140:141]
	v_cvt_f32_f64_e32 v140, v[140:141]
	s_branch .LBB116_118
.LBB116_117:
	v_mov_b32_e32 v140, 0
.LBB116_118:
	v_add_f64 v[142:143], v[22:23], v[134:135]
	v_add_f64 v[144:145], v[20:21], v[132:133]
	v_cvt_f32_f64_e32 v141, v[144:145]
	v_cvt_f32_f64_e32 v142, v[142:143]
	v_min3_f32 v141, v141, v142, v233
	v_add_f64 v[142:143], v[14:15], v[130:131]
	v_add_f64 v[144:145], v[12:13], v[128:129]
	v_cvt_f32_f64_e32 v144, v[144:145]
	v_cvt_f32_f64_e32 v142, v[142:143]
	v_min_f32_e32 v142, v144, v142
	v_min3_f32 v140, v140, v142, v141
	v_cvt_f64_f32_e32 v[140:141], v140
	v_lshl_add_u64 v[142:143], v[164:165], 3, v[136:137]
	flat_store_dwordx2 v[142:143], v[140:141]
	s_or_b64 exec, exec, s[12:13]
	s_and_b64 s[12:13], s[8:9], s[10:11]
	s_and_saveexec_b64 s[10:11], s[12:13]
	s_cbranch_execz .LBB116_123
.LBB116_119:
	s_and_b64 vcc, exec, s[0:1]
	s_cbranch_vccnz .LBB116_121
; %bb.120:
	v_lshl_add_u64 v[138:139], v[166:167], 3, v[138:139]
	flat_load_dwordx2 v[138:139], v[138:139]
	s_waitcnt vmcnt(0) lgkmcnt(0)
	v_mul_f64 v[138:139], s[14:15], v[138:139]
	v_cvt_f32_f64_e32 v138, v[138:139]
	s_branch .LBB116_122
.LBB116_121:
	v_mov_b32_e32 v138, 0
.LBB116_122:
	v_add_f64 v[134:135], v[6:7], v[134:135]
	v_add_f64 v[132:133], v[4:5], v[132:133]
	;; [unrolled: 1-line block ×4, first 2 shown]
	v_cvt_f32_f64_e32 v132, v[132:133]
	v_cvt_f32_f64_e32 v133, v[134:135]
	;; [unrolled: 1-line block ×4, first 2 shown]
	v_min3_f32 v132, v132, v133, v232
	v_min_f32_e32 v128, v128, v129
	v_min3_f32 v128, v138, v128, v132
	v_cvt_f64_f32_e32 v[128:129], v128
	v_lshl_add_u64 v[130:131], v[166:167], 3, v[136:137]
	flat_store_dwordx2 v[130:131], v[128:129]
.LBB116_123:
	s_or_b64 exec, exec, s[10:11]
	v_add_u32_e32 v132, 32, v172
	v_mad_i64_i32 v[128:129], s[12:13], v132, s21, 0
	v_cmp_gt_i32_e64 s[10:11], s17, v132
	v_lshl_add_u64 v[130:131], v[128:129], 3, s[22:23]
	v_mad_i64_i32 v[128:129], s[12:13], v132, s20, 0
	v_lshl_add_u64 v[128:129], v[128:129], 3, s[18:19]
	s_and_b64 s[24:25], s[2:3], s[10:11]
	s_and_saveexec_b64 s[12:13], s[24:25]
	s_cbranch_execnz .LBB116_127
; %bb.124:
	s_or_b64 exec, exec, s[12:13]
	s_and_b64 s[24:25], s[4:5], s[10:11]
	s_and_saveexec_b64 s[12:13], s[24:25]
	s_cbranch_execnz .LBB116_131
.LBB116_125:
	s_or_b64 exec, exec, s[12:13]
	s_and_b64 s[24:25], s[6:7], s[10:11]
	s_and_saveexec_b64 s[12:13], s[24:25]
	s_cbranch_execnz .LBB116_135
.LBB116_126:
	s_or_b64 exec, exec, s[12:13]
	s_and_b64 s[12:13], s[8:9], s[10:11]
	s_and_saveexec_b64 s[10:11], s[12:13]
	s_cbranch_execnz .LBB116_139
	s_branch .LBB116_143
.LBB116_127:
	s_and_b64 vcc, exec, s[0:1]
	s_cbranch_vccnz .LBB116_129
; %bb.128:
	v_lshl_add_u64 v[132:133], v[160:161], 3, v[130:131]
	flat_load_dwordx2 v[132:133], v[132:133]
	s_waitcnt vmcnt(0) lgkmcnt(0)
	v_mul_f64 v[132:133], s[14:15], v[132:133]
	v_cvt_f32_f64_e32 v132, v[132:133]
	s_branch .LBB116_130
.LBB116_129:
	v_mov_b32_e32 v132, 0
.LBB116_130:
	v_add_f64 v[134:135], v[38:39], v[126:127]
	v_add_f64 v[136:137], v[36:37], v[124:125]
	v_cvt_f32_f64_e32 v133, v[136:137]
	v_cvt_f32_f64_e32 v134, v[134:135]
	v_min3_f32 v133, v133, v134, v231
	v_add_f64 v[134:135], v[34:35], v[122:123]
	v_add_f64 v[136:137], v[32:33], v[120:121]
	v_cvt_f32_f64_e32 v136, v[136:137]
	v_cvt_f32_f64_e32 v134, v[134:135]
	v_min_f32_e32 v134, v136, v134
	v_min3_f32 v132, v132, v134, v133
	v_cvt_f64_f32_e32 v[132:133], v132
	v_lshl_add_u64 v[134:135], v[160:161], 3, v[128:129]
	flat_store_dwordx2 v[134:135], v[132:133]
	s_or_b64 exec, exec, s[12:13]
	s_and_b64 s[24:25], s[4:5], s[10:11]
	s_and_saveexec_b64 s[12:13], s[24:25]
	s_cbranch_execz .LBB116_125
.LBB116_131:
	s_and_b64 vcc, exec, s[0:1]
	s_cbranch_vccnz .LBB116_133
; %bb.132:
	v_lshl_add_u64 v[132:133], v[162:163], 3, v[130:131]
	flat_load_dwordx2 v[132:133], v[132:133]
	s_waitcnt vmcnt(0) lgkmcnt(0)
	v_mul_f64 v[132:133], s[14:15], v[132:133]
	v_cvt_f32_f64_e32 v132, v[132:133]
	s_branch .LBB116_134
.LBB116_133:
	v_mov_b32_e32 v132, 0
.LBB116_134:
	v_add_f64 v[134:135], v[26:27], v[126:127]
	v_add_f64 v[136:137], v[24:25], v[124:125]
	v_cvt_f32_f64_e32 v133, v[136:137]
	v_cvt_f32_f64_e32 v134, v[134:135]
	v_min3_f32 v133, v133, v134, v230
	v_add_f64 v[134:135], v[30:31], v[122:123]
	v_add_f64 v[136:137], v[28:29], v[120:121]
	v_cvt_f32_f64_e32 v136, v[136:137]
	v_cvt_f32_f64_e32 v134, v[134:135]
	v_min_f32_e32 v134, v136, v134
	v_min3_f32 v132, v132, v134, v133
	v_cvt_f64_f32_e32 v[132:133], v132
	v_lshl_add_u64 v[134:135], v[162:163], 3, v[128:129]
	flat_store_dwordx2 v[134:135], v[132:133]
	s_or_b64 exec, exec, s[12:13]
	s_and_b64 s[24:25], s[6:7], s[10:11]
	s_and_saveexec_b64 s[12:13], s[24:25]
	s_cbranch_execz .LBB116_126
.LBB116_135:
	s_and_b64 vcc, exec, s[0:1]
	s_cbranch_vccnz .LBB116_137
; %bb.136:
	v_lshl_add_u64 v[132:133], v[164:165], 3, v[130:131]
	flat_load_dwordx2 v[132:133], v[132:133]
	s_waitcnt vmcnt(0) lgkmcnt(0)
	v_mul_f64 v[132:133], s[14:15], v[132:133]
	v_cvt_f32_f64_e32 v132, v[132:133]
	s_branch .LBB116_138
.LBB116_137:
	v_mov_b32_e32 v132, 0
.LBB116_138:
	v_add_f64 v[134:135], v[22:23], v[126:127]
	v_add_f64 v[136:137], v[20:21], v[124:125]
	v_cvt_f32_f64_e32 v133, v[136:137]
	v_cvt_f32_f64_e32 v134, v[134:135]
	v_min3_f32 v133, v133, v134, v229
	v_add_f64 v[134:135], v[14:15], v[122:123]
	v_add_f64 v[136:137], v[12:13], v[120:121]
	v_cvt_f32_f64_e32 v136, v[136:137]
	v_cvt_f32_f64_e32 v134, v[134:135]
	v_min_f32_e32 v134, v136, v134
	v_min3_f32 v132, v132, v134, v133
	v_cvt_f64_f32_e32 v[132:133], v132
	v_lshl_add_u64 v[134:135], v[164:165], 3, v[128:129]
	flat_store_dwordx2 v[134:135], v[132:133]
	s_or_b64 exec, exec, s[12:13]
	s_and_b64 s[12:13], s[8:9], s[10:11]
	s_and_saveexec_b64 s[10:11], s[12:13]
	s_cbranch_execz .LBB116_143
.LBB116_139:
	s_and_b64 vcc, exec, s[0:1]
	s_cbranch_vccnz .LBB116_141
; %bb.140:
	v_lshl_add_u64 v[130:131], v[166:167], 3, v[130:131]
	flat_load_dwordx2 v[130:131], v[130:131]
	s_waitcnt vmcnt(0) lgkmcnt(0)
	v_mul_f64 v[130:131], s[14:15], v[130:131]
	v_cvt_f32_f64_e32 v130, v[130:131]
	s_branch .LBB116_142
.LBB116_141:
	v_mov_b32_e32 v130, 0
.LBB116_142:
	v_add_f64 v[126:127], v[6:7], v[126:127]
	v_add_f64 v[124:125], v[4:5], v[124:125]
	;; [unrolled: 1-line block ×4, first 2 shown]
	v_cvt_f32_f64_e32 v124, v[124:125]
	v_cvt_f32_f64_e32 v125, v[126:127]
	;; [unrolled: 1-line block ×4, first 2 shown]
	v_min3_f32 v124, v124, v125, v228
	v_min_f32_e32 v120, v120, v121
	v_min3_f32 v120, v130, v120, v124
	v_cvt_f64_f32_e32 v[120:121], v120
	v_lshl_add_u64 v[122:123], v[166:167], 3, v[128:129]
	flat_store_dwordx2 v[122:123], v[120:121]
.LBB116_143:
	s_or_b64 exec, exec, s[10:11]
	v_add_u32_e32 v124, 40, v172
	v_mad_i64_i32 v[120:121], s[12:13], v124, s21, 0
	v_cmp_gt_i32_e64 s[10:11], s17, v124
	v_lshl_add_u64 v[122:123], v[120:121], 3, s[22:23]
	v_mad_i64_i32 v[120:121], s[12:13], v124, s20, 0
	v_lshl_add_u64 v[120:121], v[120:121], 3, s[18:19]
	s_and_b64 s[24:25], s[2:3], s[10:11]
	s_and_saveexec_b64 s[12:13], s[24:25]
	s_cbranch_execnz .LBB116_147
; %bb.144:
	s_or_b64 exec, exec, s[12:13]
	s_and_b64 s[24:25], s[4:5], s[10:11]
	s_and_saveexec_b64 s[12:13], s[24:25]
	s_cbranch_execnz .LBB116_151
.LBB116_145:
	s_or_b64 exec, exec, s[12:13]
	s_and_b64 s[24:25], s[6:7], s[10:11]
	s_and_saveexec_b64 s[12:13], s[24:25]
	s_cbranch_execnz .LBB116_155
.LBB116_146:
	s_or_b64 exec, exec, s[12:13]
	s_and_b64 s[12:13], s[8:9], s[10:11]
	s_and_saveexec_b64 s[10:11], s[12:13]
	s_cbranch_execnz .LBB116_159
	s_branch .LBB116_163
.LBB116_147:
	s_and_b64 vcc, exec, s[0:1]
	s_cbranch_vccnz .LBB116_149
; %bb.148:
	v_lshl_add_u64 v[124:125], v[160:161], 3, v[122:123]
	flat_load_dwordx2 v[124:125], v[124:125]
	s_waitcnt vmcnt(0) lgkmcnt(0)
	v_mul_f64 v[124:125], s[14:15], v[124:125]
	v_cvt_f32_f64_e32 v124, v[124:125]
	s_branch .LBB116_150
.LBB116_149:
	v_mov_b32_e32 v124, 0
.LBB116_150:
	v_add_f64 v[126:127], v[38:39], v[118:119]
	v_add_f64 v[128:129], v[36:37], v[116:117]
	v_cvt_f32_f64_e32 v125, v[128:129]
	v_cvt_f32_f64_e32 v126, v[126:127]
	v_min3_f32 v125, v125, v126, v227
	v_add_f64 v[126:127], v[34:35], v[114:115]
	v_add_f64 v[128:129], v[32:33], v[112:113]
	v_cvt_f32_f64_e32 v128, v[128:129]
	v_cvt_f32_f64_e32 v126, v[126:127]
	v_min_f32_e32 v126, v128, v126
	v_min3_f32 v124, v124, v126, v125
	v_cvt_f64_f32_e32 v[124:125], v124
	v_lshl_add_u64 v[126:127], v[160:161], 3, v[120:121]
	flat_store_dwordx2 v[126:127], v[124:125]
	s_or_b64 exec, exec, s[12:13]
	s_and_b64 s[24:25], s[4:5], s[10:11]
	s_and_saveexec_b64 s[12:13], s[24:25]
	s_cbranch_execz .LBB116_145
.LBB116_151:
	s_and_b64 vcc, exec, s[0:1]
	s_cbranch_vccnz .LBB116_153
; %bb.152:
	v_lshl_add_u64 v[124:125], v[162:163], 3, v[122:123]
	flat_load_dwordx2 v[124:125], v[124:125]
	s_waitcnt vmcnt(0) lgkmcnt(0)
	v_mul_f64 v[124:125], s[14:15], v[124:125]
	v_cvt_f32_f64_e32 v124, v[124:125]
	s_branch .LBB116_154
.LBB116_153:
	v_mov_b32_e32 v124, 0
.LBB116_154:
	v_add_f64 v[126:127], v[26:27], v[118:119]
	v_add_f64 v[128:129], v[24:25], v[116:117]
	v_cvt_f32_f64_e32 v125, v[128:129]
	v_cvt_f32_f64_e32 v126, v[126:127]
	v_min3_f32 v125, v125, v126, v226
	v_add_f64 v[126:127], v[30:31], v[114:115]
	v_add_f64 v[128:129], v[28:29], v[112:113]
	v_cvt_f32_f64_e32 v128, v[128:129]
	v_cvt_f32_f64_e32 v126, v[126:127]
	v_min_f32_e32 v126, v128, v126
	v_min3_f32 v124, v124, v126, v125
	v_cvt_f64_f32_e32 v[124:125], v124
	v_lshl_add_u64 v[126:127], v[162:163], 3, v[120:121]
	flat_store_dwordx2 v[126:127], v[124:125]
	s_or_b64 exec, exec, s[12:13]
	s_and_b64 s[24:25], s[6:7], s[10:11]
	s_and_saveexec_b64 s[12:13], s[24:25]
	s_cbranch_execz .LBB116_146
.LBB116_155:
	s_and_b64 vcc, exec, s[0:1]
	s_cbranch_vccnz .LBB116_157
; %bb.156:
	v_lshl_add_u64 v[124:125], v[164:165], 3, v[122:123]
	flat_load_dwordx2 v[124:125], v[124:125]
	s_waitcnt vmcnt(0) lgkmcnt(0)
	v_mul_f64 v[124:125], s[14:15], v[124:125]
	v_cvt_f32_f64_e32 v124, v[124:125]
	s_branch .LBB116_158
.LBB116_157:
	v_mov_b32_e32 v124, 0
.LBB116_158:
	v_add_f64 v[126:127], v[22:23], v[118:119]
	v_add_f64 v[128:129], v[20:21], v[116:117]
	v_cvt_f32_f64_e32 v125, v[128:129]
	v_cvt_f32_f64_e32 v126, v[126:127]
	v_min3_f32 v125, v125, v126, v225
	v_add_f64 v[126:127], v[14:15], v[114:115]
	v_add_f64 v[128:129], v[12:13], v[112:113]
	v_cvt_f32_f64_e32 v128, v[128:129]
	v_cvt_f32_f64_e32 v126, v[126:127]
	v_min_f32_e32 v126, v128, v126
	v_min3_f32 v124, v124, v126, v125
	v_cvt_f64_f32_e32 v[124:125], v124
	v_lshl_add_u64 v[126:127], v[164:165], 3, v[120:121]
	flat_store_dwordx2 v[126:127], v[124:125]
	s_or_b64 exec, exec, s[12:13]
	s_and_b64 s[12:13], s[8:9], s[10:11]
	s_and_saveexec_b64 s[10:11], s[12:13]
	s_cbranch_execz .LBB116_163
.LBB116_159:
	s_and_b64 vcc, exec, s[0:1]
	s_cbranch_vccnz .LBB116_161
; %bb.160:
	v_lshl_add_u64 v[122:123], v[166:167], 3, v[122:123]
	flat_load_dwordx2 v[122:123], v[122:123]
	s_waitcnt vmcnt(0) lgkmcnt(0)
	v_mul_f64 v[122:123], s[14:15], v[122:123]
	v_cvt_f32_f64_e32 v122, v[122:123]
	s_branch .LBB116_162
.LBB116_161:
	v_mov_b32_e32 v122, 0
.LBB116_162:
	v_add_f64 v[118:119], v[6:7], v[118:119]
	v_add_f64 v[116:117], v[4:5], v[116:117]
	v_add_f64 v[114:115], v[2:3], v[114:115]
	v_add_f64 v[112:113], v[0:1], v[112:113]
	v_cvt_f32_f64_e32 v116, v[116:117]
	v_cvt_f32_f64_e32 v117, v[118:119]
	;; [unrolled: 1-line block ×4, first 2 shown]
	v_min3_f32 v116, v116, v117, v224
	v_min_f32_e32 v112, v112, v113
	v_min3_f32 v112, v122, v112, v116
	v_cvt_f64_f32_e32 v[112:113], v112
	v_lshl_add_u64 v[114:115], v[166:167], 3, v[120:121]
	flat_store_dwordx2 v[114:115], v[112:113]
.LBB116_163:
	s_or_b64 exec, exec, s[10:11]
	v_add_u32_e32 v116, 48, v172
	v_mad_i64_i32 v[112:113], s[12:13], v116, s21, 0
	v_cmp_gt_i32_e64 s[10:11], s17, v116
	v_lshl_add_u64 v[114:115], v[112:113], 3, s[22:23]
	v_mad_i64_i32 v[112:113], s[12:13], v116, s20, 0
	v_lshl_add_u64 v[112:113], v[112:113], 3, s[18:19]
	s_and_b64 s[24:25], s[2:3], s[10:11]
	s_and_saveexec_b64 s[12:13], s[24:25]
	s_cbranch_execnz .LBB116_167
; %bb.164:
	s_or_b64 exec, exec, s[12:13]
	s_and_b64 s[24:25], s[4:5], s[10:11]
	s_and_saveexec_b64 s[12:13], s[24:25]
	s_cbranch_execnz .LBB116_171
.LBB116_165:
	s_or_b64 exec, exec, s[12:13]
	s_and_b64 s[24:25], s[6:7], s[10:11]
	s_and_saveexec_b64 s[12:13], s[24:25]
	s_cbranch_execnz .LBB116_175
.LBB116_166:
	s_or_b64 exec, exec, s[12:13]
	s_and_b64 s[12:13], s[8:9], s[10:11]
	s_and_saveexec_b64 s[10:11], s[12:13]
	s_cbranch_execnz .LBB116_179
	s_branch .LBB116_183
.LBB116_167:
	s_and_b64 vcc, exec, s[0:1]
	s_cbranch_vccnz .LBB116_169
; %bb.168:
	v_lshl_add_u64 v[116:117], v[160:161], 3, v[114:115]
	flat_load_dwordx2 v[116:117], v[116:117]
	s_waitcnt vmcnt(0) lgkmcnt(0)
	v_mul_f64 v[116:117], s[14:15], v[116:117]
	v_cvt_f32_f64_e32 v116, v[116:117]
	s_branch .LBB116_170
.LBB116_169:
	v_mov_b32_e32 v116, 0
.LBB116_170:
	v_add_f64 v[118:119], v[38:39], v[110:111]
	v_add_f64 v[120:121], v[36:37], v[108:109]
	v_cvt_f32_f64_e32 v117, v[120:121]
	v_cvt_f32_f64_e32 v118, v[118:119]
	v_min3_f32 v117, v117, v118, v223
	v_add_f64 v[118:119], v[34:35], v[106:107]
	v_add_f64 v[120:121], v[32:33], v[104:105]
	v_cvt_f32_f64_e32 v120, v[120:121]
	v_cvt_f32_f64_e32 v118, v[118:119]
	v_min_f32_e32 v118, v120, v118
	v_min3_f32 v116, v116, v118, v117
	v_cvt_f64_f32_e32 v[116:117], v116
	v_lshl_add_u64 v[118:119], v[160:161], 3, v[112:113]
	flat_store_dwordx2 v[118:119], v[116:117]
	s_or_b64 exec, exec, s[12:13]
	s_and_b64 s[24:25], s[4:5], s[10:11]
	s_and_saveexec_b64 s[12:13], s[24:25]
	s_cbranch_execz .LBB116_165
.LBB116_171:
	s_and_b64 vcc, exec, s[0:1]
	s_cbranch_vccnz .LBB116_173
; %bb.172:
	v_lshl_add_u64 v[116:117], v[162:163], 3, v[114:115]
	flat_load_dwordx2 v[116:117], v[116:117]
	s_waitcnt vmcnt(0) lgkmcnt(0)
	v_mul_f64 v[116:117], s[14:15], v[116:117]
	v_cvt_f32_f64_e32 v116, v[116:117]
	s_branch .LBB116_174
.LBB116_173:
	v_mov_b32_e32 v116, 0
.LBB116_174:
	v_add_f64 v[118:119], v[26:27], v[110:111]
	v_add_f64 v[120:121], v[24:25], v[108:109]
	v_cvt_f32_f64_e32 v117, v[120:121]
	v_cvt_f32_f64_e32 v118, v[118:119]
	v_min3_f32 v117, v117, v118, v222
	v_add_f64 v[118:119], v[30:31], v[106:107]
	v_add_f64 v[120:121], v[28:29], v[104:105]
	v_cvt_f32_f64_e32 v120, v[120:121]
	v_cvt_f32_f64_e32 v118, v[118:119]
	v_min_f32_e32 v118, v120, v118
	v_min3_f32 v116, v116, v118, v117
	v_cvt_f64_f32_e32 v[116:117], v116
	v_lshl_add_u64 v[118:119], v[162:163], 3, v[112:113]
	flat_store_dwordx2 v[118:119], v[116:117]
	s_or_b64 exec, exec, s[12:13]
	s_and_b64 s[24:25], s[6:7], s[10:11]
	s_and_saveexec_b64 s[12:13], s[24:25]
	s_cbranch_execz .LBB116_166
.LBB116_175:
	s_and_b64 vcc, exec, s[0:1]
	s_cbranch_vccnz .LBB116_177
; %bb.176:
	v_lshl_add_u64 v[116:117], v[164:165], 3, v[114:115]
	flat_load_dwordx2 v[116:117], v[116:117]
	s_waitcnt vmcnt(0) lgkmcnt(0)
	v_mul_f64 v[116:117], s[14:15], v[116:117]
	v_cvt_f32_f64_e32 v116, v[116:117]
	s_branch .LBB116_178
.LBB116_177:
	v_mov_b32_e32 v116, 0
.LBB116_178:
	v_add_f64 v[118:119], v[22:23], v[110:111]
	v_add_f64 v[120:121], v[20:21], v[108:109]
	v_cvt_f32_f64_e32 v117, v[120:121]
	v_cvt_f32_f64_e32 v118, v[118:119]
	v_min3_f32 v117, v117, v118, v221
	v_add_f64 v[118:119], v[14:15], v[106:107]
	v_add_f64 v[120:121], v[12:13], v[104:105]
	v_cvt_f32_f64_e32 v120, v[120:121]
	v_cvt_f32_f64_e32 v118, v[118:119]
	v_min_f32_e32 v118, v120, v118
	v_min3_f32 v116, v116, v118, v117
	v_cvt_f64_f32_e32 v[116:117], v116
	v_lshl_add_u64 v[118:119], v[164:165], 3, v[112:113]
	flat_store_dwordx2 v[118:119], v[116:117]
	s_or_b64 exec, exec, s[12:13]
	s_and_b64 s[12:13], s[8:9], s[10:11]
	s_and_saveexec_b64 s[10:11], s[12:13]
	s_cbranch_execz .LBB116_183
.LBB116_179:
	s_and_b64 vcc, exec, s[0:1]
	s_cbranch_vccnz .LBB116_181
; %bb.180:
	v_lshl_add_u64 v[114:115], v[166:167], 3, v[114:115]
	flat_load_dwordx2 v[114:115], v[114:115]
	s_waitcnt vmcnt(0) lgkmcnt(0)
	v_mul_f64 v[114:115], s[14:15], v[114:115]
	v_cvt_f32_f64_e32 v114, v[114:115]
	s_branch .LBB116_182
.LBB116_181:
	v_mov_b32_e32 v114, 0
.LBB116_182:
	v_add_f64 v[110:111], v[6:7], v[110:111]
	v_add_f64 v[108:109], v[4:5], v[108:109]
	;; [unrolled: 1-line block ×4, first 2 shown]
	v_cvt_f32_f64_e32 v108, v[108:109]
	v_cvt_f32_f64_e32 v109, v[110:111]
	;; [unrolled: 1-line block ×4, first 2 shown]
	v_min3_f32 v108, v108, v109, v220
	v_min_f32_e32 v104, v104, v105
	v_min3_f32 v104, v114, v104, v108
	v_cvt_f64_f32_e32 v[104:105], v104
	v_lshl_add_u64 v[106:107], v[166:167], 3, v[112:113]
	flat_store_dwordx2 v[106:107], v[104:105]
.LBB116_183:
	s_or_b64 exec, exec, s[10:11]
	v_add_u32_e32 v108, 56, v172
	v_mad_i64_i32 v[104:105], s[12:13], v108, s21, 0
	v_cmp_gt_i32_e64 s[10:11], s17, v108
	v_lshl_add_u64 v[106:107], v[104:105], 3, s[22:23]
	v_mad_i64_i32 v[104:105], s[12:13], v108, s20, 0
	v_lshl_add_u64 v[104:105], v[104:105], 3, s[18:19]
	s_and_b64 s[24:25], s[2:3], s[10:11]
	s_and_saveexec_b64 s[12:13], s[24:25]
	s_cbranch_execnz .LBB116_187
; %bb.184:
	s_or_b64 exec, exec, s[12:13]
	s_and_b64 s[24:25], s[4:5], s[10:11]
	s_and_saveexec_b64 s[12:13], s[24:25]
	s_cbranch_execnz .LBB116_191
.LBB116_185:
	s_or_b64 exec, exec, s[12:13]
	s_and_b64 s[24:25], s[6:7], s[10:11]
	s_and_saveexec_b64 s[12:13], s[24:25]
	s_cbranch_execnz .LBB116_195
.LBB116_186:
	s_or_b64 exec, exec, s[12:13]
	s_and_b64 s[12:13], s[8:9], s[10:11]
	s_and_saveexec_b64 s[10:11], s[12:13]
	s_cbranch_execnz .LBB116_199
	s_branch .LBB116_203
.LBB116_187:
	s_and_b64 vcc, exec, s[0:1]
	s_cbranch_vccnz .LBB116_189
; %bb.188:
	v_lshl_add_u64 v[108:109], v[160:161], 3, v[106:107]
	flat_load_dwordx2 v[108:109], v[108:109]
	s_waitcnt vmcnt(0) lgkmcnt(0)
	v_mul_f64 v[108:109], s[14:15], v[108:109]
	v_cvt_f32_f64_e32 v108, v[108:109]
	s_branch .LBB116_190
.LBB116_189:
	v_mov_b32_e32 v108, 0
.LBB116_190:
	v_add_f64 v[110:111], v[38:39], v[102:103]
	v_add_f64 v[112:113], v[36:37], v[100:101]
	v_cvt_f32_f64_e32 v109, v[112:113]
	v_cvt_f32_f64_e32 v110, v[110:111]
	v_min3_f32 v109, v109, v110, v219
	v_add_f64 v[110:111], v[34:35], v[98:99]
	v_add_f64 v[112:113], v[32:33], v[96:97]
	v_cvt_f32_f64_e32 v112, v[112:113]
	v_cvt_f32_f64_e32 v110, v[110:111]
	v_min_f32_e32 v110, v112, v110
	v_min3_f32 v108, v108, v110, v109
	v_cvt_f64_f32_e32 v[108:109], v108
	v_lshl_add_u64 v[110:111], v[160:161], 3, v[104:105]
	flat_store_dwordx2 v[110:111], v[108:109]
	s_or_b64 exec, exec, s[12:13]
	s_and_b64 s[24:25], s[4:5], s[10:11]
	s_and_saveexec_b64 s[12:13], s[24:25]
	s_cbranch_execz .LBB116_185
.LBB116_191:
	s_and_b64 vcc, exec, s[0:1]
	s_cbranch_vccnz .LBB116_193
; %bb.192:
	v_lshl_add_u64 v[108:109], v[162:163], 3, v[106:107]
	flat_load_dwordx2 v[108:109], v[108:109]
	s_waitcnt vmcnt(0) lgkmcnt(0)
	v_mul_f64 v[108:109], s[14:15], v[108:109]
	v_cvt_f32_f64_e32 v108, v[108:109]
	s_branch .LBB116_194
.LBB116_193:
	v_mov_b32_e32 v108, 0
.LBB116_194:
	v_add_f64 v[110:111], v[26:27], v[102:103]
	v_add_f64 v[112:113], v[24:25], v[100:101]
	v_cvt_f32_f64_e32 v109, v[112:113]
	v_cvt_f32_f64_e32 v110, v[110:111]
	v_min3_f32 v109, v109, v110, v218
	v_add_f64 v[110:111], v[30:31], v[98:99]
	v_add_f64 v[112:113], v[28:29], v[96:97]
	v_cvt_f32_f64_e32 v112, v[112:113]
	v_cvt_f32_f64_e32 v110, v[110:111]
	v_min_f32_e32 v110, v112, v110
	v_min3_f32 v108, v108, v110, v109
	v_cvt_f64_f32_e32 v[108:109], v108
	v_lshl_add_u64 v[110:111], v[162:163], 3, v[104:105]
	flat_store_dwordx2 v[110:111], v[108:109]
	s_or_b64 exec, exec, s[12:13]
	s_and_b64 s[24:25], s[6:7], s[10:11]
	s_and_saveexec_b64 s[12:13], s[24:25]
	s_cbranch_execz .LBB116_186
.LBB116_195:
	s_and_b64 vcc, exec, s[0:1]
	s_cbranch_vccnz .LBB116_197
; %bb.196:
	v_lshl_add_u64 v[108:109], v[164:165], 3, v[106:107]
	flat_load_dwordx2 v[108:109], v[108:109]
	s_waitcnt vmcnt(0) lgkmcnt(0)
	v_mul_f64 v[108:109], s[14:15], v[108:109]
	v_cvt_f32_f64_e32 v108, v[108:109]
	s_branch .LBB116_198
.LBB116_197:
	v_mov_b32_e32 v108, 0
.LBB116_198:
	v_add_f64 v[110:111], v[22:23], v[102:103]
	v_add_f64 v[112:113], v[20:21], v[100:101]
	v_cvt_f32_f64_e32 v109, v[112:113]
	v_cvt_f32_f64_e32 v110, v[110:111]
	v_min3_f32 v109, v109, v110, v217
	v_add_f64 v[110:111], v[14:15], v[98:99]
	v_add_f64 v[112:113], v[12:13], v[96:97]
	v_cvt_f32_f64_e32 v112, v[112:113]
	v_cvt_f32_f64_e32 v110, v[110:111]
	v_min_f32_e32 v110, v112, v110
	v_min3_f32 v108, v108, v110, v109
	v_cvt_f64_f32_e32 v[108:109], v108
	v_lshl_add_u64 v[110:111], v[164:165], 3, v[104:105]
	flat_store_dwordx2 v[110:111], v[108:109]
	s_or_b64 exec, exec, s[12:13]
	s_and_b64 s[12:13], s[8:9], s[10:11]
	s_and_saveexec_b64 s[10:11], s[12:13]
	s_cbranch_execz .LBB116_203
.LBB116_199:
	s_and_b64 vcc, exec, s[0:1]
	s_cbranch_vccnz .LBB116_201
; %bb.200:
	v_lshl_add_u64 v[106:107], v[166:167], 3, v[106:107]
	flat_load_dwordx2 v[106:107], v[106:107]
	s_waitcnt vmcnt(0) lgkmcnt(0)
	v_mul_f64 v[106:107], s[14:15], v[106:107]
	v_cvt_f32_f64_e32 v106, v[106:107]
	s_branch .LBB116_202
.LBB116_201:
	v_mov_b32_e32 v106, 0
.LBB116_202:
	v_add_f64 v[102:103], v[6:7], v[102:103]
	v_add_f64 v[100:101], v[4:5], v[100:101]
	;; [unrolled: 1-line block ×4, first 2 shown]
	v_cvt_f32_f64_e32 v100, v[100:101]
	v_cvt_f32_f64_e32 v101, v[102:103]
	;; [unrolled: 1-line block ×4, first 2 shown]
	v_min3_f32 v100, v100, v101, v216
	v_min_f32_e32 v96, v96, v97
	v_min3_f32 v96, v106, v96, v100
	v_cvt_f64_f32_e32 v[96:97], v96
	v_lshl_add_u64 v[98:99], v[166:167], 3, v[104:105]
	flat_store_dwordx2 v[98:99], v[96:97]
.LBB116_203:
	s_or_b64 exec, exec, s[10:11]
	v_add_u32_e32 v100, 64, v172
	v_mad_i64_i32 v[96:97], s[12:13], v100, s21, 0
	v_cmp_gt_i32_e64 s[10:11], s17, v100
	v_lshl_add_u64 v[98:99], v[96:97], 3, s[22:23]
	v_mad_i64_i32 v[96:97], s[12:13], v100, s20, 0
	v_lshl_add_u64 v[96:97], v[96:97], 3, s[18:19]
	s_and_b64 s[24:25], s[2:3], s[10:11]
	s_and_saveexec_b64 s[12:13], s[24:25]
	s_cbranch_execnz .LBB116_207
; %bb.204:
	s_or_b64 exec, exec, s[12:13]
	s_and_b64 s[24:25], s[4:5], s[10:11]
	s_and_saveexec_b64 s[12:13], s[24:25]
	s_cbranch_execnz .LBB116_211
.LBB116_205:
	s_or_b64 exec, exec, s[12:13]
	s_and_b64 s[24:25], s[6:7], s[10:11]
	s_and_saveexec_b64 s[12:13], s[24:25]
	s_cbranch_execnz .LBB116_215
.LBB116_206:
	s_or_b64 exec, exec, s[12:13]
	s_and_b64 s[12:13], s[8:9], s[10:11]
	s_and_saveexec_b64 s[10:11], s[12:13]
	s_cbranch_execnz .LBB116_219
	s_branch .LBB116_223
.LBB116_207:
	s_and_b64 vcc, exec, s[0:1]
	s_cbranch_vccnz .LBB116_209
; %bb.208:
	v_lshl_add_u64 v[100:101], v[160:161], 3, v[98:99]
	flat_load_dwordx2 v[100:101], v[100:101]
	s_waitcnt vmcnt(0) lgkmcnt(0)
	v_mul_f64 v[100:101], s[14:15], v[100:101]
	v_cvt_f32_f64_e32 v100, v[100:101]
	s_branch .LBB116_210
.LBB116_209:
	v_mov_b32_e32 v100, 0
.LBB116_210:
	v_add_f64 v[102:103], v[38:39], v[94:95]
	v_add_f64 v[104:105], v[36:37], v[92:93]
	v_cvt_f32_f64_e32 v101, v[104:105]
	v_cvt_f32_f64_e32 v102, v[102:103]
	v_min3_f32 v101, v101, v102, v215
	v_add_f64 v[102:103], v[34:35], v[90:91]
	v_add_f64 v[104:105], v[32:33], v[88:89]
	v_cvt_f32_f64_e32 v104, v[104:105]
	v_cvt_f32_f64_e32 v102, v[102:103]
	v_min_f32_e32 v102, v104, v102
	v_min3_f32 v100, v100, v102, v101
	v_cvt_f64_f32_e32 v[100:101], v100
	v_lshl_add_u64 v[102:103], v[160:161], 3, v[96:97]
	flat_store_dwordx2 v[102:103], v[100:101]
	s_or_b64 exec, exec, s[12:13]
	s_and_b64 s[24:25], s[4:5], s[10:11]
	s_and_saveexec_b64 s[12:13], s[24:25]
	s_cbranch_execz .LBB116_205
.LBB116_211:
	s_and_b64 vcc, exec, s[0:1]
	s_cbranch_vccnz .LBB116_213
; %bb.212:
	v_lshl_add_u64 v[100:101], v[162:163], 3, v[98:99]
	flat_load_dwordx2 v[100:101], v[100:101]
	s_waitcnt vmcnt(0) lgkmcnt(0)
	v_mul_f64 v[100:101], s[14:15], v[100:101]
	v_cvt_f32_f64_e32 v100, v[100:101]
	s_branch .LBB116_214
.LBB116_213:
	v_mov_b32_e32 v100, 0
.LBB116_214:
	v_add_f64 v[102:103], v[26:27], v[94:95]
	v_add_f64 v[104:105], v[24:25], v[92:93]
	v_cvt_f32_f64_e32 v101, v[104:105]
	v_cvt_f32_f64_e32 v102, v[102:103]
	v_min3_f32 v101, v101, v102, v214
	v_add_f64 v[102:103], v[30:31], v[90:91]
	v_add_f64 v[104:105], v[28:29], v[88:89]
	v_cvt_f32_f64_e32 v104, v[104:105]
	v_cvt_f32_f64_e32 v102, v[102:103]
	v_min_f32_e32 v102, v104, v102
	v_min3_f32 v100, v100, v102, v101
	v_cvt_f64_f32_e32 v[100:101], v100
	v_lshl_add_u64 v[102:103], v[162:163], 3, v[96:97]
	flat_store_dwordx2 v[102:103], v[100:101]
	s_or_b64 exec, exec, s[12:13]
	s_and_b64 s[24:25], s[6:7], s[10:11]
	s_and_saveexec_b64 s[12:13], s[24:25]
	s_cbranch_execz .LBB116_206
.LBB116_215:
	s_and_b64 vcc, exec, s[0:1]
	s_cbranch_vccnz .LBB116_217
; %bb.216:
	v_lshl_add_u64 v[100:101], v[164:165], 3, v[98:99]
	flat_load_dwordx2 v[100:101], v[100:101]
	s_waitcnt vmcnt(0) lgkmcnt(0)
	v_mul_f64 v[100:101], s[14:15], v[100:101]
	v_cvt_f32_f64_e32 v100, v[100:101]
	s_branch .LBB116_218
.LBB116_217:
	v_mov_b32_e32 v100, 0
.LBB116_218:
	v_add_f64 v[102:103], v[22:23], v[94:95]
	v_add_f64 v[104:105], v[20:21], v[92:93]
	v_cvt_f32_f64_e32 v101, v[104:105]
	v_cvt_f32_f64_e32 v102, v[102:103]
	v_min3_f32 v101, v101, v102, v213
	v_add_f64 v[102:103], v[14:15], v[90:91]
	v_add_f64 v[104:105], v[12:13], v[88:89]
	v_cvt_f32_f64_e32 v104, v[104:105]
	v_cvt_f32_f64_e32 v102, v[102:103]
	v_min_f32_e32 v102, v104, v102
	v_min3_f32 v100, v100, v102, v101
	v_cvt_f64_f32_e32 v[100:101], v100
	v_lshl_add_u64 v[102:103], v[164:165], 3, v[96:97]
	flat_store_dwordx2 v[102:103], v[100:101]
	s_or_b64 exec, exec, s[12:13]
	s_and_b64 s[12:13], s[8:9], s[10:11]
	s_and_saveexec_b64 s[10:11], s[12:13]
	s_cbranch_execz .LBB116_223
.LBB116_219:
	s_and_b64 vcc, exec, s[0:1]
	s_cbranch_vccnz .LBB116_221
; %bb.220:
	v_lshl_add_u64 v[98:99], v[166:167], 3, v[98:99]
	flat_load_dwordx2 v[98:99], v[98:99]
	s_waitcnt vmcnt(0) lgkmcnt(0)
	v_mul_f64 v[98:99], s[14:15], v[98:99]
	v_cvt_f32_f64_e32 v98, v[98:99]
	s_branch .LBB116_222
.LBB116_221:
	v_mov_b32_e32 v98, 0
.LBB116_222:
	v_add_f64 v[94:95], v[6:7], v[94:95]
	v_add_f64 v[92:93], v[4:5], v[92:93]
	;; [unrolled: 1-line block ×4, first 2 shown]
	v_cvt_f32_f64_e32 v92, v[92:93]
	v_cvt_f32_f64_e32 v93, v[94:95]
	;; [unrolled: 1-line block ×4, first 2 shown]
	v_min3_f32 v92, v92, v93, v212
	v_min_f32_e32 v88, v88, v89
	v_min3_f32 v88, v98, v88, v92
	v_cvt_f64_f32_e32 v[88:89], v88
	v_lshl_add_u64 v[90:91], v[166:167], 3, v[96:97]
	flat_store_dwordx2 v[90:91], v[88:89]
.LBB116_223:
	s_or_b64 exec, exec, s[10:11]
	v_add_u32_e32 v92, 0x48, v172
	v_mad_i64_i32 v[88:89], s[12:13], v92, s21, 0
	v_cmp_gt_i32_e64 s[10:11], s17, v92
	v_lshl_add_u64 v[90:91], v[88:89], 3, s[22:23]
	v_mad_i64_i32 v[88:89], s[12:13], v92, s20, 0
	v_lshl_add_u64 v[88:89], v[88:89], 3, s[18:19]
	s_and_b64 s[24:25], s[2:3], s[10:11]
	s_and_saveexec_b64 s[12:13], s[24:25]
	s_cbranch_execnz .LBB116_227
; %bb.224:
	s_or_b64 exec, exec, s[12:13]
	s_and_b64 s[24:25], s[4:5], s[10:11]
	s_and_saveexec_b64 s[12:13], s[24:25]
	s_cbranch_execnz .LBB116_231
.LBB116_225:
	s_or_b64 exec, exec, s[12:13]
	s_and_b64 s[24:25], s[6:7], s[10:11]
	s_and_saveexec_b64 s[12:13], s[24:25]
	s_cbranch_execnz .LBB116_235
.LBB116_226:
	s_or_b64 exec, exec, s[12:13]
	s_and_b64 s[12:13], s[8:9], s[10:11]
	s_and_saveexec_b64 s[10:11], s[12:13]
	s_cbranch_execnz .LBB116_239
	s_branch .LBB116_243
.LBB116_227:
	s_and_b64 vcc, exec, s[0:1]
	s_cbranch_vccnz .LBB116_229
; %bb.228:
	v_lshl_add_u64 v[92:93], v[160:161], 3, v[90:91]
	flat_load_dwordx2 v[92:93], v[92:93]
	s_waitcnt vmcnt(0) lgkmcnt(0)
	v_mul_f64 v[92:93], s[14:15], v[92:93]
	v_cvt_f32_f64_e32 v92, v[92:93]
	s_branch .LBB116_230
.LBB116_229:
	v_mov_b32_e32 v92, 0
.LBB116_230:
	v_add_f64 v[94:95], v[38:39], v[86:87]
	v_add_f64 v[96:97], v[36:37], v[84:85]
	v_cvt_f32_f64_e32 v93, v[96:97]
	v_cvt_f32_f64_e32 v94, v[94:95]
	v_min3_f32 v93, v93, v94, v211
	v_add_f64 v[94:95], v[34:35], v[82:83]
	v_add_f64 v[96:97], v[32:33], v[80:81]
	v_cvt_f32_f64_e32 v96, v[96:97]
	v_cvt_f32_f64_e32 v94, v[94:95]
	v_min_f32_e32 v94, v96, v94
	v_min3_f32 v92, v92, v94, v93
	v_cvt_f64_f32_e32 v[92:93], v92
	v_lshl_add_u64 v[94:95], v[160:161], 3, v[88:89]
	flat_store_dwordx2 v[94:95], v[92:93]
	s_or_b64 exec, exec, s[12:13]
	s_and_b64 s[24:25], s[4:5], s[10:11]
	s_and_saveexec_b64 s[12:13], s[24:25]
	s_cbranch_execz .LBB116_225
.LBB116_231:
	s_and_b64 vcc, exec, s[0:1]
	s_cbranch_vccnz .LBB116_233
; %bb.232:
	v_lshl_add_u64 v[92:93], v[162:163], 3, v[90:91]
	flat_load_dwordx2 v[92:93], v[92:93]
	s_waitcnt vmcnt(0) lgkmcnt(0)
	v_mul_f64 v[92:93], s[14:15], v[92:93]
	v_cvt_f32_f64_e32 v92, v[92:93]
	s_branch .LBB116_234
.LBB116_233:
	v_mov_b32_e32 v92, 0
.LBB116_234:
	v_add_f64 v[94:95], v[26:27], v[86:87]
	v_add_f64 v[96:97], v[24:25], v[84:85]
	v_cvt_f32_f64_e32 v93, v[96:97]
	v_cvt_f32_f64_e32 v94, v[94:95]
	v_min3_f32 v93, v93, v94, v210
	v_add_f64 v[94:95], v[30:31], v[82:83]
	v_add_f64 v[96:97], v[28:29], v[80:81]
	v_cvt_f32_f64_e32 v96, v[96:97]
	v_cvt_f32_f64_e32 v94, v[94:95]
	v_min_f32_e32 v94, v96, v94
	v_min3_f32 v92, v92, v94, v93
	v_cvt_f64_f32_e32 v[92:93], v92
	v_lshl_add_u64 v[94:95], v[162:163], 3, v[88:89]
	flat_store_dwordx2 v[94:95], v[92:93]
	s_or_b64 exec, exec, s[12:13]
	s_and_b64 s[24:25], s[6:7], s[10:11]
	s_and_saveexec_b64 s[12:13], s[24:25]
	s_cbranch_execz .LBB116_226
.LBB116_235:
	s_and_b64 vcc, exec, s[0:1]
	s_cbranch_vccnz .LBB116_237
; %bb.236:
	v_lshl_add_u64 v[92:93], v[164:165], 3, v[90:91]
	flat_load_dwordx2 v[92:93], v[92:93]
	s_waitcnt vmcnt(0) lgkmcnt(0)
	v_mul_f64 v[92:93], s[14:15], v[92:93]
	v_cvt_f32_f64_e32 v92, v[92:93]
	s_branch .LBB116_238
.LBB116_237:
	v_mov_b32_e32 v92, 0
.LBB116_238:
	v_add_f64 v[94:95], v[22:23], v[86:87]
	v_add_f64 v[96:97], v[20:21], v[84:85]
	v_cvt_f32_f64_e32 v93, v[96:97]
	v_cvt_f32_f64_e32 v94, v[94:95]
	v_min3_f32 v93, v93, v94, v209
	v_add_f64 v[94:95], v[14:15], v[82:83]
	v_add_f64 v[96:97], v[12:13], v[80:81]
	v_cvt_f32_f64_e32 v96, v[96:97]
	v_cvt_f32_f64_e32 v94, v[94:95]
	v_min_f32_e32 v94, v96, v94
	v_min3_f32 v92, v92, v94, v93
	v_cvt_f64_f32_e32 v[92:93], v92
	v_lshl_add_u64 v[94:95], v[164:165], 3, v[88:89]
	flat_store_dwordx2 v[94:95], v[92:93]
	s_or_b64 exec, exec, s[12:13]
	s_and_b64 s[12:13], s[8:9], s[10:11]
	s_and_saveexec_b64 s[10:11], s[12:13]
	s_cbranch_execz .LBB116_243
.LBB116_239:
	s_and_b64 vcc, exec, s[0:1]
	s_cbranch_vccnz .LBB116_241
; %bb.240:
	v_lshl_add_u64 v[90:91], v[166:167], 3, v[90:91]
	flat_load_dwordx2 v[90:91], v[90:91]
	s_waitcnt vmcnt(0) lgkmcnt(0)
	v_mul_f64 v[90:91], s[14:15], v[90:91]
	v_cvt_f32_f64_e32 v90, v[90:91]
	s_branch .LBB116_242
.LBB116_241:
	v_mov_b32_e32 v90, 0
.LBB116_242:
	v_add_f64 v[86:87], v[6:7], v[86:87]
	v_add_f64 v[84:85], v[4:5], v[84:85]
	;; [unrolled: 1-line block ×4, first 2 shown]
	v_cvt_f32_f64_e32 v84, v[84:85]
	v_cvt_f32_f64_e32 v85, v[86:87]
	v_cvt_f32_f64_e32 v80, v[80:81]
	v_cvt_f32_f64_e32 v81, v[82:83]
	v_min3_f32 v84, v84, v85, v208
	v_min_f32_e32 v80, v80, v81
	v_min3_f32 v80, v90, v80, v84
	v_cvt_f64_f32_e32 v[80:81], v80
	v_lshl_add_u64 v[82:83], v[166:167], 3, v[88:89]
	flat_store_dwordx2 v[82:83], v[80:81]
.LBB116_243:
	s_or_b64 exec, exec, s[10:11]
	v_add_u32_e32 v84, 0x50, v172
	v_mad_i64_i32 v[80:81], s[12:13], v84, s21, 0
	v_cmp_gt_i32_e64 s[10:11], s17, v84
	v_lshl_add_u64 v[82:83], v[80:81], 3, s[22:23]
	v_mad_i64_i32 v[80:81], s[12:13], v84, s20, 0
	v_lshl_add_u64 v[80:81], v[80:81], 3, s[18:19]
	s_and_b64 s[24:25], s[2:3], s[10:11]
	s_and_saveexec_b64 s[12:13], s[24:25]
	s_cbranch_execnz .LBB116_247
; %bb.244:
	s_or_b64 exec, exec, s[12:13]
	s_and_b64 s[24:25], s[4:5], s[10:11]
	s_and_saveexec_b64 s[12:13], s[24:25]
	s_cbranch_execnz .LBB116_251
.LBB116_245:
	s_or_b64 exec, exec, s[12:13]
	s_and_b64 s[24:25], s[6:7], s[10:11]
	s_and_saveexec_b64 s[12:13], s[24:25]
	s_cbranch_execnz .LBB116_255
.LBB116_246:
	s_or_b64 exec, exec, s[12:13]
	s_and_b64 s[12:13], s[8:9], s[10:11]
	s_and_saveexec_b64 s[10:11], s[12:13]
	s_cbranch_execnz .LBB116_259
	s_branch .LBB116_263
.LBB116_247:
	s_and_b64 vcc, exec, s[0:1]
	s_cbranch_vccnz .LBB116_249
; %bb.248:
	v_lshl_add_u64 v[84:85], v[160:161], 3, v[82:83]
	flat_load_dwordx2 v[84:85], v[84:85]
	s_waitcnt vmcnt(0) lgkmcnt(0)
	v_mul_f64 v[84:85], s[14:15], v[84:85]
	v_cvt_f32_f64_e32 v84, v[84:85]
	s_branch .LBB116_250
.LBB116_249:
	v_mov_b32_e32 v84, 0
.LBB116_250:
	v_add_f64 v[86:87], v[38:39], v[78:79]
	v_add_f64 v[88:89], v[36:37], v[76:77]
	v_cvt_f32_f64_e32 v85, v[88:89]
	v_cvt_f32_f64_e32 v86, v[86:87]
	v_min3_f32 v85, v85, v86, v207
	v_add_f64 v[86:87], v[34:35], v[74:75]
	v_add_f64 v[88:89], v[32:33], v[72:73]
	v_cvt_f32_f64_e32 v88, v[88:89]
	v_cvt_f32_f64_e32 v86, v[86:87]
	v_min_f32_e32 v86, v88, v86
	v_min3_f32 v84, v84, v86, v85
	v_cvt_f64_f32_e32 v[84:85], v84
	v_lshl_add_u64 v[86:87], v[160:161], 3, v[80:81]
	flat_store_dwordx2 v[86:87], v[84:85]
	s_or_b64 exec, exec, s[12:13]
	s_and_b64 s[24:25], s[4:5], s[10:11]
	s_and_saveexec_b64 s[12:13], s[24:25]
	s_cbranch_execz .LBB116_245
.LBB116_251:
	s_and_b64 vcc, exec, s[0:1]
	s_cbranch_vccnz .LBB116_253
; %bb.252:
	v_lshl_add_u64 v[84:85], v[162:163], 3, v[82:83]
	flat_load_dwordx2 v[84:85], v[84:85]
	s_waitcnt vmcnt(0) lgkmcnt(0)
	v_mul_f64 v[84:85], s[14:15], v[84:85]
	v_cvt_f32_f64_e32 v84, v[84:85]
	s_branch .LBB116_254
.LBB116_253:
	v_mov_b32_e32 v84, 0
.LBB116_254:
	v_add_f64 v[86:87], v[26:27], v[78:79]
	v_add_f64 v[88:89], v[24:25], v[76:77]
	v_cvt_f32_f64_e32 v85, v[88:89]
	v_cvt_f32_f64_e32 v86, v[86:87]
	v_min3_f32 v85, v85, v86, v206
	v_add_f64 v[86:87], v[30:31], v[74:75]
	v_add_f64 v[88:89], v[28:29], v[72:73]
	v_cvt_f32_f64_e32 v88, v[88:89]
	v_cvt_f32_f64_e32 v86, v[86:87]
	v_min_f32_e32 v86, v88, v86
	v_min3_f32 v84, v84, v86, v85
	v_cvt_f64_f32_e32 v[84:85], v84
	v_lshl_add_u64 v[86:87], v[162:163], 3, v[80:81]
	flat_store_dwordx2 v[86:87], v[84:85]
	s_or_b64 exec, exec, s[12:13]
	s_and_b64 s[24:25], s[6:7], s[10:11]
	s_and_saveexec_b64 s[12:13], s[24:25]
	s_cbranch_execz .LBB116_246
.LBB116_255:
	s_and_b64 vcc, exec, s[0:1]
	s_cbranch_vccnz .LBB116_257
; %bb.256:
	v_lshl_add_u64 v[84:85], v[164:165], 3, v[82:83]
	flat_load_dwordx2 v[84:85], v[84:85]
	s_waitcnt vmcnt(0) lgkmcnt(0)
	v_mul_f64 v[84:85], s[14:15], v[84:85]
	v_cvt_f32_f64_e32 v84, v[84:85]
	s_branch .LBB116_258
.LBB116_257:
	v_mov_b32_e32 v84, 0
.LBB116_258:
	v_add_f64 v[86:87], v[22:23], v[78:79]
	v_add_f64 v[88:89], v[20:21], v[76:77]
	v_cvt_f32_f64_e32 v85, v[88:89]
	v_cvt_f32_f64_e32 v86, v[86:87]
	v_min3_f32 v85, v85, v86, v205
	v_add_f64 v[86:87], v[14:15], v[74:75]
	v_add_f64 v[88:89], v[12:13], v[72:73]
	v_cvt_f32_f64_e32 v88, v[88:89]
	v_cvt_f32_f64_e32 v86, v[86:87]
	v_min_f32_e32 v86, v88, v86
	v_min3_f32 v84, v84, v86, v85
	v_cvt_f64_f32_e32 v[84:85], v84
	v_lshl_add_u64 v[86:87], v[164:165], 3, v[80:81]
	flat_store_dwordx2 v[86:87], v[84:85]
	s_or_b64 exec, exec, s[12:13]
	s_and_b64 s[12:13], s[8:9], s[10:11]
	s_and_saveexec_b64 s[10:11], s[12:13]
	s_cbranch_execz .LBB116_263
.LBB116_259:
	s_and_b64 vcc, exec, s[0:1]
	s_cbranch_vccnz .LBB116_261
; %bb.260:
	v_lshl_add_u64 v[82:83], v[166:167], 3, v[82:83]
	flat_load_dwordx2 v[82:83], v[82:83]
	s_waitcnt vmcnt(0) lgkmcnt(0)
	v_mul_f64 v[82:83], s[14:15], v[82:83]
	v_cvt_f32_f64_e32 v82, v[82:83]
	s_branch .LBB116_262
.LBB116_261:
	v_mov_b32_e32 v82, 0
.LBB116_262:
	v_add_f64 v[78:79], v[6:7], v[78:79]
	v_add_f64 v[76:77], v[4:5], v[76:77]
	;; [unrolled: 1-line block ×4, first 2 shown]
	v_cvt_f32_f64_e32 v76, v[76:77]
	v_cvt_f32_f64_e32 v77, v[78:79]
	;; [unrolled: 1-line block ×4, first 2 shown]
	v_min3_f32 v76, v76, v77, v204
	v_min_f32_e32 v72, v72, v73
	v_min3_f32 v72, v82, v72, v76
	v_cvt_f64_f32_e32 v[72:73], v72
	v_lshl_add_u64 v[74:75], v[166:167], 3, v[80:81]
	flat_store_dwordx2 v[74:75], v[72:73]
.LBB116_263:
	s_or_b64 exec, exec, s[10:11]
	v_add_u32_e32 v76, 0x58, v172
	v_mad_i64_i32 v[72:73], s[12:13], v76, s21, 0
	v_cmp_gt_i32_e64 s[10:11], s17, v76
	v_lshl_add_u64 v[74:75], v[72:73], 3, s[22:23]
	v_mad_i64_i32 v[72:73], s[12:13], v76, s20, 0
	v_lshl_add_u64 v[72:73], v[72:73], 3, s[18:19]
	s_and_b64 s[24:25], s[2:3], s[10:11]
	s_and_saveexec_b64 s[12:13], s[24:25]
	s_cbranch_execnz .LBB116_267
; %bb.264:
	s_or_b64 exec, exec, s[12:13]
	s_and_b64 s[24:25], s[4:5], s[10:11]
	s_and_saveexec_b64 s[12:13], s[24:25]
	s_cbranch_execnz .LBB116_271
.LBB116_265:
	s_or_b64 exec, exec, s[12:13]
	s_and_b64 s[24:25], s[6:7], s[10:11]
	s_and_saveexec_b64 s[12:13], s[24:25]
	s_cbranch_execnz .LBB116_275
.LBB116_266:
	s_or_b64 exec, exec, s[12:13]
	s_and_b64 s[12:13], s[8:9], s[10:11]
	s_and_saveexec_b64 s[10:11], s[12:13]
	s_cbranch_execnz .LBB116_279
	s_branch .LBB116_283
.LBB116_267:
	s_and_b64 vcc, exec, s[0:1]
	s_cbranch_vccnz .LBB116_269
; %bb.268:
	v_lshl_add_u64 v[76:77], v[160:161], 3, v[74:75]
	flat_load_dwordx2 v[76:77], v[76:77]
	s_waitcnt vmcnt(0) lgkmcnt(0)
	v_mul_f64 v[76:77], s[14:15], v[76:77]
	v_cvt_f32_f64_e32 v76, v[76:77]
	s_branch .LBB116_270
.LBB116_269:
	v_mov_b32_e32 v76, 0
.LBB116_270:
	v_add_f64 v[78:79], v[38:39], v[70:71]
	v_add_f64 v[80:81], v[36:37], v[68:69]
	v_cvt_f32_f64_e32 v77, v[80:81]
	v_cvt_f32_f64_e32 v78, v[78:79]
	v_min3_f32 v77, v77, v78, v203
	v_add_f64 v[78:79], v[34:35], v[66:67]
	v_add_f64 v[80:81], v[32:33], v[64:65]
	v_cvt_f32_f64_e32 v80, v[80:81]
	v_cvt_f32_f64_e32 v78, v[78:79]
	v_min_f32_e32 v78, v80, v78
	v_min3_f32 v76, v76, v78, v77
	v_cvt_f64_f32_e32 v[76:77], v76
	v_lshl_add_u64 v[78:79], v[160:161], 3, v[72:73]
	flat_store_dwordx2 v[78:79], v[76:77]
	s_or_b64 exec, exec, s[12:13]
	s_and_b64 s[24:25], s[4:5], s[10:11]
	s_and_saveexec_b64 s[12:13], s[24:25]
	s_cbranch_execz .LBB116_265
.LBB116_271:
	s_and_b64 vcc, exec, s[0:1]
	s_cbranch_vccnz .LBB116_273
; %bb.272:
	v_lshl_add_u64 v[76:77], v[162:163], 3, v[74:75]
	flat_load_dwordx2 v[76:77], v[76:77]
	s_waitcnt vmcnt(0) lgkmcnt(0)
	v_mul_f64 v[76:77], s[14:15], v[76:77]
	v_cvt_f32_f64_e32 v76, v[76:77]
	s_branch .LBB116_274
.LBB116_273:
	v_mov_b32_e32 v76, 0
.LBB116_274:
	v_add_f64 v[78:79], v[26:27], v[70:71]
	v_add_f64 v[80:81], v[24:25], v[68:69]
	v_cvt_f32_f64_e32 v77, v[80:81]
	v_cvt_f32_f64_e32 v78, v[78:79]
	v_min3_f32 v77, v77, v78, v202
	v_add_f64 v[78:79], v[30:31], v[66:67]
	v_add_f64 v[80:81], v[28:29], v[64:65]
	v_cvt_f32_f64_e32 v80, v[80:81]
	v_cvt_f32_f64_e32 v78, v[78:79]
	v_min_f32_e32 v78, v80, v78
	v_min3_f32 v76, v76, v78, v77
	v_cvt_f64_f32_e32 v[76:77], v76
	v_lshl_add_u64 v[78:79], v[162:163], 3, v[72:73]
	flat_store_dwordx2 v[78:79], v[76:77]
	s_or_b64 exec, exec, s[12:13]
	s_and_b64 s[24:25], s[6:7], s[10:11]
	s_and_saveexec_b64 s[12:13], s[24:25]
	s_cbranch_execz .LBB116_266
.LBB116_275:
	s_and_b64 vcc, exec, s[0:1]
	s_cbranch_vccnz .LBB116_277
; %bb.276:
	v_lshl_add_u64 v[76:77], v[164:165], 3, v[74:75]
	flat_load_dwordx2 v[76:77], v[76:77]
	s_waitcnt vmcnt(0) lgkmcnt(0)
	v_mul_f64 v[76:77], s[14:15], v[76:77]
	v_cvt_f32_f64_e32 v76, v[76:77]
	s_branch .LBB116_278
.LBB116_277:
	v_mov_b32_e32 v76, 0
.LBB116_278:
	v_add_f64 v[78:79], v[22:23], v[70:71]
	v_add_f64 v[80:81], v[20:21], v[68:69]
	v_cvt_f32_f64_e32 v77, v[80:81]
	v_cvt_f32_f64_e32 v78, v[78:79]
	v_min3_f32 v77, v77, v78, v201
	v_add_f64 v[78:79], v[14:15], v[66:67]
	v_add_f64 v[80:81], v[12:13], v[64:65]
	v_cvt_f32_f64_e32 v80, v[80:81]
	v_cvt_f32_f64_e32 v78, v[78:79]
	v_min_f32_e32 v78, v80, v78
	v_min3_f32 v76, v76, v78, v77
	v_cvt_f64_f32_e32 v[76:77], v76
	v_lshl_add_u64 v[78:79], v[164:165], 3, v[72:73]
	flat_store_dwordx2 v[78:79], v[76:77]
	s_or_b64 exec, exec, s[12:13]
	s_and_b64 s[12:13], s[8:9], s[10:11]
	s_and_saveexec_b64 s[10:11], s[12:13]
	s_cbranch_execz .LBB116_283
.LBB116_279:
	s_and_b64 vcc, exec, s[0:1]
	s_cbranch_vccnz .LBB116_281
; %bb.280:
	v_lshl_add_u64 v[74:75], v[166:167], 3, v[74:75]
	flat_load_dwordx2 v[74:75], v[74:75]
	s_waitcnt vmcnt(0) lgkmcnt(0)
	v_mul_f64 v[74:75], s[14:15], v[74:75]
	v_cvt_f32_f64_e32 v74, v[74:75]
	s_branch .LBB116_282
.LBB116_281:
	v_mov_b32_e32 v74, 0
.LBB116_282:
	v_add_f64 v[70:71], v[6:7], v[70:71]
	v_add_f64 v[68:69], v[4:5], v[68:69]
	;; [unrolled: 1-line block ×4, first 2 shown]
	v_cvt_f32_f64_e32 v68, v[68:69]
	v_cvt_f32_f64_e32 v69, v[70:71]
	;; [unrolled: 1-line block ×4, first 2 shown]
	v_min3_f32 v68, v68, v69, v200
	v_min_f32_e32 v64, v64, v65
	v_min3_f32 v64, v74, v64, v68
	v_cvt_f64_f32_e32 v[64:65], v64
	v_lshl_add_u64 v[66:67], v[166:167], 3, v[72:73]
	flat_store_dwordx2 v[66:67], v[64:65]
.LBB116_283:
	s_or_b64 exec, exec, s[10:11]
	v_add_u32_e32 v68, 0x60, v172
	v_mad_i64_i32 v[64:65], s[12:13], v68, s21, 0
	v_cmp_gt_i32_e64 s[10:11], s17, v68
	v_lshl_add_u64 v[66:67], v[64:65], 3, s[22:23]
	v_mad_i64_i32 v[64:65], s[12:13], v68, s20, 0
	v_lshl_add_u64 v[64:65], v[64:65], 3, s[18:19]
	s_and_b64 s[24:25], s[2:3], s[10:11]
	s_and_saveexec_b64 s[12:13], s[24:25]
	s_cbranch_execnz .LBB116_287
; %bb.284:
	s_or_b64 exec, exec, s[12:13]
	s_and_b64 s[24:25], s[4:5], s[10:11]
	s_and_saveexec_b64 s[12:13], s[24:25]
	s_cbranch_execnz .LBB116_291
.LBB116_285:
	s_or_b64 exec, exec, s[12:13]
	s_and_b64 s[24:25], s[6:7], s[10:11]
	s_and_saveexec_b64 s[12:13], s[24:25]
	s_cbranch_execnz .LBB116_295
.LBB116_286:
	s_or_b64 exec, exec, s[12:13]
	s_and_b64 s[12:13], s[8:9], s[10:11]
	s_and_saveexec_b64 s[10:11], s[12:13]
	s_cbranch_execnz .LBB116_299
	s_branch .LBB116_303
.LBB116_287:
	s_and_b64 vcc, exec, s[0:1]
	s_cbranch_vccnz .LBB116_289
; %bb.288:
	v_lshl_add_u64 v[68:69], v[160:161], 3, v[66:67]
	flat_load_dwordx2 v[68:69], v[68:69]
	s_waitcnt vmcnt(0) lgkmcnt(0)
	v_mul_f64 v[68:69], s[14:15], v[68:69]
	v_cvt_f32_f64_e32 v68, v[68:69]
	s_branch .LBB116_290
.LBB116_289:
	v_mov_b32_e32 v68, 0
.LBB116_290:
	v_add_f64 v[70:71], v[38:39], v[62:63]
	v_add_f64 v[72:73], v[36:37], v[60:61]
	v_cvt_f32_f64_e32 v69, v[72:73]
	v_cvt_f32_f64_e32 v70, v[70:71]
	v_min3_f32 v69, v69, v70, v199
	v_add_f64 v[70:71], v[34:35], v[58:59]
	v_add_f64 v[72:73], v[32:33], v[56:57]
	v_cvt_f32_f64_e32 v72, v[72:73]
	v_cvt_f32_f64_e32 v70, v[70:71]
	v_min_f32_e32 v70, v72, v70
	v_min3_f32 v68, v68, v70, v69
	v_cvt_f64_f32_e32 v[68:69], v68
	v_lshl_add_u64 v[70:71], v[160:161], 3, v[64:65]
	flat_store_dwordx2 v[70:71], v[68:69]
	s_or_b64 exec, exec, s[12:13]
	s_and_b64 s[24:25], s[4:5], s[10:11]
	s_and_saveexec_b64 s[12:13], s[24:25]
	s_cbranch_execz .LBB116_285
.LBB116_291:
	s_and_b64 vcc, exec, s[0:1]
	s_cbranch_vccnz .LBB116_293
; %bb.292:
	v_lshl_add_u64 v[68:69], v[162:163], 3, v[66:67]
	flat_load_dwordx2 v[68:69], v[68:69]
	s_waitcnt vmcnt(0) lgkmcnt(0)
	v_mul_f64 v[68:69], s[14:15], v[68:69]
	v_cvt_f32_f64_e32 v68, v[68:69]
	s_branch .LBB116_294
.LBB116_293:
	v_mov_b32_e32 v68, 0
.LBB116_294:
	v_add_f64 v[70:71], v[26:27], v[62:63]
	v_add_f64 v[72:73], v[24:25], v[60:61]
	v_cvt_f32_f64_e32 v69, v[72:73]
	v_cvt_f32_f64_e32 v70, v[70:71]
	v_min3_f32 v69, v69, v70, v198
	v_add_f64 v[70:71], v[30:31], v[58:59]
	v_add_f64 v[72:73], v[28:29], v[56:57]
	v_cvt_f32_f64_e32 v72, v[72:73]
	v_cvt_f32_f64_e32 v70, v[70:71]
	v_min_f32_e32 v70, v72, v70
	v_min3_f32 v68, v68, v70, v69
	v_cvt_f64_f32_e32 v[68:69], v68
	v_lshl_add_u64 v[70:71], v[162:163], 3, v[64:65]
	flat_store_dwordx2 v[70:71], v[68:69]
	s_or_b64 exec, exec, s[12:13]
	s_and_b64 s[24:25], s[6:7], s[10:11]
	s_and_saveexec_b64 s[12:13], s[24:25]
	s_cbranch_execz .LBB116_286
.LBB116_295:
	s_and_b64 vcc, exec, s[0:1]
	s_cbranch_vccnz .LBB116_297
; %bb.296:
	v_lshl_add_u64 v[68:69], v[164:165], 3, v[66:67]
	flat_load_dwordx2 v[68:69], v[68:69]
	s_waitcnt vmcnt(0) lgkmcnt(0)
	v_mul_f64 v[68:69], s[14:15], v[68:69]
	v_cvt_f32_f64_e32 v68, v[68:69]
	s_branch .LBB116_298
.LBB116_297:
	v_mov_b32_e32 v68, 0
.LBB116_298:
	v_add_f64 v[70:71], v[22:23], v[62:63]
	v_add_f64 v[72:73], v[20:21], v[60:61]
	v_cvt_f32_f64_e32 v69, v[72:73]
	v_cvt_f32_f64_e32 v70, v[70:71]
	v_min3_f32 v69, v69, v70, v196
	v_add_f64 v[70:71], v[14:15], v[58:59]
	v_add_f64 v[72:73], v[12:13], v[56:57]
	v_cvt_f32_f64_e32 v72, v[72:73]
	v_cvt_f32_f64_e32 v70, v[70:71]
	v_min_f32_e32 v70, v72, v70
	v_min3_f32 v68, v68, v70, v69
	v_cvt_f64_f32_e32 v[68:69], v68
	v_lshl_add_u64 v[70:71], v[164:165], 3, v[64:65]
	flat_store_dwordx2 v[70:71], v[68:69]
	s_or_b64 exec, exec, s[12:13]
	s_and_b64 s[12:13], s[8:9], s[10:11]
	s_and_saveexec_b64 s[10:11], s[12:13]
	s_cbranch_execz .LBB116_303
.LBB116_299:
	s_and_b64 vcc, exec, s[0:1]
	s_cbranch_vccnz .LBB116_301
; %bb.300:
	v_lshl_add_u64 v[66:67], v[166:167], 3, v[66:67]
	flat_load_dwordx2 v[66:67], v[66:67]
	s_waitcnt vmcnt(0) lgkmcnt(0)
	v_mul_f64 v[66:67], s[14:15], v[66:67]
	v_cvt_f32_f64_e32 v66, v[66:67]
	s_branch .LBB116_302
.LBB116_301:
	v_mov_b32_e32 v66, 0
.LBB116_302:
	v_add_f64 v[62:63], v[6:7], v[62:63]
	v_add_f64 v[60:61], v[4:5], v[60:61]
	;; [unrolled: 1-line block ×4, first 2 shown]
	v_cvt_f32_f64_e32 v60, v[60:61]
	v_cvt_f32_f64_e32 v61, v[62:63]
	;; [unrolled: 1-line block ×4, first 2 shown]
	v_min3_f32 v60, v60, v61, v195
	v_min_f32_e32 v56, v56, v57
	v_min3_f32 v56, v66, v56, v60
	v_cvt_f64_f32_e32 v[56:57], v56
	v_lshl_add_u64 v[58:59], v[166:167], 3, v[64:65]
	flat_store_dwordx2 v[58:59], v[56:57]
.LBB116_303:
	s_or_b64 exec, exec, s[10:11]
	v_add_u32_e32 v60, 0x68, v172
	v_mad_i64_i32 v[56:57], s[12:13], v60, s21, 0
	v_cmp_gt_i32_e64 s[10:11], s17, v60
	v_lshl_add_u64 v[58:59], v[56:57], 3, s[22:23]
	v_mad_i64_i32 v[56:57], s[12:13], v60, s20, 0
	v_lshl_add_u64 v[56:57], v[56:57], 3, s[18:19]
	s_and_b64 s[24:25], s[2:3], s[10:11]
	s_and_saveexec_b64 s[12:13], s[24:25]
	s_cbranch_execnz .LBB116_307
; %bb.304:
	s_or_b64 exec, exec, s[12:13]
	s_and_b64 s[24:25], s[4:5], s[10:11]
	s_and_saveexec_b64 s[12:13], s[24:25]
	s_cbranch_execnz .LBB116_311
.LBB116_305:
	s_or_b64 exec, exec, s[12:13]
	s_and_b64 s[24:25], s[6:7], s[10:11]
	s_and_saveexec_b64 s[12:13], s[24:25]
	s_cbranch_execnz .LBB116_315
.LBB116_306:
	s_or_b64 exec, exec, s[12:13]
	s_and_b64 s[12:13], s[8:9], s[10:11]
	s_and_saveexec_b64 s[10:11], s[12:13]
	s_cbranch_execnz .LBB116_319
	s_branch .LBB116_323
.LBB116_307:
	s_and_b64 vcc, exec, s[0:1]
	s_cbranch_vccnz .LBB116_309
; %bb.308:
	v_lshl_add_u64 v[60:61], v[160:161], 3, v[58:59]
	flat_load_dwordx2 v[60:61], v[60:61]
	s_waitcnt vmcnt(0) lgkmcnt(0)
	v_mul_f64 v[60:61], s[14:15], v[60:61]
	v_cvt_f32_f64_e32 v60, v[60:61]
	s_branch .LBB116_310
.LBB116_309:
	v_mov_b32_e32 v60, 0
.LBB116_310:
	v_add_f64 v[62:63], v[38:39], v[54:55]
	v_add_f64 v[64:65], v[36:37], v[52:53]
	v_cvt_f32_f64_e32 v61, v[64:65]
	v_cvt_f32_f64_e32 v62, v[62:63]
	v_min3_f32 v61, v61, v62, v194
	v_add_f64 v[62:63], v[34:35], v[50:51]
	v_add_f64 v[64:65], v[32:33], v[48:49]
	v_cvt_f32_f64_e32 v64, v[64:65]
	v_cvt_f32_f64_e32 v62, v[62:63]
	v_min_f32_e32 v62, v64, v62
	v_min3_f32 v60, v60, v62, v61
	v_cvt_f64_f32_e32 v[60:61], v60
	v_lshl_add_u64 v[62:63], v[160:161], 3, v[56:57]
	flat_store_dwordx2 v[62:63], v[60:61]
	s_or_b64 exec, exec, s[12:13]
	s_and_b64 s[24:25], s[4:5], s[10:11]
	s_and_saveexec_b64 s[12:13], s[24:25]
	s_cbranch_execz .LBB116_305
.LBB116_311:
	s_and_b64 vcc, exec, s[0:1]
	s_cbranch_vccnz .LBB116_313
; %bb.312:
	v_lshl_add_u64 v[60:61], v[162:163], 3, v[58:59]
	flat_load_dwordx2 v[60:61], v[60:61]
	s_waitcnt vmcnt(0) lgkmcnt(0)
	v_mul_f64 v[60:61], s[14:15], v[60:61]
	v_cvt_f32_f64_e32 v60, v[60:61]
	s_branch .LBB116_314
.LBB116_313:
	v_mov_b32_e32 v60, 0
.LBB116_314:
	v_add_f64 v[62:63], v[26:27], v[54:55]
	v_add_f64 v[64:65], v[24:25], v[52:53]
	v_cvt_f32_f64_e32 v61, v[64:65]
	v_cvt_f32_f64_e32 v62, v[62:63]
	v_min3_f32 v61, v61, v62, v193
	v_add_f64 v[62:63], v[30:31], v[50:51]
	v_add_f64 v[64:65], v[28:29], v[48:49]
	v_cvt_f32_f64_e32 v64, v[64:65]
	v_cvt_f32_f64_e32 v62, v[62:63]
	v_min_f32_e32 v62, v64, v62
	v_min3_f32 v60, v60, v62, v61
	v_cvt_f64_f32_e32 v[60:61], v60
	v_lshl_add_u64 v[62:63], v[162:163], 3, v[56:57]
	flat_store_dwordx2 v[62:63], v[60:61]
	s_or_b64 exec, exec, s[12:13]
	s_and_b64 s[24:25], s[6:7], s[10:11]
	s_and_saveexec_b64 s[12:13], s[24:25]
	s_cbranch_execz .LBB116_306
.LBB116_315:
	s_and_b64 vcc, exec, s[0:1]
	s_cbranch_vccnz .LBB116_317
; %bb.316:
	v_lshl_add_u64 v[60:61], v[164:165], 3, v[58:59]
	flat_load_dwordx2 v[60:61], v[60:61]
	s_waitcnt vmcnt(0) lgkmcnt(0)
	v_mul_f64 v[60:61], s[14:15], v[60:61]
	v_cvt_f32_f64_e32 v60, v[60:61]
	s_branch .LBB116_318
.LBB116_317:
	v_mov_b32_e32 v60, 0
.LBB116_318:
	v_add_f64 v[62:63], v[22:23], v[54:55]
	v_add_f64 v[64:65], v[20:21], v[52:53]
	v_cvt_f32_f64_e32 v61, v[64:65]
	v_cvt_f32_f64_e32 v62, v[62:63]
	v_min3_f32 v61, v61, v62, v191
	v_add_f64 v[62:63], v[14:15], v[50:51]
	v_add_f64 v[64:65], v[12:13], v[48:49]
	v_cvt_f32_f64_e32 v64, v[64:65]
	v_cvt_f32_f64_e32 v62, v[62:63]
	v_min_f32_e32 v62, v64, v62
	v_min3_f32 v60, v60, v62, v61
	v_cvt_f64_f32_e32 v[60:61], v60
	v_lshl_add_u64 v[62:63], v[164:165], 3, v[56:57]
	flat_store_dwordx2 v[62:63], v[60:61]
	s_or_b64 exec, exec, s[12:13]
	s_and_b64 s[12:13], s[8:9], s[10:11]
	s_and_saveexec_b64 s[10:11], s[12:13]
	s_cbranch_execz .LBB116_323
.LBB116_319:
	s_and_b64 vcc, exec, s[0:1]
	s_cbranch_vccnz .LBB116_321
; %bb.320:
	v_lshl_add_u64 v[58:59], v[166:167], 3, v[58:59]
	flat_load_dwordx2 v[58:59], v[58:59]
	s_waitcnt vmcnt(0) lgkmcnt(0)
	v_mul_f64 v[58:59], s[14:15], v[58:59]
	v_cvt_f32_f64_e32 v58, v[58:59]
	s_branch .LBB116_322
.LBB116_321:
	v_mov_b32_e32 v58, 0
.LBB116_322:
	v_add_f64 v[54:55], v[6:7], v[54:55]
	v_add_f64 v[52:53], v[4:5], v[52:53]
	;; [unrolled: 1-line block ×4, first 2 shown]
	v_cvt_f32_f64_e32 v52, v[52:53]
	v_cvt_f32_f64_e32 v53, v[54:55]
	;; [unrolled: 1-line block ×4, first 2 shown]
	v_min3_f32 v52, v52, v53, v188
	v_min_f32_e32 v48, v48, v49
	v_min3_f32 v48, v58, v48, v52
	v_cvt_f64_f32_e32 v[48:49], v48
	v_lshl_add_u64 v[50:51], v[166:167], 3, v[56:57]
	flat_store_dwordx2 v[50:51], v[48:49]
.LBB116_323:
	s_or_b64 exec, exec, s[10:11]
	v_add_u32_e32 v52, 0x70, v172
	v_mad_i64_i32 v[48:49], s[12:13], v52, s21, 0
	v_cmp_gt_i32_e64 s[10:11], s17, v52
	v_lshl_add_u64 v[50:51], v[48:49], 3, s[22:23]
	v_mad_i64_i32 v[48:49], s[12:13], v52, s20, 0
	v_lshl_add_u64 v[48:49], v[48:49], 3, s[18:19]
	s_and_b64 s[24:25], s[2:3], s[10:11]
	s_and_saveexec_b64 s[12:13], s[24:25]
	s_cbranch_execnz .LBB116_327
; %bb.324:
	s_or_b64 exec, exec, s[12:13]
	s_and_b64 s[24:25], s[4:5], s[10:11]
	s_and_saveexec_b64 s[12:13], s[24:25]
	s_cbranch_execnz .LBB116_331
.LBB116_325:
	s_or_b64 exec, exec, s[12:13]
	s_and_b64 s[24:25], s[6:7], s[10:11]
	s_and_saveexec_b64 s[12:13], s[24:25]
	s_cbranch_execnz .LBB116_335
.LBB116_326:
	s_or_b64 exec, exec, s[12:13]
	s_and_b64 s[12:13], s[8:9], s[10:11]
	s_and_saveexec_b64 s[10:11], s[12:13]
	s_cbranch_execnz .LBB116_339
	s_branch .LBB116_343
.LBB116_327:
	s_and_b64 vcc, exec, s[0:1]
	s_cbranch_vccnz .LBB116_329
; %bb.328:
	v_lshl_add_u64 v[52:53], v[160:161], 3, v[50:51]
	flat_load_dwordx2 v[52:53], v[52:53]
	s_waitcnt vmcnt(0) lgkmcnt(0)
	v_mul_f64 v[52:53], s[14:15], v[52:53]
	v_cvt_f32_f64_e32 v52, v[52:53]
	s_branch .LBB116_330
.LBB116_329:
	v_mov_b32_e32 v52, 0
.LBB116_330:
	v_add_f64 v[54:55], v[38:39], v[46:47]
	v_add_f64 v[56:57], v[36:37], v[44:45]
	v_cvt_f32_f64_e32 v53, v[56:57]
	v_cvt_f32_f64_e32 v54, v[54:55]
	v_min3_f32 v53, v53, v54, v187
	v_add_f64 v[54:55], v[34:35], v[42:43]
	v_add_f64 v[56:57], v[32:33], v[40:41]
	v_cvt_f32_f64_e32 v56, v[56:57]
	v_cvt_f32_f64_e32 v54, v[54:55]
	v_min_f32_e32 v54, v56, v54
	v_min3_f32 v52, v52, v54, v53
	v_cvt_f64_f32_e32 v[52:53], v52
	v_lshl_add_u64 v[54:55], v[160:161], 3, v[48:49]
	flat_store_dwordx2 v[54:55], v[52:53]
	s_or_b64 exec, exec, s[12:13]
	s_and_b64 s[24:25], s[4:5], s[10:11]
	s_and_saveexec_b64 s[12:13], s[24:25]
	s_cbranch_execz .LBB116_325
.LBB116_331:
	s_and_b64 vcc, exec, s[0:1]
	s_cbranch_vccnz .LBB116_333
; %bb.332:
	v_lshl_add_u64 v[52:53], v[162:163], 3, v[50:51]
	flat_load_dwordx2 v[52:53], v[52:53]
	s_waitcnt vmcnt(0) lgkmcnt(0)
	v_mul_f64 v[52:53], s[14:15], v[52:53]
	v_cvt_f32_f64_e32 v52, v[52:53]
	s_branch .LBB116_334
.LBB116_333:
	v_mov_b32_e32 v52, 0
.LBB116_334:
	v_add_f64 v[54:55], v[26:27], v[46:47]
	v_add_f64 v[56:57], v[24:25], v[44:45]
	v_cvt_f32_f64_e32 v53, v[56:57]
	v_cvt_f32_f64_e32 v54, v[54:55]
	v_min3_f32 v53, v53, v54, v186
	v_add_f64 v[54:55], v[30:31], v[42:43]
	v_add_f64 v[56:57], v[28:29], v[40:41]
	v_cvt_f32_f64_e32 v56, v[56:57]
	v_cvt_f32_f64_e32 v54, v[54:55]
	v_min_f32_e32 v54, v56, v54
	v_min3_f32 v52, v52, v54, v53
	v_cvt_f64_f32_e32 v[52:53], v52
	v_lshl_add_u64 v[54:55], v[162:163], 3, v[48:49]
	flat_store_dwordx2 v[54:55], v[52:53]
	s_or_b64 exec, exec, s[12:13]
	s_and_b64 s[24:25], s[6:7], s[10:11]
	s_and_saveexec_b64 s[12:13], s[24:25]
	s_cbranch_execz .LBB116_326
.LBB116_335:
	s_and_b64 vcc, exec, s[0:1]
	s_cbranch_vccnz .LBB116_337
; %bb.336:
	v_lshl_add_u64 v[52:53], v[164:165], 3, v[50:51]
	flat_load_dwordx2 v[52:53], v[52:53]
	s_waitcnt vmcnt(0) lgkmcnt(0)
	v_mul_f64 v[52:53], s[14:15], v[52:53]
	v_cvt_f32_f64_e32 v52, v[52:53]
	s_branch .LBB116_338
.LBB116_337:
	v_mov_b32_e32 v52, 0
.LBB116_338:
	v_add_f64 v[54:55], v[22:23], v[46:47]
	v_add_f64 v[56:57], v[20:21], v[44:45]
	v_cvt_f32_f64_e32 v53, v[56:57]
	v_cvt_f32_f64_e32 v54, v[54:55]
	v_min3_f32 v53, v53, v54, v185
	v_add_f64 v[54:55], v[14:15], v[42:43]
	v_add_f64 v[56:57], v[12:13], v[40:41]
	v_cvt_f32_f64_e32 v56, v[56:57]
	v_cvt_f32_f64_e32 v54, v[54:55]
	v_min_f32_e32 v54, v56, v54
	v_min3_f32 v52, v52, v54, v53
	v_cvt_f64_f32_e32 v[52:53], v52
	v_lshl_add_u64 v[54:55], v[164:165], 3, v[48:49]
	flat_store_dwordx2 v[54:55], v[52:53]
	s_or_b64 exec, exec, s[12:13]
	s_and_b64 s[12:13], s[8:9], s[10:11]
	s_and_saveexec_b64 s[10:11], s[12:13]
	s_cbranch_execz .LBB116_343
.LBB116_339:
	s_and_b64 vcc, exec, s[0:1]
	s_cbranch_vccnz .LBB116_341
; %bb.340:
	v_lshl_add_u64 v[50:51], v[166:167], 3, v[50:51]
	flat_load_dwordx2 v[50:51], v[50:51]
	s_waitcnt vmcnt(0) lgkmcnt(0)
	v_mul_f64 v[50:51], s[14:15], v[50:51]
	v_cvt_f32_f64_e32 v50, v[50:51]
	s_branch .LBB116_342
.LBB116_341:
	v_mov_b32_e32 v50, 0
.LBB116_342:
	v_add_f64 v[46:47], v[6:7], v[46:47]
	v_add_f64 v[44:45], v[4:5], v[44:45]
	;; [unrolled: 1-line block ×4, first 2 shown]
	v_cvt_f32_f64_e32 v44, v[44:45]
	v_cvt_f32_f64_e32 v45, v[46:47]
	;; [unrolled: 1-line block ×4, first 2 shown]
	v_min3_f32 v44, v44, v45, v184
	v_min_f32_e32 v40, v40, v41
	v_min3_f32 v40, v50, v40, v44
	v_cvt_f64_f32_e32 v[40:41], v40
	v_lshl_add_u64 v[42:43], v[166:167], 3, v[48:49]
	flat_store_dwordx2 v[42:43], v[40:41]
.LBB116_343:
	s_or_b64 exec, exec, s[10:11]
	v_add_u32_e32 v44, 0x78, v172
	v_mad_i64_i32 v[40:41], s[12:13], v44, s21, 0
	v_cmp_gt_i32_e64 s[10:11], s17, v44
	v_lshl_add_u64 v[42:43], v[40:41], 3, s[22:23]
	v_mad_i64_i32 v[40:41], s[12:13], v44, s20, 0
	v_lshl_add_u64 v[40:41], v[40:41], 3, s[18:19]
	s_and_b64 s[12:13], s[2:3], s[10:11]
	s_and_saveexec_b64 s[2:3], s[12:13]
	s_cbranch_execnz .LBB116_348
; %bb.344:
	s_or_b64 exec, exec, s[2:3]
	s_and_b64 s[4:5], s[4:5], s[10:11]
	s_and_saveexec_b64 s[2:3], s[4:5]
	s_cbranch_execnz .LBB116_352
.LBB116_345:
	s_or_b64 exec, exec, s[2:3]
	s_and_b64 s[4:5], s[6:7], s[10:11]
	s_and_saveexec_b64 s[2:3], s[4:5]
	s_cbranch_execnz .LBB116_356
.LBB116_346:
	s_or_b64 exec, exec, s[2:3]
	s_and_b64 s[2:3], s[8:9], s[10:11]
	s_and_saveexec_b64 s[4:5], s[2:3]
	s_cbranch_execnz .LBB116_360
.LBB116_347:
	s_endpgm
.LBB116_348:
	s_and_b64 vcc, exec, s[0:1]
	s_cbranch_vccnz .LBB116_350
; %bb.349:
	v_lshl_add_u64 v[44:45], v[160:161], 3, v[42:43]
	flat_load_dwordx2 v[44:45], v[44:45]
	s_waitcnt vmcnt(0) lgkmcnt(0)
	v_mul_f64 v[44:45], s[14:15], v[44:45]
	v_cvt_f32_f64_e32 v44, v[44:45]
	s_branch .LBB116_351
.LBB116_350:
	v_mov_b32_e32 v44, 0
.LBB116_351:
	s_waitcnt lgkmcnt(0)
	v_add_f64 v[38:39], v[38:39], v[18:19]
	v_add_f64 v[36:37], v[36:37], v[16:17]
	;; [unrolled: 1-line block ×4, first 2 shown]
	v_cvt_f32_f64_e32 v36, v[36:37]
	v_cvt_f32_f64_e32 v37, v[38:39]
	;; [unrolled: 1-line block ×4, first 2 shown]
	v_min3_f32 v36, v36, v37, v181
	v_min_f32_e32 v32, v32, v33
	v_min3_f32 v32, v44, v32, v36
	v_cvt_f64_f32_e32 v[32:33], v32
	v_lshl_add_u64 v[34:35], v[160:161], 3, v[40:41]
	flat_store_dwordx2 v[34:35], v[32:33]
	s_or_b64 exec, exec, s[2:3]
	s_and_b64 s[4:5], s[4:5], s[10:11]
	s_and_saveexec_b64 s[2:3], s[4:5]
	s_cbranch_execz .LBB116_345
.LBB116_352:
	s_and_b64 vcc, exec, s[0:1]
	s_cbranch_vccnz .LBB116_354
; %bb.353:
	v_lshl_add_u64 v[32:33], v[162:163], 3, v[42:43]
	flat_load_dwordx2 v[32:33], v[32:33]
	s_waitcnt vmcnt(0) lgkmcnt(0)
	v_mul_f64 v[32:33], s[14:15], v[32:33]
	v_cvt_f32_f64_e32 v32, v[32:33]
	s_branch .LBB116_355
.LBB116_354:
	v_mov_b32_e32 v32, 0
.LBB116_355:
	s_waitcnt lgkmcnt(0)
	v_add_f64 v[26:27], v[26:27], v[18:19]
	v_add_f64 v[24:25], v[24:25], v[16:17]
	v_cvt_f32_f64_e32 v24, v[24:25]
	v_cvt_f32_f64_e32 v25, v[26:27]
	v_min3_f32 v33, v24, v25, v180
	v_add_f64 v[24:25], v[30:31], v[10:11]
	v_add_f64 v[26:27], v[28:29], v[8:9]
	v_cvt_f32_f64_e32 v26, v[26:27]
	v_cvt_f32_f64_e32 v24, v[24:25]
	v_min_f32_e32 v24, v26, v24
	v_min3_f32 v24, v32, v24, v33
	v_cvt_f64_f32_e32 v[24:25], v24
	v_lshl_add_u64 v[26:27], v[162:163], 3, v[40:41]
	flat_store_dwordx2 v[26:27], v[24:25]
	s_or_b64 exec, exec, s[2:3]
	s_and_b64 s[4:5], s[6:7], s[10:11]
	s_and_saveexec_b64 s[2:3], s[4:5]
	s_cbranch_execz .LBB116_346
.LBB116_356:
	s_and_b64 vcc, exec, s[0:1]
	s_cbranch_vccnz .LBB116_358
; %bb.357:
	v_lshl_add_u64 v[24:25], v[164:165], 3, v[42:43]
	flat_load_dwordx2 v[24:25], v[24:25]
	s_waitcnt vmcnt(0) lgkmcnt(0)
	v_mul_f64 v[24:25], s[14:15], v[24:25]
	v_cvt_f32_f64_e32 v24, v[24:25]
	s_branch .LBB116_359
.LBB116_358:
	v_mov_b32_e32 v24, 0
.LBB116_359:
	s_waitcnt lgkmcnt(0)
	v_add_f64 v[22:23], v[22:23], v[18:19]
	v_add_f64 v[20:21], v[20:21], v[16:17]
	v_add_f64 v[14:15], v[14:15], v[10:11]
	v_add_f64 v[12:13], v[12:13], v[8:9]
	v_cvt_f32_f64_e32 v20, v[20:21]
	v_cvt_f32_f64_e32 v21, v[22:23]
	v_cvt_f32_f64_e32 v12, v[12:13]
	v_cvt_f32_f64_e32 v13, v[14:15]
	v_min3_f32 v20, v20, v21, v179
	v_min_f32_e32 v12, v12, v13
	v_min3_f32 v12, v24, v12, v20
	v_cvt_f64_f32_e32 v[12:13], v12
	v_lshl_add_u64 v[14:15], v[164:165], 3, v[40:41]
	flat_store_dwordx2 v[14:15], v[12:13]
	s_or_b64 exec, exec, s[2:3]
	s_and_b64 s[2:3], s[8:9], s[10:11]
	s_and_saveexec_b64 s[4:5], s[2:3]
	s_cbranch_execz .LBB116_347
.LBB116_360:
	s_and_b64 vcc, exec, s[0:1]
	s_cbranch_vccnz .LBB116_362
; %bb.361:
	v_lshl_add_u64 v[12:13], v[166:167], 3, v[42:43]
	flat_load_dwordx2 v[12:13], v[12:13]
	s_waitcnt vmcnt(0) lgkmcnt(0)
	v_mul_f64 v[12:13], s[14:15], v[12:13]
	v_cvt_f32_f64_e32 v12, v[12:13]
	s_branch .LBB116_363
.LBB116_362:
	v_mov_b32_e32 v12, 0
.LBB116_363:
	s_waitcnt lgkmcnt(0)
	v_add_f64 v[6:7], v[6:7], v[18:19]
	v_add_f64 v[4:5], v[4:5], v[16:17]
	;; [unrolled: 1-line block ×4, first 2 shown]
	v_cvt_f32_f64_e32 v4, v[4:5]
	v_cvt_f32_f64_e32 v5, v[6:7]
	;; [unrolled: 1-line block ×4, first 2 shown]
	v_min3_f32 v4, v4, v5, v178
	v_min_f32_e32 v0, v0, v1
	v_min3_f32 v0, v12, v0, v4
	v_cvt_f64_f32_e32 v[0:1], v0
	v_lshl_add_u64 v[2:3], v[166:167], 3, v[40:41]
	flat_store_dwordx2 v[2:3], v[0:1]
	s_endpgm
	.section	.rodata,"a",@progbits
	.p2align	6, 0x0
	.amdhsa_kernel _ZN12_GLOBAL__N_120geam_min_plus_kernelId15HIP_vector_typeIdLj2EEdLi32ELi8ELi128ELi128ELi4ELi4ELi64ELi4ELi64ELc84ELc78ELb0ELb1ELb1EdKPKdKPdEEviiiT16_PT17_ilSA_ilS8_SA_ilPT18_ili26rocblas_geam_ex_operation_
		.amdhsa_group_segment_fixed_size 16384
		.amdhsa_private_segment_fixed_size 0
		.amdhsa_kernarg_size 136
		.amdhsa_user_sgpr_count 2
		.amdhsa_user_sgpr_dispatch_ptr 0
		.amdhsa_user_sgpr_queue_ptr 0
		.amdhsa_user_sgpr_kernarg_segment_ptr 1
		.amdhsa_user_sgpr_dispatch_id 0
		.amdhsa_user_sgpr_kernarg_preload_length 0
		.amdhsa_user_sgpr_kernarg_preload_offset 0
		.amdhsa_user_sgpr_private_segment_size 0
		.amdhsa_uses_dynamic_stack 0
		.amdhsa_enable_private_segment 0
		.amdhsa_system_sgpr_workgroup_id_x 1
		.amdhsa_system_sgpr_workgroup_id_y 0
		.amdhsa_system_sgpr_workgroup_id_z 1
		.amdhsa_system_sgpr_workgroup_info 0
		.amdhsa_system_vgpr_workitem_id 1
		.amdhsa_next_free_vgpr 256
		.amdhsa_next_free_sgpr 40
		.amdhsa_accum_offset 256
		.amdhsa_reserve_vcc 1
		.amdhsa_float_round_mode_32 0
		.amdhsa_float_round_mode_16_64 0
		.amdhsa_float_denorm_mode_32 3
		.amdhsa_float_denorm_mode_16_64 3
		.amdhsa_dx10_clamp 1
		.amdhsa_ieee_mode 1
		.amdhsa_fp16_overflow 0
		.amdhsa_tg_split 0
		.amdhsa_exception_fp_ieee_invalid_op 0
		.amdhsa_exception_fp_denorm_src 0
		.amdhsa_exception_fp_ieee_div_zero 0
		.amdhsa_exception_fp_ieee_overflow 0
		.amdhsa_exception_fp_ieee_underflow 0
		.amdhsa_exception_fp_ieee_inexact 0
		.amdhsa_exception_int_div_zero 0
	.end_amdhsa_kernel
	.section	.text._ZN12_GLOBAL__N_120geam_min_plus_kernelId15HIP_vector_typeIdLj2EEdLi32ELi8ELi128ELi128ELi4ELi4ELi64ELi4ELi64ELc84ELc78ELb0ELb1ELb1EdKPKdKPdEEviiiT16_PT17_ilSA_ilS8_SA_ilPT18_ili26rocblas_geam_ex_operation_,"axG",@progbits,_ZN12_GLOBAL__N_120geam_min_plus_kernelId15HIP_vector_typeIdLj2EEdLi32ELi8ELi128ELi128ELi4ELi4ELi64ELi4ELi64ELc84ELc78ELb0ELb1ELb1EdKPKdKPdEEviiiT16_PT17_ilSA_ilS8_SA_ilPT18_ili26rocblas_geam_ex_operation_,comdat
.Lfunc_end116:
	.size	_ZN12_GLOBAL__N_120geam_min_plus_kernelId15HIP_vector_typeIdLj2EEdLi32ELi8ELi128ELi128ELi4ELi4ELi64ELi4ELi64ELc84ELc78ELb0ELb1ELb1EdKPKdKPdEEviiiT16_PT17_ilSA_ilS8_SA_ilPT18_ili26rocblas_geam_ex_operation_, .Lfunc_end116-_ZN12_GLOBAL__N_120geam_min_plus_kernelId15HIP_vector_typeIdLj2EEdLi32ELi8ELi128ELi128ELi4ELi4ELi64ELi4ELi64ELc84ELc78ELb0ELb1ELb1EdKPKdKPdEEviiiT16_PT17_ilSA_ilS8_SA_ilPT18_ili26rocblas_geam_ex_operation_
                                        ; -- End function
	.set _ZN12_GLOBAL__N_120geam_min_plus_kernelId15HIP_vector_typeIdLj2EEdLi32ELi8ELi128ELi128ELi4ELi4ELi64ELi4ELi64ELc84ELc78ELb0ELb1ELb1EdKPKdKPdEEviiiT16_PT17_ilSA_ilS8_SA_ilPT18_ili26rocblas_geam_ex_operation_.num_vgpr, 256
	.set _ZN12_GLOBAL__N_120geam_min_plus_kernelId15HIP_vector_typeIdLj2EEdLi32ELi8ELi128ELi128ELi4ELi4ELi64ELi4ELi64ELc84ELc78ELb0ELb1ELb1EdKPKdKPdEEviiiT16_PT17_ilSA_ilS8_SA_ilPT18_ili26rocblas_geam_ex_operation_.num_agpr, 0
	.set _ZN12_GLOBAL__N_120geam_min_plus_kernelId15HIP_vector_typeIdLj2EEdLi32ELi8ELi128ELi128ELi4ELi4ELi64ELi4ELi64ELc84ELc78ELb0ELb1ELb1EdKPKdKPdEEviiiT16_PT17_ilSA_ilS8_SA_ilPT18_ili26rocblas_geam_ex_operation_.numbered_sgpr, 40
	.set _ZN12_GLOBAL__N_120geam_min_plus_kernelId15HIP_vector_typeIdLj2EEdLi32ELi8ELi128ELi128ELi4ELi4ELi64ELi4ELi64ELc84ELc78ELb0ELb1ELb1EdKPKdKPdEEviiiT16_PT17_ilSA_ilS8_SA_ilPT18_ili26rocblas_geam_ex_operation_.num_named_barrier, 0
	.set _ZN12_GLOBAL__N_120geam_min_plus_kernelId15HIP_vector_typeIdLj2EEdLi32ELi8ELi128ELi128ELi4ELi4ELi64ELi4ELi64ELc84ELc78ELb0ELb1ELb1EdKPKdKPdEEviiiT16_PT17_ilSA_ilS8_SA_ilPT18_ili26rocblas_geam_ex_operation_.private_seg_size, 0
	.set _ZN12_GLOBAL__N_120geam_min_plus_kernelId15HIP_vector_typeIdLj2EEdLi32ELi8ELi128ELi128ELi4ELi4ELi64ELi4ELi64ELc84ELc78ELb0ELb1ELb1EdKPKdKPdEEviiiT16_PT17_ilSA_ilS8_SA_ilPT18_ili26rocblas_geam_ex_operation_.uses_vcc, 1
	.set _ZN12_GLOBAL__N_120geam_min_plus_kernelId15HIP_vector_typeIdLj2EEdLi32ELi8ELi128ELi128ELi4ELi4ELi64ELi4ELi64ELc84ELc78ELb0ELb1ELb1EdKPKdKPdEEviiiT16_PT17_ilSA_ilS8_SA_ilPT18_ili26rocblas_geam_ex_operation_.uses_flat_scratch, 0
	.set _ZN12_GLOBAL__N_120geam_min_plus_kernelId15HIP_vector_typeIdLj2EEdLi32ELi8ELi128ELi128ELi4ELi4ELi64ELi4ELi64ELc84ELc78ELb0ELb1ELb1EdKPKdKPdEEviiiT16_PT17_ilSA_ilS8_SA_ilPT18_ili26rocblas_geam_ex_operation_.has_dyn_sized_stack, 0
	.set _ZN12_GLOBAL__N_120geam_min_plus_kernelId15HIP_vector_typeIdLj2EEdLi32ELi8ELi128ELi128ELi4ELi4ELi64ELi4ELi64ELc84ELc78ELb0ELb1ELb1EdKPKdKPdEEviiiT16_PT17_ilSA_ilS8_SA_ilPT18_ili26rocblas_geam_ex_operation_.has_recursion, 0
	.set _ZN12_GLOBAL__N_120geam_min_plus_kernelId15HIP_vector_typeIdLj2EEdLi32ELi8ELi128ELi128ELi4ELi4ELi64ELi4ELi64ELc84ELc78ELb0ELb1ELb1EdKPKdKPdEEviiiT16_PT17_ilSA_ilS8_SA_ilPT18_ili26rocblas_geam_ex_operation_.has_indirect_call, 0
	.section	.AMDGPU.csdata,"",@progbits
; Kernel info:
; codeLenInByte = 27176
; TotalNumSgprs: 46
; NumVgprs: 256
; NumAgprs: 0
; TotalNumVgprs: 256
; ScratchSize: 0
; MemoryBound: 0
; FloatMode: 240
; IeeeMode: 1
; LDSByteSize: 16384 bytes/workgroup (compile time only)
; SGPRBlocks: 5
; VGPRBlocks: 31
; NumSGPRsForWavesPerEU: 46
; NumVGPRsForWavesPerEU: 256
; AccumOffset: 256
; Occupancy: 2
; WaveLimiterHint : 1
; COMPUTE_PGM_RSRC2:SCRATCH_EN: 0
; COMPUTE_PGM_RSRC2:USER_SGPR: 2
; COMPUTE_PGM_RSRC2:TRAP_HANDLER: 0
; COMPUTE_PGM_RSRC2:TGID_X_EN: 1
; COMPUTE_PGM_RSRC2:TGID_Y_EN: 0
; COMPUTE_PGM_RSRC2:TGID_Z_EN: 1
; COMPUTE_PGM_RSRC2:TIDIG_COMP_CNT: 1
; COMPUTE_PGM_RSRC3_GFX90A:ACCUM_OFFSET: 63
; COMPUTE_PGM_RSRC3_GFX90A:TG_SPLIT: 0
	.section	.text._ZN12_GLOBAL__N_120geam_min_plus_kernelId15HIP_vector_typeIdLj2EEdLi8ELi32ELi64ELi256ELi4ELi64ELi4ELi64ELi4ELc78ELc84ELb0ELb0ELb1EPKdKS4_KPdEEviiiT16_PT17_ilSA_ilS8_SA_ilPT18_ili26rocblas_geam_ex_operation_,"axG",@progbits,_ZN12_GLOBAL__N_120geam_min_plus_kernelId15HIP_vector_typeIdLj2EEdLi8ELi32ELi64ELi256ELi4ELi64ELi4ELi64ELi4ELc78ELc84ELb0ELb0ELb1EPKdKS4_KPdEEviiiT16_PT17_ilSA_ilS8_SA_ilPT18_ili26rocblas_geam_ex_operation_,comdat
	.globl	_ZN12_GLOBAL__N_120geam_min_plus_kernelId15HIP_vector_typeIdLj2EEdLi8ELi32ELi64ELi256ELi4ELi64ELi4ELi64ELi4ELc78ELc84ELb0ELb0ELb1EPKdKS4_KPdEEviiiT16_PT17_ilSA_ilS8_SA_ilPT18_ili26rocblas_geam_ex_operation_ ; -- Begin function _ZN12_GLOBAL__N_120geam_min_plus_kernelId15HIP_vector_typeIdLj2EEdLi8ELi32ELi64ELi256ELi4ELi64ELi4ELi64ELi4ELc78ELc84ELb0ELb0ELb1EPKdKS4_KPdEEviiiT16_PT17_ilSA_ilS8_SA_ilPT18_ili26rocblas_geam_ex_operation_
	.p2align	8
	.type	_ZN12_GLOBAL__N_120geam_min_plus_kernelId15HIP_vector_typeIdLj2EEdLi8ELi32ELi64ELi256ELi4ELi64ELi4ELi64ELi4ELc78ELc84ELb0ELb0ELb1EPKdKS4_KPdEEviiiT16_PT17_ilSA_ilS8_SA_ilPT18_ili26rocblas_geam_ex_operation_,@function
_ZN12_GLOBAL__N_120geam_min_plus_kernelId15HIP_vector_typeIdLj2EEdLi8ELi32ELi64ELi256ELi4ELi64ELi4ELi64ELi4ELc78ELc84ELb0ELb0ELb1EPKdKS4_KPdEEviiiT16_PT17_ilSA_ilS8_SA_ilPT18_ili26rocblas_geam_ex_operation_: ; @_ZN12_GLOBAL__N_120geam_min_plus_kernelId15HIP_vector_typeIdLj2EEdLi8ELi32ELi64ELi256ELi4ELi64ELi4ELi64ELi4ELc78ELc84ELb0ELb0ELb1EPKdKS4_KPdEEviiiT16_PT17_ilSA_ilS8_SA_ilPT18_ili26rocblas_geam_ex_operation_
; %bb.0:
	s_load_dwordx4 s[4:7], s[0:1], 0x10
	s_load_dwordx4 s[12:15], s[0:1], 0x28
	;; [unrolled: 1-line block ×3, first 2 shown]
	s_mov_b32 s16, s3
	s_mov_b32 s17, 0
	s_lshl_b64 s[26:27], s[16:17], 3
	s_waitcnt lgkmcnt(0)
	s_add_u32 s4, s4, s26
	s_addc_u32 s5, s5, s27
	s_load_dwordx2 s[18:19], s[4:5], 0x0
	s_load_dwordx2 s[24:25], s[0:1], 0x50
	s_add_u32 s10, s10, s26
	s_addc_u32 s11, s11, s27
	s_mov_b64 s[20:21], 0
	s_waitcnt lgkmcnt(0)
	v_cmp_eq_f64_e64 s[4:5], s[18:19], 0
	s_and_b64 s[4:5], exec, s[4:5]
	v_cmp_neq_f64_e64 s[16:17], s[18:19], 0
	s_mov_b64 s[22:23], 0
	s_mov_b64 vcc, s[4:5]
	s_cbranch_vccnz .LBB117_2
; %bb.1:
	s_add_u32 s6, s6, s26
	s_addc_u32 s7, s7, s27
	s_load_dwordx2 s[6:7], s[6:7], 0x0
	s_lshl_b64 s[12:13], s[12:13], 3
	s_waitcnt lgkmcnt(0)
	s_add_u32 s22, s6, s12
	s_addc_u32 s23, s7, s13
.LBB117_2:
	s_load_dwordx2 s[10:11], s[10:11], 0x0
	v_cndmask_b32_e64 v1, 0, 1, s[16:17]
	v_cmp_ne_u32_e64 s[6:7], 1, v1
	s_andn2_b64 vcc, exec, s[16:17]
	s_cbranch_vccnz .LBB117_4
; %bb.3:
	s_add_u32 s12, s14, s26
	s_addc_u32 s13, s15, s27
	s_load_dwordx2 s[12:13], s[12:13], 0x0
	s_lshl_b64 s[8:9], s[8:9], 3
	s_waitcnt lgkmcnt(0)
	s_add_u32 s20, s12, s8
	s_addc_u32 s21, s13, s9
.LBB117_4:
	s_load_dwordx4 s[12:15], s[0:1], 0x60
	s_waitcnt lgkmcnt(0)
	v_cmp_eq_f64_e64 s[8:9], s[10:11], 0
	s_and_b64 s[8:9], exec, s[8:9]
	s_mov_b64 s[16:17], 0
	s_mov_b64 vcc, s[8:9]
	s_cbranch_vccnz .LBB117_6
; %bb.5:
	s_add_u32 s16, s24, s26
	s_addc_u32 s17, s25, s27
	s_load_dwordx2 s[16:17], s[16:17], 0x0
	s_lshl_b64 s[12:13], s[12:13], 3
	s_waitcnt lgkmcnt(0)
	s_add_u32 s16, s16, s12
	s_addc_u32 s17, s17, s13
.LBB117_6:
	s_load_dword s24, s[0:1], 0x20
	s_load_dword s3, s[0:1], 0x0
	v_and_b32_e32 v156, 0x3ff, v0
	v_bfe_u32 v157, v0, 10, 10
	v_lshl_add_u32 v3, v157, 3, v156
	s_waitcnt lgkmcnt(0)
	s_ashr_i32 s25, s24, 31
	s_add_u32 s26, s14, s26
	s_addc_u32 s27, s15, s27
	s_add_i32 s3, s3, -1
	s_ashr_i32 s12, s3, 31
	s_lshr_b32 s12, s12, 26
	s_add_i32 s3, s3, s12
	s_ashr_i32 s3, s3, 6
	s_add_i32 s13, s3, 1
	v_cvt_f32_u32_e32 v1, s13
	s_not_b32 s3, s3
	v_and_b32_e32 v111, 63, v3
	v_lshrrev_b32_e32 v110, 6, v3
	v_rcp_iflag_f32_e32 v2, v1
	v_mov_b64_e32 v[0:1], 0
	v_mul_f32_e32 v2, 0x4f7ffffe, v2
	v_cvt_u32_f32_e32 v2, v2
	s_nop 0
	v_readfirstlane_b32 s12, v2
	s_mul_i32 s3, s3, s12
	s_mul_hi_u32 s3, s12, s3
	s_add_i32 s12, s12, s3
	s_mul_hi_u32 s3, s2, s12
	s_mul_i32 s12, s3, s13
	s_sub_i32 s12, s2, s12
	s_add_i32 s14, s3, 1
	s_sub_i32 s15, s12, s13
	s_cmp_ge_u32 s12, s13
	s_cselect_b32 s3, s14, s3
	s_cselect_b32 s12, s15, s12
	s_add_i32 s14, s3, 1
	s_cmp_ge_u32 s12, s13
	s_cselect_b32 s12, s14, s3
	s_mul_i32 s3, s12, s13
	s_sub_i32 s13, s2, s3
	s_lshl_b32 s28, s13, 6
	v_or_b32_e32 v12, s28, v111
	s_and_b64 vcc, exec, s[6:7]
	v_ashrrev_i32_e32 v13, 31, v12
	v_mov_b64_e32 v[2:3], 0
	s_cbranch_vccnz .LBB117_8
; %bb.7:
	v_mad_i64_i32 v[2:3], s[14:15], s24, v110, 0
	v_lshl_add_u64 v[2:3], v[2:3], 3, s[22:23]
	v_lshl_add_u64 v[2:3], v[12:13], 3, v[2:3]
	flat_load_dwordx2 v[2:3], v[2:3]
	s_waitcnt vmcnt(0) lgkmcnt(0)
	v_mul_f64 v[2:3], s[18:19], v[2:3]
.LBB117_8:
	s_load_dword s14, s[0:1], 0x38
	s_lshl_b32 s29, s12, 8
	v_or_b32_e32 v6, s29, v111
	s_and_b64 vcc, exec, s[6:7]
	v_ashrrev_i32_e32 v7, 31, v6
	s_waitcnt lgkmcnt(0)
	v_mad_i64_i32 v[4:5], s[12:13], v110, s14, 0
	v_lshl_add_u64 v[14:15], v[4:5], 3, s[20:21]
	v_mov_b64_e32 v[4:5], 0
	s_cbranch_vccnz .LBB117_10
; %bb.9:
	v_lshl_add_u64 v[0:1], v[6:7], 3, v[14:15]
	flat_load_dwordx2 v[4:5], v[0:1]
	flat_load_dwordx2 v[8:9], v[0:1] offset:512
	s_waitcnt vmcnt(0) lgkmcnt(0)
	v_mul_f64 v[4:5], s[18:19], v[4:5]
	v_mul_f64 v[0:1], s[18:19], v[8:9]
.LBB117_10:
	s_ashr_i32 s15, s14, 31
	s_mov_b64 vcc, s[4:5]
	s_cbranch_vccz .LBB117_12
; %bb.11:
	s_mov_b32 s12, 0
	v_mov_b32_e32 v8, s12
	v_mov_b32_e32 v9, s12
	v_mov_b64_e32 v[100:101], 0
	v_mov_b64_e32 v[10:11], 0
	s_cbranch_execz .LBB117_13
	s_branch .LBB117_14
.LBB117_12:
                                        ; implicit-def: $vgpr8_vgpr9
	v_mov_b64_e32 v[100:101], 0
	v_mov_b64_e32 v[10:11], 0
.LBB117_13:
	v_lshl_add_u64 v[8:9], v[6:7], 3, v[14:15]
	flat_load_dwordx2 v[10:11], v[8:9] offset:1024
	flat_load_dwordx2 v[14:15], v[8:9] offset:1536
	s_waitcnt vmcnt(0) lgkmcnt(0)
	v_mul_f64 v[8:9], s[18:19], v[10:11]
	v_mul_f64 v[10:11], s[18:19], v[14:15]
.LBB117_14:
	s_and_b64 vcc, exec, s[6:7]
	v_add_u32_e32 v14, 4, v110
	s_cbranch_vccnz .LBB117_16
; %bb.15:
	v_mad_i64_i32 v[16:17], s[12:13], s24, v14, 0
	v_lshl_add_u64 v[16:17], v[16:17], 3, s[22:23]
	v_lshl_add_u64 v[12:13], v[12:13], 3, v[16:17]
	flat_load_dwordx2 v[12:13], v[12:13]
	s_waitcnt vmcnt(0) lgkmcnt(0)
	v_mul_f64 v[100:101], s[18:19], v[12:13]
.LBB117_16:
	v_mad_i64_i32 v[12:13], s[12:13], v14, s14, 0
	s_and_b64 vcc, exec, s[6:7]
	v_lshl_add_u64 v[12:13], v[12:13], 3, s[20:21]
	s_cbranch_vccnz .LBB117_19
; %bb.17:
	v_lshl_add_u64 v[14:15], v[6:7], 3, v[12:13]
	flat_load_dwordx2 v[16:17], v[14:15]
	flat_load_dwordx2 v[18:19], v[14:15] offset:512
	s_waitcnt vmcnt(0) lgkmcnt(0)
	v_mul_f64 v[104:105], s[18:19], v[16:17]
	v_mul_f64 v[102:103], s[18:19], v[18:19]
	s_mov_b64 vcc, s[4:5]
	s_cbranch_vccz .LBB117_20
.LBB117_18:
	s_mov_b32 s12, 0
	v_mov_b32_e32 v106, s12
	v_mov_b32_e32 v107, s12
	v_mov_b64_e32 v[108:109], 0
	s_cbranch_execz .LBB117_21
	s_branch .LBB117_22
.LBB117_19:
	v_mov_b64_e32 v[102:103], 0
	v_mov_b64_e32 v[104:105], v[102:103]
	s_mov_b64 vcc, s[4:5]
	s_cbranch_vccnz .LBB117_18
.LBB117_20:
                                        ; implicit-def: $vgpr106_vgpr107
	v_mov_b64_e32 v[108:109], 0
.LBB117_21:
	v_lshl_add_u64 v[6:7], v[6:7], 3, v[12:13]
	flat_load_dwordx2 v[12:13], v[6:7] offset:1024
	flat_load_dwordx2 v[14:15], v[6:7] offset:1536
	s_waitcnt vmcnt(0) lgkmcnt(0)
	v_mul_f64 v[106:107], s[18:19], v[12:13]
	v_mul_f64 v[108:109], s[18:19], v[14:15]
.LBB117_22:
	v_lshlrev_b32_e32 v6, 5, v111
	v_lshl_add_u32 v163, v110, 3, v6
	v_lshlrev_b32_e32 v159, 5, v156
	s_load_dwordx2 s[12:13], s[26:27], 0x0
	s_load_dword s30, s[0:1], 0x8
	ds_write_b64 v163, v[2:3] offset:16384
	ds_write2st64_b64 v163, v[4:5], v[0:1] offset1:4
	ds_write2st64_b64 v163, v[8:9], v[10:11] offset0:8 offset1:12
	s_waitcnt lgkmcnt(0)
	s_barrier
	v_lshlrev_b32_e32 v158, 5, v157
	ds_read_b128 v[32:35], v159 offset:16640
	ds_read_b128 v[28:31], v159 offset:16896
	;; [unrolled: 1-line block ×13, first 2 shown]
	ds_read_b128 v[96:99], v158
	ds_read_b128 v[44:47], v158 offset:6144
	ds_read_b128 v[36:39], v158 offset:7168
	ds_read_b128 v[0:3], v159 offset:16400
	ds_read_b128 v[4:7], v158 offset:16
	s_waitcnt lgkmcnt(5)
	v_add_f64 v[114:115], v[42:43], v[94:95]
	v_add_f64 v[116:117], v[40:41], v[92:93]
	s_mov_b32 s26, 0x7f800000
	v_cvt_f32_f64_e32 v113, v[116:117]
	v_cvt_f32_f64_e32 v114, v[114:115]
	v_min3_f32 v175, v113, v114, s26
	v_add_f64 v[114:115], v[34:35], v[94:95]
	v_add_f64 v[116:117], v[32:33], v[92:93]
	v_cvt_f32_f64_e32 v113, v[116:117]
	v_cvt_f32_f64_e32 v114, v[114:115]
	v_min3_f32 v176, v113, v114, s26
	v_add_f64 v[114:115], v[30:31], v[94:95]
	v_add_f64 v[116:117], v[28:29], v[92:93]
	;; [unrolled: 5-line block ×34, first 2 shown]
	v_cvt_f32_f64_e32 v113, v[116:117]
	v_cvt_f32_f64_e32 v114, v[114:115]
	v_min3_f32 v119, v113, v114, s26
	s_waitcnt lgkmcnt(3)
	v_add_f64 v[114:115], v[42:43], v[46:47]
	v_add_f64 v[164:165], v[40:41], v[44:45]
	v_cvt_f32_f64_e32 v113, v[164:165]
	v_cvt_f32_f64_e32 v114, v[114:115]
	v_min3_f32 v125, v113, v114, s26
	v_add_f64 v[114:115], v[34:35], v[46:47]
	v_add_f64 v[164:165], v[32:33], v[44:45]
	v_cvt_f32_f64_e32 v113, v[164:165]
	v_cvt_f32_f64_e32 v114, v[114:115]
	v_min3_f32 v122, v113, v114, s26
	v_add_f64 v[114:115], v[30:31], v[46:47]
	v_add_f64 v[164:165], v[28:29], v[44:45]
	v_cvt_f32_f64_e32 v113, v[164:165]
	v_cvt_f32_f64_e32 v114, v[114:115]
	v_add_f64 v[56:57], v[42:43], v[98:99]
	v_add_f64 v[58:59], v[40:41], v[96:97]
	v_min3_f32 v120, v113, v114, s26
	v_add_f64 v[114:115], v[26:27], v[46:47]
	v_add_f64 v[164:165], v[24:25], v[44:45]
	v_cvt_f32_f64_e32 v58, v[58:59]
	v_cvt_f32_f64_e32 v56, v[56:57]
	v_cvt_f32_f64_e32 v113, v[164:165]
	v_cvt_f32_f64_e32 v114, v[114:115]
	v_min3_f32 v112, v58, v56, s26
	ds_read_b128 v[56:59], v159 offset:16656
	v_add_f64 v[60:61], v[34:35], v[98:99]
	v_add_f64 v[62:63], v[32:33], v[96:97]
	v_min3_f32 v118, v113, v114, s26
	v_add_f64 v[114:115], v[22:23], v[46:47]
	v_add_f64 v[164:165], v[20:21], v[44:45]
	v_cvt_f32_f64_e32 v62, v[62:63]
	v_cvt_f32_f64_e32 v60, v[60:61]
	;; [unrolled: 1-line block ×4, first 2 shown]
	v_add_f64 v[164:165], v[16:17], v[44:45]
	v_min3_f32 v168, v62, v60, s26
	ds_read_b128 v[60:63], v159 offset:16912
	v_add_f64 v[64:65], v[30:31], v[98:99]
	v_add_f64 v[66:67], v[28:29], v[96:97]
	;; [unrolled: 1-line block ×22, first 2 shown]
	v_min3_f32 v116, v113, v114, s26
	v_add_f64 v[114:115], v[18:19], v[46:47]
	v_cvt_f32_f64_e32 v113, v[164:165]
	v_add_f64 v[164:165], v[14:15], v[46:47]
	v_add_f64 v[166:167], v[12:13], v[44:45]
	;; [unrolled: 1-line block ×4, first 2 shown]
	s_waitcnt lgkmcnt(4)
	v_add_f64 v[14:15], v[14:15], v[38:39]
	v_add_f64 v[12:13], v[12:13], v[36:37]
	;; [unrolled: 1-line block ×4, first 2 shown]
	v_cvt_f32_f64_e32 v66, v[66:67]
	v_cvt_f32_f64_e32 v64, v[64:65]
	;; [unrolled: 1-line block ×7, first 2 shown]
	s_waitcnt lgkmcnt(2)
	v_add_f64 v[10:11], v[2:3], v[6:7]
	v_add_f64 v[14:15], v[0:1], v[4:5]
	v_min3_f32 v169, v66, v64, s26
	ds_read_b128 v[64:67], v159 offset:17168
	v_min3_f32 v115, v113, v114, s26
	v_cvt_f32_f64_e32 v113, v[166:167]
	v_cvt_f32_f64_e32 v114, v[164:165]
	;; [unrolled: 1-line block ×4, first 2 shown]
	v_min3_f32 v8, v8, v9, s26
	v_cvt_f32_f64_e32 v9, v[14:15]
	v_cvt_f32_f64_e32 v10, v[10:11]
	;; [unrolled: 1-line block ×4, first 2 shown]
	v_min3_f32 v114, v113, v114, s26
	v_min3_f32 v113, v44, v45, s26
	ds_read_b128 v[44:47], v158 offset:7184
	v_min3_f32 v230, v9, v10, v112
	s_waitcnt lgkmcnt(3)
	v_add_f64 v[10:11], v[58:59], v[6:7]
	v_add_f64 v[14:15], v[56:57], v[4:5]
	v_min3_f32 v170, v70, v68, s26
	ds_read_b128 v[68:71], v159 offset:17424
	v_cvt_f32_f64_e32 v9, v[14:15]
	v_cvt_f32_f64_e32 v10, v[10:11]
	;; [unrolled: 1-line block ×4, first 2 shown]
	v_min3_f32 v228, v9, v10, v168
	s_waitcnt lgkmcnt(3)
	v_add_f64 v[10:11], v[62:63], v[6:7]
	v_add_f64 v[14:15], v[60:61], v[4:5]
	v_min3_f32 v171, v74, v72, s26
	ds_read_b128 v[72:75], v159 offset:17680
	v_cvt_f32_f64_e32 v9, v[14:15]
	v_cvt_f32_f64_e32 v10, v[10:11]
	;; [unrolled: 1-line block ×6, first 2 shown]
	v_min3_f32 v229, v9, v10, v169
	s_waitcnt lgkmcnt(3)
	v_add_f64 v[10:11], v[66:67], v[6:7]
	v_add_f64 v[14:15], v[64:65], v[4:5]
	v_min3_f32 v172, v78, v76, s26
	ds_read_b128 v[76:79], v159 offset:17936
	v_min3_f32 v173, v82, v80, s26
	ds_read_b128 v[80:83], v159 offset:18192
	v_cvt_f32_f64_e32 v9, v[14:15]
	v_cvt_f32_f64_e32 v10, v[10:11]
	;; [unrolled: 1-line block ×4, first 2 shown]
	v_min3_f32 v226, v9, v10, v170
	s_waitcnt lgkmcnt(3)
	v_add_f64 v[10:11], v[70:71], v[6:7]
	v_add_f64 v[14:15], v[68:69], v[4:5]
	v_min3_f32 v174, v96, v97, s26
	ds_read_b128 v[96:99], v158 offset:1040
	v_cvt_f32_f64_e32 v9, v[14:15]
	v_cvt_f32_f64_e32 v10, v[10:11]
	v_min3_f32 v227, v9, v10, v171
	s_waitcnt lgkmcnt(3)
	v_add_f64 v[10:11], v[74:75], v[6:7]
	v_add_f64 v[14:15], v[72:73], v[4:5]
	v_cvt_f32_f64_e32 v9, v[14:15]
	v_cvt_f32_f64_e32 v10, v[10:11]
	v_min3_f32 v224, v9, v10, v172
	s_waitcnt lgkmcnt(2)
	v_add_f64 v[10:11], v[78:79], v[6:7]
	v_add_f64 v[14:15], v[76:77], v[4:5]
	s_waitcnt lgkmcnt(1)
	v_add_f64 v[6:7], v[82:83], v[6:7]
	v_add_f64 v[4:5], v[80:81], v[4:5]
	v_cvt_f32_f64_e32 v92, v[92:93]
	v_cvt_f32_f64_e32 v93, v[94:95]
	;; [unrolled: 1-line block ×4, first 2 shown]
	v_min3_f32 v148, v92, v93, s26
	ds_read_b128 v[92:95], v158 offset:2064
	v_min3_f32 v217, v4, v5, v174
	s_waitcnt lgkmcnt(1)
	v_add_f64 v[4:5], v[2:3], v[98:99]
	v_add_f64 v[6:7], v[0:1], v[96:97]
	v_cvt_f32_f64_e32 v6, v[6:7]
	v_cvt_f32_f64_e32 v4, v[4:5]
	v_min3_f32 v216, v6, v4, v175
	v_add_f64 v[4:5], v[58:59], v[98:99]
	v_add_f64 v[6:7], v[56:57], v[96:97]
	v_cvt_f32_f64_e32 v6, v[6:7]
	v_cvt_f32_f64_e32 v4, v[4:5]
	v_min3_f32 v215, v6, v4, v176
	;; [unrolled: 5-line block ×8, first 2 shown]
	s_waitcnt lgkmcnt(0)
	v_add_f64 v[4:5], v[2:3], v[94:95]
	v_add_f64 v[6:7], v[0:1], v[92:93]
	v_cvt_f32_f64_e32 v6, v[6:7]
	v_cvt_f32_f64_e32 v4, v[4:5]
	v_min3_f32 v208, v6, v4, v160
	v_add_f64 v[4:5], v[58:59], v[94:95]
	v_add_f64 v[6:7], v[56:57], v[92:93]
	v_cvt_f32_f64_e32 v6, v[6:7]
	v_cvt_f32_f64_e32 v4, v[4:5]
	v_min3_f32 v207, v6, v4, v154
	;; [unrolled: 5-line block ×4, first 2 shown]
	v_add_f64 v[4:5], v[70:71], v[94:95]
	v_add_f64 v[6:7], v[68:69], v[92:93]
	v_cvt_f32_f64_e32 v6, v[6:7]
	v_cvt_f32_f64_e32 v4, v[4:5]
	;; [unrolled: 1-line block ×4, first 2 shown]
	v_min3_f32 v204, v6, v4, v147
	v_add_f64 v[4:5], v[74:75], v[94:95]
	v_add_f64 v[6:7], v[72:73], v[92:93]
	v_min3_f32 v140, v88, v89, s26
	ds_read_b128 v[88:91], v158 offset:3088
	v_cvt_f32_f64_e32 v6, v[6:7]
	v_cvt_f32_f64_e32 v4, v[4:5]
	v_min3_f32 v203, v6, v4, v145
	v_add_f64 v[4:5], v[78:79], v[94:95]
	v_add_f64 v[6:7], v[76:77], v[92:93]
	v_cvt_f32_f64_e32 v6, v[6:7]
	v_cvt_f32_f64_e32 v4, v[4:5]
	v_min3_f32 v202, v6, v4, v143
	v_add_f64 v[4:5], v[82:83], v[94:95]
	v_add_f64 v[6:7], v[80:81], v[92:93]
	v_cvt_f32_f64_e32 v84, v[84:85]
	v_cvt_f32_f64_e32 v85, v[86:87]
	;; [unrolled: 1-line block ×4, first 2 shown]
	v_min3_f32 v132, v84, v85, s26
	ds_read_b128 v[84:87], v158 offset:4112
	v_min3_f32 v201, v6, v4, v140
	s_waitcnt lgkmcnt(1)
	v_add_f64 v[4:5], v[2:3], v[90:91]
	v_add_f64 v[6:7], v[0:1], v[88:89]
	v_cvt_f32_f64_e32 v6, v[6:7]
	v_cvt_f32_f64_e32 v4, v[4:5]
	v_min3_f32 v200, v6, v4, v149
	v_add_f64 v[4:5], v[58:59], v[90:91]
	v_add_f64 v[6:7], v[56:57], v[88:89]
	v_cvt_f32_f64_e32 v6, v[6:7]
	v_cvt_f32_f64_e32 v4, v[4:5]
	v_min3_f32 v199, v6, v4, v146
	;; [unrolled: 5-line block ×8, first 2 shown]
	s_waitcnt lgkmcnt(0)
	v_add_f64 v[4:5], v[2:3], v[86:87]
	v_add_f64 v[6:7], v[0:1], v[84:85]
	v_cvt_f32_f64_e32 v6, v[6:7]
	v_cvt_f32_f64_e32 v4, v[4:5]
	v_min3_f32 v192, v6, v4, v141
	v_add_f64 v[4:5], v[58:59], v[86:87]
	v_add_f64 v[6:7], v[56:57], v[84:85]
	v_cvt_f32_f64_e32 v6, v[6:7]
	v_cvt_f32_f64_e32 v4, v[4:5]
	v_min3_f32 v191, v6, v4, v138
	;; [unrolled: 5-line block ×4, first 2 shown]
	v_add_f64 v[4:5], v[70:71], v[86:87]
	v_add_f64 v[6:7], v[68:69], v[84:85]
	v_cvt_f32_f64_e32 v6, v[6:7]
	v_cvt_f32_f64_e32 v4, v[4:5]
	;; [unrolled: 1-line block ×4, first 2 shown]
	v_min3_f32 v188, v6, v4, v131
	v_add_f64 v[4:5], v[74:75], v[86:87]
	v_add_f64 v[6:7], v[72:73], v[84:85]
	v_min3_f32 v124, v52, v53, s26
	ds_read_b128 v[52:55], v158 offset:5136
	v_cvt_f32_f64_e32 v6, v[6:7]
	v_cvt_f32_f64_e32 v4, v[4:5]
	v_min3_f32 v187, v6, v4, v129
	v_add_f64 v[4:5], v[78:79], v[86:87]
	v_add_f64 v[6:7], v[76:77], v[84:85]
	v_cvt_f32_f64_e32 v6, v[6:7]
	v_cvt_f32_f64_e32 v4, v[4:5]
	v_min3_f32 v186, v6, v4, v127
	v_add_f64 v[4:5], v[82:83], v[86:87]
	v_add_f64 v[6:7], v[80:81], v[84:85]
	v_cvt_f32_f64_e32 v48, v[48:49]
	v_cvt_f32_f64_e32 v49, v[50:51]
	;; [unrolled: 1-line block ×4, first 2 shown]
	v_min3_f32 v117, v48, v49, s26
	ds_read_b128 v[48:51], v158 offset:6160
	v_min3_f32 v185, v6, v4, v124
	s_waitcnt lgkmcnt(1)
	v_add_f64 v[4:5], v[2:3], v[54:55]
	v_add_f64 v[6:7], v[0:1], v[52:53]
	v_cvt_f32_f64_e32 v6, v[6:7]
	v_cvt_f32_f64_e32 v4, v[4:5]
	v_min3_f32 v184, v6, v4, v133
	v_add_f64 v[4:5], v[58:59], v[54:55]
	v_add_f64 v[6:7], v[56:57], v[52:53]
	v_cvt_f32_f64_e32 v6, v[6:7]
	v_cvt_f32_f64_e32 v4, v[4:5]
	v_min3_f32 v183, v6, v4, v130
	;; [unrolled: 5-line block ×7, first 2 shown]
	v_add_f64 v[4:5], v[82:83], v[54:55]
	v_add_f64 v[6:7], v[80:81], v[52:53]
	;; [unrolled: 1-line block ×4, first 2 shown]
	v_cvt_f32_f64_e32 v6, v[6:7]
	v_cvt_f32_f64_e32 v4, v[4:5]
	;; [unrolled: 1-line block ×4, first 2 shown]
	v_min3_f32 v177, v6, v4, v117
	s_waitcnt lgkmcnt(0)
	v_add_f64 v[4:5], v[2:3], v[50:51]
	v_add_f64 v[6:7], v[0:1], v[48:49]
	;; [unrolled: 1-line block ×4, first 2 shown]
	v_min3_f32 v40, v40, v41, s26
	v_add_f64 v[34:35], v[34:35], v[38:39]
	v_add_f64 v[32:33], v[32:33], v[36:37]
	v_cvt_f32_f64_e32 v6, v[6:7]
	v_cvt_f32_f64_e32 v4, v[4:5]
	v_cvt_f32_f64_e32 v0, v[0:1]
	v_cvt_f32_f64_e32 v1, v[2:3]
	v_cvt_f32_f64_e32 v32, v[32:33]
	v_cvt_f32_f64_e32 v33, v[34:35]
	v_min3_f32 v176, v6, v4, v125
	v_add_f64 v[4:5], v[58:59], v[50:51]
	v_add_f64 v[6:7], v[56:57], v[48:49]
	v_min3_f32 v168, v0, v1, v40
	v_add_f64 v[0:1], v[58:59], v[46:47]
	v_add_f64 v[2:3], v[56:57], v[44:45]
	v_min3_f32 v32, v32, v33, s26
	v_add_f64 v[30:31], v[30:31], v[38:39]
	v_add_f64 v[28:29], v[28:29], v[36:37]
	v_cvt_f32_f64_e32 v6, v[6:7]
	v_cvt_f32_f64_e32 v4, v[4:5]
	v_cvt_f32_f64_e32 v2, v[2:3]
	v_cvt_f32_f64_e32 v0, v[0:1]
	v_cvt_f32_f64_e32 v28, v[28:29]
	v_cvt_f32_f64_e32 v29, v[30:31]
	v_min3_f32 v175, v6, v4, v122
	v_add_f64 v[4:5], v[62:63], v[50:51]
	v_add_f64 v[6:7], v[60:61], v[48:49]
	v_min3_f32 v167, v2, v0, v32
	v_add_f64 v[0:1], v[62:63], v[46:47]
	v_add_f64 v[2:3], v[60:61], v[44:45]
	;; [unrolled: 15-line block ×3, first 2 shown]
	v_min3_f32 v24, v24, v25, s26
	v_add_f64 v[22:23], v[22:23], v[38:39]
	v_add_f64 v[20:21], v[20:21], v[36:37]
	v_cvt_f32_f64_e32 v9, v[14:15]
	v_cvt_f32_f64_e32 v10, v[10:11]
	;; [unrolled: 1-line block ×8, first 2 shown]
	v_min3_f32 v225, v9, v10, v173
	v_min3_f32 v173, v6, v4, v118
	v_add_f64 v[4:5], v[70:71], v[50:51]
	v_add_f64 v[6:7], v[68:69], v[48:49]
	v_min3_f32 v165, v2, v0, v24
	v_add_f64 v[0:1], v[70:71], v[46:47]
	v_add_f64 v[2:3], v[68:69], v[44:45]
	;; [unrolled: 3-line block ×3, first 2 shown]
	v_cvt_f32_f64_e32 v6, v[6:7]
	v_cvt_f32_f64_e32 v4, v[4:5]
	v_cvt_f32_f64_e32 v2, v[2:3]
	v_cvt_f32_f64_e32 v0, v[0:1]
	v_cvt_f32_f64_e32 v16, v[16:17]
	v_cvt_f32_f64_e32 v17, v[18:19]
	v_min3_f32 v172, v6, v4, v116
	v_add_f64 v[4:5], v[74:75], v[50:51]
	v_add_f64 v[6:7], v[72:73], v[48:49]
	v_min3_f32 v164, v2, v0, v20
	v_add_f64 v[0:1], v[74:75], v[46:47]
	v_add_f64 v[2:3], v[72:73], v[44:45]
	v_min3_f32 v16, v16, v17, s26
	v_cvt_f32_f64_e32 v6, v[6:7]
	v_cvt_f32_f64_e32 v4, v[4:5]
	v_cvt_f32_f64_e32 v2, v[2:3]
	v_cvt_f32_f64_e32 v0, v[0:1]
	v_min3_f32 v171, v6, v4, v115
	v_add_f64 v[4:5], v[78:79], v[50:51]
	v_add_f64 v[6:7], v[76:77], v[48:49]
	v_min3_f32 v162, v2, v0, v16
	v_add_f64 v[0:1], v[78:79], v[46:47]
	v_add_f64 v[2:3], v[76:77], v[44:45]
	v_min3_f32 v12, v12, v13, s26
	v_cvt_f32_f64_e32 v6, v[6:7]
	v_cvt_f32_f64_e32 v4, v[4:5]
	;; [unrolled: 1-line block ×4, first 2 shown]
	v_min3_f32 v170, v6, v4, v114
	v_add_f64 v[4:5], v[82:83], v[50:51]
	v_add_f64 v[6:7], v[80:81], v[48:49]
	v_min3_f32 v161, v2, v0, v12
	v_add_f64 v[0:1], v[82:83], v[46:47]
	v_add_f64 v[2:3], v[80:81], v[44:45]
	v_cvt_f32_f64_e32 v6, v[6:7]
	v_cvt_f32_f64_e32 v4, v[4:5]
	;; [unrolled: 1-line block ×4, first 2 shown]
	v_min3_f32 v169, v6, v4, v113
	v_min3_f32 v160, v2, v0, v8
	s_cmp_lt_i32 s30, 9
	ds_write_b64 v163, v[100:101] offset:18432
	ds_write2st64_b64 v163, v[104:105], v[102:103] offset0:16 offset1:20
	ds_write2st64_b64 v163, v[106:107], v[108:109] offset0:24 offset1:28
	s_waitcnt lgkmcnt(0)
	s_barrier
	s_cbranch_scc1 .LBB117_45
; %bb.23:
	v_mov_b32_e32 v0, 0x4800
	v_lshl_add_u32 v222, v156, 5, v0
	v_mov_b32_e32 v0, 0x2000
	v_add_u32_e32 v2, 12, v110
	s_add_i32 s26, s30, -8
	v_lshl_add_u32 v223, v157, 5, v0
	v_mad_i64_i32 v[0:1], s[30:31], v2, s24, 0
	v_lshlrev_b64 v[136:137], 3, v[0:1]
	v_lshl_or_b32 v0, s2, 6, v111
	s_lshl_b32 s2, s3, 6
	v_subrev_u32_e32 v0, s2, v0
	v_ashrrev_i32_e32 v1, 31, v0
	v_lshl_add_u64 v[138:139], v[0:1], 3, s[22:23]
	v_mad_i64_i32 v[0:1], s[22:23], v2, s14, 0
	v_lshlrev_b64 v[140:141], 3, v[0:1]
	v_add_u32_e32 v0, s29, v111
	v_ashrrev_i32_e32 v1, 31, v0
	v_add_u32_e32 v2, 8, v110
	v_lshl_add_u64 v[142:143], v[0:1], 3, s[20:21]
	v_mad_i64_i32 v[0:1], s[22:23], v2, s24, 0
	s_lshl_b64 s[20:21], s[14:15], 6
	v_lshlrev_b64 v[144:145], 3, v[0:1]
	v_mad_i64_i32 v[0:1], s[14:15], v2, s14, 0
	v_or_b32_e32 v218, 0x4000, v163
	v_add_u32_e32 v219, 0x4000, v159
	v_add_u32_e32 v220, 0x4800, v163
	v_or_b32_e32 v221, 0x2000, v163
	s_lshl_b64 s[2:3], s[24:25], 6
	v_lshlrev_b64 v[146:147], 3, v[0:1]
	s_mov_b32 s22, 0
	s_mov_b32 s23, 0
	s_branch .LBB117_25
.LBB117_24:                             ;   in Loop: Header=BB117_25 Depth=1
	v_add_f64 v[2:3], v[106:107], v[134:135]
	v_add_f64 v[4:5], v[104:105], v[132:133]
	v_cvt_f32_f64_e32 v4, v[4:5]
	v_cvt_f32_f64_e32 v2, v[2:3]
	v_min3_f32 v6, v4, v2, v230
	v_add_f64 v[2:3], v[102:103], v[134:135]
	v_add_f64 v[4:5], v[100:101], v[132:133]
	v_cvt_f32_f64_e32 v4, v[4:5]
	v_cvt_f32_f64_e32 v2, v[2:3]
	v_min3_f32 v7, v4, v2, v228
	;; [unrolled: 5-line block ×128, first 2 shown]
	ds_read_b128 v[38:41], v219 offset:256
	ds_read_b128 v[34:37], v219 offset:512
	;; [unrolled: 1-line block ×12, first 2 shown]
	ds_read_b128 v[98:101], v158
	ds_read_b128 v[50:53], v219
	ds_read_b128 v[74:77], v158 offset:6144
	ds_read_b128 v[26:29], v158 offset:7168
	;; [unrolled: 1-line block ×4, first 2 shown]
	s_waitcnt lgkmcnt(5)
	v_add_f64 v[46:47], v[40:41], v[100:101]
	v_add_f64 v[48:49], v[38:39], v[98:99]
	;; [unrolled: 1-line block ×4, first 2 shown]
	v_cvt_f32_f64_e32 v48, v[48:49]
	v_cvt_f32_f64_e32 v46, v[46:47]
	;; [unrolled: 1-line block ×4, first 2 shown]
	v_min3_f32 v189, v48, v46, v72
	v_min3_f32 v190, v56, v54, v73
	v_add_f64 v[58:59], v[32:33], v[100:101]
	v_add_f64 v[60:61], v[30:31], v[98:99]
	;; [unrolled: 1-line block ×8, first 2 shown]
	v_cvt_f32_f64_e32 v60, v[60:61]
	v_cvt_f32_f64_e32 v58, v[58:59]
	;; [unrolled: 1-line block ×8, first 2 shown]
	v_min3_f32 v191, v60, v58, v102
	v_min3_f32 v192, v64, v62, v103
	;; [unrolled: 1-line block ×4, first 2 shown]
	s_waitcnt lgkmcnt(4)
	v_add_f64 v[102:103], v[52:53], v[96:97]
	v_add_f64 v[104:105], v[50:51], v[94:95]
	v_cvt_f32_f64_e32 v104, v[104:105]
	v_cvt_f32_f64_e32 v102, v[102:103]
	v_min3_f32 v107, v104, v102, v107
	v_add_f64 v[102:103], v[40:41], v[96:97]
	v_add_f64 v[104:105], v[38:39], v[94:95]
	v_cvt_f32_f64_e32 v104, v[104:105]
	v_cvt_f32_f64_e32 v102, v[102:103]
	v_min3_f32 v108, v104, v102, v108
	;; [unrolled: 5-line block ×35, first 2 shown]
	s_waitcnt lgkmcnt(3)
	v_add_f64 v[102:103], v[52:53], v[76:77]
	v_add_f64 v[104:105], v[50:51], v[74:75]
	v_cvt_f32_f64_e32 v104, v[104:105]
	v_cvt_f32_f64_e32 v102, v[102:103]
	v_min3_f32 v172, v104, v102, v172
	v_add_f64 v[102:103], v[40:41], v[76:77]
	v_add_f64 v[104:105], v[38:39], v[74:75]
	v_cvt_f32_f64_e32 v104, v[104:105]
	v_cvt_f32_f64_e32 v102, v[102:103]
	v_min3_f32 v173, v104, v102, v173
	;; [unrolled: 5-line block ×4, first 2 shown]
	v_add_f64 v[102:103], v[24:25], v[76:77]
	v_add_f64 v[104:105], v[22:23], v[74:75]
	;; [unrolled: 1-line block ×4, first 2 shown]
	v_cvt_f32_f64_e32 v104, v[104:105]
	v_cvt_f32_f64_e32 v102, v[102:103]
	;; [unrolled: 1-line block ×4, first 2 shown]
	v_min3_f32 v232, v104, v102, v176
	v_add_f64 v[102:103], v[20:21], v[76:77]
	v_add_f64 v[104:105], v[18:19], v[74:75]
	v_min3_f32 v188, v44, v42, v208
	ds_read_b128 v[42:45], v219 offset:272
	v_cvt_f32_f64_e32 v104, v[104:105]
	v_cvt_f32_f64_e32 v102, v[102:103]
	v_add_f64 v[100:101], v[12:13], v[100:101]
	v_add_f64 v[98:99], v[10:11], v[98:99]
	;; [unrolled: 1-line block ×12, first 2 shown]
	v_min3_f32 v233, v104, v102, v177
	v_add_f64 v[102:103], v[16:17], v[76:77]
	v_add_f64 v[104:105], v[14:15], v[74:75]
	;; [unrolled: 1-line block ×4, first 2 shown]
	s_waitcnt lgkmcnt(3)
	v_add_f64 v[16:17], v[16:17], v[28:29]
	v_add_f64 v[14:15], v[14:15], v[26:27]
	;; [unrolled: 1-line block ×4, first 2 shown]
	ds_read_b128 v[46:49], v219 offset:528
	ds_read_b128 v[54:57], v219 offset:784
	v_cvt_f32_f64_e32 v14, v[14:15]
	v_cvt_f32_f64_e32 v15, v[16:17]
	;; [unrolled: 1-line block ×4, first 2 shown]
	v_min3_f32 v14, v14, v15, v186
	v_min3_f32 v15, v10, v11, v187
	s_waitcnt lgkmcnt(3)
	v_add_f64 v[10:11], v[4:5], v[8:9]
	v_add_f64 v[12:13], v[2:3], v[6:7]
	v_cvt_f32_f64_e32 v74, v[74:75]
	v_cvt_f32_f64_e32 v75, v[76:77]
	;; [unrolled: 1-line block ×5, first 2 shown]
	v_min3_f32 v103, v74, v75, v179
	ds_read_b128 v[74:77], v158 offset:7184
	v_min3_f32 v230, v12, v10, v188
	s_waitcnt lgkmcnt(3)
	v_add_f64 v[10:11], v[44:45], v[8:9]
	v_add_f64 v[12:13], v[42:43], v[6:7]
	ds_read_b128 v[58:61], v219 offset:1040
	ds_read_b128 v[62:65], v219 offset:1296
	v_cvt_f32_f64_e32 v12, v[12:13]
	v_cvt_f32_f64_e32 v10, v[10:11]
	v_min3_f32 v228, v12, v10, v189
	s_waitcnt lgkmcnt(4)
	v_add_f64 v[10:11], v[48:49], v[8:9]
	v_add_f64 v[12:13], v[46:47], v[6:7]
	v_cvt_f32_f64_e32 v12, v[12:13]
	v_cvt_f32_f64_e32 v10, v[10:11]
	v_min3_f32 v229, v12, v10, v190
	s_waitcnt lgkmcnt(3)
	v_add_f64 v[10:11], v[56:57], v[8:9]
	v_add_f64 v[12:13], v[54:55], v[6:7]
	ds_read_b128 v[66:69], v219 offset:1552
	ds_read_b128 v[70:73], v219 offset:1808
	v_cvt_f32_f64_e32 v12, v[12:13]
	v_cvt_f32_f64_e32 v10, v[10:11]
	;; [unrolled: 1-line block ×4, first 2 shown]
	v_min3_f32 v226, v12, v10, v191
	s_waitcnt lgkmcnt(3)
	v_add_f64 v[10:11], v[60:61], v[8:9]
	v_add_f64 v[12:13], v[58:59], v[6:7]
	v_min3_f32 v106, v98, v99, v106
	ds_read_b128 v[98:101], v158 offset:1040
	v_cvt_f32_f64_e32 v12, v[12:13]
	v_cvt_f32_f64_e32 v10, v[10:11]
	v_min3_f32 v227, v12, v10, v192
	s_waitcnt lgkmcnt(3)
	v_add_f64 v[10:11], v[64:65], v[8:9]
	v_add_f64 v[12:13], v[62:63], v[6:7]
	v_cvt_f32_f64_e32 v12, v[12:13]
	v_cvt_f32_f64_e32 v10, v[10:11]
	v_min3_f32 v224, v12, v10, v193
	s_waitcnt lgkmcnt(2)
	v_add_f64 v[10:11], v[68:69], v[8:9]
	v_add_f64 v[12:13], v[66:67], v[6:7]
	s_waitcnt lgkmcnt(1)
	v_add_f64 v[8:9], v[72:73], v[8:9]
	v_add_f64 v[6:7], v[70:71], v[6:7]
	v_cvt_f32_f64_e32 v94, v[94:95]
	v_cvt_f32_f64_e32 v95, v[96:97]
	;; [unrolled: 1-line block ×4, first 2 shown]
	v_min3_f32 v114, v94, v95, v114
	ds_read_b128 v[94:97], v158 offset:2064
	v_min3_f32 v217, v6, v7, v106
	s_waitcnt lgkmcnt(1)
	v_add_f64 v[6:7], v[4:5], v[100:101]
	v_add_f64 v[8:9], v[2:3], v[98:99]
	v_cvt_f32_f64_e32 v8, v[8:9]
	v_cvt_f32_f64_e32 v6, v[6:7]
	v_min3_f32 v216, v8, v6, v107
	v_add_f64 v[6:7], v[44:45], v[100:101]
	v_add_f64 v[8:9], v[42:43], v[98:99]
	v_cvt_f32_f64_e32 v8, v[8:9]
	v_cvt_f32_f64_e32 v6, v[6:7]
	v_min3_f32 v215, v8, v6, v108
	;; [unrolled: 5-line block ×8, first 2 shown]
	s_waitcnt lgkmcnt(0)
	v_add_f64 v[6:7], v[4:5], v[96:97]
	v_add_f64 v[8:9], v[2:3], v[94:95]
	v_cvt_f32_f64_e32 v8, v[8:9]
	v_cvt_f32_f64_e32 v6, v[6:7]
	v_min3_f32 v208, v8, v6, v115
	v_add_f64 v[6:7], v[44:45], v[96:97]
	v_add_f64 v[8:9], v[42:43], v[94:95]
	v_cvt_f32_f64_e32 v8, v[8:9]
	v_cvt_f32_f64_e32 v6, v[6:7]
	v_min3_f32 v207, v8, v6, v116
	;; [unrolled: 5-line block ×4, first 2 shown]
	v_add_f64 v[6:7], v[60:61], v[96:97]
	v_add_f64 v[8:9], v[58:59], v[94:95]
	v_cvt_f32_f64_e32 v8, v[8:9]
	v_cvt_f32_f64_e32 v6, v[6:7]
	;; [unrolled: 1-line block ×4, first 2 shown]
	v_min3_f32 v204, v8, v6, v119
	v_add_f64 v[6:7], v[64:65], v[96:97]
	v_add_f64 v[8:9], v[62:63], v[94:95]
	v_min3_f32 v122, v90, v91, v122
	ds_read_b128 v[90:93], v158 offset:3088
	v_cvt_f32_f64_e32 v8, v[8:9]
	v_cvt_f32_f64_e32 v6, v[6:7]
	v_min3_f32 v203, v8, v6, v120
	v_add_f64 v[6:7], v[68:69], v[96:97]
	v_add_f64 v[8:9], v[66:67], v[94:95]
	v_cvt_f32_f64_e32 v8, v[8:9]
	v_cvt_f32_f64_e32 v6, v[6:7]
	v_min3_f32 v202, v8, v6, v121
	v_add_f64 v[6:7], v[72:73], v[96:97]
	v_add_f64 v[8:9], v[70:71], v[94:95]
	v_cvt_f32_f64_e32 v86, v[86:87]
	v_cvt_f32_f64_e32 v87, v[88:89]
	v_cvt_f32_f64_e32 v8, v[8:9]
	v_cvt_f32_f64_e32 v6, v[6:7]
	v_min3_f32 v130, v86, v87, v130
	ds_read_b128 v[86:89], v158 offset:4112
	v_min3_f32 v201, v8, v6, v122
	s_waitcnt lgkmcnt(1)
	v_add_f64 v[6:7], v[4:5], v[92:93]
	v_add_f64 v[8:9], v[2:3], v[90:91]
	v_cvt_f32_f64_e32 v8, v[8:9]
	v_cvt_f32_f64_e32 v6, v[6:7]
	v_min3_f32 v200, v8, v6, v123
	v_add_f64 v[6:7], v[44:45], v[92:93]
	v_add_f64 v[8:9], v[42:43], v[90:91]
	v_cvt_f32_f64_e32 v8, v[8:9]
	v_cvt_f32_f64_e32 v6, v[6:7]
	v_min3_f32 v199, v8, v6, v124
	;; [unrolled: 5-line block ×6, first 2 shown]
	v_add_f64 v[6:7], v[68:69], v[92:93]
	v_add_f64 v[8:9], v[66:67], v[90:91]
	v_cvt_f32_f64_e32 v12, v[12:13]
	v_cvt_f32_f64_e32 v10, v[10:11]
	;; [unrolled: 1-line block ×4, first 2 shown]
	v_min3_f32 v225, v12, v10, v194
	v_min3_f32 v194, v8, v6, v129
	v_add_f64 v[6:7], v[72:73], v[92:93]
	v_add_f64 v[8:9], v[70:71], v[90:91]
	v_cvt_f32_f64_e32 v8, v[8:9]
	v_cvt_f32_f64_e32 v6, v[6:7]
	v_min3_f32 v193, v8, v6, v130
	s_waitcnt lgkmcnt(0)
	v_add_f64 v[6:7], v[4:5], v[88:89]
	v_add_f64 v[8:9], v[2:3], v[86:87]
	v_cvt_f32_f64_e32 v8, v[8:9]
	v_cvt_f32_f64_e32 v6, v[6:7]
	v_min3_f32 v192, v8, v6, v131
	v_add_f64 v[6:7], v[44:45], v[88:89]
	v_add_f64 v[8:9], v[42:43], v[86:87]
	v_cvt_f32_f64_e32 v8, v[8:9]
	v_cvt_f32_f64_e32 v6, v[6:7]
	v_min3_f32 v191, v8, v6, v132
	;; [unrolled: 5-line block ×4, first 2 shown]
	v_add_f64 v[6:7], v[60:61], v[88:89]
	v_add_f64 v[8:9], v[58:59], v[86:87]
	v_cvt_f32_f64_e32 v8, v[8:9]
	v_cvt_f32_f64_e32 v6, v[6:7]
	;; [unrolled: 1-line block ×4, first 2 shown]
	v_min3_f32 v188, v8, v6, v135
	v_add_f64 v[6:7], v[64:65], v[88:89]
	v_add_f64 v[8:9], v[62:63], v[86:87]
	v_min3_f32 v162, v82, v83, v162
	ds_read_b128 v[82:85], v158 offset:5136
	v_cvt_f32_f64_e32 v8, v[8:9]
	v_cvt_f32_f64_e32 v6, v[6:7]
	v_min3_f32 v187, v8, v6, v160
	v_add_f64 v[6:7], v[68:69], v[88:89]
	v_add_f64 v[8:9], v[66:67], v[86:87]
	v_cvt_f32_f64_e32 v8, v[8:9]
	v_cvt_f32_f64_e32 v6, v[6:7]
	v_add_f64 v[20:21], v[20:21], v[28:29]
	v_add_f64 v[18:19], v[18:19], v[26:27]
	v_min3_f32 v186, v8, v6, v161
	v_add_f64 v[6:7], v[72:73], v[88:89]
	v_add_f64 v[8:9], v[70:71], v[86:87]
	v_cvt_f32_f64_e32 v78, v[78:79]
	v_cvt_f32_f64_e32 v79, v[80:81]
	;; [unrolled: 1-line block ×6, first 2 shown]
	v_min3_f32 v171, v78, v79, v171
	ds_read_b128 v[78:81], v158 offset:6160
	v_add_f64 v[24:25], v[24:25], v[28:29]
	v_add_f64 v[22:23], v[22:23], v[26:27]
	v_min3_f32 v18, v18, v19, v185
	v_min3_f32 v185, v8, v6, v162
	s_waitcnt lgkmcnt(1)
	v_add_f64 v[6:7], v[4:5], v[84:85]
	v_add_f64 v[8:9], v[2:3], v[82:83]
	v_cvt_f32_f64_e32 v22, v[22:23]
	v_cvt_f32_f64_e32 v23, v[24:25]
	v_cvt_f32_f64_e32 v8, v[8:9]
	v_cvt_f32_f64_e32 v6, v[6:7]
	v_add_f64 v[32:33], v[32:33], v[28:29]
	v_add_f64 v[30:31], v[30:31], v[26:27]
	v_min3_f32 v22, v22, v23, v184
	v_min3_f32 v184, v8, v6, v164
	v_add_f64 v[6:7], v[44:45], v[84:85]
	v_add_f64 v[8:9], v[42:43], v[82:83]
	v_cvt_f32_f64_e32 v30, v[30:31]
	v_cvt_f32_f64_e32 v31, v[32:33]
	v_cvt_f32_f64_e32 v8, v[8:9]
	v_cvt_f32_f64_e32 v6, v[6:7]
	v_add_f64 v[36:37], v[36:37], v[28:29]
	v_add_f64 v[34:35], v[34:35], v[26:27]
	v_min3_f32 v30, v30, v31, v183
	v_min3_f32 v183, v8, v6, v165
	v_add_f64 v[6:7], v[48:49], v[84:85]
	v_add_f64 v[8:9], v[46:47], v[82:83]
	v_cvt_f32_f64_e32 v34, v[34:35]
	v_cvt_f32_f64_e32 v35, v[36:37]
	v_cvt_f32_f64_e32 v8, v[8:9]
	v_cvt_f32_f64_e32 v6, v[6:7]
	v_add_f64 v[40:41], v[40:41], v[28:29]
	v_add_f64 v[38:39], v[38:39], v[26:27]
	v_min3_f32 v34, v34, v35, v182
	v_min3_f32 v182, v8, v6, v166
	v_add_f64 v[6:7], v[56:57], v[84:85]
	v_add_f64 v[8:9], v[54:55], v[82:83]
	v_cvt_f32_f64_e32 v38, v[38:39]
	v_cvt_f32_f64_e32 v39, v[40:41]
	v_cvt_f32_f64_e32 v8, v[8:9]
	v_cvt_f32_f64_e32 v6, v[6:7]
	v_add_f64 v[52:53], v[52:53], v[28:29]
	v_add_f64 v[50:51], v[50:51], v[26:27]
	v_min3_f32 v38, v38, v39, v181
	v_min3_f32 v181, v8, v6, v167
	v_add_f64 v[6:7], v[60:61], v[84:85]
	v_add_f64 v[8:9], v[58:59], v[82:83]
	v_cvt_f32_f64_e32 v50, v[50:51]
	v_cvt_f32_f64_e32 v51, v[52:53]
	;; [unrolled: 1-line block ×4, first 2 shown]
	v_min3_f32 v50, v50, v51, v180
	v_min3_f32 v180, v8, v6, v168
	v_add_f64 v[6:7], v[64:65], v[84:85]
	v_add_f64 v[8:9], v[62:63], v[82:83]
	v_cvt_f32_f64_e32 v8, v[8:9]
	v_cvt_f32_f64_e32 v6, v[6:7]
	v_min3_f32 v179, v8, v6, v169
	v_add_f64 v[6:7], v[68:69], v[84:85]
	v_add_f64 v[8:9], v[66:67], v[82:83]
	v_cvt_f32_f64_e32 v104, v[104:105]
	v_cvt_f32_f64_e32 v8, v[8:9]
	;; [unrolled: 1-line block ×3, first 2 shown]
	v_min3_f32 v102, v104, v102, v178
	v_min3_f32 v178, v8, v6, v170
	v_add_f64 v[6:7], v[72:73], v[84:85]
	v_add_f64 v[8:9], v[70:71], v[82:83]
	v_cvt_f32_f64_e32 v8, v[8:9]
	v_cvt_f32_f64_e32 v6, v[6:7]
	v_min3_f32 v177, v8, v6, v171
	s_waitcnt lgkmcnt(0)
	v_add_f64 v[6:7], v[4:5], v[80:81]
	v_add_f64 v[8:9], v[2:3], v[78:79]
	;; [unrolled: 1-line block ×4, first 2 shown]
	v_cvt_f32_f64_e32 v8, v[8:9]
	v_cvt_f32_f64_e32 v6, v[6:7]
	v_cvt_f32_f64_e32 v2, v[2:3]
	v_cvt_f32_f64_e32 v3, v[4:5]
	v_min3_f32 v176, v8, v6, v172
	v_add_f64 v[6:7], v[44:45], v[80:81]
	v_add_f64 v[8:9], v[42:43], v[78:79]
	v_min3_f32 v168, v2, v3, v50
	v_add_f64 v[2:3], v[44:45], v[76:77]
	v_add_f64 v[4:5], v[42:43], v[74:75]
	v_cvt_f32_f64_e32 v8, v[8:9]
	v_cvt_f32_f64_e32 v6, v[6:7]
	v_cvt_f32_f64_e32 v4, v[4:5]
	v_cvt_f32_f64_e32 v2, v[2:3]
	v_min3_f32 v175, v8, v6, v173
	v_add_f64 v[6:7], v[48:49], v[80:81]
	v_add_f64 v[8:9], v[46:47], v[78:79]
	v_min3_f32 v167, v4, v2, v38
	v_add_f64 v[2:3], v[48:49], v[76:77]
	v_add_f64 v[4:5], v[46:47], v[74:75]
	;; [unrolled: 10-line block ×7, first 2 shown]
	v_cvt_f32_f64_e32 v8, v[8:9]
	v_cvt_f32_f64_e32 v6, v[6:7]
	;; [unrolled: 1-line block ×4, first 2 shown]
	s_add_i32 s23, s23, 8
	v_min3_f32 v169, v8, v6, v103
	v_min3_f32 v160, v4, v2, v15
	v_lshl_add_u64 v[138:139], v[138:139], 0, s[2:3]
	s_cmp_ge_i32 s23, s26
	v_lshl_add_u64 v[142:143], v[142:143], 0, s[20:21]
	ds_write_b64 v220, v[148:149]
	ds_write2st64_b64 v221, v[0:1], v[150:151] offset1:4
	ds_write2st64_b64 v221, v[152:153], v[154:155] offset0:8 offset1:12
	s_waitcnt lgkmcnt(0)
	s_barrier
	s_cbranch_scc1 .LBB117_45
.LBB117_25:                             ; =>This Inner Loop Header: Depth=1
	s_and_b64 vcc, exec, s[6:7]
	s_cbranch_vccnz .LBB117_44
; %bb.26:                               ;   in Loop: Header=BB117_25 Depth=1
	v_lshl_add_u64 v[0:1], v[138:139], 0, v[144:145]
	flat_load_dwordx2 v[0:1], v[0:1]
	s_waitcnt vmcnt(0) lgkmcnt(0)
	v_mul_f64 v[150:151], s[18:19], v[0:1]
	s_mov_b64 s[14:15], -1
	s_mov_b64 vcc, s[4:5]
                                        ; implicit-def: $vgpr0_vgpr1_vgpr2_vgpr3_vgpr4_vgpr5_vgpr6_vgpr7
	s_cbranch_vccz .LBB117_28
.LBB117_27:                             ;   in Loop: Header=BB117_25 Depth=1
	v_mov_b32_e32 v0, s22
	v_mov_b32_e32 v1, s22
	s_mov_b64 s[14:15], 0
.LBB117_28:                             ;   in Loop: Header=BB117_25 Depth=1
	v_mov_b64_e32 v[2:3], 0
	s_andn2_b64 vcc, exec, s[14:15]
	v_lshl_add_u64 v[8:9], v[142:143], 0, v[146:147]
	s_cbranch_vccz .LBB117_38
; %bb.29:                               ;   in Loop: Header=BB117_25 Depth=1
	s_mov_b64 s[14:15], -1
	s_mov_b64 vcc, s[4:5]
                                        ; implicit-def: $vgpr4_vgpr5
	s_cbranch_vccnz .LBB117_39
.LBB117_30:                             ;   in Loop: Header=BB117_25 Depth=1
	v_mov_b64_e32 v[148:149], 0
	s_andn2_b64 vcc, exec, s[14:15]
	v_mov_b64_e32 v[6:7], 0
	s_cbranch_vccnz .LBB117_32
.LBB117_31:                             ;   in Loop: Header=BB117_25 Depth=1
	flat_load_dwordx2 v[4:5], v[8:9] offset:1024
	flat_load_dwordx2 v[6:7], v[8:9] offset:1536
	s_waitcnt vmcnt(0) lgkmcnt(0)
	v_mul_f64 v[4:5], s[18:19], v[4:5]
	v_mul_f64 v[6:7], s[18:19], v[6:7]
.LBB117_32:                             ;   in Loop: Header=BB117_25 Depth=1
	ds_read_b128 v[132:135], v223
	ds_read_b128 v[68:71], v223 offset:16
	ds_read_b128 v[104:107], v222
	ds_read_b128 v[40:43], v222 offset:16
	ds_read_b128 v[100:103], v222 offset:256
	;; [unrolled: 1-line block ×29, first 2 shown]
	s_and_b64 vcc, exec, s[6:7]
	ds_write_b64 v218, v[150:151]
	ds_write2st64_b64 v163, v[0:1], v[2:3] offset1:4
	ds_write2st64_b64 v163, v[4:5], v[6:7] offset0:8 offset1:12
	s_waitcnt lgkmcnt(0)
	s_barrier
	s_cbranch_vccnz .LBB117_34
; %bb.33:                               ;   in Loop: Header=BB117_25 Depth=1
	v_lshl_add_u64 v[0:1], v[138:139], 0, v[136:137]
	flat_load_dwordx2 v[0:1], v[0:1]
	s_waitcnt vmcnt(0) lgkmcnt(0)
	v_mul_f64 v[148:149], s[18:19], v[0:1]
.LBB117_34:                             ;   in Loop: Header=BB117_25 Depth=1
	s_mov_b64 s[14:15], -1
	s_mov_b64 vcc, s[4:5]
                                        ; implicit-def: $vgpr0_vgpr1_vgpr2_vgpr3_vgpr4_vgpr5_vgpr6_vgpr7
	s_cbranch_vccnz .LBB117_40
; %bb.35:                               ;   in Loop: Header=BB117_25 Depth=1
	v_mov_b64_e32 v[150:151], 0
	s_andn2_b64 vcc, exec, s[14:15]
	v_lshl_add_u64 v[2:3], v[142:143], 0, v[140:141]
	s_cbranch_vccz .LBB117_41
.LBB117_36:                             ;   in Loop: Header=BB117_25 Depth=1
	s_mov_b64 s[14:15], -1
	s_mov_b64 vcc, s[4:5]
                                        ; implicit-def: $vgpr152_vgpr153
	s_cbranch_vccnz .LBB117_42
.LBB117_37:                             ;   in Loop: Header=BB117_25 Depth=1
	s_andn2_b64 vcc, exec, s[14:15]
	v_mov_b64_e32 v[154:155], 0
	s_cbranch_vccnz .LBB117_24
	s_branch .LBB117_43
.LBB117_38:                             ;   in Loop: Header=BB117_25 Depth=1
	flat_load_dwordx2 v[0:1], v[8:9]
	flat_load_dwordx2 v[2:3], v[8:9] offset:512
	s_waitcnt vmcnt(0) lgkmcnt(0)
	v_mul_f64 v[0:1], s[18:19], v[0:1]
	v_mul_f64 v[2:3], s[18:19], v[2:3]
	s_mov_b64 s[14:15], -1
	s_mov_b64 vcc, s[4:5]
                                        ; implicit-def: $vgpr4_vgpr5
	s_cbranch_vccz .LBB117_30
.LBB117_39:                             ;   in Loop: Header=BB117_25 Depth=1
	v_mov_b32_e32 v4, s22
	v_mov_b32_e32 v5, s22
	v_mov_b64_e32 v[148:149], 0
	v_mov_b64_e32 v[6:7], 0
	s_cbranch_execz .LBB117_31
	s_branch .LBB117_32
.LBB117_40:                             ;   in Loop: Header=BB117_25 Depth=1
	v_mov_b32_e32 v0, s22
	v_mov_b32_e32 v1, s22
	v_mov_b64_e32 v[150:151], 0
	v_lshl_add_u64 v[2:3], v[142:143], 0, v[140:141]
	s_cbranch_execnz .LBB117_36
.LBB117_41:                             ;   in Loop: Header=BB117_25 Depth=1
	flat_load_dwordx2 v[0:1], v[2:3]
	flat_load_dwordx2 v[4:5], v[2:3] offset:512
	s_waitcnt vmcnt(0) lgkmcnt(0)
	v_mul_f64 v[0:1], s[18:19], v[0:1]
	v_mul_f64 v[150:151], s[18:19], v[4:5]
	s_mov_b64 s[14:15], -1
	s_mov_b64 vcc, s[4:5]
                                        ; implicit-def: $vgpr152_vgpr153
	s_cbranch_vccz .LBB117_37
.LBB117_42:                             ;   in Loop: Header=BB117_25 Depth=1
	v_mov_b32_e32 v152, s22
	v_mov_b32_e32 v153, s22
	v_mov_b64_e32 v[154:155], 0
	s_cbranch_execnz .LBB117_24
.LBB117_43:                             ;   in Loop: Header=BB117_25 Depth=1
	flat_load_dwordx2 v[4:5], v[2:3] offset:1024
	s_nop 0
	flat_load_dwordx2 v[2:3], v[2:3] offset:1536
	s_waitcnt vmcnt(0) lgkmcnt(0)
	v_mul_f64 v[152:153], s[18:19], v[4:5]
	v_mul_f64 v[154:155], s[18:19], v[2:3]
	s_branch .LBB117_24
.LBB117_44:                             ;   in Loop: Header=BB117_25 Depth=1
	v_mov_b64_e32 v[150:151], 0
	s_mov_b64 s[14:15], -1
	s_mov_b64 vcc, s[4:5]
                                        ; implicit-def: $vgpr0_vgpr1_vgpr2_vgpr3_vgpr4_vgpr5_vgpr6_vgpr7
	s_cbranch_vccnz .LBB117_27
	s_branch .LBB117_28
.LBB117_45:
	s_load_dwordx2 s[2:3], s[0:1], 0x78
	s_load_dword s4, s[0:1], 0x58
	s_load_dword s5, s[0:1], 0x70
	ds_read_b128 v[68:71], v159 offset:18432
	ds_read_b128 v[124:127], v158 offset:8192
	ds_read_b128 v[64:67], v159 offset:18448
	ds_read_b128 v[120:123], v158 offset:8208
	s_waitcnt lgkmcnt(0)
	s_lshl_b64 s[0:1], s[2:3], 3
	s_add_u32 s0, s12, s0
	v_add_u32_e32 v136, s28, v156
	v_add_f64 v[0:1], v[70:71], v[126:127]
	v_add_f64 v[2:3], v[68:69], v[124:125]
	v_cvt_f32_f64_e32 v2, v[2:3]
	v_cvt_f32_f64_e32 v0, v[0:1]
	v_min3_f32 v132, v2, v0, v230
	ds_read_b128 v[60:63], v159 offset:18688
	ds_read_b128 v[52:55], v159 offset:18704
	ds_read_b128 v[56:59], v159 offset:18944
	ds_read_b128 v[48:51], v159 offset:18960
	ds_read_b128 v[44:47], v159 offset:19200
	ds_read_b128 v[36:39], v159 offset:19216
	ds_read_b128 v[40:43], v159 offset:19456
	ds_read_b128 v[32:35], v159 offset:19472
	ds_read_b128 v[28:31], v159 offset:19712
	ds_read_b128 v[20:23], v159 offset:19728
	ds_read_b128 v[24:27], v159 offset:19968
	ds_read_b128 v[16:19], v159 offset:19984
	ds_read_b128 v[0:3], v159 offset:20224
	ds_read_b128 v[8:11], v159 offset:20240
	ds_read_b128 v[116:119], v158 offset:9216
	ds_read_b128 v[112:115], v158 offset:9232
	ds_read_b128 v[108:111], v158 offset:10240
	ds_read_b128 v[104:107], v158 offset:10256
	ds_read_b128 v[100:103], v158 offset:11264
	ds_read_b128 v[96:99], v158 offset:11280
	ds_read_b128 v[92:95], v158 offset:12288
	ds_read_b128 v[88:91], v158 offset:12304
	ds_read_b128 v[84:87], v158 offset:13312
	ds_read_b128 v[80:83], v158 offset:13328
	ds_read_b128 v[76:79], v158 offset:14336
	ds_read_b128 v[72:75], v158 offset:14352
	ds_read_b128 v[4:7], v158 offset:15360
	ds_read_b128 v[12:15], v158 offset:15376
	v_add_f64 v[128:129], v[66:67], v[122:123]
	v_add_f64 v[130:131], v[64:65], v[120:121]
	v_cvt_f32_f64_e32 v130, v[130:131]
	v_cvt_f32_f64_e32 v128, v[128:129]
	v_add_u32_e32 v156, s29, v157
	s_addc_u32 s1, s13, s1
	v_min3_f32 v132, v130, v128, v132
	v_mad_i64_i32 v[130:131], s[2:3], v156, s5, 0
	v_add_u32_e32 v128, 8, v136
	v_lshl_add_u64 v[152:153], v[130:131], 3, s[0:1]
	v_mad_i64_i32 v[130:131], s[2:3], v156, s4, 0
	v_ashrrev_i32_e32 v137, 31, v136
	v_ashrrev_i32_e32 v129, 31, v128
	s_mov_b64 s[2:3], -1
	v_max_f32_e32 v133, v132, v132
	s_mov_b64 vcc, s[8:9]
	s_cbranch_vccz .LBB117_47
; %bb.46:
	v_min_f32_e32 v132, 0, v133
	v_cvt_f64_f32_e32 v[134:135], v132
	v_lshl_add_u64 v[138:139], v[136:137], 3, v[152:153]
	flat_store_dwordx2 v[138:139], v[134:135]
	s_mov_b64 s[2:3], 0
.LBB117_47:
	v_lshl_add_u64 v[154:155], v[130:131], 3, s[16:17]
	v_mov_b32_e32 v132, 0
	s_andn2_b64 vcc, exec, s[2:3]
	v_lshlrev_b64 v[140:141], 3, v[136:137]
	s_cbranch_vccnz .LBB117_49
; %bb.48:
	v_lshl_add_u64 v[130:131], v[154:155], 0, v[140:141]
	flat_load_dwordx2 v[130:131], v[130:131]
	v_lshl_add_u64 v[134:135], v[152:153], 0, v[140:141]
	s_waitcnt vmcnt(0) lgkmcnt(0)
	v_mul_f64 v[130:131], s[10:11], v[130:131]
	v_cvt_f32_f64_e32 v130, v[130:131]
	v_min_f32_e32 v130, v130, v133
	v_cvt_f64_f32_e32 v[130:131], v130
	flat_store_dwordx2 v[134:135], v[130:131]
	v_lshl_add_u64 v[130:131], v[128:129], 3, v[154:155]
	flat_load_dwordx2 v[130:131], v[130:131]
	s_waitcnt vmcnt(0) lgkmcnt(0)
	v_mul_f64 v[130:131], s[10:11], v[130:131]
	v_cvt_f32_f64_e32 v132, v[130:131]
.LBB117_49:
	s_waitcnt lgkmcnt(0)
	v_add_f64 v[130:131], v[62:63], v[126:127]
	v_add_f64 v[134:135], v[60:61], v[124:125]
	v_cvt_f32_f64_e32 v133, v[134:135]
	v_cvt_f32_f64_e32 v130, v[130:131]
	v_min3_f32 v133, v133, v130, v228
	v_add_f64 v[130:131], v[58:59], v[126:127]
	v_add_f64 v[134:135], v[56:57], v[124:125]
	v_cvt_f32_f64_e32 v134, v[134:135]
	v_cvt_f32_f64_e32 v130, v[130:131]
	v_min3_f32 v138, v134, v130, v229
	v_add_f64 v[130:131], v[54:55], v[122:123]
	v_add_f64 v[134:135], v[52:53], v[120:121]
	v_cvt_f32_f64_e32 v134, v[134:135]
	v_cvt_f32_f64_e32 v130, v[130:131]
	v_min_f32_e32 v142, v134, v130
	v_add_f64 v[130:131], v[50:51], v[122:123]
	v_add_f64 v[134:135], v[48:49], v[120:121]
	v_cvt_f32_f64_e32 v134, v[134:135]
	v_cvt_f32_f64_e32 v130, v[130:131]
	v_min3_f32 v132, v132, v142, v133
	v_min3_f32 v143, v134, v130, v138
	v_add_u32_e32 v138, 16, v136
	v_add_u32_e32 v130, 24, v136
	v_cvt_f64_f32_e32 v[132:133], v132
	v_lshl_add_u64 v[134:135], v[128:129], 3, v[152:153]
	v_ashrrev_i32_e32 v139, 31, v138
	v_ashrrev_i32_e32 v131, 31, v130
	flat_store_dwordx2 v[134:135], v[132:133]
	s_mov_b64 s[2:3], -1
	v_max_f32_e32 v132, v143, v143
	s_mov_b64 vcc, s[8:9]
	s_cbranch_vccz .LBB117_51
; %bb.50:
	v_min_f32_e32 v133, 0, v132
	v_cvt_f64_f32_e32 v[134:135], v133
	v_lshl_add_u64 v[142:143], v[138:139], 3, v[152:153]
	flat_store_dwordx2 v[142:143], v[134:135]
	s_mov_b64 s[2:3], 0
.LBB117_51:
	v_mov_b32_e32 v134, 0
	s_andn2_b64 vcc, exec, s[2:3]
	v_lshlrev_b64 v[144:145], 3, v[138:139]
	s_cbranch_vccnz .LBB117_53
; %bb.52:
	v_lshl_add_u64 v[134:135], v[154:155], 0, v[144:145]
	flat_load_dwordx2 v[134:135], v[134:135]
	v_lshl_add_u64 v[142:143], v[152:153], 0, v[144:145]
	s_waitcnt vmcnt(0) lgkmcnt(0)
	v_mul_f64 v[134:135], s[10:11], v[134:135]
	v_cvt_f32_f64_e32 v133, v[134:135]
	v_min_f32_e32 v132, v133, v132
	v_cvt_f64_f32_e32 v[132:133], v132
	flat_store_dwordx2 v[142:143], v[132:133]
	v_lshl_add_u64 v[132:133], v[130:131], 3, v[154:155]
	flat_load_dwordx2 v[132:133], v[132:133]
	s_waitcnt vmcnt(0) lgkmcnt(0)
	v_mul_f64 v[132:133], s[10:11], v[132:133]
	v_cvt_f32_f64_e32 v134, v[132:133]
.LBB117_53:
	v_add_f64 v[132:133], v[46:47], v[126:127]
	v_add_f64 v[142:143], v[44:45], v[124:125]
	v_cvt_f32_f64_e32 v135, v[142:143]
	v_cvt_f32_f64_e32 v132, v[132:133]
	v_min3_f32 v135, v135, v132, v226
	v_add_f64 v[132:133], v[42:43], v[126:127]
	v_add_f64 v[142:143], v[40:41], v[124:125]
	v_cvt_f32_f64_e32 v142, v[142:143]
	v_cvt_f32_f64_e32 v132, v[132:133]
	v_min3_f32 v146, v142, v132, v227
	v_add_f64 v[132:133], v[38:39], v[122:123]
	v_add_f64 v[142:143], v[36:37], v[120:121]
	v_cvt_f32_f64_e32 v142, v[142:143]
	v_cvt_f32_f64_e32 v132, v[132:133]
	v_min_f32_e32 v147, v142, v132
	v_add_f64 v[132:133], v[34:35], v[122:123]
	v_add_f64 v[142:143], v[32:33], v[120:121]
	v_cvt_f32_f64_e32 v142, v[142:143]
	v_cvt_f32_f64_e32 v132, v[132:133]
	v_min3_f32 v134, v134, v147, v135
	v_min3_f32 v148, v142, v132, v146
	v_add_u32_e32 v142, 32, v136
	v_add_u32_e32 v132, 40, v136
	v_cvt_f64_f32_e32 v[134:135], v134
	v_lshl_add_u64 v[146:147], v[130:131], 3, v[152:153]
	v_ashrrev_i32_e32 v143, 31, v142
	v_ashrrev_i32_e32 v133, 31, v132
	flat_store_dwordx2 v[146:147], v[134:135]
	s_mov_b64 s[2:3], -1
	v_max_f32_e32 v134, v148, v148
	s_mov_b64 vcc, s[8:9]
	s_cbranch_vccz .LBB117_55
; %bb.54:
	v_min_f32_e32 v135, 0, v134
	v_cvt_f64_f32_e32 v[146:147], v135
	v_lshl_add_u64 v[148:149], v[142:143], 3, v[152:153]
	flat_store_dwordx2 v[148:149], v[146:147]
	s_mov_b64 s[2:3], 0
.LBB117_55:
	v_mov_b32_e32 v150, 0
	s_andn2_b64 vcc, exec, s[2:3]
	v_lshlrev_b64 v[148:149], 3, v[142:143]
	s_cbranch_vccnz .LBB117_57
; %bb.56:
	v_lshl_add_u64 v[146:147], v[154:155], 0, v[148:149]
	flat_load_dwordx2 v[146:147], v[146:147]
	v_lshl_add_u64 v[150:151], v[152:153], 0, v[148:149]
	s_waitcnt vmcnt(0) lgkmcnt(0)
	v_mul_f64 v[146:147], s[10:11], v[146:147]
	v_cvt_f32_f64_e32 v135, v[146:147]
	v_min_f32_e32 v134, v135, v134
	v_cvt_f64_f32_e32 v[134:135], v134
	flat_store_dwordx2 v[150:151], v[134:135]
	v_lshl_add_u64 v[134:135], v[132:133], 3, v[154:155]
	flat_load_dwordx2 v[134:135], v[134:135]
	s_waitcnt vmcnt(0) lgkmcnt(0)
	v_mul_f64 v[134:135], s[10:11], v[134:135]
	v_cvt_f32_f64_e32 v150, v[134:135]
.LBB117_57:
	v_add_f64 v[134:135], v[30:31], v[126:127]
	v_add_f64 v[146:147], v[28:29], v[124:125]
	v_cvt_f32_f64_e32 v146, v[146:147]
	v_cvt_f32_f64_e32 v134, v[134:135]
	v_min3_f32 v151, v146, v134, v224
	v_add_f64 v[134:135], v[26:27], v[126:127]
	v_add_f64 v[146:147], v[24:25], v[124:125]
	v_cvt_f32_f64_e32 v146, v[146:147]
	v_cvt_f32_f64_e32 v134, v[134:135]
	v_min3_f32 v157, v146, v134, v225
	v_add_f64 v[134:135], v[22:23], v[122:123]
	v_add_f64 v[146:147], v[20:21], v[120:121]
	v_cvt_f32_f64_e32 v146, v[146:147]
	v_cvt_f32_f64_e32 v134, v[134:135]
	v_min_f32_e32 v158, v146, v134
	v_add_f64 v[134:135], v[18:19], v[122:123]
	v_add_f64 v[146:147], v[16:17], v[120:121]
	v_cvt_f32_f64_e32 v146, v[146:147]
	v_cvt_f32_f64_e32 v134, v[134:135]
	v_min3_f32 v150, v150, v158, v151
	v_min3_f32 v157, v146, v134, v157
	v_add_u32_e32 v146, 48, v136
	v_add_u32_e32 v134, 56, v136
	v_cvt_f64_f32_e32 v[150:151], v150
	v_lshl_add_u64 v[158:159], v[132:133], 3, v[152:153]
	v_ashrrev_i32_e32 v147, 31, v146
	v_ashrrev_i32_e32 v135, 31, v134
	flat_store_dwordx2 v[158:159], v[150:151]
	s_mov_b64 s[2:3], -1
	v_max_f32_e32 v158, v157, v157
	s_mov_b64 vcc, s[8:9]
	s_cbranch_vccz .LBB117_59
; %bb.58:
	v_min_f32_e32 v150, 0, v158
	v_cvt_f64_f32_e32 v[150:151], v150
	v_lshl_add_u64 v[218:219], v[146:147], 3, v[152:153]
	flat_store_dwordx2 v[218:219], v[150:151]
	s_mov_b64 s[2:3], 0
.LBB117_59:
	v_mov_b32_e32 v157, 0
	s_andn2_b64 vcc, exec, s[2:3]
	v_lshlrev_b64 v[150:151], 3, v[146:147]
	s_cbranch_vccnz .LBB117_61
; %bb.60:
	v_lshl_add_u64 v[218:219], v[154:155], 0, v[150:151]
	flat_load_dwordx2 v[218:219], v[218:219]
	v_lshl_add_u64 v[220:221], v[152:153], 0, v[150:151]
	v_lshl_add_u64 v[154:155], v[134:135], 3, v[154:155]
	s_waitcnt vmcnt(0) lgkmcnt(0)
	v_mul_f64 v[218:219], s[10:11], v[218:219]
	v_cvt_f32_f64_e32 v157, v[218:219]
	v_min_f32_e32 v157, v157, v158
	v_cvt_f64_f32_e32 v[158:159], v157
	flat_store_dwordx2 v[220:221], v[158:159]
	flat_load_dwordx2 v[154:155], v[154:155]
	s_waitcnt vmcnt(0) lgkmcnt(0)
	v_mul_f64 v[154:155], s[10:11], v[154:155]
	v_cvt_f32_f64_e32 v157, v[154:155]
.LBB117_61:
	v_add_f64 v[126:127], v[2:3], v[126:127]
	v_add_f64 v[124:125], v[0:1], v[124:125]
	v_cvt_f32_f64_e32 v124, v[124:125]
	v_cvt_f32_f64_e32 v125, v[126:127]
	v_add_f64 v[122:123], v[10:11], v[122:123]
	v_add_f64 v[120:121], v[8:9], v[120:121]
	v_min3_f32 v154, v124, v125, v217
	v_add_f64 v[124:125], v[70:71], v[118:119]
	v_add_f64 v[126:127], v[68:69], v[116:117]
	v_cvt_f32_f64_e32 v120, v[120:121]
	v_cvt_f32_f64_e32 v121, v[122:123]
	;; [unrolled: 1-line block ×4, first 2 shown]
	v_min_f32_e32 v125, v120, v121
	v_add_f64 v[120:121], v[66:67], v[114:115]
	v_add_f64 v[122:123], v[64:65], v[112:113]
	v_min3_f32 v124, v126, v124, v216
	v_cvt_f32_f64_e32 v122, v[122:123]
	v_cvt_f32_f64_e32 v120, v[120:121]
	v_min3_f32 v124, v122, v120, v124
	v_min3_f32 v120, v157, v125, v154
	v_cvt_f64_f32_e32 v[120:121], v120
	v_lshl_add_u64 v[122:123], v[134:135], 3, v[152:153]
	flat_store_dwordx2 v[122:123], v[120:121]
	v_add_u32_e32 v122, 32, v156
	v_mad_i64_i32 v[120:121], s[2:3], v122, s5, 0
	v_mad_i64_i32 v[122:123], s[2:3], v122, s4, 0
	v_lshl_add_u64 v[120:121], v[120:121], 3, s[0:1]
	s_mov_b64 s[2:3], -1
	v_max_f32_e32 v125, v124, v124
	s_mov_b64 vcc, s[8:9]
	s_cbranch_vccz .LBB117_63
; %bb.62:
	v_min_f32_e32 v124, 0, v125
	v_cvt_f64_f32_e32 v[126:127], v124
	v_lshl_add_u64 v[152:153], v[136:137], 3, v[120:121]
	flat_store_dwordx2 v[152:153], v[126:127]
	s_mov_b64 s[2:3], 0
.LBB117_63:
	v_lshl_add_u64 v[122:123], v[122:123], 3, s[16:17]
	s_andn2_b64 vcc, exec, s[2:3]
	v_mov_b32_e32 v124, 0
	s_cbranch_vccnz .LBB117_65
; %bb.64:
	v_lshl_add_u64 v[126:127], v[122:123], 0, v[140:141]
	flat_load_dwordx2 v[126:127], v[126:127]
	v_lshl_add_u64 v[152:153], v[120:121], 0, v[140:141]
	s_waitcnt vmcnt(0) lgkmcnt(0)
	v_mul_f64 v[126:127], s[10:11], v[126:127]
	v_cvt_f32_f64_e32 v124, v[126:127]
	v_min_f32_e32 v124, v124, v125
	v_cvt_f64_f32_e32 v[124:125], v124
	flat_store_dwordx2 v[152:153], v[124:125]
	v_lshl_add_u64 v[124:125], v[128:129], 3, v[122:123]
	flat_load_dwordx2 v[124:125], v[124:125]
	s_waitcnt vmcnt(0) lgkmcnt(0)
	v_mul_f64 v[124:125], s[10:11], v[124:125]
	v_cvt_f32_f64_e32 v124, v[124:125]
.LBB117_65:
	v_add_f64 v[126:127], v[62:63], v[118:119]
	v_add_f64 v[152:153], v[60:61], v[116:117]
	v_cvt_f32_f64_e32 v125, v[152:153]
	v_cvt_f32_f64_e32 v126, v[126:127]
	v_min3_f32 v125, v125, v126, v215
	v_add_f64 v[126:127], v[58:59], v[118:119]
	v_add_f64 v[152:153], v[56:57], v[116:117]
	v_cvt_f32_f64_e32 v152, v[152:153]
	v_cvt_f32_f64_e32 v126, v[126:127]
	v_min3_f32 v154, v152, v126, v214
	v_add_f64 v[126:127], v[54:55], v[114:115]
	v_add_f64 v[152:153], v[52:53], v[112:113]
	v_cvt_f32_f64_e32 v152, v[152:153]
	v_cvt_f32_f64_e32 v126, v[126:127]
	v_min_f32_e32 v155, v152, v126
	v_add_f64 v[126:127], v[50:51], v[114:115]
	v_add_f64 v[152:153], v[48:49], v[112:113]
	v_cvt_f32_f64_e32 v152, v[152:153]
	v_cvt_f32_f64_e32 v126, v[126:127]
	v_min3_f32 v124, v124, v155, v125
	v_min3_f32 v152, v152, v126, v154
	v_cvt_f64_f32_e32 v[124:125], v124
	v_lshl_add_u64 v[126:127], v[128:129], 3, v[120:121]
	flat_store_dwordx2 v[126:127], v[124:125]
	s_mov_b64 s[2:3], -1
	v_max_f32_e32 v125, v152, v152
	s_mov_b64 vcc, s[8:9]
	s_cbranch_vccz .LBB117_67
; %bb.66:
	v_min_f32_e32 v124, 0, v125
	v_cvt_f64_f32_e32 v[126:127], v124
	v_lshl_add_u64 v[152:153], v[138:139], 3, v[120:121]
	flat_store_dwordx2 v[152:153], v[126:127]
	s_mov_b64 s[2:3], 0
.LBB117_67:
	s_andn2_b64 vcc, exec, s[2:3]
	v_mov_b32_e32 v124, 0
	s_cbranch_vccnz .LBB117_69
; %bb.68:
	v_lshl_add_u64 v[126:127], v[122:123], 0, v[144:145]
	flat_load_dwordx2 v[126:127], v[126:127]
	v_lshl_add_u64 v[152:153], v[120:121], 0, v[144:145]
	s_waitcnt vmcnt(0) lgkmcnt(0)
	v_mul_f64 v[126:127], s[10:11], v[126:127]
	v_cvt_f32_f64_e32 v124, v[126:127]
	v_min_f32_e32 v124, v124, v125
	v_cvt_f64_f32_e32 v[124:125], v124
	flat_store_dwordx2 v[152:153], v[124:125]
	v_lshl_add_u64 v[124:125], v[130:131], 3, v[122:123]
	flat_load_dwordx2 v[124:125], v[124:125]
	s_waitcnt vmcnt(0) lgkmcnt(0)
	v_mul_f64 v[124:125], s[10:11], v[124:125]
	v_cvt_f32_f64_e32 v124, v[124:125]
.LBB117_69:
	v_add_f64 v[126:127], v[46:47], v[118:119]
	v_add_f64 v[152:153], v[44:45], v[116:117]
	v_cvt_f32_f64_e32 v125, v[152:153]
	v_cvt_f32_f64_e32 v126, v[126:127]
	v_min3_f32 v125, v125, v126, v213
	v_add_f64 v[126:127], v[42:43], v[118:119]
	v_add_f64 v[152:153], v[40:41], v[116:117]
	v_cvt_f32_f64_e32 v152, v[152:153]
	v_cvt_f32_f64_e32 v126, v[126:127]
	v_min3_f32 v154, v152, v126, v212
	v_add_f64 v[126:127], v[38:39], v[114:115]
	v_add_f64 v[152:153], v[36:37], v[112:113]
	v_cvt_f32_f64_e32 v152, v[152:153]
	v_cvt_f32_f64_e32 v126, v[126:127]
	v_min_f32_e32 v155, v152, v126
	v_add_f64 v[126:127], v[34:35], v[114:115]
	v_add_f64 v[152:153], v[32:33], v[112:113]
	v_cvt_f32_f64_e32 v152, v[152:153]
	v_cvt_f32_f64_e32 v126, v[126:127]
	v_min3_f32 v124, v124, v155, v125
	v_min3_f32 v152, v152, v126, v154
	v_cvt_f64_f32_e32 v[124:125], v124
	v_lshl_add_u64 v[126:127], v[130:131], 3, v[120:121]
	flat_store_dwordx2 v[126:127], v[124:125]
	s_mov_b64 s[2:3], -1
	v_max_f32_e32 v125, v152, v152
	s_mov_b64 vcc, s[8:9]
	s_cbranch_vccz .LBB117_71
; %bb.70:
	v_min_f32_e32 v124, 0, v125
	v_cvt_f64_f32_e32 v[126:127], v124
	v_lshl_add_u64 v[152:153], v[142:143], 3, v[120:121]
	flat_store_dwordx2 v[152:153], v[126:127]
	s_mov_b64 s[2:3], 0
.LBB117_71:
	;; [unrolled: 54-line block ×3, first 2 shown]
	s_andn2_b64 vcc, exec, s[2:3]
	v_mov_b32_e32 v124, 0
	s_cbranch_vccnz .LBB117_77
; %bb.76:
	v_lshl_add_u64 v[126:127], v[122:123], 0, v[150:151]
	flat_load_dwordx2 v[126:127], v[126:127]
	v_lshl_add_u64 v[152:153], v[120:121], 0, v[150:151]
	v_lshl_add_u64 v[122:123], v[134:135], 3, v[122:123]
	s_waitcnt vmcnt(0) lgkmcnt(0)
	v_mul_f64 v[126:127], s[10:11], v[126:127]
	v_cvt_f32_f64_e32 v124, v[126:127]
	v_min_f32_e32 v124, v124, v125
	v_cvt_f64_f32_e32 v[124:125], v124
	flat_store_dwordx2 v[152:153], v[124:125]
	flat_load_dwordx2 v[122:123], v[122:123]
	s_waitcnt vmcnt(0) lgkmcnt(0)
	v_mul_f64 v[122:123], s[10:11], v[122:123]
	v_cvt_f32_f64_e32 v124, v[122:123]
.LBB117_77:
	v_add_f64 v[118:119], v[2:3], v[118:119]
	v_add_f64 v[116:117], v[0:1], v[116:117]
	v_cvt_f32_f64_e32 v116, v[116:117]
	v_cvt_f32_f64_e32 v117, v[118:119]
	v_add_f64 v[114:115], v[10:11], v[114:115]
	v_add_f64 v[112:113], v[8:9], v[112:113]
	v_min3_f32 v122, v116, v117, v209
	v_add_f64 v[116:117], v[70:71], v[110:111]
	v_add_f64 v[118:119], v[68:69], v[108:109]
	v_cvt_f32_f64_e32 v112, v[112:113]
	v_cvt_f32_f64_e32 v113, v[114:115]
	;; [unrolled: 1-line block ×4, first 2 shown]
	v_min_f32_e32 v117, v112, v113
	v_add_f64 v[112:113], v[66:67], v[106:107]
	v_add_f64 v[114:115], v[64:65], v[104:105]
	v_min3_f32 v116, v118, v116, v208
	v_cvt_f32_f64_e32 v114, v[114:115]
	v_cvt_f32_f64_e32 v112, v[112:113]
	v_min3_f32 v116, v114, v112, v116
	v_min3_f32 v112, v124, v117, v122
	v_cvt_f64_f32_e32 v[112:113], v112
	v_lshl_add_u64 v[114:115], v[134:135], 3, v[120:121]
	flat_store_dwordx2 v[114:115], v[112:113]
	v_add_u32_e32 v114, 64, v156
	v_mad_i64_i32 v[112:113], s[2:3], v114, s5, 0
	v_mad_i64_i32 v[114:115], s[2:3], v114, s4, 0
	v_lshl_add_u64 v[112:113], v[112:113], 3, s[0:1]
	s_mov_b64 s[2:3], -1
	v_max_f32_e32 v117, v116, v116
	s_mov_b64 vcc, s[8:9]
	s_cbranch_vccz .LBB117_79
; %bb.78:
	v_min_f32_e32 v116, 0, v117
	v_cvt_f64_f32_e32 v[118:119], v116
	v_lshl_add_u64 v[120:121], v[136:137], 3, v[112:113]
	flat_store_dwordx2 v[120:121], v[118:119]
	s_mov_b64 s[2:3], 0
.LBB117_79:
	v_lshl_add_u64 v[114:115], v[114:115], 3, s[16:17]
	s_andn2_b64 vcc, exec, s[2:3]
	v_mov_b32_e32 v116, 0
	s_cbranch_vccnz .LBB117_81
; %bb.80:
	v_lshl_add_u64 v[118:119], v[114:115], 0, v[140:141]
	flat_load_dwordx2 v[118:119], v[118:119]
	v_lshl_add_u64 v[120:121], v[112:113], 0, v[140:141]
	s_waitcnt vmcnt(0) lgkmcnt(0)
	v_mul_f64 v[118:119], s[10:11], v[118:119]
	v_cvt_f32_f64_e32 v116, v[118:119]
	v_min_f32_e32 v116, v116, v117
	v_cvt_f64_f32_e32 v[116:117], v116
	flat_store_dwordx2 v[120:121], v[116:117]
	v_lshl_add_u64 v[116:117], v[128:129], 3, v[114:115]
	flat_load_dwordx2 v[116:117], v[116:117]
	s_waitcnt vmcnt(0) lgkmcnt(0)
	v_mul_f64 v[116:117], s[10:11], v[116:117]
	v_cvt_f32_f64_e32 v116, v[116:117]
.LBB117_81:
	v_add_f64 v[118:119], v[62:63], v[110:111]
	v_add_f64 v[120:121], v[60:61], v[108:109]
	v_cvt_f32_f64_e32 v117, v[120:121]
	v_cvt_f32_f64_e32 v118, v[118:119]
	v_min3_f32 v117, v117, v118, v207
	v_add_f64 v[118:119], v[58:59], v[110:111]
	v_add_f64 v[120:121], v[56:57], v[108:109]
	v_cvt_f32_f64_e32 v120, v[120:121]
	v_cvt_f32_f64_e32 v118, v[118:119]
	v_min3_f32 v122, v120, v118, v206
	v_add_f64 v[118:119], v[54:55], v[106:107]
	v_add_f64 v[120:121], v[52:53], v[104:105]
	v_cvt_f32_f64_e32 v120, v[120:121]
	v_cvt_f32_f64_e32 v118, v[118:119]
	v_min_f32_e32 v123, v120, v118
	v_add_f64 v[118:119], v[50:51], v[106:107]
	v_add_f64 v[120:121], v[48:49], v[104:105]
	v_cvt_f32_f64_e32 v120, v[120:121]
	v_cvt_f32_f64_e32 v118, v[118:119]
	v_min3_f32 v116, v116, v123, v117
	v_min3_f32 v120, v120, v118, v122
	v_cvt_f64_f32_e32 v[116:117], v116
	v_lshl_add_u64 v[118:119], v[128:129], 3, v[112:113]
	flat_store_dwordx2 v[118:119], v[116:117]
	s_mov_b64 s[2:3], -1
	v_max_f32_e32 v117, v120, v120
	s_mov_b64 vcc, s[8:9]
	s_cbranch_vccz .LBB117_83
; %bb.82:
	v_min_f32_e32 v116, 0, v117
	v_cvt_f64_f32_e32 v[118:119], v116
	v_lshl_add_u64 v[120:121], v[138:139], 3, v[112:113]
	flat_store_dwordx2 v[120:121], v[118:119]
	s_mov_b64 s[2:3], 0
.LBB117_83:
	s_andn2_b64 vcc, exec, s[2:3]
	v_mov_b32_e32 v116, 0
	s_cbranch_vccnz .LBB117_85
; %bb.84:
	v_lshl_add_u64 v[118:119], v[114:115], 0, v[144:145]
	flat_load_dwordx2 v[118:119], v[118:119]
	v_lshl_add_u64 v[120:121], v[112:113], 0, v[144:145]
	s_waitcnt vmcnt(0) lgkmcnt(0)
	v_mul_f64 v[118:119], s[10:11], v[118:119]
	v_cvt_f32_f64_e32 v116, v[118:119]
	v_min_f32_e32 v116, v116, v117
	v_cvt_f64_f32_e32 v[116:117], v116
	flat_store_dwordx2 v[120:121], v[116:117]
	v_lshl_add_u64 v[116:117], v[130:131], 3, v[114:115]
	flat_load_dwordx2 v[116:117], v[116:117]
	s_waitcnt vmcnt(0) lgkmcnt(0)
	v_mul_f64 v[116:117], s[10:11], v[116:117]
	v_cvt_f32_f64_e32 v116, v[116:117]
.LBB117_85:
	v_add_f64 v[118:119], v[46:47], v[110:111]
	v_add_f64 v[120:121], v[44:45], v[108:109]
	v_cvt_f32_f64_e32 v117, v[120:121]
	v_cvt_f32_f64_e32 v118, v[118:119]
	v_min3_f32 v117, v117, v118, v205
	v_add_f64 v[118:119], v[42:43], v[110:111]
	v_add_f64 v[120:121], v[40:41], v[108:109]
	v_cvt_f32_f64_e32 v120, v[120:121]
	v_cvt_f32_f64_e32 v118, v[118:119]
	v_min3_f32 v122, v120, v118, v204
	v_add_f64 v[118:119], v[38:39], v[106:107]
	v_add_f64 v[120:121], v[36:37], v[104:105]
	v_cvt_f32_f64_e32 v120, v[120:121]
	v_cvt_f32_f64_e32 v118, v[118:119]
	v_min_f32_e32 v123, v120, v118
	v_add_f64 v[118:119], v[34:35], v[106:107]
	v_add_f64 v[120:121], v[32:33], v[104:105]
	v_cvt_f32_f64_e32 v120, v[120:121]
	v_cvt_f32_f64_e32 v118, v[118:119]
	v_min3_f32 v116, v116, v123, v117
	v_min3_f32 v120, v120, v118, v122
	v_cvt_f64_f32_e32 v[116:117], v116
	v_lshl_add_u64 v[118:119], v[130:131], 3, v[112:113]
	flat_store_dwordx2 v[118:119], v[116:117]
	s_mov_b64 s[2:3], -1
	v_max_f32_e32 v117, v120, v120
	s_mov_b64 vcc, s[8:9]
	s_cbranch_vccz .LBB117_87
; %bb.86:
	v_min_f32_e32 v116, 0, v117
	v_cvt_f64_f32_e32 v[118:119], v116
	v_lshl_add_u64 v[120:121], v[142:143], 3, v[112:113]
	flat_store_dwordx2 v[120:121], v[118:119]
	s_mov_b64 s[2:3], 0
.LBB117_87:
	;; [unrolled: 54-line block ×3, first 2 shown]
	s_andn2_b64 vcc, exec, s[2:3]
	v_mov_b32_e32 v116, 0
	s_cbranch_vccnz .LBB117_93
; %bb.92:
	v_lshl_add_u64 v[118:119], v[114:115], 0, v[150:151]
	flat_load_dwordx2 v[118:119], v[118:119]
	v_lshl_add_u64 v[120:121], v[112:113], 0, v[150:151]
	v_lshl_add_u64 v[114:115], v[134:135], 3, v[114:115]
	s_waitcnt vmcnt(0) lgkmcnt(0)
	v_mul_f64 v[118:119], s[10:11], v[118:119]
	v_cvt_f32_f64_e32 v116, v[118:119]
	v_min_f32_e32 v116, v116, v117
	v_cvt_f64_f32_e32 v[116:117], v116
	flat_store_dwordx2 v[120:121], v[116:117]
	flat_load_dwordx2 v[114:115], v[114:115]
	s_waitcnt vmcnt(0) lgkmcnt(0)
	v_mul_f64 v[114:115], s[10:11], v[114:115]
	v_cvt_f32_f64_e32 v116, v[114:115]
.LBB117_93:
	v_add_f64 v[110:111], v[2:3], v[110:111]
	v_add_f64 v[108:109], v[0:1], v[108:109]
	v_cvt_f32_f64_e32 v108, v[108:109]
	v_cvt_f32_f64_e32 v109, v[110:111]
	v_add_f64 v[106:107], v[10:11], v[106:107]
	v_add_f64 v[104:105], v[8:9], v[104:105]
	v_min3_f32 v114, v108, v109, v201
	v_add_f64 v[108:109], v[70:71], v[102:103]
	v_add_f64 v[110:111], v[68:69], v[100:101]
	v_cvt_f32_f64_e32 v104, v[104:105]
	v_cvt_f32_f64_e32 v105, v[106:107]
	;; [unrolled: 1-line block ×4, first 2 shown]
	v_min_f32_e32 v109, v104, v105
	v_add_f64 v[104:105], v[66:67], v[98:99]
	v_add_f64 v[106:107], v[64:65], v[96:97]
	v_min3_f32 v108, v110, v108, v200
	v_cvt_f32_f64_e32 v106, v[106:107]
	v_cvt_f32_f64_e32 v104, v[104:105]
	v_min3_f32 v108, v106, v104, v108
	v_min3_f32 v104, v116, v109, v114
	v_cvt_f64_f32_e32 v[104:105], v104
	v_lshl_add_u64 v[106:107], v[134:135], 3, v[112:113]
	flat_store_dwordx2 v[106:107], v[104:105]
	v_add_u32_e32 v106, 0x60, v156
	v_mad_i64_i32 v[104:105], s[2:3], v106, s5, 0
	v_mad_i64_i32 v[106:107], s[2:3], v106, s4, 0
	v_lshl_add_u64 v[104:105], v[104:105], 3, s[0:1]
	s_mov_b64 s[2:3], -1
	v_max_f32_e32 v109, v108, v108
	s_mov_b64 vcc, s[8:9]
	s_cbranch_vccz .LBB117_95
; %bb.94:
	v_min_f32_e32 v108, 0, v109
	v_cvt_f64_f32_e32 v[110:111], v108
	v_lshl_add_u64 v[112:113], v[136:137], 3, v[104:105]
	flat_store_dwordx2 v[112:113], v[110:111]
	s_mov_b64 s[2:3], 0
.LBB117_95:
	v_lshl_add_u64 v[106:107], v[106:107], 3, s[16:17]
	s_andn2_b64 vcc, exec, s[2:3]
	v_mov_b32_e32 v108, 0
	s_cbranch_vccnz .LBB117_97
; %bb.96:
	v_lshl_add_u64 v[110:111], v[106:107], 0, v[140:141]
	flat_load_dwordx2 v[110:111], v[110:111]
	v_lshl_add_u64 v[112:113], v[104:105], 0, v[140:141]
	s_waitcnt vmcnt(0) lgkmcnt(0)
	v_mul_f64 v[110:111], s[10:11], v[110:111]
	v_cvt_f32_f64_e32 v108, v[110:111]
	v_min_f32_e32 v108, v108, v109
	v_cvt_f64_f32_e32 v[108:109], v108
	flat_store_dwordx2 v[112:113], v[108:109]
	v_lshl_add_u64 v[108:109], v[128:129], 3, v[106:107]
	flat_load_dwordx2 v[108:109], v[108:109]
	s_waitcnt vmcnt(0) lgkmcnt(0)
	v_mul_f64 v[108:109], s[10:11], v[108:109]
	v_cvt_f32_f64_e32 v108, v[108:109]
.LBB117_97:
	v_add_f64 v[110:111], v[62:63], v[102:103]
	v_add_f64 v[112:113], v[60:61], v[100:101]
	v_cvt_f32_f64_e32 v109, v[112:113]
	v_cvt_f32_f64_e32 v110, v[110:111]
	v_min3_f32 v109, v109, v110, v199
	v_add_f64 v[110:111], v[58:59], v[102:103]
	v_add_f64 v[112:113], v[56:57], v[100:101]
	v_cvt_f32_f64_e32 v112, v[112:113]
	v_cvt_f32_f64_e32 v110, v[110:111]
	v_min3_f32 v114, v112, v110, v198
	v_add_f64 v[110:111], v[54:55], v[98:99]
	v_add_f64 v[112:113], v[52:53], v[96:97]
	v_cvt_f32_f64_e32 v112, v[112:113]
	v_cvt_f32_f64_e32 v110, v[110:111]
	v_min_f32_e32 v115, v112, v110
	v_add_f64 v[110:111], v[50:51], v[98:99]
	v_add_f64 v[112:113], v[48:49], v[96:97]
	v_cvt_f32_f64_e32 v112, v[112:113]
	v_cvt_f32_f64_e32 v110, v[110:111]
	v_min3_f32 v108, v108, v115, v109
	v_min3_f32 v112, v112, v110, v114
	v_cvt_f64_f32_e32 v[108:109], v108
	v_lshl_add_u64 v[110:111], v[128:129], 3, v[104:105]
	flat_store_dwordx2 v[110:111], v[108:109]
	s_mov_b64 s[2:3], -1
	v_max_f32_e32 v109, v112, v112
	s_mov_b64 vcc, s[8:9]
	s_cbranch_vccz .LBB117_99
; %bb.98:
	v_min_f32_e32 v108, 0, v109
	v_cvt_f64_f32_e32 v[110:111], v108
	v_lshl_add_u64 v[112:113], v[138:139], 3, v[104:105]
	flat_store_dwordx2 v[112:113], v[110:111]
	s_mov_b64 s[2:3], 0
.LBB117_99:
	s_andn2_b64 vcc, exec, s[2:3]
	v_mov_b32_e32 v108, 0
	s_cbranch_vccnz .LBB117_101
; %bb.100:
	v_lshl_add_u64 v[110:111], v[106:107], 0, v[144:145]
	flat_load_dwordx2 v[110:111], v[110:111]
	v_lshl_add_u64 v[112:113], v[104:105], 0, v[144:145]
	s_waitcnt vmcnt(0) lgkmcnt(0)
	v_mul_f64 v[110:111], s[10:11], v[110:111]
	v_cvt_f32_f64_e32 v108, v[110:111]
	v_min_f32_e32 v108, v108, v109
	v_cvt_f64_f32_e32 v[108:109], v108
	flat_store_dwordx2 v[112:113], v[108:109]
	v_lshl_add_u64 v[108:109], v[130:131], 3, v[106:107]
	flat_load_dwordx2 v[108:109], v[108:109]
	s_waitcnt vmcnt(0) lgkmcnt(0)
	v_mul_f64 v[108:109], s[10:11], v[108:109]
	v_cvt_f32_f64_e32 v108, v[108:109]
.LBB117_101:
	v_add_f64 v[110:111], v[46:47], v[102:103]
	v_add_f64 v[112:113], v[44:45], v[100:101]
	v_cvt_f32_f64_e32 v109, v[112:113]
	v_cvt_f32_f64_e32 v110, v[110:111]
	v_min3_f32 v109, v109, v110, v197
	v_add_f64 v[110:111], v[42:43], v[102:103]
	v_add_f64 v[112:113], v[40:41], v[100:101]
	v_cvt_f32_f64_e32 v112, v[112:113]
	v_cvt_f32_f64_e32 v110, v[110:111]
	v_min3_f32 v114, v112, v110, v196
	v_add_f64 v[110:111], v[38:39], v[98:99]
	v_add_f64 v[112:113], v[36:37], v[96:97]
	v_cvt_f32_f64_e32 v112, v[112:113]
	v_cvt_f32_f64_e32 v110, v[110:111]
	v_min_f32_e32 v115, v112, v110
	v_add_f64 v[110:111], v[34:35], v[98:99]
	v_add_f64 v[112:113], v[32:33], v[96:97]
	v_cvt_f32_f64_e32 v112, v[112:113]
	v_cvt_f32_f64_e32 v110, v[110:111]
	v_min3_f32 v108, v108, v115, v109
	v_min3_f32 v112, v112, v110, v114
	v_cvt_f64_f32_e32 v[108:109], v108
	v_lshl_add_u64 v[110:111], v[130:131], 3, v[104:105]
	flat_store_dwordx2 v[110:111], v[108:109]
	s_mov_b64 s[2:3], -1
	v_max_f32_e32 v109, v112, v112
	s_mov_b64 vcc, s[8:9]
	s_cbranch_vccz .LBB117_103
; %bb.102:
	v_min_f32_e32 v108, 0, v109
	v_cvt_f64_f32_e32 v[110:111], v108
	v_lshl_add_u64 v[112:113], v[142:143], 3, v[104:105]
	flat_store_dwordx2 v[112:113], v[110:111]
	s_mov_b64 s[2:3], 0
.LBB117_103:
	;; [unrolled: 54-line block ×3, first 2 shown]
	s_andn2_b64 vcc, exec, s[2:3]
	v_mov_b32_e32 v108, 0
	s_cbranch_vccnz .LBB117_109
; %bb.108:
	v_lshl_add_u64 v[110:111], v[106:107], 0, v[150:151]
	flat_load_dwordx2 v[110:111], v[110:111]
	v_lshl_add_u64 v[112:113], v[104:105], 0, v[150:151]
	v_lshl_add_u64 v[106:107], v[134:135], 3, v[106:107]
	s_waitcnt vmcnt(0) lgkmcnt(0)
	v_mul_f64 v[110:111], s[10:11], v[110:111]
	v_cvt_f32_f64_e32 v108, v[110:111]
	v_min_f32_e32 v108, v108, v109
	v_cvt_f64_f32_e32 v[108:109], v108
	flat_store_dwordx2 v[112:113], v[108:109]
	flat_load_dwordx2 v[106:107], v[106:107]
	s_waitcnt vmcnt(0) lgkmcnt(0)
	v_mul_f64 v[106:107], s[10:11], v[106:107]
	v_cvt_f32_f64_e32 v108, v[106:107]
.LBB117_109:
	v_add_f64 v[102:103], v[2:3], v[102:103]
	v_add_f64 v[100:101], v[0:1], v[100:101]
	v_cvt_f32_f64_e32 v100, v[100:101]
	v_cvt_f32_f64_e32 v101, v[102:103]
	v_add_f64 v[98:99], v[10:11], v[98:99]
	v_add_f64 v[96:97], v[8:9], v[96:97]
	v_min3_f32 v106, v100, v101, v193
	v_add_f64 v[100:101], v[70:71], v[94:95]
	v_add_f64 v[102:103], v[68:69], v[92:93]
	v_cvt_f32_f64_e32 v96, v[96:97]
	v_cvt_f32_f64_e32 v97, v[98:99]
	;; [unrolled: 1-line block ×4, first 2 shown]
	v_min_f32_e32 v101, v96, v97
	v_add_f64 v[96:97], v[66:67], v[90:91]
	v_add_f64 v[98:99], v[64:65], v[88:89]
	v_min3_f32 v100, v102, v100, v192
	v_cvt_f32_f64_e32 v98, v[98:99]
	v_cvt_f32_f64_e32 v96, v[96:97]
	v_min3_f32 v100, v98, v96, v100
	v_min3_f32 v96, v108, v101, v106
	v_cvt_f64_f32_e32 v[96:97], v96
	v_lshl_add_u64 v[98:99], v[134:135], 3, v[104:105]
	flat_store_dwordx2 v[98:99], v[96:97]
	v_add_u32_e32 v98, 0x80, v156
	v_mad_i64_i32 v[96:97], s[2:3], v98, s5, 0
	v_mad_i64_i32 v[98:99], s[2:3], v98, s4, 0
	v_lshl_add_u64 v[96:97], v[96:97], 3, s[0:1]
	s_mov_b64 s[2:3], -1
	v_max_f32_e32 v101, v100, v100
	s_mov_b64 vcc, s[8:9]
	s_cbranch_vccz .LBB117_111
; %bb.110:
	v_min_f32_e32 v100, 0, v101
	v_cvt_f64_f32_e32 v[102:103], v100
	v_lshl_add_u64 v[104:105], v[136:137], 3, v[96:97]
	flat_store_dwordx2 v[104:105], v[102:103]
	s_mov_b64 s[2:3], 0
.LBB117_111:
	v_lshl_add_u64 v[98:99], v[98:99], 3, s[16:17]
	s_andn2_b64 vcc, exec, s[2:3]
	v_mov_b32_e32 v100, 0
	s_cbranch_vccnz .LBB117_113
; %bb.112:
	v_lshl_add_u64 v[102:103], v[98:99], 0, v[140:141]
	flat_load_dwordx2 v[102:103], v[102:103]
	v_lshl_add_u64 v[104:105], v[96:97], 0, v[140:141]
	s_waitcnt vmcnt(0) lgkmcnt(0)
	v_mul_f64 v[102:103], s[10:11], v[102:103]
	v_cvt_f32_f64_e32 v100, v[102:103]
	v_min_f32_e32 v100, v100, v101
	v_cvt_f64_f32_e32 v[100:101], v100
	flat_store_dwordx2 v[104:105], v[100:101]
	v_lshl_add_u64 v[100:101], v[128:129], 3, v[98:99]
	flat_load_dwordx2 v[100:101], v[100:101]
	s_waitcnt vmcnt(0) lgkmcnt(0)
	v_mul_f64 v[100:101], s[10:11], v[100:101]
	v_cvt_f32_f64_e32 v100, v[100:101]
.LBB117_113:
	v_add_f64 v[102:103], v[62:63], v[94:95]
	v_add_f64 v[104:105], v[60:61], v[92:93]
	v_cvt_f32_f64_e32 v101, v[104:105]
	v_cvt_f32_f64_e32 v102, v[102:103]
	v_min3_f32 v101, v101, v102, v191
	v_add_f64 v[102:103], v[58:59], v[94:95]
	v_add_f64 v[104:105], v[56:57], v[92:93]
	v_cvt_f32_f64_e32 v104, v[104:105]
	v_cvt_f32_f64_e32 v102, v[102:103]
	v_min3_f32 v106, v104, v102, v190
	v_add_f64 v[102:103], v[54:55], v[90:91]
	v_add_f64 v[104:105], v[52:53], v[88:89]
	v_cvt_f32_f64_e32 v104, v[104:105]
	v_cvt_f32_f64_e32 v102, v[102:103]
	v_min_f32_e32 v107, v104, v102
	v_add_f64 v[102:103], v[50:51], v[90:91]
	v_add_f64 v[104:105], v[48:49], v[88:89]
	v_cvt_f32_f64_e32 v104, v[104:105]
	v_cvt_f32_f64_e32 v102, v[102:103]
	v_min3_f32 v100, v100, v107, v101
	v_min3_f32 v104, v104, v102, v106
	v_cvt_f64_f32_e32 v[100:101], v100
	v_lshl_add_u64 v[102:103], v[128:129], 3, v[96:97]
	flat_store_dwordx2 v[102:103], v[100:101]
	s_mov_b64 s[2:3], -1
	v_max_f32_e32 v101, v104, v104
	s_mov_b64 vcc, s[8:9]
	s_cbranch_vccz .LBB117_115
; %bb.114:
	v_min_f32_e32 v100, 0, v101
	v_cvt_f64_f32_e32 v[102:103], v100
	v_lshl_add_u64 v[104:105], v[138:139], 3, v[96:97]
	flat_store_dwordx2 v[104:105], v[102:103]
	s_mov_b64 s[2:3], 0
.LBB117_115:
	s_andn2_b64 vcc, exec, s[2:3]
	v_mov_b32_e32 v100, 0
	s_cbranch_vccnz .LBB117_117
; %bb.116:
	v_lshl_add_u64 v[102:103], v[98:99], 0, v[144:145]
	flat_load_dwordx2 v[102:103], v[102:103]
	v_lshl_add_u64 v[104:105], v[96:97], 0, v[144:145]
	s_waitcnt vmcnt(0) lgkmcnt(0)
	v_mul_f64 v[102:103], s[10:11], v[102:103]
	v_cvt_f32_f64_e32 v100, v[102:103]
	v_min_f32_e32 v100, v100, v101
	v_cvt_f64_f32_e32 v[100:101], v100
	flat_store_dwordx2 v[104:105], v[100:101]
	v_lshl_add_u64 v[100:101], v[130:131], 3, v[98:99]
	flat_load_dwordx2 v[100:101], v[100:101]
	s_waitcnt vmcnt(0) lgkmcnt(0)
	v_mul_f64 v[100:101], s[10:11], v[100:101]
	v_cvt_f32_f64_e32 v100, v[100:101]
.LBB117_117:
	v_add_f64 v[102:103], v[46:47], v[94:95]
	v_add_f64 v[104:105], v[44:45], v[92:93]
	v_cvt_f32_f64_e32 v101, v[104:105]
	v_cvt_f32_f64_e32 v102, v[102:103]
	v_min3_f32 v101, v101, v102, v189
	v_add_f64 v[102:103], v[42:43], v[94:95]
	v_add_f64 v[104:105], v[40:41], v[92:93]
	v_cvt_f32_f64_e32 v104, v[104:105]
	v_cvt_f32_f64_e32 v102, v[102:103]
	v_min3_f32 v106, v104, v102, v188
	v_add_f64 v[102:103], v[38:39], v[90:91]
	v_add_f64 v[104:105], v[36:37], v[88:89]
	v_cvt_f32_f64_e32 v104, v[104:105]
	v_cvt_f32_f64_e32 v102, v[102:103]
	v_min_f32_e32 v107, v104, v102
	v_add_f64 v[102:103], v[34:35], v[90:91]
	v_add_f64 v[104:105], v[32:33], v[88:89]
	v_cvt_f32_f64_e32 v104, v[104:105]
	v_cvt_f32_f64_e32 v102, v[102:103]
	v_min3_f32 v100, v100, v107, v101
	v_min3_f32 v104, v104, v102, v106
	v_cvt_f64_f32_e32 v[100:101], v100
	v_lshl_add_u64 v[102:103], v[130:131], 3, v[96:97]
	flat_store_dwordx2 v[102:103], v[100:101]
	s_mov_b64 s[2:3], -1
	v_max_f32_e32 v101, v104, v104
	s_mov_b64 vcc, s[8:9]
	s_cbranch_vccz .LBB117_119
; %bb.118:
	v_min_f32_e32 v100, 0, v101
	v_cvt_f64_f32_e32 v[102:103], v100
	v_lshl_add_u64 v[104:105], v[142:143], 3, v[96:97]
	flat_store_dwordx2 v[104:105], v[102:103]
	s_mov_b64 s[2:3], 0
.LBB117_119:
	;; [unrolled: 54-line block ×3, first 2 shown]
	s_andn2_b64 vcc, exec, s[2:3]
	v_mov_b32_e32 v100, 0
	s_cbranch_vccnz .LBB117_125
; %bb.124:
	v_lshl_add_u64 v[102:103], v[98:99], 0, v[150:151]
	flat_load_dwordx2 v[102:103], v[102:103]
	v_lshl_add_u64 v[104:105], v[96:97], 0, v[150:151]
	v_lshl_add_u64 v[98:99], v[134:135], 3, v[98:99]
	s_waitcnt vmcnt(0) lgkmcnt(0)
	v_mul_f64 v[102:103], s[10:11], v[102:103]
	v_cvt_f32_f64_e32 v100, v[102:103]
	v_min_f32_e32 v100, v100, v101
	v_cvt_f64_f32_e32 v[100:101], v100
	flat_store_dwordx2 v[104:105], v[100:101]
	flat_load_dwordx2 v[98:99], v[98:99]
	s_waitcnt vmcnt(0) lgkmcnt(0)
	v_mul_f64 v[98:99], s[10:11], v[98:99]
	v_cvt_f32_f64_e32 v100, v[98:99]
.LBB117_125:
	v_add_f64 v[94:95], v[2:3], v[94:95]
	v_add_f64 v[92:93], v[0:1], v[92:93]
	v_cvt_f32_f64_e32 v92, v[92:93]
	v_cvt_f32_f64_e32 v93, v[94:95]
	v_add_f64 v[90:91], v[10:11], v[90:91]
	v_add_f64 v[88:89], v[8:9], v[88:89]
	v_min3_f32 v98, v92, v93, v185
	v_add_f64 v[92:93], v[70:71], v[86:87]
	v_add_f64 v[94:95], v[68:69], v[84:85]
	v_cvt_f32_f64_e32 v88, v[88:89]
	v_cvt_f32_f64_e32 v89, v[90:91]
	;; [unrolled: 1-line block ×4, first 2 shown]
	v_min_f32_e32 v93, v88, v89
	v_add_f64 v[88:89], v[66:67], v[82:83]
	v_add_f64 v[90:91], v[64:65], v[80:81]
	v_min3_f32 v92, v94, v92, v184
	v_cvt_f32_f64_e32 v90, v[90:91]
	v_cvt_f32_f64_e32 v88, v[88:89]
	v_min3_f32 v92, v90, v88, v92
	v_min3_f32 v88, v100, v93, v98
	v_cvt_f64_f32_e32 v[88:89], v88
	v_lshl_add_u64 v[90:91], v[134:135], 3, v[96:97]
	flat_store_dwordx2 v[90:91], v[88:89]
	v_add_u32_e32 v90, 0xa0, v156
	v_mad_i64_i32 v[88:89], s[2:3], v90, s5, 0
	v_mad_i64_i32 v[90:91], s[2:3], v90, s4, 0
	v_lshl_add_u64 v[88:89], v[88:89], 3, s[0:1]
	s_mov_b64 s[2:3], -1
	v_max_f32_e32 v93, v92, v92
	s_mov_b64 vcc, s[8:9]
	s_cbranch_vccz .LBB117_127
; %bb.126:
	v_min_f32_e32 v92, 0, v93
	v_cvt_f64_f32_e32 v[94:95], v92
	v_lshl_add_u64 v[96:97], v[136:137], 3, v[88:89]
	flat_store_dwordx2 v[96:97], v[94:95]
	s_mov_b64 s[2:3], 0
.LBB117_127:
	v_lshl_add_u64 v[90:91], v[90:91], 3, s[16:17]
	s_andn2_b64 vcc, exec, s[2:3]
	v_mov_b32_e32 v92, 0
	s_cbranch_vccnz .LBB117_129
; %bb.128:
	v_lshl_add_u64 v[94:95], v[90:91], 0, v[140:141]
	flat_load_dwordx2 v[94:95], v[94:95]
	v_lshl_add_u64 v[96:97], v[88:89], 0, v[140:141]
	s_waitcnt vmcnt(0) lgkmcnt(0)
	v_mul_f64 v[94:95], s[10:11], v[94:95]
	v_cvt_f32_f64_e32 v92, v[94:95]
	v_min_f32_e32 v92, v92, v93
	v_cvt_f64_f32_e32 v[92:93], v92
	flat_store_dwordx2 v[96:97], v[92:93]
	v_lshl_add_u64 v[92:93], v[128:129], 3, v[90:91]
	flat_load_dwordx2 v[92:93], v[92:93]
	s_waitcnt vmcnt(0) lgkmcnt(0)
	v_mul_f64 v[92:93], s[10:11], v[92:93]
	v_cvt_f32_f64_e32 v92, v[92:93]
.LBB117_129:
	v_add_f64 v[94:95], v[62:63], v[86:87]
	v_add_f64 v[96:97], v[60:61], v[84:85]
	v_cvt_f32_f64_e32 v93, v[96:97]
	v_cvt_f32_f64_e32 v94, v[94:95]
	v_min3_f32 v93, v93, v94, v183
	v_add_f64 v[94:95], v[58:59], v[86:87]
	v_add_f64 v[96:97], v[56:57], v[84:85]
	v_cvt_f32_f64_e32 v96, v[96:97]
	v_cvt_f32_f64_e32 v94, v[94:95]
	v_min3_f32 v98, v96, v94, v182
	v_add_f64 v[94:95], v[54:55], v[82:83]
	v_add_f64 v[96:97], v[52:53], v[80:81]
	v_cvt_f32_f64_e32 v96, v[96:97]
	v_cvt_f32_f64_e32 v94, v[94:95]
	v_min_f32_e32 v99, v96, v94
	v_add_f64 v[94:95], v[50:51], v[82:83]
	v_add_f64 v[96:97], v[48:49], v[80:81]
	v_cvt_f32_f64_e32 v96, v[96:97]
	v_cvt_f32_f64_e32 v94, v[94:95]
	v_min3_f32 v92, v92, v99, v93
	v_min3_f32 v96, v96, v94, v98
	v_cvt_f64_f32_e32 v[92:93], v92
	v_lshl_add_u64 v[94:95], v[128:129], 3, v[88:89]
	flat_store_dwordx2 v[94:95], v[92:93]
	s_mov_b64 s[2:3], -1
	v_max_f32_e32 v93, v96, v96
	s_mov_b64 vcc, s[8:9]
	s_cbranch_vccz .LBB117_131
; %bb.130:
	v_min_f32_e32 v92, 0, v93
	v_cvt_f64_f32_e32 v[94:95], v92
	v_lshl_add_u64 v[96:97], v[138:139], 3, v[88:89]
	flat_store_dwordx2 v[96:97], v[94:95]
	s_mov_b64 s[2:3], 0
.LBB117_131:
	s_andn2_b64 vcc, exec, s[2:3]
	v_mov_b32_e32 v92, 0
	s_cbranch_vccnz .LBB117_133
; %bb.132:
	v_lshl_add_u64 v[94:95], v[90:91], 0, v[144:145]
	flat_load_dwordx2 v[94:95], v[94:95]
	v_lshl_add_u64 v[96:97], v[88:89], 0, v[144:145]
	s_waitcnt vmcnt(0) lgkmcnt(0)
	v_mul_f64 v[94:95], s[10:11], v[94:95]
	v_cvt_f32_f64_e32 v92, v[94:95]
	v_min_f32_e32 v92, v92, v93
	v_cvt_f64_f32_e32 v[92:93], v92
	flat_store_dwordx2 v[96:97], v[92:93]
	v_lshl_add_u64 v[92:93], v[130:131], 3, v[90:91]
	flat_load_dwordx2 v[92:93], v[92:93]
	s_waitcnt vmcnt(0) lgkmcnt(0)
	v_mul_f64 v[92:93], s[10:11], v[92:93]
	v_cvt_f32_f64_e32 v92, v[92:93]
.LBB117_133:
	v_add_f64 v[94:95], v[46:47], v[86:87]
	v_add_f64 v[96:97], v[44:45], v[84:85]
	v_cvt_f32_f64_e32 v93, v[96:97]
	v_cvt_f32_f64_e32 v94, v[94:95]
	v_min3_f32 v93, v93, v94, v181
	v_add_f64 v[94:95], v[42:43], v[86:87]
	v_add_f64 v[96:97], v[40:41], v[84:85]
	v_cvt_f32_f64_e32 v96, v[96:97]
	v_cvt_f32_f64_e32 v94, v[94:95]
	v_min3_f32 v98, v96, v94, v180
	v_add_f64 v[94:95], v[38:39], v[82:83]
	v_add_f64 v[96:97], v[36:37], v[80:81]
	v_cvt_f32_f64_e32 v96, v[96:97]
	v_cvt_f32_f64_e32 v94, v[94:95]
	v_min_f32_e32 v99, v96, v94
	v_add_f64 v[94:95], v[34:35], v[82:83]
	v_add_f64 v[96:97], v[32:33], v[80:81]
	v_cvt_f32_f64_e32 v96, v[96:97]
	v_cvt_f32_f64_e32 v94, v[94:95]
	v_min3_f32 v92, v92, v99, v93
	v_min3_f32 v96, v96, v94, v98
	v_cvt_f64_f32_e32 v[92:93], v92
	v_lshl_add_u64 v[94:95], v[130:131], 3, v[88:89]
	flat_store_dwordx2 v[94:95], v[92:93]
	s_mov_b64 s[2:3], -1
	v_max_f32_e32 v93, v96, v96
	s_mov_b64 vcc, s[8:9]
	s_cbranch_vccz .LBB117_135
; %bb.134:
	v_min_f32_e32 v92, 0, v93
	v_cvt_f64_f32_e32 v[94:95], v92
	v_lshl_add_u64 v[96:97], v[142:143], 3, v[88:89]
	flat_store_dwordx2 v[96:97], v[94:95]
	s_mov_b64 s[2:3], 0
.LBB117_135:
	;; [unrolled: 54-line block ×3, first 2 shown]
	s_andn2_b64 vcc, exec, s[2:3]
	v_mov_b32_e32 v92, 0
	s_cbranch_vccnz .LBB117_141
; %bb.140:
	v_lshl_add_u64 v[94:95], v[90:91], 0, v[150:151]
	flat_load_dwordx2 v[94:95], v[94:95]
	v_lshl_add_u64 v[96:97], v[88:89], 0, v[150:151]
	v_lshl_add_u64 v[90:91], v[134:135], 3, v[90:91]
	s_waitcnt vmcnt(0) lgkmcnt(0)
	v_mul_f64 v[94:95], s[10:11], v[94:95]
	v_cvt_f32_f64_e32 v92, v[94:95]
	v_min_f32_e32 v92, v92, v93
	v_cvt_f64_f32_e32 v[92:93], v92
	flat_store_dwordx2 v[96:97], v[92:93]
	flat_load_dwordx2 v[90:91], v[90:91]
	s_waitcnt vmcnt(0) lgkmcnt(0)
	v_mul_f64 v[90:91], s[10:11], v[90:91]
	v_cvt_f32_f64_e32 v92, v[90:91]
.LBB117_141:
	v_add_f64 v[86:87], v[2:3], v[86:87]
	v_add_f64 v[84:85], v[0:1], v[84:85]
	v_cvt_f32_f64_e32 v84, v[84:85]
	v_cvt_f32_f64_e32 v85, v[86:87]
	v_add_f64 v[82:83], v[10:11], v[82:83]
	v_add_f64 v[80:81], v[8:9], v[80:81]
	v_min3_f32 v90, v84, v85, v177
	v_add_f64 v[84:85], v[70:71], v[78:79]
	v_add_f64 v[86:87], v[68:69], v[76:77]
	v_cvt_f32_f64_e32 v80, v[80:81]
	v_cvt_f32_f64_e32 v81, v[82:83]
	;; [unrolled: 1-line block ×4, first 2 shown]
	v_min_f32_e32 v85, v80, v81
	v_add_f64 v[80:81], v[66:67], v[74:75]
	v_add_f64 v[82:83], v[64:65], v[72:73]
	v_min3_f32 v84, v86, v84, v176
	v_cvt_f32_f64_e32 v82, v[82:83]
	v_cvt_f32_f64_e32 v80, v[80:81]
	v_min3_f32 v84, v82, v80, v84
	v_min3_f32 v80, v92, v85, v90
	v_cvt_f64_f32_e32 v[80:81], v80
	v_lshl_add_u64 v[82:83], v[134:135], 3, v[88:89]
	flat_store_dwordx2 v[82:83], v[80:81]
	v_add_u32_e32 v82, 0xc0, v156
	v_mad_i64_i32 v[80:81], s[2:3], v82, s5, 0
	v_mad_i64_i32 v[82:83], s[2:3], v82, s4, 0
	v_lshl_add_u64 v[80:81], v[80:81], 3, s[0:1]
	s_mov_b64 s[2:3], -1
	v_max_f32_e32 v85, v84, v84
	s_mov_b64 vcc, s[8:9]
	s_cbranch_vccz .LBB117_143
; %bb.142:
	v_min_f32_e32 v84, 0, v85
	v_cvt_f64_f32_e32 v[86:87], v84
	v_lshl_add_u64 v[88:89], v[136:137], 3, v[80:81]
	flat_store_dwordx2 v[88:89], v[86:87]
	s_mov_b64 s[2:3], 0
.LBB117_143:
	v_lshl_add_u64 v[82:83], v[82:83], 3, s[16:17]
	s_andn2_b64 vcc, exec, s[2:3]
	v_mov_b32_e32 v84, 0
	s_cbranch_vccnz .LBB117_145
; %bb.144:
	v_lshl_add_u64 v[86:87], v[82:83], 0, v[140:141]
	flat_load_dwordx2 v[86:87], v[86:87]
	v_lshl_add_u64 v[88:89], v[80:81], 0, v[140:141]
	s_waitcnt vmcnt(0) lgkmcnt(0)
	v_mul_f64 v[86:87], s[10:11], v[86:87]
	v_cvt_f32_f64_e32 v84, v[86:87]
	v_min_f32_e32 v84, v84, v85
	v_cvt_f64_f32_e32 v[84:85], v84
	flat_store_dwordx2 v[88:89], v[84:85]
	v_lshl_add_u64 v[84:85], v[128:129], 3, v[82:83]
	flat_load_dwordx2 v[84:85], v[84:85]
	s_waitcnt vmcnt(0) lgkmcnt(0)
	v_mul_f64 v[84:85], s[10:11], v[84:85]
	v_cvt_f32_f64_e32 v84, v[84:85]
.LBB117_145:
	v_add_f64 v[86:87], v[62:63], v[78:79]
	v_add_f64 v[88:89], v[60:61], v[76:77]
	v_cvt_f32_f64_e32 v85, v[88:89]
	v_cvt_f32_f64_e32 v86, v[86:87]
	v_min3_f32 v85, v85, v86, v175
	v_add_f64 v[86:87], v[58:59], v[78:79]
	v_add_f64 v[88:89], v[56:57], v[76:77]
	v_cvt_f32_f64_e32 v88, v[88:89]
	v_cvt_f32_f64_e32 v86, v[86:87]
	v_min3_f32 v90, v88, v86, v174
	v_add_f64 v[86:87], v[54:55], v[74:75]
	v_add_f64 v[88:89], v[52:53], v[72:73]
	v_cvt_f32_f64_e32 v88, v[88:89]
	v_cvt_f32_f64_e32 v86, v[86:87]
	v_min_f32_e32 v91, v88, v86
	v_add_f64 v[86:87], v[50:51], v[74:75]
	v_add_f64 v[88:89], v[48:49], v[72:73]
	v_cvt_f32_f64_e32 v88, v[88:89]
	v_cvt_f32_f64_e32 v86, v[86:87]
	v_min3_f32 v84, v84, v91, v85
	v_min3_f32 v88, v88, v86, v90
	v_cvt_f64_f32_e32 v[84:85], v84
	v_lshl_add_u64 v[86:87], v[128:129], 3, v[80:81]
	flat_store_dwordx2 v[86:87], v[84:85]
	s_mov_b64 s[2:3], -1
	v_max_f32_e32 v85, v88, v88
	s_mov_b64 vcc, s[8:9]
	s_cbranch_vccz .LBB117_147
; %bb.146:
	v_min_f32_e32 v84, 0, v85
	v_cvt_f64_f32_e32 v[86:87], v84
	v_lshl_add_u64 v[88:89], v[138:139], 3, v[80:81]
	flat_store_dwordx2 v[88:89], v[86:87]
	s_mov_b64 s[2:3], 0
.LBB117_147:
	s_andn2_b64 vcc, exec, s[2:3]
	v_mov_b32_e32 v84, 0
	s_cbranch_vccnz .LBB117_149
; %bb.148:
	v_lshl_add_u64 v[86:87], v[82:83], 0, v[144:145]
	flat_load_dwordx2 v[86:87], v[86:87]
	v_lshl_add_u64 v[88:89], v[80:81], 0, v[144:145]
	s_waitcnt vmcnt(0) lgkmcnt(0)
	v_mul_f64 v[86:87], s[10:11], v[86:87]
	v_cvt_f32_f64_e32 v84, v[86:87]
	v_min_f32_e32 v84, v84, v85
	v_cvt_f64_f32_e32 v[84:85], v84
	flat_store_dwordx2 v[88:89], v[84:85]
	v_lshl_add_u64 v[84:85], v[130:131], 3, v[82:83]
	flat_load_dwordx2 v[84:85], v[84:85]
	s_waitcnt vmcnt(0) lgkmcnt(0)
	v_mul_f64 v[84:85], s[10:11], v[84:85]
	v_cvt_f32_f64_e32 v84, v[84:85]
.LBB117_149:
	v_add_f64 v[86:87], v[46:47], v[78:79]
	v_add_f64 v[88:89], v[44:45], v[76:77]
	v_cvt_f32_f64_e32 v85, v[88:89]
	v_cvt_f32_f64_e32 v86, v[86:87]
	v_min3_f32 v85, v85, v86, v173
	v_add_f64 v[86:87], v[42:43], v[78:79]
	v_add_f64 v[88:89], v[40:41], v[76:77]
	v_cvt_f32_f64_e32 v88, v[88:89]
	v_cvt_f32_f64_e32 v86, v[86:87]
	v_min3_f32 v90, v88, v86, v172
	v_add_f64 v[86:87], v[38:39], v[74:75]
	v_add_f64 v[88:89], v[36:37], v[72:73]
	v_cvt_f32_f64_e32 v88, v[88:89]
	v_cvt_f32_f64_e32 v86, v[86:87]
	v_min_f32_e32 v91, v88, v86
	v_add_f64 v[86:87], v[34:35], v[74:75]
	v_add_f64 v[88:89], v[32:33], v[72:73]
	v_cvt_f32_f64_e32 v88, v[88:89]
	v_cvt_f32_f64_e32 v86, v[86:87]
	v_min3_f32 v84, v84, v91, v85
	v_min3_f32 v88, v88, v86, v90
	v_cvt_f64_f32_e32 v[84:85], v84
	v_lshl_add_u64 v[86:87], v[130:131], 3, v[80:81]
	flat_store_dwordx2 v[86:87], v[84:85]
	s_mov_b64 s[2:3], -1
	v_max_f32_e32 v85, v88, v88
	s_mov_b64 vcc, s[8:9]
	s_cbranch_vccz .LBB117_151
; %bb.150:
	v_min_f32_e32 v84, 0, v85
	v_cvt_f64_f32_e32 v[86:87], v84
	v_lshl_add_u64 v[88:89], v[142:143], 3, v[80:81]
	flat_store_dwordx2 v[88:89], v[86:87]
	s_mov_b64 s[2:3], 0
.LBB117_151:
	;; [unrolled: 54-line block ×3, first 2 shown]
	s_andn2_b64 vcc, exec, s[2:3]
	v_mov_b32_e32 v84, 0
	s_cbranch_vccnz .LBB117_157
; %bb.156:
	v_lshl_add_u64 v[86:87], v[82:83], 0, v[150:151]
	flat_load_dwordx2 v[86:87], v[86:87]
	v_lshl_add_u64 v[88:89], v[80:81], 0, v[150:151]
	v_lshl_add_u64 v[82:83], v[134:135], 3, v[82:83]
	s_waitcnt vmcnt(0) lgkmcnt(0)
	v_mul_f64 v[86:87], s[10:11], v[86:87]
	v_cvt_f32_f64_e32 v84, v[86:87]
	v_min_f32_e32 v84, v84, v85
	v_cvt_f64_f32_e32 v[84:85], v84
	flat_store_dwordx2 v[88:89], v[84:85]
	flat_load_dwordx2 v[82:83], v[82:83]
	s_waitcnt vmcnt(0) lgkmcnt(0)
	v_mul_f64 v[82:83], s[10:11], v[82:83]
	v_cvt_f32_f64_e32 v84, v[82:83]
.LBB117_157:
	v_add_f64 v[78:79], v[2:3], v[78:79]
	v_add_f64 v[76:77], v[0:1], v[76:77]
	;; [unrolled: 1-line block ×4, first 2 shown]
	v_cvt_f32_f64_e32 v76, v[76:77]
	v_cvt_f32_f64_e32 v77, v[78:79]
	v_cvt_f32_f64_e32 v68, v[68:69]
	v_cvt_f32_f64_e32 v69, v[70:71]
	v_min3_f32 v76, v76, v77, v169
	v_min3_f32 v77, v68, v69, v168
	v_add_f64 v[68:69], v[10:11], v[74:75]
	v_add_f64 v[70:71], v[8:9], v[72:73]
	v_cvt_f32_f64_e32 v70, v[70:71]
	v_cvt_f32_f64_e32 v68, v[68:69]
	v_add_f64 v[66:67], v[66:67], v[14:15]
	v_add_f64 v[64:65], v[64:65], v[12:13]
	v_min_f32_e32 v68, v70, v68
	v_cvt_f32_f64_e32 v64, v[64:65]
	v_cvt_f32_f64_e32 v65, v[66:67]
	v_min3_f32 v69, v64, v65, v77
	v_min3_f32 v64, v84, v68, v76
	v_cvt_f64_f32_e32 v[64:65], v64
	v_lshl_add_u64 v[66:67], v[134:135], 3, v[80:81]
	flat_store_dwordx2 v[66:67], v[64:65]
	v_add_u32_e32 v66, 0xe0, v156
	v_mad_i64_i32 v[64:65], s[2:3], v66, s5, 0
	v_lshl_add_u64 v[64:65], v[64:65], 3, s[0:1]
	v_mad_i64_i32 v[66:67], s[0:1], v66, s4, 0
	s_mov_b64 s[0:1], -1
	v_max_f32_e32 v69, v69, v69
	s_mov_b64 vcc, s[8:9]
	s_cbranch_vccz .LBB117_159
; %bb.158:
	v_min_f32_e32 v68, 0, v69
	v_cvt_f64_f32_e32 v[70:71], v68
	v_lshl_add_u64 v[72:73], v[136:137], 3, v[64:65]
	flat_store_dwordx2 v[72:73], v[70:71]
	s_mov_b64 s[0:1], 0
.LBB117_159:
	v_lshl_add_u64 v[66:67], v[66:67], 3, s[16:17]
	s_andn2_b64 vcc, exec, s[0:1]
	v_mov_b32_e32 v68, 0
	s_cbranch_vccnz .LBB117_161
; %bb.160:
	v_lshl_add_u64 v[70:71], v[66:67], 0, v[140:141]
	flat_load_dwordx2 v[70:71], v[70:71]
	v_lshl_add_u64 v[72:73], v[64:65], 0, v[140:141]
	s_waitcnt vmcnt(0) lgkmcnt(0)
	v_mul_f64 v[70:71], s[10:11], v[70:71]
	v_cvt_f32_f64_e32 v68, v[70:71]
	v_min_f32_e32 v68, v68, v69
	v_cvt_f64_f32_e32 v[68:69], v68
	flat_store_dwordx2 v[72:73], v[68:69]
	v_lshl_add_u64 v[68:69], v[128:129], 3, v[66:67]
	flat_load_dwordx2 v[68:69], v[68:69]
	s_waitcnt vmcnt(0) lgkmcnt(0)
	v_mul_f64 v[68:69], s[10:11], v[68:69]
	v_cvt_f32_f64_e32 v68, v[68:69]
.LBB117_161:
	v_add_f64 v[62:63], v[62:63], v[6:7]
	v_add_f64 v[60:61], v[60:61], v[4:5]
	v_add_f64 v[58:59], v[58:59], v[6:7]
	v_add_f64 v[56:57], v[56:57], v[4:5]
	v_add_f64 v[54:55], v[54:55], v[14:15]
	v_add_f64 v[52:53], v[52:53], v[12:13]
	v_cvt_f32_f64_e32 v60, v[60:61]
	v_cvt_f32_f64_e32 v61, v[62:63]
	v_cvt_f32_f64_e32 v56, v[56:57]
	v_cvt_f32_f64_e32 v57, v[58:59]
	v_cvt_f32_f64_e32 v52, v[52:53]
	v_cvt_f32_f64_e32 v53, v[54:55]
	v_add_f64 v[50:51], v[50:51], v[14:15]
	v_add_f64 v[48:49], v[48:49], v[12:13]
	v_min3_f32 v60, v60, v61, v167
	v_min3_f32 v56, v56, v57, v166
	v_min_f32_e32 v52, v52, v53
	v_cvt_f32_f64_e32 v48, v[48:49]
	v_cvt_f32_f64_e32 v49, v[50:51]
	v_min3_f32 v53, v48, v49, v56
	v_min3_f32 v48, v68, v52, v60
	v_cvt_f64_f32_e32 v[48:49], v48
	v_lshl_add_u64 v[50:51], v[128:129], 3, v[64:65]
	flat_store_dwordx2 v[50:51], v[48:49]
	s_mov_b64 s[0:1], -1
	v_max_f32_e32 v49, v53, v53
	s_mov_b64 vcc, s[8:9]
	s_cbranch_vccz .LBB117_163
; %bb.162:
	v_min_f32_e32 v48, 0, v49
	v_cvt_f64_f32_e32 v[50:51], v48
	v_lshl_add_u64 v[52:53], v[138:139], 3, v[64:65]
	flat_store_dwordx2 v[52:53], v[50:51]
	s_mov_b64 s[0:1], 0
.LBB117_163:
	s_andn2_b64 vcc, exec, s[0:1]
	v_mov_b32_e32 v48, 0
	s_cbranch_vccnz .LBB117_165
; %bb.164:
	v_lshl_add_u64 v[50:51], v[66:67], 0, v[144:145]
	flat_load_dwordx2 v[50:51], v[50:51]
	v_lshl_add_u64 v[52:53], v[64:65], 0, v[144:145]
	s_waitcnt vmcnt(0) lgkmcnt(0)
	v_mul_f64 v[50:51], s[10:11], v[50:51]
	v_cvt_f32_f64_e32 v48, v[50:51]
	v_min_f32_e32 v48, v48, v49
	v_cvt_f64_f32_e32 v[48:49], v48
	flat_store_dwordx2 v[52:53], v[48:49]
	v_lshl_add_u64 v[48:49], v[130:131], 3, v[66:67]
	flat_load_dwordx2 v[48:49], v[48:49]
	s_waitcnt vmcnt(0) lgkmcnt(0)
	v_mul_f64 v[48:49], s[10:11], v[48:49]
	v_cvt_f32_f64_e32 v48, v[48:49]
.LBB117_165:
	v_add_f64 v[46:47], v[46:47], v[6:7]
	v_add_f64 v[44:45], v[44:45], v[4:5]
	v_add_f64 v[42:43], v[42:43], v[6:7]
	v_add_f64 v[40:41], v[40:41], v[4:5]
	v_add_f64 v[38:39], v[38:39], v[14:15]
	v_add_f64 v[36:37], v[36:37], v[12:13]
	v_cvt_f32_f64_e32 v44, v[44:45]
	v_cvt_f32_f64_e32 v45, v[46:47]
	v_cvt_f32_f64_e32 v40, v[40:41]
	v_cvt_f32_f64_e32 v41, v[42:43]
	v_cvt_f32_f64_e32 v36, v[36:37]
	v_cvt_f32_f64_e32 v37, v[38:39]
	v_add_f64 v[34:35], v[34:35], v[14:15]
	v_add_f64 v[32:33], v[32:33], v[12:13]
	v_min3_f32 v44, v44, v45, v165
	v_min3_f32 v40, v40, v41, v164
	v_min_f32_e32 v36, v36, v37
	v_cvt_f32_f64_e32 v32, v[32:33]
	v_cvt_f32_f64_e32 v33, v[34:35]
	v_min3_f32 v37, v32, v33, v40
	v_min3_f32 v32, v48, v36, v44
	v_cvt_f64_f32_e32 v[32:33], v32
	v_lshl_add_u64 v[34:35], v[130:131], 3, v[64:65]
	flat_store_dwordx2 v[34:35], v[32:33]
	s_mov_b64 s[0:1], -1
	v_max_f32_e32 v33, v37, v37
	s_mov_b64 vcc, s[8:9]
	s_cbranch_vccz .LBB117_167
; %bb.166:
	v_min_f32_e32 v32, 0, v33
	v_cvt_f64_f32_e32 v[34:35], v32
	v_lshl_add_u64 v[36:37], v[142:143], 3, v[64:65]
	flat_store_dwordx2 v[36:37], v[34:35]
	s_mov_b64 s[0:1], 0
.LBB117_167:
	;; [unrolled: 54-line block ×3, first 2 shown]
	s_andn2_b64 vcc, exec, s[0:1]
	v_mov_b32_e32 v16, 0
	s_cbranch_vccnz .LBB117_173
; %bb.172:
	v_lshl_add_u64 v[18:19], v[66:67], 0, v[150:151]
	flat_load_dwordx2 v[18:19], v[18:19]
	v_lshl_add_u64 v[20:21], v[64:65], 0, v[150:151]
	s_waitcnt vmcnt(0) lgkmcnt(0)
	v_mul_f64 v[18:19], s[10:11], v[18:19]
	v_cvt_f32_f64_e32 v16, v[18:19]
	v_min_f32_e32 v16, v16, v17
	v_cvt_f64_f32_e32 v[16:17], v16
	flat_store_dwordx2 v[20:21], v[16:17]
	v_lshl_add_u64 v[16:17], v[134:135], 3, v[66:67]
	flat_load_dwordx2 v[16:17], v[16:17]
	s_waitcnt vmcnt(0) lgkmcnt(0)
	v_mul_f64 v[16:17], s[10:11], v[16:17]
	v_cvt_f32_f64_e32 v16, v[16:17]
.LBB117_173:
	v_add_f64 v[10:11], v[10:11], v[14:15]
	v_add_f64 v[8:9], v[8:9], v[12:13]
	;; [unrolled: 1-line block ×4, first 2 shown]
	v_cvt_f32_f64_e32 v8, v[8:9]
	v_cvt_f32_f64_e32 v9, v[10:11]
	;; [unrolled: 1-line block ×4, first 2 shown]
	v_min_f32_e32 v8, v8, v9
	v_min3_f32 v0, v0, v1, v160
	v_min3_f32 v0, v16, v8, v0
	v_cvt_f64_f32_e32 v[0:1], v0
	v_lshl_add_u64 v[2:3], v[134:135], 3, v[64:65]
	flat_store_dwordx2 v[2:3], v[0:1]
	s_endpgm
	.section	.rodata,"a",@progbits
	.p2align	6, 0x0
	.amdhsa_kernel _ZN12_GLOBAL__N_120geam_min_plus_kernelId15HIP_vector_typeIdLj2EEdLi8ELi32ELi64ELi256ELi4ELi64ELi4ELi64ELi4ELc78ELc84ELb0ELb0ELb1EPKdKS4_KPdEEviiiT16_PT17_ilSA_ilS8_SA_ilPT18_ili26rocblas_geam_ex_operation_
		.amdhsa_group_segment_fixed_size 20480
		.amdhsa_private_segment_fixed_size 0
		.amdhsa_kernarg_size 136
		.amdhsa_user_sgpr_count 2
		.amdhsa_user_sgpr_dispatch_ptr 0
		.amdhsa_user_sgpr_queue_ptr 0
		.amdhsa_user_sgpr_kernarg_segment_ptr 1
		.amdhsa_user_sgpr_dispatch_id 0
		.amdhsa_user_sgpr_kernarg_preload_length 0
		.amdhsa_user_sgpr_kernarg_preload_offset 0
		.amdhsa_user_sgpr_private_segment_size 0
		.amdhsa_uses_dynamic_stack 0
		.amdhsa_enable_private_segment 0
		.amdhsa_system_sgpr_workgroup_id_x 1
		.amdhsa_system_sgpr_workgroup_id_y 0
		.amdhsa_system_sgpr_workgroup_id_z 1
		.amdhsa_system_sgpr_workgroup_info 0
		.amdhsa_system_vgpr_workitem_id 1
		.amdhsa_next_free_vgpr 234
		.amdhsa_next_free_sgpr 32
		.amdhsa_accum_offset 236
		.amdhsa_reserve_vcc 1
		.amdhsa_float_round_mode_32 0
		.amdhsa_float_round_mode_16_64 0
		.amdhsa_float_denorm_mode_32 3
		.amdhsa_float_denorm_mode_16_64 3
		.amdhsa_dx10_clamp 1
		.amdhsa_ieee_mode 1
		.amdhsa_fp16_overflow 0
		.amdhsa_tg_split 0
		.amdhsa_exception_fp_ieee_invalid_op 0
		.amdhsa_exception_fp_denorm_src 0
		.amdhsa_exception_fp_ieee_div_zero 0
		.amdhsa_exception_fp_ieee_overflow 0
		.amdhsa_exception_fp_ieee_underflow 0
		.amdhsa_exception_fp_ieee_inexact 0
		.amdhsa_exception_int_div_zero 0
	.end_amdhsa_kernel
	.section	.text._ZN12_GLOBAL__N_120geam_min_plus_kernelId15HIP_vector_typeIdLj2EEdLi8ELi32ELi64ELi256ELi4ELi64ELi4ELi64ELi4ELc78ELc84ELb0ELb0ELb1EPKdKS4_KPdEEviiiT16_PT17_ilSA_ilS8_SA_ilPT18_ili26rocblas_geam_ex_operation_,"axG",@progbits,_ZN12_GLOBAL__N_120geam_min_plus_kernelId15HIP_vector_typeIdLj2EEdLi8ELi32ELi64ELi256ELi4ELi64ELi4ELi64ELi4ELc78ELc84ELb0ELb0ELb1EPKdKS4_KPdEEviiiT16_PT17_ilSA_ilS8_SA_ilPT18_ili26rocblas_geam_ex_operation_,comdat
.Lfunc_end117:
	.size	_ZN12_GLOBAL__N_120geam_min_plus_kernelId15HIP_vector_typeIdLj2EEdLi8ELi32ELi64ELi256ELi4ELi64ELi4ELi64ELi4ELc78ELc84ELb0ELb0ELb1EPKdKS4_KPdEEviiiT16_PT17_ilSA_ilS8_SA_ilPT18_ili26rocblas_geam_ex_operation_, .Lfunc_end117-_ZN12_GLOBAL__N_120geam_min_plus_kernelId15HIP_vector_typeIdLj2EEdLi8ELi32ELi64ELi256ELi4ELi64ELi4ELi64ELi4ELc78ELc84ELb0ELb0ELb1EPKdKS4_KPdEEviiiT16_PT17_ilSA_ilS8_SA_ilPT18_ili26rocblas_geam_ex_operation_
                                        ; -- End function
	.set _ZN12_GLOBAL__N_120geam_min_plus_kernelId15HIP_vector_typeIdLj2EEdLi8ELi32ELi64ELi256ELi4ELi64ELi4ELi64ELi4ELc78ELc84ELb0ELb0ELb1EPKdKS4_KPdEEviiiT16_PT17_ilSA_ilS8_SA_ilPT18_ili26rocblas_geam_ex_operation_.num_vgpr, 234
	.set _ZN12_GLOBAL__N_120geam_min_plus_kernelId15HIP_vector_typeIdLj2EEdLi8ELi32ELi64ELi256ELi4ELi64ELi4ELi64ELi4ELc78ELc84ELb0ELb0ELb1EPKdKS4_KPdEEviiiT16_PT17_ilSA_ilS8_SA_ilPT18_ili26rocblas_geam_ex_operation_.num_agpr, 0
	.set _ZN12_GLOBAL__N_120geam_min_plus_kernelId15HIP_vector_typeIdLj2EEdLi8ELi32ELi64ELi256ELi4ELi64ELi4ELi64ELi4ELc78ELc84ELb0ELb0ELb1EPKdKS4_KPdEEviiiT16_PT17_ilSA_ilS8_SA_ilPT18_ili26rocblas_geam_ex_operation_.numbered_sgpr, 32
	.set _ZN12_GLOBAL__N_120geam_min_plus_kernelId15HIP_vector_typeIdLj2EEdLi8ELi32ELi64ELi256ELi4ELi64ELi4ELi64ELi4ELc78ELc84ELb0ELb0ELb1EPKdKS4_KPdEEviiiT16_PT17_ilSA_ilS8_SA_ilPT18_ili26rocblas_geam_ex_operation_.num_named_barrier, 0
	.set _ZN12_GLOBAL__N_120geam_min_plus_kernelId15HIP_vector_typeIdLj2EEdLi8ELi32ELi64ELi256ELi4ELi64ELi4ELi64ELi4ELc78ELc84ELb0ELb0ELb1EPKdKS4_KPdEEviiiT16_PT17_ilSA_ilS8_SA_ilPT18_ili26rocblas_geam_ex_operation_.private_seg_size, 0
	.set _ZN12_GLOBAL__N_120geam_min_plus_kernelId15HIP_vector_typeIdLj2EEdLi8ELi32ELi64ELi256ELi4ELi64ELi4ELi64ELi4ELc78ELc84ELb0ELb0ELb1EPKdKS4_KPdEEviiiT16_PT17_ilSA_ilS8_SA_ilPT18_ili26rocblas_geam_ex_operation_.uses_vcc, 1
	.set _ZN12_GLOBAL__N_120geam_min_plus_kernelId15HIP_vector_typeIdLj2EEdLi8ELi32ELi64ELi256ELi4ELi64ELi4ELi64ELi4ELc78ELc84ELb0ELb0ELb1EPKdKS4_KPdEEviiiT16_PT17_ilSA_ilS8_SA_ilPT18_ili26rocblas_geam_ex_operation_.uses_flat_scratch, 0
	.set _ZN12_GLOBAL__N_120geam_min_plus_kernelId15HIP_vector_typeIdLj2EEdLi8ELi32ELi64ELi256ELi4ELi64ELi4ELi64ELi4ELc78ELc84ELb0ELb0ELb1EPKdKS4_KPdEEviiiT16_PT17_ilSA_ilS8_SA_ilPT18_ili26rocblas_geam_ex_operation_.has_dyn_sized_stack, 0
	.set _ZN12_GLOBAL__N_120geam_min_plus_kernelId15HIP_vector_typeIdLj2EEdLi8ELi32ELi64ELi256ELi4ELi64ELi4ELi64ELi4ELc78ELc84ELb0ELb0ELb1EPKdKS4_KPdEEviiiT16_PT17_ilSA_ilS8_SA_ilPT18_ili26rocblas_geam_ex_operation_.has_recursion, 0
	.set _ZN12_GLOBAL__N_120geam_min_plus_kernelId15HIP_vector_typeIdLj2EEdLi8ELi32ELi64ELi256ELi4ELi64ELi4ELi64ELi4ELc78ELc84ELb0ELb0ELb1EPKdKS4_KPdEEviiiT16_PT17_ilSA_ilS8_SA_ilPT18_ili26rocblas_geam_ex_operation_.has_indirect_call, 0
	.section	.AMDGPU.csdata,"",@progbits
; Kernel info:
; codeLenInByte = 25192
; TotalNumSgprs: 38
; NumVgprs: 234
; NumAgprs: 0
; TotalNumVgprs: 234
; ScratchSize: 0
; MemoryBound: 0
; FloatMode: 240
; IeeeMode: 1
; LDSByteSize: 20480 bytes/workgroup (compile time only)
; SGPRBlocks: 4
; VGPRBlocks: 29
; NumSGPRsForWavesPerEU: 38
; NumVGPRsForWavesPerEU: 234
; AccumOffset: 236
; Occupancy: 2
; WaveLimiterHint : 1
; COMPUTE_PGM_RSRC2:SCRATCH_EN: 0
; COMPUTE_PGM_RSRC2:USER_SGPR: 2
; COMPUTE_PGM_RSRC2:TRAP_HANDLER: 0
; COMPUTE_PGM_RSRC2:TGID_X_EN: 1
; COMPUTE_PGM_RSRC2:TGID_Y_EN: 0
; COMPUTE_PGM_RSRC2:TGID_Z_EN: 1
; COMPUTE_PGM_RSRC2:TIDIG_COMP_CNT: 1
; COMPUTE_PGM_RSRC3_GFX90A:ACCUM_OFFSET: 58
; COMPUTE_PGM_RSRC3_GFX90A:TG_SPLIT: 0
	.section	.text._ZN12_GLOBAL__N_120geam_min_plus_kernelId15HIP_vector_typeIdLj2EEdLi8ELi32ELi64ELi256ELi4ELi64ELi4ELi64ELi4ELc78ELc84ELb1ELb0ELb1EdKPKdKPdEEviiiT16_PT17_ilSA_ilS8_SA_ilPT18_ili26rocblas_geam_ex_operation_,"axG",@progbits,_ZN12_GLOBAL__N_120geam_min_plus_kernelId15HIP_vector_typeIdLj2EEdLi8ELi32ELi64ELi256ELi4ELi64ELi4ELi64ELi4ELc78ELc84ELb1ELb0ELb1EdKPKdKPdEEviiiT16_PT17_ilSA_ilS8_SA_ilPT18_ili26rocblas_geam_ex_operation_,comdat
	.globl	_ZN12_GLOBAL__N_120geam_min_plus_kernelId15HIP_vector_typeIdLj2EEdLi8ELi32ELi64ELi256ELi4ELi64ELi4ELi64ELi4ELc78ELc84ELb1ELb0ELb1EdKPKdKPdEEviiiT16_PT17_ilSA_ilS8_SA_ilPT18_ili26rocblas_geam_ex_operation_ ; -- Begin function _ZN12_GLOBAL__N_120geam_min_plus_kernelId15HIP_vector_typeIdLj2EEdLi8ELi32ELi64ELi256ELi4ELi64ELi4ELi64ELi4ELc78ELc84ELb1ELb0ELb1EdKPKdKPdEEviiiT16_PT17_ilSA_ilS8_SA_ilPT18_ili26rocblas_geam_ex_operation_
	.p2align	8
	.type	_ZN12_GLOBAL__N_120geam_min_plus_kernelId15HIP_vector_typeIdLj2EEdLi8ELi32ELi64ELi256ELi4ELi64ELi4ELi64ELi4ELc78ELc84ELb1ELb0ELb1EdKPKdKPdEEviiiT16_PT17_ilSA_ilS8_SA_ilPT18_ili26rocblas_geam_ex_operation_,@function
_ZN12_GLOBAL__N_120geam_min_plus_kernelId15HIP_vector_typeIdLj2EEdLi8ELi32ELi64ELi256ELi4ELi64ELi4ELi64ELi4ELc78ELc84ELb1ELb0ELb1EdKPKdKPdEEviiiT16_PT17_ilSA_ilS8_SA_ilPT18_ili26rocblas_geam_ex_operation_: ; @_ZN12_GLOBAL__N_120geam_min_plus_kernelId15HIP_vector_typeIdLj2EEdLi8ELi32ELi64ELi256ELi4ELi64ELi4ELi64ELi4ELc78ELc84ELb1ELb0ELb1EdKPKdKPdEEviiiT16_PT17_ilSA_ilS8_SA_ilPT18_ili26rocblas_geam_ex_operation_
; %bb.0:
	s_load_dwordx4 s[4:7], s[0:1], 0x10
	s_load_dwordx4 s[8:11], s[0:1], 0x28
	s_mov_b32 s18, s3
	s_mov_b64 s[14:15], 0
	s_waitcnt lgkmcnt(0)
	v_cmp_eq_f64_e64 s[12:13], s[4:5], 0
	s_and_b64 vcc, exec, s[12:13]
	s_cbranch_vccnz .LBB118_2
; %bb.1:
	s_mov_b32 s19, 0
	s_lshl_b64 s[4:5], s[18:19], 3
	s_add_u32 s4, s6, s4
	s_addc_u32 s5, s7, s5
	s_load_dwordx2 s[4:5], s[4:5], 0x0
	s_lshl_b64 s[6:7], s[8:9], 3
	s_waitcnt lgkmcnt(0)
	s_add_u32 s14, s4, s6
	s_addc_u32 s15, s5, s7
.LBB118_2:
	s_load_dwordx4 s[4:7], s[0:1], 0x40
	s_load_dwordx2 s[20:21], s[0:1], 0x50
	s_andn2_b64 vcc, exec, s[12:13]
	s_mov_b32 s19, 0
	s_cbranch_vccnz .LBB118_4
; %bb.3:
	s_mov_b64 s[12:13], 0
	s_mov_b64 s[16:17], 0
	s_cbranch_execz .LBB118_5
	s_branch .LBB118_6
.LBB118_4:
	s_mov_b64 s[12:13], 0
	s_mov_b64 s[16:17], 0
.LBB118_5:
	s_lshl_b64 s[8:9], s[18:19], 3
	s_add_u32 s8, s10, s8
	s_addc_u32 s9, s11, s9
	s_load_dwordx2 s[8:9], s[8:9], 0x0
	s_waitcnt lgkmcnt(0)
	s_lshl_b64 s[4:5], s[4:5], 3
	s_add_u32 s16, s8, s4
	s_addc_u32 s17, s9, s5
.LBB118_6:
	s_load_dwordx4 s[8:11], s[0:1], 0x60
	s_waitcnt lgkmcnt(0)
	v_cmp_eq_f64_e64 s[4:5], s[6:7], 0
	s_and_b64 s[4:5], exec, s[4:5]
	s_mov_b64 vcc, s[4:5]
	s_cbranch_vccnz .LBB118_8
; %bb.7:
	s_lshl_b64 s[12:13], s[18:19], 3
	s_add_u32 s12, s20, s12
	s_addc_u32 s13, s21, s13
	s_load_dwordx2 s[12:13], s[12:13], 0x0
	s_lshl_b64 s[8:9], s[8:9], 3
	s_waitcnt lgkmcnt(0)
	s_add_u32 s12, s12, s8
	s_addc_u32 s13, s13, s9
.LBB118_8:
	s_load_dword s3, s[0:1], 0x0
	s_load_dword s20, s[0:1], 0x20
	s_lshl_b64 s[8:9], s[18:19], 3
	s_add_u32 s8, s10, s8
	s_addc_u32 s9, s11, s9
	s_waitcnt lgkmcnt(0)
	s_add_i32 s3, s3, -1
	s_ashr_i32 s10, s3, 31
	s_lshr_b32 s10, s10, 26
	s_add_i32 s3, s3, s10
	s_ashr_i32 s3, s3, 6
	s_add_i32 s10, s3, 1
	v_cvt_f32_u32_e32 v1, s10
	s_not_b32 s3, s3
	s_load_dword s18, s[0:1], 0x38
	s_load_dword s24, s[0:1], 0x8
	v_and_b32_e32 v128, 0x3ff, v0
	v_rcp_iflag_f32_e32 v1, v1
	v_bfe_u32 v129, v0, 10, 10
	v_lshl_add_u32 v0, v129, 3, v128
	v_and_b32_e32 v18, 63, v0
	v_mul_f32_e32 v1, 0x4f7ffffe, v1
	v_cvt_u32_f32_e32 v1, v1
	v_lshrrev_b32_e32 v116, 6, v0
	v_lshlrev_b32_e32 v114, 5, v128
	v_lshlrev_b32_e32 v130, 5, v129
	v_readfirstlane_b32 s11, v1
	s_mul_i32 s3, s3, s11
	s_mul_hi_u32 s3, s11, s3
	s_add_i32 s11, s11, s3
	s_mul_hi_u32 s3, s2, s11
	s_mul_i32 s11, s3, s10
	s_sub_i32 s11, s2, s11
	s_add_i32 s19, s3, 1
	s_sub_i32 s21, s11, s10
	s_cmp_ge_u32 s11, s10
	s_cselect_b32 s3, s19, s3
	s_cselect_b32 s11, s21, s11
	s_add_i32 s19, s3, 1
	s_cmp_ge_u32 s11, s10
	s_cselect_b32 s3, s19, s3
	s_mul_i32 s10, s3, s10
	s_sub_i32 s2, s2, s10
	s_lshl_b32 s23, s3, 8
	s_lshl_b32 s22, s2, 6
	v_or_b32_e32 v102, s23, v18
	v_or_b32_e32 v100, s22, v18
	s_waitcnt lgkmcnt(0)
	v_mad_i64_i32 v[4:5], s[2:3], s18, v116, 0
	v_ashrrev_i32_e32 v103, 31, v102
	v_mad_i64_i32 v[0:1], s[2:3], s20, v116, 0
	v_ashrrev_i32_e32 v101, 31, v100
	v_lshl_add_u64 v[4:5], v[4:5], 3, s[16:17]
	v_lshlrev_b64 v[6:7], 3, v[102:103]
	v_lshl_add_u64 v[0:1], v[0:1], 3, s[14:15]
	v_lshlrev_b64 v[2:3], 3, v[100:101]
	v_lshl_add_u64 v[4:5], v[4:5], 0, v[6:7]
	v_lshl_add_u64 v[0:1], v[0:1], 0, v[2:3]
	flat_load_dwordx2 v[8:9], v[4:5]
	flat_load_dwordx2 v[10:11], v[4:5] offset:512
	flat_load_dwordx2 v[12:13], v[4:5] offset:1024
	;; [unrolled: 1-line block ×3, first 2 shown]
	flat_load_dwordx2 v[16:17], v[0:1]
	v_add_u32_e32 v4, 4, v116
	v_lshlrev_b32_e32 v0, 5, v18
	s_load_dwordx2 s[2:3], s[8:9], 0x0
	v_lshl_add_u32 v115, v116, 3, v0
	v_mad_i64_i32 v[0:1], s[8:9], s20, v4, 0
	v_mad_i64_i32 v[4:5], s[8:9], s18, v4, 0
	v_lshl_add_u64 v[0:1], v[0:1], 3, s[14:15]
	v_lshl_add_u64 v[4:5], v[4:5], 3, s[16:17]
	;; [unrolled: 1-line block ×4, first 2 shown]
	flat_load_dwordx2 v[104:105], v[4:5]
	flat_load_dwordx2 v[108:109], v[4:5] offset:512
	flat_load_dwordx2 v[106:107], v[4:5] offset:1024
	;; [unrolled: 1-line block ×3, first 2 shown]
	flat_load_dwordx2 v[112:113], v[0:1]
	s_mov_b32 s10, 0x7f800000
	s_cmp_lt_i32 s24, 9
	s_waitcnt vmcnt(0) lgkmcnt(0)
	ds_write2st64_b64 v115, v[8:9], v[10:11] offset1:4
	ds_write2st64_b64 v115, v[12:13], v[14:15] offset0:8 offset1:12
	ds_write_b64 v115, v[16:17] offset:16384
	s_waitcnt lgkmcnt(0)
	s_barrier
	ds_read_b128 v[12:15], v114 offset:17920
	ds_read_b128 v[8:11], v114 offset:18176
	;; [unrolled: 1-line block ×11, first 2 shown]
	ds_read_b128 v[80:83], v130
	ds_read_b128 v[4:7], v130 offset:16
	ds_read_b128 v[20:23], v114 offset:16640
	ds_read_b128 v[56:59], v114 offset:16656
	ds_read_b128 v[88:91], v114 offset:16896
	ds_read_b128 v[48:51], v114 offset:16912
	ds_read_b128 v[84:87], v114 offset:17152
	ds_read_b128 v[52:55], v114 offset:17168
	ds_read_b128 v[92:95], v114 offset:17408
	ds_read_b128 v[44:47], v114 offset:17424
	ds_read_b128 v[96:99], v114 offset:17664
	ds_read_b128 v[40:43], v114 offset:17680
	s_waitcnt lgkmcnt(11)
	v_add_f64 v[62:63], v[24:25], v[80:81]
	s_waitcnt lgkmcnt(9)
	v_add_f64 v[64:65], v[22:23], v[82:83]
	;; [unrolled: 2-line block ×4, first 2 shown]
	v_add_f64 v[132:133], v[92:93], v[80:81]
	v_add_f64 v[120:121], v[88:89], v[80:81]
	v_cvt_f32_f64_e32 v62, v[62:63]
	v_cvt_f32_f64_e32 v63, v[64:65]
	;; [unrolled: 1-line block ×6, first 2 shown]
	v_min3_f32 v174, v117, v118, s10
	v_add_f64 v[118:119], v[26:27], v[78:79]
	v_add_f64 v[120:121], v[24:25], v[76:77]
	v_cvt_f32_f64_e32 v117, v[120:121]
	v_cvt_f32_f64_e32 v118, v[118:119]
	v_min3_f32 v178, v117, v118, s10
	v_add_f64 v[118:119], v[22:23], v[78:79]
	v_add_f64 v[120:121], v[20:21], v[76:77]
	v_cvt_f32_f64_e32 v117, v[120:121]
	v_cvt_f32_f64_e32 v118, v[118:119]
	;; [unrolled: 5-line block ×5, first 2 shown]
	v_min3_f32 v168, v117, v118, s10
	s_waitcnt lgkmcnt(1)
	v_add_f64 v[118:119], v[98:99], v[78:79]
	v_add_f64 v[120:121], v[96:97], v[76:77]
	v_cvt_f32_f64_e32 v117, v[120:121]
	v_cvt_f32_f64_e32 v118, v[118:119]
	v_min3_f32 v166, v117, v118, s10
	v_add_f64 v[118:119], v[14:15], v[78:79]
	v_add_f64 v[120:121], v[12:13], v[76:77]
	v_cvt_f32_f64_e32 v117, v[120:121]
	v_cvt_f32_f64_e32 v118, v[118:119]
	v_min3_f32 v164, v117, v118, s10
	;; [unrolled: 5-line block ×25, first 2 shown]
	v_add_f64 v[118:119], v[90:91], v[34:35]
	v_add_f64 v[120:121], v[88:89], v[32:33]
	v_cvt_f32_f64_e32 v117, v[120:121]
	v_cvt_f32_f64_e32 v118, v[118:119]
	v_add_f64 v[60:61], v[26:27], v[82:83]
	v_min3_f32 v141, v117, v118, s10
	v_add_f64 v[118:119], v[86:87], v[34:35]
	v_add_f64 v[120:121], v[84:85], v[32:33]
	;; [unrolled: 1-line block ×3, first 2 shown]
	v_cvt_f32_f64_e32 v60, v[60:61]
	v_cvt_f32_f64_e32 v117, v[120:121]
	;; [unrolled: 1-line block ×3, first 2 shown]
	v_min3_f32 v138, v62, v60, s10
	v_cvt_f32_f64_e32 v60, v[136:137]
	v_min3_f32 v137, v117, v118, s10
	v_add_f64 v[118:119], v[94:95], v[34:35]
	v_add_f64 v[120:121], v[92:93], v[32:33]
	v_cvt_f32_f64_e32 v117, v[120:121]
	v_cvt_f32_f64_e32 v118, v[118:119]
	v_min3_f32 v127, v117, v118, s10
	v_add_f64 v[118:119], v[98:99], v[34:35]
	v_add_f64 v[120:121], v[96:97], v[32:33]
	v_add_f64 v[66:67], v[20:21], v[80:81]
	v_add_f64 v[124:125], v[84:85], v[80:81]
	v_cvt_f32_f64_e32 v117, v[120:121]
	v_cvt_f32_f64_e32 v118, v[118:119]
	;; [unrolled: 1-line block ×4, first 2 shown]
	v_min3_f32 v125, v117, v118, s10
	v_add_f64 v[118:119], v[14:15], v[34:35]
	v_add_f64 v[120:121], v[12:13], v[32:33]
	;; [unrolled: 1-line block ×3, first 2 shown]
	v_cvt_f32_f64_e32 v117, v[120:121]
	v_cvt_f32_f64_e32 v118, v[118:119]
	;; [unrolled: 1-line block ×3, first 2 shown]
	v_min3_f32 v123, v117, v118, s10
	v_add_f64 v[118:119], v[26:27], v[30:31]
	v_add_f64 v[132:133], v[24:25], v[28:29]
	v_cvt_f32_f64_e32 v117, v[132:133]
	v_cvt_f32_f64_e32 v118, v[118:119]
	v_min3_f32 v136, v117, v118, s10
	v_add_f64 v[118:119], v[22:23], v[30:31]
	v_add_f64 v[132:133], v[20:21], v[28:29]
	v_cvt_f32_f64_e32 v117, v[132:133]
	v_cvt_f32_f64_e32 v118, v[118:119]
	;; [unrolled: 5-line block ×4, first 2 shown]
	v_min3_f32 v122, v117, v118, s10
	v_add_f64 v[118:119], v[94:95], v[30:31]
	v_add_f64 v[132:133], v[92:93], v[28:29]
	;; [unrolled: 1-line block ×3, first 2 shown]
	v_cvt_f32_f64_e32 v117, v[132:133]
	v_cvt_f32_f64_e32 v118, v[118:119]
	v_add_f64 v[132:133], v[96:97], v[28:29]
	v_add_f64 v[26:27], v[26:27], v[18:19]
	;; [unrolled: 1-line block ×5, first 2 shown]
	v_min3_f32 v139, v61, v63, s10
	v_min3_f32 v172, v64, v65, s10
	;; [unrolled: 1-line block ×3, first 2 shown]
	v_cvt_f32_f64_e32 v61, v[134:135]
	v_add_f64 v[64:65], v[14:15], v[82:83]
	v_add_f64 v[66:67], v[12:13], v[80:81]
	v_add_f64 v[82:83], v[10:11], v[82:83]
	v_add_f64 v[80:81], v[8:9], v[80:81]
	v_add_f64 v[78:79], v[10:11], v[78:79]
	v_add_f64 v[76:77], v[8:9], v[76:77]
	v_add_f64 v[74:75], v[10:11], v[74:75]
	v_add_f64 v[72:73], v[8:9], v[72:73]
	v_add_f64 v[70:71], v[10:11], v[70:71]
	v_add_f64 v[68:69], v[8:9], v[68:69]
	v_add_f64 v[38:39], v[10:11], v[38:39]
	v_add_f64 v[36:37], v[8:9], v[36:37]
	v_add_f64 v[34:35], v[10:11], v[34:35]
	v_add_f64 v[32:33], v[8:9], v[32:33]
	v_min3_f32 v120, v117, v118, s10
	v_add_f64 v[118:119], v[98:99], v[30:31]
	v_cvt_f32_f64_e32 v117, v[132:133]
	v_add_f64 v[132:133], v[14:15], v[30:31]
	v_add_f64 v[134:135], v[12:13], v[28:29]
	;; [unrolled: 1-line block ×4, first 2 shown]
	v_cvt_f32_f64_e32 v24, v[24:25]
	v_cvt_f32_f64_e32 v25, v[26:27]
	;; [unrolled: 1-line block ×4, first 2 shown]
	v_add_f64 v[14:15], v[14:15], v[18:19]
	v_add_f64 v[12:13], v[12:13], v[16:17]
	;; [unrolled: 1-line block ×4, first 2 shown]
	v_min3_f32 v25, v24, v25, s10
	v_min3_f32 v24, v20, v21, s10
	v_add_f64 v[20:21], v[90:91], v[18:19]
	v_add_f64 v[22:23], v[88:89], v[16:17]
	v_cvt_f32_f64_e32 v12, v[12:13]
	v_cvt_f32_f64_e32 v13, v[14:15]
	;; [unrolled: 1-line block ×4, first 2 shown]
	v_add_f64 v[10:11], v[2:3], v[6:7]
	v_add_f64 v[14:15], v[0:1], v[4:5]
	v_cvt_f32_f64_e32 v22, v[22:23]
	v_cvt_f32_f64_e32 v20, v[20:21]
	v_add_f64 v[26:27], v[84:85], v[16:17]
	v_min3_f32 v8, v8, v9, s10
	v_cvt_f32_f64_e32 v9, v[14:15]
	v_cvt_f32_f64_e32 v10, v[10:11]
	v_min3_f32 v23, v22, v20, s10
	v_cvt_f32_f64_e32 v22, v[26:27]
	v_add_f64 v[26:27], v[92:93], v[16:17]
	v_min3_f32 v92, v9, v10, v138
	v_add_f64 v[10:11], v[58:59], v[6:7]
	v_add_f64 v[14:15], v[56:57], v[4:5]
	v_cvt_f32_f64_e32 v9, v[14:15]
	v_cvt_f32_f64_e32 v10, v[10:11]
	v_min3_f32 v138, v9, v10, v139
	v_add_f64 v[10:11], v[50:51], v[6:7]
	v_add_f64 v[14:15], v[48:49], v[4:5]
	v_cvt_f32_f64_e32 v9, v[14:15]
	v_cvt_f32_f64_e32 v10, v[10:11]
	;; [unrolled: 1-line block ×4, first 2 shown]
	v_min3_f32 v139, v9, v10, v172
	v_add_f64 v[10:11], v[54:55], v[6:7]
	v_add_f64 v[14:15], v[52:53], v[4:5]
	v_min3_f32 v175, v60, v61, s10
	ds_read_b128 v[60:63], v114 offset:17936
	v_min3_f32 v176, v66, v64, s10
	ds_read_b128 v[64:67], v114 offset:18192
	v_cvt_f32_f64_e32 v118, v[118:119]
	v_cvt_f32_f64_e32 v9, v[14:15]
	;; [unrolled: 1-line block ×5, first 2 shown]
	v_min3_f32 v119, v117, v118, s10
	v_cvt_f32_f64_e32 v118, v[132:133]
	v_min3_f32 v132, v9, v10, v173
	v_add_f64 v[10:11], v[46:47], v[6:7]
	v_add_f64 v[14:15], v[44:45], v[4:5]
	v_min3_f32 v177, v80, v81, s10
	ds_read_b128 v[80:83], v130 offset:1040
	v_cvt_f32_f64_e32 v9, v[14:15]
	v_cvt_f32_f64_e32 v10, v[10:11]
	v_min3_f32 v133, v9, v10, v174
	s_waitcnt lgkmcnt(3)
	v_add_f64 v[10:11], v[42:43], v[6:7]
	v_add_f64 v[14:15], v[40:41], v[4:5]
	v_cvt_f32_f64_e32 v9, v[14:15]
	v_cvt_f32_f64_e32 v10, v[10:11]
	;; [unrolled: 1-line block ×3, first 2 shown]
	v_min3_f32 v134, v9, v10, v175
	s_waitcnt lgkmcnt(2)
	v_add_f64 v[10:11], v[62:63], v[6:7]
	v_add_f64 v[14:15], v[60:61], v[4:5]
	s_waitcnt lgkmcnt(1)
	v_add_f64 v[6:7], v[66:67], v[6:7]
	v_add_f64 v[4:5], v[64:65], v[4:5]
	v_cvt_f32_f64_e32 v76, v[76:77]
	v_cvt_f32_f64_e32 v77, v[78:79]
	;; [unrolled: 1-line block ×4, first 2 shown]
	v_min3_f32 v161, v76, v77, s10
	ds_read_b128 v[76:79], v130 offset:2064
	v_min3_f32 v211, v4, v5, v177
	s_waitcnt lgkmcnt(1)
	v_add_f64 v[4:5], v[2:3], v[82:83]
	v_add_f64 v[6:7], v[0:1], v[80:81]
	v_cvt_f32_f64_e32 v6, v[6:7]
	v_cvt_f32_f64_e32 v4, v[4:5]
	v_min3_f32 v212, v6, v4, v178
	v_add_f64 v[4:5], v[58:59], v[82:83]
	v_add_f64 v[6:7], v[56:57], v[80:81]
	v_cvt_f32_f64_e32 v6, v[6:7]
	v_cvt_f32_f64_e32 v4, v[4:5]
	v_min3_f32 v209, v6, v4, v179
	;; [unrolled: 5-line block ×8, first 2 shown]
	s_waitcnt lgkmcnt(0)
	v_add_f64 v[4:5], v[2:3], v[78:79]
	v_add_f64 v[6:7], v[0:1], v[76:77]
	v_cvt_f32_f64_e32 v6, v[6:7]
	v_cvt_f32_f64_e32 v4, v[4:5]
	v_min3_f32 v205, v6, v4, v169
	v_add_f64 v[4:5], v[58:59], v[78:79]
	v_add_f64 v[6:7], v[56:57], v[76:77]
	v_cvt_f32_f64_e32 v6, v[6:7]
	v_cvt_f32_f64_e32 v4, v[4:5]
	v_min3_f32 v201, v6, v4, v167
	;; [unrolled: 5-line block ×4, first 2 shown]
	v_add_f64 v[4:5], v[46:47], v[78:79]
	v_add_f64 v[6:7], v[44:45], v[76:77]
	v_cvt_f32_f64_e32 v6, v[6:7]
	v_cvt_f32_f64_e32 v4, v[4:5]
	;; [unrolled: 1-line block ×4, first 2 shown]
	v_min3_f32 v200, v6, v4, v160
	v_add_f64 v[4:5], v[42:43], v[78:79]
	v_add_f64 v[6:7], v[40:41], v[76:77]
	v_min3_f32 v153, v72, v73, s10
	ds_read_b128 v[72:75], v130 offset:3088
	v_cvt_f32_f64_e32 v6, v[6:7]
	v_cvt_f32_f64_e32 v4, v[4:5]
	v_min3_f32 v195, v6, v4, v158
	v_add_f64 v[4:5], v[62:63], v[78:79]
	v_add_f64 v[6:7], v[60:61], v[76:77]
	v_cvt_f32_f64_e32 v6, v[6:7]
	v_cvt_f32_f64_e32 v4, v[4:5]
	v_min3_f32 v197, v6, v4, v156
	v_add_f64 v[4:5], v[66:67], v[78:79]
	v_add_f64 v[6:7], v[64:65], v[76:77]
	v_cvt_f32_f64_e32 v68, v[68:69]
	v_cvt_f32_f64_e32 v69, v[70:71]
	;; [unrolled: 1-line block ×4, first 2 shown]
	v_min3_f32 v145, v68, v69, s10
	ds_read_b128 v[68:71], v130 offset:4112
	v_min3_f32 v194, v6, v4, v153
	s_waitcnt lgkmcnt(1)
	v_add_f64 v[4:5], v[2:3], v[74:75]
	v_add_f64 v[6:7], v[0:1], v[72:73]
	v_cvt_f32_f64_e32 v6, v[6:7]
	v_cvt_f32_f64_e32 v4, v[4:5]
	v_min3_f32 v196, v6, v4, v162
	v_add_f64 v[4:5], v[58:59], v[74:75]
	v_add_f64 v[6:7], v[56:57], v[72:73]
	v_cvt_f32_f64_e32 v6, v[6:7]
	v_cvt_f32_f64_e32 v4, v[4:5]
	v_min3_f32 v192, v6, v4, v159
	;; [unrolled: 5-line block ×8, first 2 shown]
	s_waitcnt lgkmcnt(0)
	v_add_f64 v[4:5], v[2:3], v[70:71]
	v_add_f64 v[6:7], v[0:1], v[68:69]
	v_cvt_f32_f64_e32 v6, v[6:7]
	v_cvt_f32_f64_e32 v4, v[4:5]
	v_min3_f32 v188, v6, v4, v154
	v_add_f64 v[4:5], v[58:59], v[70:71]
	v_add_f64 v[6:7], v[56:57], v[68:69]
	v_cvt_f32_f64_e32 v6, v[6:7]
	v_cvt_f32_f64_e32 v4, v[4:5]
	v_min3_f32 v184, v6, v4, v151
	;; [unrolled: 5-line block ×4, first 2 shown]
	v_add_f64 v[4:5], v[46:47], v[70:71]
	v_add_f64 v[6:7], v[44:45], v[68:69]
	v_cvt_f32_f64_e32 v6, v[6:7]
	v_cvt_f32_f64_e32 v4, v[4:5]
	;; [unrolled: 1-line block ×4, first 2 shown]
	v_min3_f32 v183, v6, v4, v144
	v_add_f64 v[4:5], v[42:43], v[70:71]
	v_add_f64 v[6:7], v[40:41], v[68:69]
	v_min3_f32 v131, v36, v37, s10
	ds_read_b128 v[36:39], v130 offset:5136
	v_cvt_f32_f64_e32 v6, v[6:7]
	v_cvt_f32_f64_e32 v4, v[4:5]
	v_min3_f32 v179, v6, v4, v142
	v_add_f64 v[4:5], v[62:63], v[70:71]
	v_add_f64 v[6:7], v[60:61], v[68:69]
	v_cvt_f32_f64_e32 v6, v[6:7]
	v_cvt_f32_f64_e32 v4, v[4:5]
	v_min3_f32 v181, v6, v4, v140
	v_add_f64 v[4:5], v[66:67], v[70:71]
	v_add_f64 v[6:7], v[64:65], v[68:69]
	v_cvt_f32_f64_e32 v32, v[32:33]
	v_cvt_f32_f64_e32 v33, v[34:35]
	;; [unrolled: 1-line block ×4, first 2 shown]
	v_min3_f32 v121, v32, v33, s10
	ds_read_b128 v[32:35], v130 offset:6160
	v_min3_f32 v178, v6, v4, v131
	s_waitcnt lgkmcnt(1)
	v_add_f64 v[4:5], v[2:3], v[38:39]
	v_add_f64 v[6:7], v[0:1], v[36:37]
	v_cvt_f32_f64_e32 v6, v[6:7]
	v_cvt_f32_f64_e32 v4, v[4:5]
	v_min3_f32 v180, v6, v4, v146
	v_add_f64 v[4:5], v[58:59], v[38:39]
	v_add_f64 v[6:7], v[56:57], v[36:37]
	v_cvt_f32_f64_e32 v9, v[14:15]
	v_cvt_f32_f64_e32 v10, v[10:11]
	;; [unrolled: 1-line block ×4, first 2 shown]
	v_min3_f32 v135, v9, v10, v176
	v_min3_f32 v176, v6, v4, v143
	v_add_f64 v[4:5], v[50:51], v[38:39]
	v_add_f64 v[6:7], v[48:49], v[36:37]
	v_cvt_f32_f64_e32 v6, v[6:7]
	v_cvt_f32_f64_e32 v4, v[4:5]
	v_min3_f32 v177, v6, v4, v141
	v_add_f64 v[4:5], v[54:55], v[38:39]
	v_add_f64 v[6:7], v[52:53], v[36:37]
	v_cvt_f32_f64_e32 v6, v[6:7]
	v_cvt_f32_f64_e32 v4, v[4:5]
	;; [unrolled: 5-line block ×3, first 2 shown]
	v_cvt_f32_f64_e32 v28, v[28:29]
	v_cvt_f32_f64_e32 v29, v[30:31]
	v_min3_f32 v175, v6, v4, v127
	v_add_f64 v[4:5], v[42:43], v[38:39]
	v_add_f64 v[6:7], v[40:41], v[36:37]
	v_min3_f32 v118, v117, v118, s10
	v_min3_f32 v117, v28, v29, s10
	ds_read_b128 v[28:31], v130 offset:7184
	v_cvt_f32_f64_e32 v6, v[6:7]
	v_cvt_f32_f64_e32 v4, v[4:5]
	v_min3_f32 v171, v6, v4, v125
	v_add_f64 v[4:5], v[62:63], v[38:39]
	v_add_f64 v[6:7], v[60:61], v[36:37]
	v_cvt_f32_f64_e32 v6, v[6:7]
	v_cvt_f32_f64_e32 v4, v[4:5]
	v_min3_f32 v173, v6, v4, v123
	v_add_f64 v[4:5], v[66:67], v[38:39]
	v_add_f64 v[6:7], v[64:65], v[36:37]
	v_cvt_f32_f64_e32 v6, v[6:7]
	v_cvt_f32_f64_e32 v4, v[4:5]
	v_min3_f32 v170, v6, v4, v121
	s_waitcnt lgkmcnt(1)
	v_add_f64 v[4:5], v[2:3], v[34:35]
	v_add_f64 v[6:7], v[0:1], v[32:33]
	s_waitcnt lgkmcnt(0)
	v_add_f64 v[2:3], v[2:3], v[30:31]
	v_add_f64 v[0:1], v[0:1], v[28:29]
	v_cvt_f32_f64_e32 v6, v[6:7]
	v_cvt_f32_f64_e32 v4, v[4:5]
	v_cvt_f32_f64_e32 v0, v[0:1]
	v_cvt_f32_f64_e32 v1, v[2:3]
	v_min3_f32 v172, v6, v4, v136
	v_add_f64 v[4:5], v[58:59], v[34:35]
	v_add_f64 v[6:7], v[56:57], v[32:33]
	v_min3_f32 v163, v0, v1, v25
	v_add_f64 v[0:1], v[58:59], v[30:31]
	v_add_f64 v[2:3], v[56:57], v[28:29]
	v_cvt_f32_f64_e32 v6, v[6:7]
	v_cvt_f32_f64_e32 v4, v[4:5]
	;; [unrolled: 1-line block ×4, first 2 shown]
	v_min3_f32 v168, v6, v4, v126
	v_add_f64 v[4:5], v[50:51], v[34:35]
	v_add_f64 v[6:7], v[48:49], v[32:33]
	v_min3_f32 v160, v2, v0, v24
	v_add_f64 v[0:1], v[50:51], v[30:31]
	v_add_f64 v[2:3], v[48:49], v[28:29]
	;; [unrolled: 1-line block ×3, first 2 shown]
	v_cvt_f32_f64_e32 v6, v[6:7]
	v_cvt_f32_f64_e32 v4, v[4:5]
	;; [unrolled: 1-line block ×5, first 2 shown]
	v_min3_f32 v169, v6, v4, v124
	v_add_f64 v[4:5], v[54:55], v[34:35]
	v_add_f64 v[6:7], v[52:53], v[32:33]
	v_min3_f32 v161, v2, v0, v23
	v_add_f64 v[0:1], v[54:55], v[30:31]
	v_add_f64 v[2:3], v[52:53], v[28:29]
	v_min3_f32 v22, v22, v20, s10
	v_add_f64 v[20:21], v[94:95], v[18:19]
	v_cvt_f32_f64_e32 v6, v[6:7]
	v_cvt_f32_f64_e32 v4, v[4:5]
	;; [unrolled: 1-line block ×6, first 2 shown]
	v_min3_f32 v166, v6, v4, v122
	v_add_f64 v[4:5], v[46:47], v[34:35]
	v_add_f64 v[6:7], v[44:45], v[32:33]
	v_min3_f32 v158, v2, v0, v22
	v_add_f64 v[0:1], v[46:47], v[30:31]
	v_add_f64 v[2:3], v[44:45], v[28:29]
	;; [unrolled: 3-line block ×3, first 2 shown]
	v_cvt_f32_f64_e32 v6, v[6:7]
	v_cvt_f32_f64_e32 v4, v[4:5]
	;; [unrolled: 1-line block ×6, first 2 shown]
	v_min3_f32 v167, v6, v4, v120
	v_add_f64 v[4:5], v[42:43], v[34:35]
	v_add_f64 v[6:7], v[40:41], v[32:33]
	v_min3_f32 v159, v2, v0, v21
	v_add_f64 v[0:1], v[42:43], v[30:31]
	v_add_f64 v[2:3], v[40:41], v[28:29]
	v_min3_f32 v20, v20, v26, s10
	v_cvt_f32_f64_e32 v6, v[6:7]
	v_cvt_f32_f64_e32 v4, v[4:5]
	;; [unrolled: 1-line block ×4, first 2 shown]
	v_min3_f32 v164, v6, v4, v119
	v_add_f64 v[4:5], v[62:63], v[34:35]
	v_add_f64 v[6:7], v[60:61], v[32:33]
	v_min3_f32 v156, v2, v0, v20
	v_add_f64 v[0:1], v[62:63], v[30:31]
	v_add_f64 v[2:3], v[60:61], v[28:29]
	v_min3_f32 v12, v12, v13, s10
	v_cvt_f32_f64_e32 v6, v[6:7]
	v_cvt_f32_f64_e32 v4, v[4:5]
	;; [unrolled: 1-line block ×4, first 2 shown]
	v_min3_f32 v165, v6, v4, v118
	v_add_f64 v[4:5], v[66:67], v[34:35]
	v_add_f64 v[6:7], v[64:65], v[32:33]
	v_min3_f32 v157, v2, v0, v12
	v_add_f64 v[0:1], v[66:67], v[30:31]
	v_add_f64 v[2:3], v[64:65], v[28:29]
	v_cvt_f32_f64_e32 v6, v[6:7]
	v_cvt_f32_f64_e32 v4, v[4:5]
	;; [unrolled: 1-line block ×4, first 2 shown]
	v_min3_f32 v162, v6, v4, v117
	v_min3_f32 v198, v2, v0, v8
	ds_write_b64 v115, v[112:113] offset:18432
	ds_write2st64_b64 v115, v[104:105], v[108:109] offset0:16 offset1:20
	ds_write2st64_b64 v115, v[106:107], v[110:111] offset0:24 offset1:28
	s_waitcnt lgkmcnt(0)
	s_barrier
	s_cbranch_scc1 .LBB118_11
; %bb.9:
	v_mov_b32_e32 v0, 0x4800
	v_lshl_add_u32 v90, v128, 5, v0
	v_mov_b32_e32 v0, 0x2000
	v_add_u32_e32 v2, 8, v116
	v_lshl_add_u32 v91, v129, 5, v0
	v_mad_i64_i32 v[0:1], s[8:9], v2, s18, 0
	v_add_u32_e32 v3, 12, v116
	v_lshlrev_b64 v[68:69], 3, v[0:1]
	v_mad_i64_i32 v[0:1], s[10:11], v3, s20, 0
	v_lshl_add_u64 v[64:65], v[100:101], 3, s[14:15]
	v_lshlrev_b64 v[70:71], 3, v[0:1]
	v_mad_i64_i32 v[0:1], s[14:15], v3, s18, 0
	s_ashr_i32 s21, s20, 31
	s_ashr_i32 s19, s18, 31
	v_lshlrev_b64 v[72:73], 3, v[0:1]
	v_mad_i64_i32 v[0:1], s[14:15], v2, s20, 0
	v_or_b32_e32 v86, 0x4000, v115
	v_add_u32_e32 v87, 0x4000, v114
	v_add_u32_e32 v88, 0x4800, v115
	v_or_b32_e32 v89, 0x2000, v115
	s_add_i32 s24, s24, -8
	v_lshl_add_u64 v[66:67], v[102:103], 3, s[16:17]
	s_lshl_b64 s[8:9], s[18:19], 6
	s_lshl_b64 s[10:11], s[20:21], 6
	v_lshlrev_b64 v[74:75], 3, v[0:1]
	s_mov_b32 s14, 0
.LBB118_10:                             ; =>This Inner Loop Header: Depth=1
	v_lshl_add_u64 v[0:1], v[64:65], 0, v[74:75]
	flat_load_dwordx2 v[84:85], v[0:1]
	v_lshl_add_u64 v[0:1], v[66:67], 0, v[68:69]
	flat_load_dwordx2 v[80:81], v[0:1]
	flat_load_dwordx2 v[82:83], v[0:1] offset:512
	flat_load_dwordx2 v[76:77], v[0:1] offset:1024
	;; [unrolled: 1-line block ×3, first 2 shown]
	ds_read_b128 v[36:39], v90 offset:256
	ds_read_b128 v[32:35], v90 offset:512
	;; [unrolled: 1-line block ×14, first 2 shown]
	ds_read_b128 v[98:101], v91
	ds_read_b128 v[4:7], v91 offset:16
	ds_read_b128 v[56:59], v90
	ds_read_b128 v[0:3], v90 offset:16
	s_add_i32 s14, s14, 8
	s_cmp_ge_i32 s14, s24
	s_waitcnt lgkmcnt(0)
	v_add_f64 v[102:103], v[58:59], v[100:101]
	v_add_f64 v[104:105], v[56:57], v[98:99]
	v_cvt_f32_f64_e32 v93, v[104:105]
	v_cvt_f32_f64_e32 v102, v[102:103]
	v_min3_f32 v217, v93, v102, v92
	v_add_f64 v[92:93], v[38:39], v[100:101]
	v_add_f64 v[102:103], v[36:37], v[98:99]
	v_cvt_f32_f64_e32 v102, v[102:103]
	v_cvt_f32_f64_e32 v92, v[92:93]
	v_min3_f32 v216, v102, v92, v138
	;; [unrolled: 5-line block ×14, first 2 shown]
	v_add_f64 v[92:93], v[14:15], v[62:63]
	v_add_f64 v[98:99], v[12:13], v[60:61]
	;; [unrolled: 1-line block ×4, first 2 shown]
	v_cvt_f32_f64_e32 v60, v[60:61]
	v_cvt_f32_f64_e32 v61, v[62:63]
	v_min3_f32 v145, v60, v61, v203
	v_add_f64 v[60:61], v[58:59], v[96:97]
	v_add_f64 v[62:63], v[56:57], v[94:95]
	v_cvt_f32_f64_e32 v62, v[62:63]
	v_cvt_f32_f64_e32 v60, v[60:61]
	v_min3_f32 v144, v62, v60, v205
	v_add_f64 v[60:61], v[38:39], v[96:97]
	v_add_f64 v[62:63], v[36:37], v[94:95]
	;; [unrolled: 5-line block ×15, first 2 shown]
	v_add_f64 v[54:55], v[10:11], v[54:55]
	v_add_f64 v[52:53], v[8:9], v[52:53]
	v_cvt_f32_f64_e32 v52, v[52:53]
	v_cvt_f32_f64_e32 v53, v[54:55]
	v_min3_f32 v126, v52, v53, v186
	v_add_f64 v[52:53], v[58:59], v[50:51]
	v_add_f64 v[54:55], v[56:57], v[48:49]
	v_cvt_f32_f64_e32 v54, v[54:55]
	v_cvt_f32_f64_e32 v52, v[52:53]
	v_min3_f32 v125, v54, v52, v188
	v_add_f64 v[52:53], v[38:39], v[50:51]
	v_add_f64 v[54:55], v[36:37], v[48:49]
	v_cvt_f32_f64_e32 v54, v[54:55]
	v_cvt_f32_f64_e32 v52, v[52:53]
	v_min3_f32 v124, v54, v52, v184
	v_add_f64 v[52:53], v[34:35], v[50:51]
	v_add_f64 v[54:55], v[32:33], v[48:49]
	v_cvt_f32_f64_e32 v54, v[54:55]
	v_cvt_f32_f64_e32 v52, v[52:53]
	v_min3_f32 v123, v54, v52, v185
	v_add_f64 v[52:53], v[30:31], v[50:51]
	v_add_f64 v[54:55], v[28:29], v[48:49]
	v_cvt_f32_f64_e32 v54, v[54:55]
	v_cvt_f32_f64_e32 v52, v[52:53]
	v_min3_f32 v122, v54, v52, v182
	v_add_f64 v[52:53], v[26:27], v[50:51]
	v_add_f64 v[54:55], v[24:25], v[48:49]
	v_cvt_f32_f64_e32 v54, v[54:55]
	v_cvt_f32_f64_e32 v52, v[52:53]
	v_min3_f32 v121, v54, v52, v183
	v_add_f64 v[52:53], v[22:23], v[50:51]
	v_add_f64 v[54:55], v[20:21], v[48:49]
	v_cvt_f32_f64_e32 v54, v[54:55]
	v_cvt_f32_f64_e32 v52, v[52:53]
	v_min3_f32 v120, v54, v52, v179
	v_add_f64 v[52:53], v[14:15], v[50:51]
	v_add_f64 v[54:55], v[12:13], v[48:49]
	v_add_f64 v[50:51], v[10:11], v[50:51]
	v_add_f64 v[48:49], v[8:9], v[48:49]
	v_cvt_f32_f64_e32 v48, v[48:49]
	v_cvt_f32_f64_e32 v49, v[50:51]
	v_min3_f32 v118, v48, v49, v178
	v_add_f64 v[48:49], v[58:59], v[46:47]
	v_add_f64 v[50:51], v[56:57], v[44:45]
	v_cvt_f32_f64_e32 v50, v[50:51]
	v_cvt_f32_f64_e32 v48, v[48:49]
	v_min3_f32 v117, v50, v48, v180
	v_add_f64 v[48:49], v[38:39], v[46:47]
	v_add_f64 v[50:51], v[36:37], v[44:45]
	v_cvt_f32_f64_e32 v50, v[50:51]
	v_cvt_f32_f64_e32 v48, v[48:49]
	v_min3_f32 v116, v50, v48, v176
	v_add_f64 v[48:49], v[34:35], v[46:47]
	v_add_f64 v[50:51], v[32:33], v[44:45]
	v_cvt_f32_f64_e32 v50, v[50:51]
	v_cvt_f32_f64_e32 v48, v[48:49]
	v_min3_f32 v113, v50, v48, v177
	v_add_f64 v[48:49], v[30:31], v[46:47]
	v_add_f64 v[50:51], v[28:29], v[44:45]
	v_cvt_f32_f64_e32 v50, v[50:51]
	v_cvt_f32_f64_e32 v48, v[48:49]
	v_min3_f32 v112, v50, v48, v174
	v_add_f64 v[48:49], v[26:27], v[46:47]
	v_add_f64 v[50:51], v[24:25], v[44:45]
	v_cvt_f32_f64_e32 v50, v[50:51]
	v_cvt_f32_f64_e32 v48, v[48:49]
	v_min3_f32 v111, v50, v48, v175
	v_add_f64 v[48:49], v[22:23], v[46:47]
	v_add_f64 v[50:51], v[20:21], v[44:45]
	v_cvt_f32_f64_e32 v50, v[50:51]
	v_cvt_f32_f64_e32 v48, v[48:49]
	v_min3_f32 v110, v50, v48, v171
	v_add_f64 v[48:49], v[14:15], v[46:47]
	v_add_f64 v[50:51], v[12:13], v[44:45]
	v_add_f64 v[46:47], v[10:11], v[46:47]
	v_add_f64 v[44:45], v[8:9], v[44:45]
	v_cvt_f32_f64_e32 v44, v[44:45]
	v_cvt_f32_f64_e32 v45, v[46:47]
	v_min3_f32 v108, v44, v45, v170
	v_add_f64 v[44:45], v[58:59], v[42:43]
	v_add_f64 v[46:47], v[56:57], v[40:41]
	v_cvt_f32_f64_e32 v46, v[46:47]
	v_cvt_f32_f64_e32 v44, v[44:45]
	v_min3_f32 v107, v46, v44, v172
	v_add_f64 v[44:45], v[38:39], v[42:43]
	v_add_f64 v[46:47], v[36:37], v[40:41]
	v_cvt_f32_f64_e32 v46, v[46:47]
	v_cvt_f32_f64_e32 v44, v[44:45]
	v_min3_f32 v106, v46, v44, v168
	v_add_f64 v[44:45], v[34:35], v[42:43]
	v_add_f64 v[46:47], v[32:33], v[40:41]
	v_cvt_f32_f64_e32 v46, v[46:47]
	v_cvt_f32_f64_e32 v44, v[44:45]
	v_min3_f32 v105, v46, v44, v169
	v_add_f64 v[44:45], v[30:31], v[42:43]
	v_add_f64 v[46:47], v[28:29], v[40:41]
	v_cvt_f32_f64_e32 v46, v[46:47]
	v_cvt_f32_f64_e32 v44, v[44:45]
	v_min3_f32 v104, v46, v44, v166
	v_add_f64 v[44:45], v[26:27], v[42:43]
	v_add_f64 v[46:47], v[24:25], v[40:41]
	v_cvt_f32_f64_e32 v46, v[46:47]
	v_cvt_f32_f64_e32 v44, v[44:45]
	v_min3_f32 v103, v46, v44, v167
	v_add_f64 v[44:45], v[22:23], v[42:43]
	v_add_f64 v[46:47], v[20:21], v[40:41]
	v_cvt_f32_f64_e32 v46, v[46:47]
	v_cvt_f32_f64_e32 v44, v[44:45]
	v_min3_f32 v102, v46, v44, v164
	v_add_f64 v[44:45], v[14:15], v[42:43]
	v_add_f64 v[46:47], v[12:13], v[40:41]
	v_add_f64 v[42:43], v[10:11], v[42:43]
	v_add_f64 v[40:41], v[8:9], v[40:41]
	;; [unrolled: 1-line block ×10, first 2 shown]
	v_cvt_f32_f64_e32 v40, v[40:41]
	v_cvt_f32_f64_e32 v41, v[42:43]
	;; [unrolled: 1-line block ×11, first 2 shown]
	v_min3_f32 v100, v40, v41, v162
	v_add_f64 v[40:41], v[58:59], v[18:19]
	v_add_f64 v[42:43], v[56:57], v[16:17]
	v_add_f64 v[38:39], v[38:39], v[18:19]
	v_add_f64 v[36:37], v[36:37], v[16:17]
	v_add_f64 v[34:35], v[34:35], v[18:19]
	v_add_f64 v[32:33], v[32:33], v[16:17]
	v_min3_f32 v96, v28, v29, v158
	v_min3_f32 v95, v24, v25, v159
	v_min3_f32 v94, v20, v21, v156
	v_min3_f32 v93, v12, v13, v157
	v_add_f64 v[10:11], v[10:11], v[18:19]
	v_add_f64 v[8:9], v[8:9], v[16:17]
	;; [unrolled: 1-line block ×4, first 2 shown]
	v_cvt_f32_f64_e32 v98, v[98:99]
	v_cvt_f32_f64_e32 v62, v[62:63]
	v_cvt_f32_f64_e32 v60, v[60:61]
	v_cvt_f32_f64_e32 v54, v[54:55]
	v_cvt_f32_f64_e32 v52, v[52:53]
	v_cvt_f32_f64_e32 v50, v[50:51]
	v_cvt_f32_f64_e32 v48, v[48:49]
	v_cvt_f32_f64_e32 v46, v[46:47]
	v_cvt_f32_f64_e32 v44, v[44:45]
	v_cvt_f32_f64_e32 v42, v[42:43]
	v_cvt_f32_f64_e32 v40, v[40:41]
	v_cvt_f32_f64_e32 v36, v[36:37]
	v_cvt_f32_f64_e32 v37, v[38:39]
	v_cvt_f32_f64_e32 v32, v[32:33]
	v_cvt_f32_f64_e32 v33, v[34:35]
	v_cvt_f32_f64_e32 v8, v[8:9]
	v_cvt_f32_f64_e32 v9, v[10:11]
	v_cvt_f32_f64_e32 v158, v[158:159]
	v_cvt_f32_f64_e32 v156, v[156:157]
	v_min3_f32 v146, v98, v92, v206
	v_min3_f32 v127, v62, v60, v189
	;; [unrolled: 1-line block ×9, first 2 shown]
	ds_read_b128 v[32:35], v90 offset:272
	ds_read_b128 v[28:31], v90 offset:528
	;; [unrolled: 1-line block ×14, first 2 shown]
	v_min3_f32 v156, v158, v156, v217
	s_waitcnt lgkmcnt(0)
	v_add_f64 v[158:159], v[34:35], v[6:7]
	v_add_f64 v[160:161], v[32:33], v[4:5]
	v_cvt_f32_f64_e32 v157, v[160:161]
	v_cvt_f32_f64_e32 v158, v[158:159]
	v_min3_f32 v157, v157, v158, v216
	v_add_f64 v[158:159], v[30:31], v[6:7]
	v_add_f64 v[160:161], v[28:29], v[4:5]
	v_cvt_f32_f64_e32 v160, v[160:161]
	v_cvt_f32_f64_e32 v158, v[158:159]
	v_min3_f32 v158, v160, v158, v215
	;; [unrolled: 5-line block ×5, first 2 shown]
	v_add_f64 v[162:163], v[14:15], v[6:7]
	v_add_f64 v[164:165], v[12:13], v[4:5]
	;; [unrolled: 1-line block ×4, first 2 shown]
	v_cvt_f32_f64_e32 v4, v[4:5]
	v_cvt_f32_f64_e32 v5, v[6:7]
	v_min3_f32 v153, v4, v5, v153
	v_add_f64 v[4:5], v[2:3], v[62:63]
	v_add_f64 v[6:7], v[0:1], v[60:61]
	v_cvt_f32_f64_e32 v6, v[6:7]
	v_cvt_f32_f64_e32 v4, v[4:5]
	v_min3_f32 v152, v6, v4, v152
	v_add_f64 v[4:5], v[34:35], v[62:63]
	v_add_f64 v[6:7], v[32:33], v[60:61]
	;; [unrolled: 5-line block ×41, first 2 shown]
	v_add_f64 v[2:3], v[2:3], v[38:39]
	v_add_f64 v[0:1], v[0:1], v[36:37]
	v_cvt_f32_f64_e32 v0, v[0:1]
	v_cvt_f32_f64_e32 v1, v[2:3]
	v_min3_f32 v99, v0, v1, v99
	v_add_f64 v[0:1], v[34:35], v[38:39]
	v_add_f64 v[2:3], v[32:33], v[36:37]
	v_cvt_f32_f64_e32 v6, v[6:7]
	v_cvt_f32_f64_e32 v4, v[4:5]
	v_cvt_f32_f64_e32 v2, v[2:3]
	v_cvt_f32_f64_e32 v0, v[0:1]
	v_min3_f32 v107, v6, v4, v107
	v_add_f64 v[4:5], v[34:35], v[42:43]
	v_add_f64 v[6:7], v[32:33], v[40:41]
	v_min3_f32 v98, v2, v0, v98
	v_add_f64 v[0:1], v[30:31], v[38:39]
	v_add_f64 v[2:3], v[28:29], v[36:37]
	v_cvt_f32_f64_e32 v6, v[6:7]
	v_cvt_f32_f64_e32 v4, v[4:5]
	v_cvt_f32_f64_e32 v2, v[2:3]
	v_cvt_f32_f64_e32 v0, v[0:1]
	v_min3_f32 v106, v6, v4, v106
	v_add_f64 v[4:5], v[30:31], v[42:43]
	v_add_f64 v[6:7], v[28:29], v[40:41]
	;; [unrolled: 10-line block ×6, first 2 shown]
	v_min3_f32 v93, v2, v0, v93
	v_add_f64 v[0:1], v[10:11], v[38:39]
	v_add_f64 v[2:3], v[8:9], v[36:37]
	v_cvt_f32_f64_e32 v161, v[164:165]
	v_cvt_f32_f64_e32 v162, v[162:163]
	;; [unrolled: 1-line block ×6, first 2 shown]
	v_min3_f32 v154, v161, v162, v154
	v_min3_f32 v101, v6, v4, v101
	v_add_f64 v[4:5], v[10:11], v[42:43]
	v_add_f64 v[6:7], v[8:9], v[40:41]
	v_min3_f32 v161, v2, v0, v92
	v_lshl_add_u64 v[0:1], v[64:65], 0, v[70:71]
	v_cvt_f32_f64_e32 v6, v[6:7]
	v_cvt_f32_f64_e32 v4, v[4:5]
	s_waitcnt vmcnt(0)
	ds_write_b64 v86, v[84:85]
	ds_write2st64_b64 v115, v[80:81], v[82:83] offset1:4
	ds_write2st64_b64 v115, v[76:77], v[78:79] offset0:8 offset1:12
	s_waitcnt lgkmcnt(0)
	s_barrier
	flat_load_dwordx2 v[76:77], v[0:1]
	v_lshl_add_u64 v[0:1], v[66:67], 0, v[72:73]
	v_min3_f32 v100, v6, v4, v100
	flat_load_dwordx2 v[78:79], v[0:1]
	flat_load_dwordx2 v[80:81], v[0:1] offset:512
	flat_load_dwordx2 v[82:83], v[0:1] offset:1024
	;; [unrolled: 1-line block ×3, first 2 shown]
	ds_read_b128 v[32:35], v87 offset:256
	ds_read_b128 v[28:31], v87 offset:512
	;; [unrolled: 1-line block ×14, first 2 shown]
	ds_read_b128 v[40:43], v87
	ds_read_b128 v[0:3], v87 offset:16
	ds_read_b128 v[174:177], v130
	ds_read_b128 v[36:39], v130 offset:16
	v_lshl_add_u64 v[66:67], v[66:67], 0, s[8:9]
	v_lshl_add_u64 v[64:65], v[64:65], 0, s[10:11]
	s_waitcnt lgkmcnt(0)
	v_add_f64 v[132:133], v[42:43], v[176:177]
	v_add_f64 v[134:135], v[40:41], v[174:175]
	v_cvt_f32_f64_e32 v92, v[134:135]
	v_cvt_f32_f64_e32 v132, v[132:133]
	v_min3_f32 v92, v92, v132, v156
	v_add_f64 v[132:133], v[34:35], v[176:177]
	v_add_f64 v[134:135], v[32:33], v[174:175]
	v_cvt_f32_f64_e32 v134, v[134:135]
	v_cvt_f32_f64_e32 v132, v[132:133]
	v_min3_f32 v138, v134, v132, v157
	;; [unrolled: 5-line block ×38, first 2 shown]
	v_add_f64 v[56:57], v[10:11], v[54:55]
	v_add_f64 v[58:59], v[8:9], v[52:53]
	;; [unrolled: 1-line block ×4, first 2 shown]
	v_cvt_f32_f64_e32 v58, v[58:59]
	v_cvt_f32_f64_e32 v56, v[56:57]
	v_cvt_f32_f64_e32 v52, v[52:53]
	v_cvt_f32_f64_e32 v53, v[54:55]
	v_min3_f32 v120, v58, v56, v119
	v_min3_f32 v119, v52, v53, v118
	v_add_f64 v[52:53], v[42:43], v[50:51]
	v_add_f64 v[54:55], v[40:41], v[48:49]
	v_cvt_f32_f64_e32 v54, v[54:55]
	v_cvt_f32_f64_e32 v52, v[52:53]
	v_min3_f32 v118, v54, v52, v117
	v_add_f64 v[52:53], v[34:35], v[50:51]
	v_add_f64 v[54:55], v[32:33], v[48:49]
	v_cvt_f32_f64_e32 v54, v[54:55]
	v_cvt_f32_f64_e32 v52, v[52:53]
	;; [unrolled: 5-line block ×6, first 2 shown]
	v_min3_f32 v111, v54, v52, v110
	v_add_f64 v[52:53], v[10:11], v[50:51]
	v_add_f64 v[54:55], v[8:9], v[48:49]
	;; [unrolled: 1-line block ×4, first 2 shown]
	v_cvt_f32_f64_e32 v54, v[54:55]
	v_cvt_f32_f64_e32 v52, v[52:53]
	;; [unrolled: 1-line block ×4, first 2 shown]
	v_min3_f32 v110, v54, v52, v109
	v_min3_f32 v109, v48, v49, v108
	v_add_f64 v[48:49], v[42:43], v[46:47]
	v_add_f64 v[50:51], v[40:41], v[44:45]
	v_cvt_f32_f64_e32 v50, v[50:51]
	v_cvt_f32_f64_e32 v48, v[48:49]
	v_min3_f32 v108, v50, v48, v107
	v_add_f64 v[48:49], v[34:35], v[46:47]
	v_add_f64 v[50:51], v[32:33], v[44:45]
	v_cvt_f32_f64_e32 v50, v[50:51]
	v_cvt_f32_f64_e32 v48, v[48:49]
	;; [unrolled: 5-line block ×6, first 2 shown]
	v_min3_f32 v103, v50, v48, v102
	v_add_f64 v[48:49], v[10:11], v[46:47]
	v_add_f64 v[50:51], v[8:9], v[44:45]
	;; [unrolled: 1-line block ×20, first 2 shown]
	v_cvt_f32_f64_e32 v50, v[50:51]
	v_cvt_f32_f64_e32 v48, v[48:49]
	;; [unrolled: 1-line block ×20, first 2 shown]
	v_add_f64 v[162:163], v[2:3], v[38:39]
	v_add_f64 v[164:165], v[0:1], v[36:37]
	v_min3_f32 v102, v50, v48, v101
	v_min3_f32 v101, v44, v45, v100
	v_min3_f32 v100, v40, v41, v99
	v_min3_f32 v99, v32, v33, v98
	v_min3_f32 v98, v28, v29, v97
	v_min3_f32 v97, v24, v25, v96
	v_min3_f32 v96, v20, v21, v95
	v_min3_f32 v95, v16, v17, v94
	v_min3_f32 v94, v8, v9, v93
	v_min3_f32 v93, v4, v5, v161
	v_cvt_f32_f64_e32 v161, v[164:165]
	v_cvt_f32_f64_e32 v162, v[162:163]
	ds_read_b128 v[28:31], v87 offset:272
	ds_read_b128 v[24:27], v87 offset:528
	;; [unrolled: 1-line block ×14, first 2 shown]
	v_min3_f32 v92, v161, v162, v92
	s_waitcnt lgkmcnt(0)
	v_add_f64 v[162:163], v[30:31], v[38:39]
	v_add_f64 v[164:165], v[28:29], v[36:37]
	v_cvt_f32_f64_e32 v161, v[164:165]
	v_cvt_f32_f64_e32 v162, v[162:163]
	v_min3_f32 v138, v161, v162, v138
	v_add_f64 v[162:163], v[26:27], v[38:39]
	v_add_f64 v[164:165], v[24:25], v[36:37]
	v_cvt_f32_f64_e32 v161, v[164:165]
	v_cvt_f32_f64_e32 v162, v[162:163]
	v_min3_f32 v139, v161, v162, v139
	;; [unrolled: 5-line block ×5, first 2 shown]
	v_add_f64 v[162:163], v[10:11], v[38:39]
	v_add_f64 v[164:165], v[8:9], v[36:37]
	;; [unrolled: 1-line block ×4, first 2 shown]
	v_cvt_f32_f64_e32 v36, v[36:37]
	v_cvt_f32_f64_e32 v37, v[38:39]
	v_min3_f32 v211, v36, v37, v160
	v_add_f64 v[36:37], v[2:3], v[62:63]
	v_add_f64 v[38:39], v[0:1], v[60:61]
	v_cvt_f32_f64_e32 v38, v[38:39]
	v_cvt_f32_f64_e32 v36, v[36:37]
	v_min3_f32 v212, v38, v36, v159
	v_add_f64 v[36:37], v[30:31], v[62:63]
	v_add_f64 v[38:39], v[28:29], v[60:61]
	;; [unrolled: 5-line block ×41, first 2 shown]
	v_add_f64 v[2:3], v[2:3], v[34:35]
	v_add_f64 v[0:1], v[0:1], v[32:33]
	v_cvt_f32_f64_e32 v38, v[38:39]
	v_cvt_f32_f64_e32 v36, v[36:37]
	;; [unrolled: 1-line block ×5, first 2 shown]
	v_min3_f32 v172, v38, v36, v108
	v_add_f64 v[36:37], v[30:31], v[42:43]
	v_add_f64 v[38:39], v[28:29], v[40:41]
	v_min3_f32 v163, v0, v1, v100
	v_add_f64 v[0:1], v[30:31], v[34:35]
	v_add_f64 v[2:3], v[28:29], v[32:33]
	v_cvt_f32_f64_e32 v38, v[38:39]
	v_cvt_f32_f64_e32 v36, v[36:37]
	;; [unrolled: 1-line block ×4, first 2 shown]
	v_min3_f32 v168, v38, v36, v107
	v_add_f64 v[36:37], v[26:27], v[42:43]
	v_add_f64 v[38:39], v[24:25], v[40:41]
	v_min3_f32 v160, v2, v0, v99
	v_add_f64 v[0:1], v[26:27], v[34:35]
	v_add_f64 v[2:3], v[24:25], v[32:33]
	v_cvt_f32_f64_e32 v161, v[164:165]
	v_cvt_f32_f64_e32 v38, v[38:39]
	;; [unrolled: 1-line block ×5, first 2 shown]
	v_min3_f32 v135, v161, v162, v135
	v_min3_f32 v169, v38, v36, v106
	v_add_f64 v[36:37], v[22:23], v[42:43]
	v_add_f64 v[38:39], v[20:21], v[40:41]
	v_min3_f32 v161, v2, v0, v98
	v_add_f64 v[0:1], v[22:23], v[34:35]
	v_add_f64 v[2:3], v[20:21], v[32:33]
	v_cvt_f32_f64_e32 v38, v[38:39]
	v_cvt_f32_f64_e32 v36, v[36:37]
	v_cvt_f32_f64_e32 v2, v[2:3]
	v_cvt_f32_f64_e32 v0, v[0:1]
	v_min3_f32 v166, v38, v36, v105
	v_add_f64 v[36:37], v[18:19], v[42:43]
	v_add_f64 v[38:39], v[16:17], v[40:41]
	v_min3_f32 v158, v2, v0, v97
	v_add_f64 v[0:1], v[18:19], v[34:35]
	v_add_f64 v[2:3], v[16:17], v[32:33]
	v_cvt_f32_f64_e32 v38, v[38:39]
	v_cvt_f32_f64_e32 v36, v[36:37]
	v_cvt_f32_f64_e32 v2, v[2:3]
	v_cvt_f32_f64_e32 v0, v[0:1]
	;; [unrolled: 10-line block ×5, first 2 shown]
	v_min3_f32 v162, v38, v36, v101
	v_min3_f32 v198, v2, v0, v93
	s_waitcnt vmcnt(0)
	ds_write_b64 v88, v[76:77]
	ds_write2st64_b64 v89, v[78:79], v[80:81] offset1:4
	ds_write2st64_b64 v89, v[82:83], v[84:85] offset0:8 offset1:12
	s_waitcnt lgkmcnt(0)
	s_barrier
	s_cbranch_scc0 .LBB118_10
.LBB118_11:
	s_load_dwordx2 s[10:11], s[0:1], 0x78
	s_load_dword s8, s[0:1], 0x58
	s_load_dword s9, s[0:1], 0x70
	ds_read_b128 v[68:71], v114 offset:18432
	ds_read_b128 v[124:127], v130 offset:8192
	;; [unrolled: 1-line block ×4, first 2 shown]
	s_waitcnt lgkmcnt(0)
	s_lshl_b64 s[0:1], s[10:11], 3
	s_add_u32 s0, s2, s0
	v_add_u32_e32 v213, s23, v129
	v_add_f64 v[0:1], v[70:71], v[126:127]
	v_add_f64 v[2:3], v[68:69], v[124:125]
	v_cvt_f32_f64_e32 v2, v[2:3]
	v_cvt_f32_f64_e32 v0, v[0:1]
	v_min3_f32 v140, v2, v0, v92
	ds_read_b128 v[60:63], v114 offset:18688
	ds_read_b128 v[52:55], v114 offset:18704
	;; [unrolled: 1-line block ×28, first 2 shown]
	v_add_f64 v[130:131], v[66:67], v[122:123]
	v_add_f64 v[136:137], v[64:65], v[120:121]
	v_cvt_f32_f64_e32 v136, v[136:137]
	v_cvt_f32_f64_e32 v130, v[130:131]
	s_addc_u32 s1, s3, s1
	v_min3_f32 v140, v136, v130, v140
	v_add_u32_e32 v136, s22, v128
	v_mad_i64_i32 v[130:131], s[2:3], v213, s9, 0
	v_add_u32_e32 v128, 8, v136
	v_lshl_add_u64 v[152:153], v[130:131], 3, s[0:1]
	v_mad_i64_i32 v[130:131], s[2:3], v213, s8, 0
	v_ashrrev_i32_e32 v137, 31, v136
	v_ashrrev_i32_e32 v129, 31, v128
	s_mov_b64 s[2:3], -1
	v_max_f32_e32 v143, v140, v140
	s_mov_b64 vcc, s[4:5]
	s_cbranch_vccz .LBB118_13
; %bb.12:
	v_min_f32_e32 v140, 0, v143
	v_cvt_f64_f32_e32 v[140:141], v140
	v_lshl_add_u64 v[144:145], v[136:137], 3, v[152:153]
	flat_store_dwordx2 v[144:145], v[140:141]
	s_mov_b64 s[2:3], 0
.LBB118_13:
	v_lshl_add_u64 v[154:155], v[130:131], 3, s[12:13]
	v_mov_b32_e32 v142, 0
	s_andn2_b64 vcc, exec, s[2:3]
	v_lshlrev_b64 v[140:141], 3, v[136:137]
	s_cbranch_vccnz .LBB118_15
; %bb.14:
	v_lshl_add_u64 v[130:131], v[154:155], 0, v[140:141]
	flat_load_dwordx2 v[130:131], v[130:131]
	v_lshl_add_u64 v[144:145], v[152:153], 0, v[140:141]
	s_waitcnt vmcnt(0) lgkmcnt(0)
	v_mul_f64 v[130:131], s[6:7], v[130:131]
	v_cvt_f32_f64_e32 v130, v[130:131]
	v_min_f32_e32 v130, v130, v143
	v_cvt_f64_f32_e32 v[130:131], v130
	flat_store_dwordx2 v[144:145], v[130:131]
	v_lshl_add_u64 v[130:131], v[128:129], 3, v[154:155]
	flat_load_dwordx2 v[130:131], v[130:131]
	s_waitcnt vmcnt(0) lgkmcnt(0)
	v_mul_f64 v[130:131], s[6:7], v[130:131]
	v_cvt_f32_f64_e32 v142, v[130:131]
.LBB118_15:
	s_waitcnt lgkmcnt(0)
	v_add_f64 v[130:131], v[62:63], v[126:127]
	v_add_f64 v[144:145], v[60:61], v[124:125]
	v_cvt_f32_f64_e32 v143, v[144:145]
	v_cvt_f32_f64_e32 v130, v[130:131]
	v_min3_f32 v143, v143, v130, v138
	v_add_f64 v[130:131], v[58:59], v[126:127]
	v_add_f64 v[144:145], v[56:57], v[124:125]
	v_cvt_f32_f64_e32 v138, v[144:145]
	v_cvt_f32_f64_e32 v130, v[130:131]
	v_min3_f32 v144, v138, v130, v139
	v_add_f64 v[130:131], v[54:55], v[122:123]
	v_add_f64 v[138:139], v[52:53], v[120:121]
	v_cvt_f32_f64_e32 v138, v[138:139]
	v_cvt_f32_f64_e32 v130, v[130:131]
	v_min_f32_e32 v145, v138, v130
	v_add_f64 v[130:131], v[50:51], v[122:123]
	v_add_f64 v[138:139], v[48:49], v[120:121]
	v_cvt_f32_f64_e32 v138, v[138:139]
	v_cvt_f32_f64_e32 v130, v[130:131]
	v_min3_f32 v142, v142, v145, v143
	v_min3_f32 v146, v138, v130, v144
	v_add_u32_e32 v138, 16, v136
	v_add_u32_e32 v130, 24, v136
	v_cvt_f64_f32_e32 v[142:143], v142
	v_lshl_add_u64 v[144:145], v[128:129], 3, v[152:153]
	v_ashrrev_i32_e32 v139, 31, v138
	v_ashrrev_i32_e32 v131, 31, v130
	flat_store_dwordx2 v[144:145], v[142:143]
	s_mov_b64 s[2:3], -1
	v_max_f32_e32 v142, v146, v146
	s_mov_b64 vcc, s[4:5]
	s_cbranch_vccz .LBB118_17
; %bb.16:
	v_min_f32_e32 v143, 0, v142
	v_cvt_f64_f32_e32 v[144:145], v143
	v_lshl_add_u64 v[146:147], v[138:139], 3, v[152:153]
	flat_store_dwordx2 v[146:147], v[144:145]
	s_mov_b64 s[2:3], 0
.LBB118_17:
	v_mov_b32_e32 v146, 0
	s_andn2_b64 vcc, exec, s[2:3]
	v_lshlrev_b64 v[144:145], 3, v[138:139]
	s_cbranch_vccnz .LBB118_19
; %bb.18:
	v_lshl_add_u64 v[146:147], v[154:155], 0, v[144:145]
	flat_load_dwordx2 v[146:147], v[146:147]
	v_lshl_add_u64 v[148:149], v[152:153], 0, v[144:145]
	s_waitcnt vmcnt(0) lgkmcnt(0)
	v_mul_f64 v[146:147], s[6:7], v[146:147]
	v_cvt_f32_f64_e32 v143, v[146:147]
	v_min_f32_e32 v142, v143, v142
	v_cvt_f64_f32_e32 v[142:143], v142
	flat_store_dwordx2 v[148:149], v[142:143]
	v_lshl_add_u64 v[142:143], v[130:131], 3, v[154:155]
	flat_load_dwordx2 v[142:143], v[142:143]
	s_waitcnt vmcnt(0) lgkmcnt(0)
	v_mul_f64 v[142:143], s[6:7], v[142:143]
	v_cvt_f32_f64_e32 v146, v[142:143]
.LBB118_19:
	v_add_f64 v[142:143], v[46:47], v[126:127]
	v_add_f64 v[148:149], v[44:45], v[124:125]
	v_cvt_f32_f64_e32 v147, v[148:149]
	v_cvt_f32_f64_e32 v142, v[142:143]
	v_min3_f32 v147, v147, v142, v132
	v_add_f64 v[142:143], v[42:43], v[126:127]
	v_add_f64 v[148:149], v[40:41], v[124:125]
	v_cvt_f32_f64_e32 v132, v[148:149]
	v_cvt_f32_f64_e32 v142, v[142:143]
	v_min3_f32 v148, v132, v142, v133
	v_add_f64 v[132:133], v[38:39], v[122:123]
	v_add_f64 v[142:143], v[36:37], v[120:121]
	v_cvt_f32_f64_e32 v142, v[142:143]
	v_cvt_f32_f64_e32 v132, v[132:133]
	v_min_f32_e32 v149, v142, v132
	v_add_f64 v[132:133], v[34:35], v[122:123]
	v_add_f64 v[142:143], v[32:33], v[120:121]
	v_cvt_f32_f64_e32 v142, v[142:143]
	v_cvt_f32_f64_e32 v132, v[132:133]
	v_min3_f32 v146, v146, v149, v147
	v_min3_f32 v150, v142, v132, v148
	v_add_u32_e32 v142, 32, v136
	v_add_u32_e32 v132, 40, v136
	v_cvt_f64_f32_e32 v[146:147], v146
	v_lshl_add_u64 v[148:149], v[130:131], 3, v[152:153]
	v_ashrrev_i32_e32 v143, 31, v142
	v_ashrrev_i32_e32 v133, 31, v132
	flat_store_dwordx2 v[148:149], v[146:147]
	s_mov_b64 s[2:3], -1
	v_max_f32_e32 v146, v150, v150
	s_mov_b64 vcc, s[4:5]
	s_cbranch_vccz .LBB118_21
; %bb.20:
	v_min_f32_e32 v147, 0, v146
	v_cvt_f64_f32_e32 v[148:149], v147
	v_lshl_add_u64 v[150:151], v[142:143], 3, v[152:153]
	flat_store_dwordx2 v[150:151], v[148:149]
	s_mov_b64 s[2:3], 0
.LBB118_21:
	v_mov_b32_e32 v150, 0
	s_andn2_b64 vcc, exec, s[2:3]
	v_lshlrev_b64 v[148:149], 3, v[142:143]
	s_cbranch_vccnz .LBB118_23
; %bb.22:
	v_lshl_add_u64 v[150:151], v[154:155], 0, v[148:149]
	flat_load_dwordx2 v[150:151], v[150:151]
	v_lshl_add_u64 v[214:215], v[152:153], 0, v[148:149]
	s_waitcnt vmcnt(0) lgkmcnt(0)
	v_mul_f64 v[150:151], s[6:7], v[150:151]
	v_cvt_f32_f64_e32 v147, v[150:151]
	v_min_f32_e32 v146, v147, v146
	v_cvt_f64_f32_e32 v[146:147], v146
	flat_store_dwordx2 v[214:215], v[146:147]
	v_lshl_add_u64 v[146:147], v[132:133], 3, v[154:155]
	flat_load_dwordx2 v[146:147], v[146:147]
	s_waitcnt vmcnt(0) lgkmcnt(0)
	v_mul_f64 v[146:147], s[6:7], v[146:147]
	v_cvt_f32_f64_e32 v150, v[146:147]
.LBB118_23:
	v_add_f64 v[146:147], v[30:31], v[126:127]
	v_add_f64 v[214:215], v[28:29], v[124:125]
	v_cvt_f32_f64_e32 v151, v[214:215]
	v_cvt_f32_f64_e32 v146, v[146:147]
	v_min3_f32 v151, v151, v146, v134
	v_add_f64 v[146:147], v[26:27], v[126:127]
	v_add_f64 v[214:215], v[24:25], v[124:125]
	v_cvt_f32_f64_e32 v134, v[214:215]
	v_cvt_f32_f64_e32 v146, v[146:147]
	v_min3_f32 v214, v134, v146, v135
	v_add_f64 v[134:135], v[22:23], v[122:123]
	v_add_f64 v[146:147], v[20:21], v[120:121]
	v_cvt_f32_f64_e32 v146, v[146:147]
	v_cvt_f32_f64_e32 v134, v[134:135]
	v_min_f32_e32 v215, v146, v134
	v_add_f64 v[134:135], v[18:19], v[122:123]
	v_add_f64 v[146:147], v[16:17], v[120:121]
	v_cvt_f32_f64_e32 v146, v[146:147]
	v_cvt_f32_f64_e32 v134, v[134:135]
	v_min3_f32 v150, v150, v215, v151
	v_min3_f32 v216, v146, v134, v214
	v_add_u32_e32 v146, 48, v136
	v_add_u32_e32 v134, 56, v136
	v_cvt_f64_f32_e32 v[150:151], v150
	v_lshl_add_u64 v[214:215], v[132:133], 3, v[152:153]
	v_ashrrev_i32_e32 v147, 31, v146
	v_ashrrev_i32_e32 v135, 31, v134
	flat_store_dwordx2 v[214:215], v[150:151]
	s_mov_b64 s[2:3], -1
	v_max_f32_e32 v215, v216, v216
	s_mov_b64 vcc, s[4:5]
	s_cbranch_vccz .LBB118_25
; %bb.24:
	v_min_f32_e32 v150, 0, v215
	v_cvt_f64_f32_e32 v[150:151], v150
	v_lshl_add_u64 v[216:217], v[146:147], 3, v[152:153]
	flat_store_dwordx2 v[216:217], v[150:151]
	s_mov_b64 s[2:3], 0
.LBB118_25:
	v_mov_b32_e32 v214, 0
	s_andn2_b64 vcc, exec, s[2:3]
	v_lshlrev_b64 v[150:151], 3, v[146:147]
	s_cbranch_vccnz .LBB118_27
; %bb.26:
	v_lshl_add_u64 v[216:217], v[154:155], 0, v[150:151]
	flat_load_dwordx2 v[216:217], v[216:217]
	v_lshl_add_u64 v[218:219], v[152:153], 0, v[150:151]
	v_lshl_add_u64 v[154:155], v[134:135], 3, v[154:155]
	s_waitcnt vmcnt(0) lgkmcnt(0)
	v_mul_f64 v[216:217], s[6:7], v[216:217]
	v_cvt_f32_f64_e32 v214, v[216:217]
	v_min_f32_e32 v214, v214, v215
	v_cvt_f64_f32_e32 v[214:215], v214
	flat_store_dwordx2 v[218:219], v[214:215]
	flat_load_dwordx2 v[154:155], v[154:155]
	s_waitcnt vmcnt(0) lgkmcnt(0)
	v_mul_f64 v[154:155], s[6:7], v[154:155]
	v_cvt_f32_f64_e32 v214, v[154:155]
.LBB118_27:
	v_add_f64 v[126:127], v[2:3], v[126:127]
	v_add_f64 v[124:125], v[0:1], v[124:125]
	v_cvt_f32_f64_e32 v124, v[124:125]
	v_cvt_f32_f64_e32 v125, v[126:127]
	v_add_f64 v[122:123], v[10:11], v[122:123]
	v_add_f64 v[120:121], v[8:9], v[120:121]
	v_min3_f32 v154, v124, v125, v211
	v_add_f64 v[124:125], v[70:71], v[118:119]
	v_add_f64 v[126:127], v[68:69], v[116:117]
	v_cvt_f32_f64_e32 v120, v[120:121]
	v_cvt_f32_f64_e32 v121, v[122:123]
	v_cvt_f32_f64_e32 v126, v[126:127]
	v_cvt_f32_f64_e32 v124, v[124:125]
	v_min_f32_e32 v125, v120, v121
	v_add_f64 v[120:121], v[66:67], v[114:115]
	v_add_f64 v[122:123], v[64:65], v[112:113]
	v_min3_f32 v124, v126, v124, v212
	v_cvt_f32_f64_e32 v122, v[122:123]
	v_cvt_f32_f64_e32 v120, v[120:121]
	v_min3_f32 v124, v122, v120, v124
	v_min3_f32 v120, v214, v125, v154
	v_cvt_f64_f32_e32 v[120:121], v120
	v_lshl_add_u64 v[122:123], v[134:135], 3, v[152:153]
	flat_store_dwordx2 v[122:123], v[120:121]
	v_add_u32_e32 v122, 32, v213
	v_mad_i64_i32 v[120:121], s[2:3], v122, s9, 0
	v_mad_i64_i32 v[122:123], s[2:3], v122, s8, 0
	v_lshl_add_u64 v[120:121], v[120:121], 3, s[0:1]
	s_mov_b64 s[2:3], -1
	v_max_f32_e32 v125, v124, v124
	s_mov_b64 vcc, s[4:5]
	s_cbranch_vccz .LBB118_29
; %bb.28:
	v_min_f32_e32 v124, 0, v125
	v_cvt_f64_f32_e32 v[126:127], v124
	v_lshl_add_u64 v[152:153], v[136:137], 3, v[120:121]
	flat_store_dwordx2 v[152:153], v[126:127]
	s_mov_b64 s[2:3], 0
.LBB118_29:
	v_lshl_add_u64 v[122:123], v[122:123], 3, s[12:13]
	s_andn2_b64 vcc, exec, s[2:3]
	v_mov_b32_e32 v124, 0
	s_cbranch_vccnz .LBB118_31
; %bb.30:
	v_lshl_add_u64 v[126:127], v[122:123], 0, v[140:141]
	flat_load_dwordx2 v[126:127], v[126:127]
	v_lshl_add_u64 v[152:153], v[120:121], 0, v[140:141]
	s_waitcnt vmcnt(0) lgkmcnt(0)
	v_mul_f64 v[126:127], s[6:7], v[126:127]
	v_cvt_f32_f64_e32 v124, v[126:127]
	v_min_f32_e32 v124, v124, v125
	v_cvt_f64_f32_e32 v[124:125], v124
	flat_store_dwordx2 v[152:153], v[124:125]
	v_lshl_add_u64 v[124:125], v[128:129], 3, v[122:123]
	flat_load_dwordx2 v[124:125], v[124:125]
	s_waitcnt vmcnt(0) lgkmcnt(0)
	v_mul_f64 v[124:125], s[6:7], v[124:125]
	v_cvt_f32_f64_e32 v124, v[124:125]
.LBB118_31:
	v_add_f64 v[126:127], v[62:63], v[118:119]
	v_add_f64 v[152:153], v[60:61], v[116:117]
	v_cvt_f32_f64_e32 v125, v[152:153]
	v_cvt_f32_f64_e32 v126, v[126:127]
	v_min3_f32 v125, v125, v126, v209
	v_add_f64 v[126:127], v[58:59], v[118:119]
	v_add_f64 v[152:153], v[56:57], v[116:117]
	v_cvt_f32_f64_e32 v152, v[152:153]
	v_cvt_f32_f64_e32 v126, v[126:127]
	v_min3_f32 v154, v152, v126, v210
	v_add_f64 v[126:127], v[54:55], v[114:115]
	v_add_f64 v[152:153], v[52:53], v[112:113]
	v_cvt_f32_f64_e32 v152, v[152:153]
	v_cvt_f32_f64_e32 v126, v[126:127]
	v_min_f32_e32 v155, v152, v126
	v_add_f64 v[126:127], v[50:51], v[114:115]
	v_add_f64 v[152:153], v[48:49], v[112:113]
	v_cvt_f32_f64_e32 v152, v[152:153]
	v_cvt_f32_f64_e32 v126, v[126:127]
	v_min3_f32 v124, v124, v155, v125
	v_min3_f32 v152, v152, v126, v154
	v_cvt_f64_f32_e32 v[124:125], v124
	v_lshl_add_u64 v[126:127], v[128:129], 3, v[120:121]
	flat_store_dwordx2 v[126:127], v[124:125]
	s_mov_b64 s[2:3], -1
	v_max_f32_e32 v125, v152, v152
	s_mov_b64 vcc, s[4:5]
	s_cbranch_vccz .LBB118_33
; %bb.32:
	v_min_f32_e32 v124, 0, v125
	v_cvt_f64_f32_e32 v[126:127], v124
	v_lshl_add_u64 v[152:153], v[138:139], 3, v[120:121]
	flat_store_dwordx2 v[152:153], v[126:127]
	s_mov_b64 s[2:3], 0
.LBB118_33:
	s_andn2_b64 vcc, exec, s[2:3]
	v_mov_b32_e32 v124, 0
	s_cbranch_vccnz .LBB118_35
; %bb.34:
	v_lshl_add_u64 v[126:127], v[122:123], 0, v[144:145]
	flat_load_dwordx2 v[126:127], v[126:127]
	v_lshl_add_u64 v[152:153], v[120:121], 0, v[144:145]
	s_waitcnt vmcnt(0) lgkmcnt(0)
	v_mul_f64 v[126:127], s[6:7], v[126:127]
	v_cvt_f32_f64_e32 v124, v[126:127]
	v_min_f32_e32 v124, v124, v125
	v_cvt_f64_f32_e32 v[124:125], v124
	flat_store_dwordx2 v[152:153], v[124:125]
	v_lshl_add_u64 v[124:125], v[130:131], 3, v[122:123]
	flat_load_dwordx2 v[124:125], v[124:125]
	s_waitcnt vmcnt(0) lgkmcnt(0)
	v_mul_f64 v[124:125], s[6:7], v[124:125]
	v_cvt_f32_f64_e32 v124, v[124:125]
.LBB118_35:
	v_add_f64 v[126:127], v[46:47], v[118:119]
	v_add_f64 v[152:153], v[44:45], v[116:117]
	v_cvt_f32_f64_e32 v125, v[152:153]
	v_cvt_f32_f64_e32 v126, v[126:127]
	v_min3_f32 v125, v125, v126, v207
	v_add_f64 v[126:127], v[42:43], v[118:119]
	v_add_f64 v[152:153], v[40:41], v[116:117]
	v_cvt_f32_f64_e32 v152, v[152:153]
	v_cvt_f32_f64_e32 v126, v[126:127]
	v_min3_f32 v154, v152, v126, v208
	v_add_f64 v[126:127], v[38:39], v[114:115]
	v_add_f64 v[152:153], v[36:37], v[112:113]
	v_cvt_f32_f64_e32 v152, v[152:153]
	v_cvt_f32_f64_e32 v126, v[126:127]
	v_min_f32_e32 v155, v152, v126
	v_add_f64 v[126:127], v[34:35], v[114:115]
	v_add_f64 v[152:153], v[32:33], v[112:113]
	v_cvt_f32_f64_e32 v152, v[152:153]
	v_cvt_f32_f64_e32 v126, v[126:127]
	v_min3_f32 v124, v124, v155, v125
	v_min3_f32 v152, v152, v126, v154
	v_cvt_f64_f32_e32 v[124:125], v124
	v_lshl_add_u64 v[126:127], v[130:131], 3, v[120:121]
	flat_store_dwordx2 v[126:127], v[124:125]
	s_mov_b64 s[2:3], -1
	v_max_f32_e32 v125, v152, v152
	s_mov_b64 vcc, s[4:5]
	s_cbranch_vccz .LBB118_37
; %bb.36:
	v_min_f32_e32 v124, 0, v125
	v_cvt_f64_f32_e32 v[126:127], v124
	v_lshl_add_u64 v[152:153], v[142:143], 3, v[120:121]
	flat_store_dwordx2 v[152:153], v[126:127]
	s_mov_b64 s[2:3], 0
.LBB118_37:
	;; [unrolled: 54-line block ×3, first 2 shown]
	s_andn2_b64 vcc, exec, s[2:3]
	v_mov_b32_e32 v124, 0
	s_cbranch_vccnz .LBB118_43
; %bb.42:
	v_lshl_add_u64 v[126:127], v[122:123], 0, v[150:151]
	flat_load_dwordx2 v[126:127], v[126:127]
	v_lshl_add_u64 v[152:153], v[120:121], 0, v[150:151]
	v_lshl_add_u64 v[122:123], v[134:135], 3, v[122:123]
	s_waitcnt vmcnt(0) lgkmcnt(0)
	v_mul_f64 v[126:127], s[6:7], v[126:127]
	v_cvt_f32_f64_e32 v124, v[126:127]
	v_min_f32_e32 v124, v124, v125
	v_cvt_f64_f32_e32 v[124:125], v124
	flat_store_dwordx2 v[152:153], v[124:125]
	flat_load_dwordx2 v[122:123], v[122:123]
	s_waitcnt vmcnt(0) lgkmcnt(0)
	v_mul_f64 v[122:123], s[6:7], v[122:123]
	v_cvt_f32_f64_e32 v124, v[122:123]
.LBB118_43:
	v_add_f64 v[118:119], v[2:3], v[118:119]
	v_add_f64 v[116:117], v[0:1], v[116:117]
	v_cvt_f32_f64_e32 v116, v[116:117]
	v_cvt_f32_f64_e32 v117, v[118:119]
	v_add_f64 v[114:115], v[10:11], v[114:115]
	v_add_f64 v[112:113], v[8:9], v[112:113]
	v_min3_f32 v122, v116, v117, v203
	v_add_f64 v[116:117], v[70:71], v[110:111]
	v_add_f64 v[118:119], v[68:69], v[108:109]
	v_cvt_f32_f64_e32 v112, v[112:113]
	v_cvt_f32_f64_e32 v113, v[114:115]
	;; [unrolled: 1-line block ×4, first 2 shown]
	v_min_f32_e32 v117, v112, v113
	v_add_f64 v[112:113], v[66:67], v[106:107]
	v_add_f64 v[114:115], v[64:65], v[104:105]
	v_min3_f32 v116, v118, v116, v205
	v_cvt_f32_f64_e32 v114, v[114:115]
	v_cvt_f32_f64_e32 v112, v[112:113]
	v_min3_f32 v116, v114, v112, v116
	v_min3_f32 v112, v124, v117, v122
	v_cvt_f64_f32_e32 v[112:113], v112
	v_lshl_add_u64 v[114:115], v[134:135], 3, v[120:121]
	flat_store_dwordx2 v[114:115], v[112:113]
	v_add_u32_e32 v114, 64, v213
	v_mad_i64_i32 v[112:113], s[2:3], v114, s9, 0
	v_mad_i64_i32 v[114:115], s[2:3], v114, s8, 0
	v_lshl_add_u64 v[112:113], v[112:113], 3, s[0:1]
	s_mov_b64 s[2:3], -1
	v_max_f32_e32 v117, v116, v116
	s_mov_b64 vcc, s[4:5]
	s_cbranch_vccz .LBB118_45
; %bb.44:
	v_min_f32_e32 v116, 0, v117
	v_cvt_f64_f32_e32 v[118:119], v116
	v_lshl_add_u64 v[120:121], v[136:137], 3, v[112:113]
	flat_store_dwordx2 v[120:121], v[118:119]
	s_mov_b64 s[2:3], 0
.LBB118_45:
	v_lshl_add_u64 v[114:115], v[114:115], 3, s[12:13]
	s_andn2_b64 vcc, exec, s[2:3]
	v_mov_b32_e32 v116, 0
	s_cbranch_vccnz .LBB118_47
; %bb.46:
	v_lshl_add_u64 v[118:119], v[114:115], 0, v[140:141]
	flat_load_dwordx2 v[118:119], v[118:119]
	v_lshl_add_u64 v[120:121], v[112:113], 0, v[140:141]
	s_waitcnt vmcnt(0) lgkmcnt(0)
	v_mul_f64 v[118:119], s[6:7], v[118:119]
	v_cvt_f32_f64_e32 v116, v[118:119]
	v_min_f32_e32 v116, v116, v117
	v_cvt_f64_f32_e32 v[116:117], v116
	flat_store_dwordx2 v[120:121], v[116:117]
	v_lshl_add_u64 v[116:117], v[128:129], 3, v[114:115]
	flat_load_dwordx2 v[116:117], v[116:117]
	s_waitcnt vmcnt(0) lgkmcnt(0)
	v_mul_f64 v[116:117], s[6:7], v[116:117]
	v_cvt_f32_f64_e32 v116, v[116:117]
.LBB118_47:
	v_add_f64 v[118:119], v[62:63], v[110:111]
	v_add_f64 v[120:121], v[60:61], v[108:109]
	v_cvt_f32_f64_e32 v117, v[120:121]
	v_cvt_f32_f64_e32 v118, v[118:119]
	v_min3_f32 v117, v117, v118, v201
	v_add_f64 v[118:119], v[58:59], v[110:111]
	v_add_f64 v[120:121], v[56:57], v[108:109]
	v_cvt_f32_f64_e32 v120, v[120:121]
	v_cvt_f32_f64_e32 v118, v[118:119]
	v_min3_f32 v122, v120, v118, v202
	v_add_f64 v[118:119], v[54:55], v[106:107]
	v_add_f64 v[120:121], v[52:53], v[104:105]
	v_cvt_f32_f64_e32 v120, v[120:121]
	v_cvt_f32_f64_e32 v118, v[118:119]
	v_min_f32_e32 v123, v120, v118
	v_add_f64 v[118:119], v[50:51], v[106:107]
	v_add_f64 v[120:121], v[48:49], v[104:105]
	v_cvt_f32_f64_e32 v120, v[120:121]
	v_cvt_f32_f64_e32 v118, v[118:119]
	v_min3_f32 v116, v116, v123, v117
	v_min3_f32 v120, v120, v118, v122
	v_cvt_f64_f32_e32 v[116:117], v116
	v_lshl_add_u64 v[118:119], v[128:129], 3, v[112:113]
	flat_store_dwordx2 v[118:119], v[116:117]
	s_mov_b64 s[2:3], -1
	v_max_f32_e32 v117, v120, v120
	s_mov_b64 vcc, s[4:5]
	s_cbranch_vccz .LBB118_49
; %bb.48:
	v_min_f32_e32 v116, 0, v117
	v_cvt_f64_f32_e32 v[118:119], v116
	v_lshl_add_u64 v[120:121], v[138:139], 3, v[112:113]
	flat_store_dwordx2 v[120:121], v[118:119]
	s_mov_b64 s[2:3], 0
.LBB118_49:
	s_andn2_b64 vcc, exec, s[2:3]
	v_mov_b32_e32 v116, 0
	s_cbranch_vccnz .LBB118_51
; %bb.50:
	v_lshl_add_u64 v[118:119], v[114:115], 0, v[144:145]
	flat_load_dwordx2 v[118:119], v[118:119]
	v_lshl_add_u64 v[120:121], v[112:113], 0, v[144:145]
	s_waitcnt vmcnt(0) lgkmcnt(0)
	v_mul_f64 v[118:119], s[6:7], v[118:119]
	v_cvt_f32_f64_e32 v116, v[118:119]
	v_min_f32_e32 v116, v116, v117
	v_cvt_f64_f32_e32 v[116:117], v116
	flat_store_dwordx2 v[120:121], v[116:117]
	v_lshl_add_u64 v[116:117], v[130:131], 3, v[114:115]
	flat_load_dwordx2 v[116:117], v[116:117]
	s_waitcnt vmcnt(0) lgkmcnt(0)
	v_mul_f64 v[116:117], s[6:7], v[116:117]
	v_cvt_f32_f64_e32 v116, v[116:117]
.LBB118_51:
	v_add_f64 v[118:119], v[46:47], v[110:111]
	v_add_f64 v[120:121], v[44:45], v[108:109]
	v_cvt_f32_f64_e32 v117, v[120:121]
	v_cvt_f32_f64_e32 v118, v[118:119]
	v_min3_f32 v117, v117, v118, v199
	v_add_f64 v[118:119], v[42:43], v[110:111]
	v_add_f64 v[120:121], v[40:41], v[108:109]
	v_cvt_f32_f64_e32 v120, v[120:121]
	v_cvt_f32_f64_e32 v118, v[118:119]
	v_min3_f32 v122, v120, v118, v200
	v_add_f64 v[118:119], v[38:39], v[106:107]
	v_add_f64 v[120:121], v[36:37], v[104:105]
	v_cvt_f32_f64_e32 v120, v[120:121]
	v_cvt_f32_f64_e32 v118, v[118:119]
	v_min_f32_e32 v123, v120, v118
	v_add_f64 v[118:119], v[34:35], v[106:107]
	v_add_f64 v[120:121], v[32:33], v[104:105]
	v_cvt_f32_f64_e32 v120, v[120:121]
	v_cvt_f32_f64_e32 v118, v[118:119]
	v_min3_f32 v116, v116, v123, v117
	v_min3_f32 v120, v120, v118, v122
	v_cvt_f64_f32_e32 v[116:117], v116
	v_lshl_add_u64 v[118:119], v[130:131], 3, v[112:113]
	flat_store_dwordx2 v[118:119], v[116:117]
	s_mov_b64 s[2:3], -1
	v_max_f32_e32 v117, v120, v120
	s_mov_b64 vcc, s[4:5]
	s_cbranch_vccz .LBB118_53
; %bb.52:
	v_min_f32_e32 v116, 0, v117
	v_cvt_f64_f32_e32 v[118:119], v116
	v_lshl_add_u64 v[120:121], v[142:143], 3, v[112:113]
	flat_store_dwordx2 v[120:121], v[118:119]
	s_mov_b64 s[2:3], 0
.LBB118_53:
	;; [unrolled: 54-line block ×3, first 2 shown]
	s_andn2_b64 vcc, exec, s[2:3]
	v_mov_b32_e32 v116, 0
	s_cbranch_vccnz .LBB118_59
; %bb.58:
	v_lshl_add_u64 v[118:119], v[114:115], 0, v[150:151]
	flat_load_dwordx2 v[118:119], v[118:119]
	v_lshl_add_u64 v[120:121], v[112:113], 0, v[150:151]
	v_lshl_add_u64 v[114:115], v[134:135], 3, v[114:115]
	s_waitcnt vmcnt(0) lgkmcnt(0)
	v_mul_f64 v[118:119], s[6:7], v[118:119]
	v_cvt_f32_f64_e32 v116, v[118:119]
	v_min_f32_e32 v116, v116, v117
	v_cvt_f64_f32_e32 v[116:117], v116
	flat_store_dwordx2 v[120:121], v[116:117]
	flat_load_dwordx2 v[114:115], v[114:115]
	s_waitcnt vmcnt(0) lgkmcnt(0)
	v_mul_f64 v[114:115], s[6:7], v[114:115]
	v_cvt_f32_f64_e32 v116, v[114:115]
.LBB118_59:
	v_add_f64 v[110:111], v[2:3], v[110:111]
	v_add_f64 v[108:109], v[0:1], v[108:109]
	v_cvt_f32_f64_e32 v108, v[108:109]
	v_cvt_f32_f64_e32 v109, v[110:111]
	v_add_f64 v[106:107], v[10:11], v[106:107]
	v_add_f64 v[104:105], v[8:9], v[104:105]
	v_min3_f32 v114, v108, v109, v194
	v_add_f64 v[108:109], v[70:71], v[102:103]
	v_add_f64 v[110:111], v[68:69], v[100:101]
	v_cvt_f32_f64_e32 v104, v[104:105]
	v_cvt_f32_f64_e32 v105, v[106:107]
	;; [unrolled: 1-line block ×4, first 2 shown]
	v_min_f32_e32 v109, v104, v105
	v_add_f64 v[104:105], v[66:67], v[98:99]
	v_add_f64 v[106:107], v[64:65], v[96:97]
	v_min3_f32 v108, v110, v108, v196
	v_cvt_f32_f64_e32 v106, v[106:107]
	v_cvt_f32_f64_e32 v104, v[104:105]
	v_min3_f32 v108, v106, v104, v108
	v_min3_f32 v104, v116, v109, v114
	v_cvt_f64_f32_e32 v[104:105], v104
	v_lshl_add_u64 v[106:107], v[134:135], 3, v[112:113]
	flat_store_dwordx2 v[106:107], v[104:105]
	v_add_u32_e32 v106, 0x60, v213
	v_mad_i64_i32 v[104:105], s[2:3], v106, s9, 0
	v_mad_i64_i32 v[106:107], s[2:3], v106, s8, 0
	v_lshl_add_u64 v[104:105], v[104:105], 3, s[0:1]
	s_mov_b64 s[2:3], -1
	v_max_f32_e32 v109, v108, v108
	s_mov_b64 vcc, s[4:5]
	s_cbranch_vccz .LBB118_61
; %bb.60:
	v_min_f32_e32 v108, 0, v109
	v_cvt_f64_f32_e32 v[110:111], v108
	v_lshl_add_u64 v[112:113], v[136:137], 3, v[104:105]
	flat_store_dwordx2 v[112:113], v[110:111]
	s_mov_b64 s[2:3], 0
.LBB118_61:
	v_lshl_add_u64 v[106:107], v[106:107], 3, s[12:13]
	s_andn2_b64 vcc, exec, s[2:3]
	v_mov_b32_e32 v108, 0
	s_cbranch_vccnz .LBB118_63
; %bb.62:
	v_lshl_add_u64 v[110:111], v[106:107], 0, v[140:141]
	flat_load_dwordx2 v[110:111], v[110:111]
	v_lshl_add_u64 v[112:113], v[104:105], 0, v[140:141]
	s_waitcnt vmcnt(0) lgkmcnt(0)
	v_mul_f64 v[110:111], s[6:7], v[110:111]
	v_cvt_f32_f64_e32 v108, v[110:111]
	v_min_f32_e32 v108, v108, v109
	v_cvt_f64_f32_e32 v[108:109], v108
	flat_store_dwordx2 v[112:113], v[108:109]
	v_lshl_add_u64 v[108:109], v[128:129], 3, v[106:107]
	flat_load_dwordx2 v[108:109], v[108:109]
	s_waitcnt vmcnt(0) lgkmcnt(0)
	v_mul_f64 v[108:109], s[6:7], v[108:109]
	v_cvt_f32_f64_e32 v108, v[108:109]
.LBB118_63:
	v_add_f64 v[110:111], v[62:63], v[102:103]
	v_add_f64 v[112:113], v[60:61], v[100:101]
	v_cvt_f32_f64_e32 v109, v[112:113]
	v_cvt_f32_f64_e32 v110, v[110:111]
	v_min3_f32 v109, v109, v110, v192
	v_add_f64 v[110:111], v[58:59], v[102:103]
	v_add_f64 v[112:113], v[56:57], v[100:101]
	v_cvt_f32_f64_e32 v112, v[112:113]
	v_cvt_f32_f64_e32 v110, v[110:111]
	v_min3_f32 v114, v112, v110, v193
	v_add_f64 v[110:111], v[54:55], v[98:99]
	v_add_f64 v[112:113], v[52:53], v[96:97]
	v_cvt_f32_f64_e32 v112, v[112:113]
	v_cvt_f32_f64_e32 v110, v[110:111]
	v_min_f32_e32 v115, v112, v110
	v_add_f64 v[110:111], v[50:51], v[98:99]
	v_add_f64 v[112:113], v[48:49], v[96:97]
	v_cvt_f32_f64_e32 v112, v[112:113]
	v_cvt_f32_f64_e32 v110, v[110:111]
	v_min3_f32 v108, v108, v115, v109
	v_min3_f32 v112, v112, v110, v114
	v_cvt_f64_f32_e32 v[108:109], v108
	v_lshl_add_u64 v[110:111], v[128:129], 3, v[104:105]
	flat_store_dwordx2 v[110:111], v[108:109]
	s_mov_b64 s[2:3], -1
	v_max_f32_e32 v109, v112, v112
	s_mov_b64 vcc, s[4:5]
	s_cbranch_vccz .LBB118_65
; %bb.64:
	v_min_f32_e32 v108, 0, v109
	v_cvt_f64_f32_e32 v[110:111], v108
	v_lshl_add_u64 v[112:113], v[138:139], 3, v[104:105]
	flat_store_dwordx2 v[112:113], v[110:111]
	s_mov_b64 s[2:3], 0
.LBB118_65:
	s_andn2_b64 vcc, exec, s[2:3]
	v_mov_b32_e32 v108, 0
	s_cbranch_vccnz .LBB118_67
; %bb.66:
	v_lshl_add_u64 v[110:111], v[106:107], 0, v[144:145]
	flat_load_dwordx2 v[110:111], v[110:111]
	v_lshl_add_u64 v[112:113], v[104:105], 0, v[144:145]
	s_waitcnt vmcnt(0) lgkmcnt(0)
	v_mul_f64 v[110:111], s[6:7], v[110:111]
	v_cvt_f32_f64_e32 v108, v[110:111]
	v_min_f32_e32 v108, v108, v109
	v_cvt_f64_f32_e32 v[108:109], v108
	flat_store_dwordx2 v[112:113], v[108:109]
	v_lshl_add_u64 v[108:109], v[130:131], 3, v[106:107]
	flat_load_dwordx2 v[108:109], v[108:109]
	s_waitcnt vmcnt(0) lgkmcnt(0)
	v_mul_f64 v[108:109], s[6:7], v[108:109]
	v_cvt_f32_f64_e32 v108, v[108:109]
.LBB118_67:
	v_add_f64 v[110:111], v[46:47], v[102:103]
	v_add_f64 v[112:113], v[44:45], v[100:101]
	v_cvt_f32_f64_e32 v109, v[112:113]
	v_cvt_f32_f64_e32 v110, v[110:111]
	v_min3_f32 v109, v109, v110, v190
	v_add_f64 v[110:111], v[42:43], v[102:103]
	v_add_f64 v[112:113], v[40:41], v[100:101]
	v_cvt_f32_f64_e32 v112, v[112:113]
	v_cvt_f32_f64_e32 v110, v[110:111]
	v_min3_f32 v114, v112, v110, v191
	v_add_f64 v[110:111], v[38:39], v[98:99]
	v_add_f64 v[112:113], v[36:37], v[96:97]
	v_cvt_f32_f64_e32 v112, v[112:113]
	v_cvt_f32_f64_e32 v110, v[110:111]
	v_min_f32_e32 v115, v112, v110
	v_add_f64 v[110:111], v[34:35], v[98:99]
	v_add_f64 v[112:113], v[32:33], v[96:97]
	v_cvt_f32_f64_e32 v112, v[112:113]
	v_cvt_f32_f64_e32 v110, v[110:111]
	v_min3_f32 v108, v108, v115, v109
	v_min3_f32 v112, v112, v110, v114
	v_cvt_f64_f32_e32 v[108:109], v108
	v_lshl_add_u64 v[110:111], v[130:131], 3, v[104:105]
	flat_store_dwordx2 v[110:111], v[108:109]
	s_mov_b64 s[2:3], -1
	v_max_f32_e32 v109, v112, v112
	s_mov_b64 vcc, s[4:5]
	s_cbranch_vccz .LBB118_69
; %bb.68:
	v_min_f32_e32 v108, 0, v109
	v_cvt_f64_f32_e32 v[110:111], v108
	v_lshl_add_u64 v[112:113], v[142:143], 3, v[104:105]
	flat_store_dwordx2 v[112:113], v[110:111]
	s_mov_b64 s[2:3], 0
.LBB118_69:
	;; [unrolled: 54-line block ×3, first 2 shown]
	s_andn2_b64 vcc, exec, s[2:3]
	v_mov_b32_e32 v108, 0
	s_cbranch_vccnz .LBB118_75
; %bb.74:
	v_lshl_add_u64 v[110:111], v[106:107], 0, v[150:151]
	flat_load_dwordx2 v[110:111], v[110:111]
	v_lshl_add_u64 v[112:113], v[104:105], 0, v[150:151]
	v_lshl_add_u64 v[106:107], v[134:135], 3, v[106:107]
	s_waitcnt vmcnt(0) lgkmcnt(0)
	v_mul_f64 v[110:111], s[6:7], v[110:111]
	v_cvt_f32_f64_e32 v108, v[110:111]
	v_min_f32_e32 v108, v108, v109
	v_cvt_f64_f32_e32 v[108:109], v108
	flat_store_dwordx2 v[112:113], v[108:109]
	flat_load_dwordx2 v[106:107], v[106:107]
	s_waitcnt vmcnt(0) lgkmcnt(0)
	v_mul_f64 v[106:107], s[6:7], v[106:107]
	v_cvt_f32_f64_e32 v108, v[106:107]
.LBB118_75:
	v_add_f64 v[102:103], v[2:3], v[102:103]
	v_add_f64 v[100:101], v[0:1], v[100:101]
	v_cvt_f32_f64_e32 v100, v[100:101]
	v_cvt_f32_f64_e32 v101, v[102:103]
	v_add_f64 v[98:99], v[10:11], v[98:99]
	v_add_f64 v[96:97], v[8:9], v[96:97]
	v_min3_f32 v106, v100, v101, v186
	v_add_f64 v[100:101], v[70:71], v[94:95]
	v_add_f64 v[102:103], v[68:69], v[92:93]
	v_cvt_f32_f64_e32 v96, v[96:97]
	v_cvt_f32_f64_e32 v97, v[98:99]
	;; [unrolled: 1-line block ×4, first 2 shown]
	v_min_f32_e32 v101, v96, v97
	v_add_f64 v[96:97], v[66:67], v[90:91]
	v_add_f64 v[98:99], v[64:65], v[88:89]
	v_min3_f32 v100, v102, v100, v188
	v_cvt_f32_f64_e32 v98, v[98:99]
	v_cvt_f32_f64_e32 v96, v[96:97]
	v_min3_f32 v100, v98, v96, v100
	v_min3_f32 v96, v108, v101, v106
	v_cvt_f64_f32_e32 v[96:97], v96
	v_lshl_add_u64 v[98:99], v[134:135], 3, v[104:105]
	flat_store_dwordx2 v[98:99], v[96:97]
	v_add_u32_e32 v98, 0x80, v213
	v_mad_i64_i32 v[96:97], s[2:3], v98, s9, 0
	v_mad_i64_i32 v[98:99], s[2:3], v98, s8, 0
	v_lshl_add_u64 v[96:97], v[96:97], 3, s[0:1]
	s_mov_b64 s[2:3], -1
	v_max_f32_e32 v101, v100, v100
	s_mov_b64 vcc, s[4:5]
	s_cbranch_vccz .LBB118_77
; %bb.76:
	v_min_f32_e32 v100, 0, v101
	v_cvt_f64_f32_e32 v[102:103], v100
	v_lshl_add_u64 v[104:105], v[136:137], 3, v[96:97]
	flat_store_dwordx2 v[104:105], v[102:103]
	s_mov_b64 s[2:3], 0
.LBB118_77:
	v_lshl_add_u64 v[98:99], v[98:99], 3, s[12:13]
	s_andn2_b64 vcc, exec, s[2:3]
	v_mov_b32_e32 v100, 0
	s_cbranch_vccnz .LBB118_79
; %bb.78:
	v_lshl_add_u64 v[102:103], v[98:99], 0, v[140:141]
	flat_load_dwordx2 v[102:103], v[102:103]
	v_lshl_add_u64 v[104:105], v[96:97], 0, v[140:141]
	s_waitcnt vmcnt(0) lgkmcnt(0)
	v_mul_f64 v[102:103], s[6:7], v[102:103]
	v_cvt_f32_f64_e32 v100, v[102:103]
	v_min_f32_e32 v100, v100, v101
	v_cvt_f64_f32_e32 v[100:101], v100
	flat_store_dwordx2 v[104:105], v[100:101]
	v_lshl_add_u64 v[100:101], v[128:129], 3, v[98:99]
	flat_load_dwordx2 v[100:101], v[100:101]
	s_waitcnt vmcnt(0) lgkmcnt(0)
	v_mul_f64 v[100:101], s[6:7], v[100:101]
	v_cvt_f32_f64_e32 v100, v[100:101]
.LBB118_79:
	v_add_f64 v[102:103], v[62:63], v[94:95]
	v_add_f64 v[104:105], v[60:61], v[92:93]
	v_cvt_f32_f64_e32 v101, v[104:105]
	v_cvt_f32_f64_e32 v102, v[102:103]
	v_min3_f32 v101, v101, v102, v184
	v_add_f64 v[102:103], v[58:59], v[94:95]
	v_add_f64 v[104:105], v[56:57], v[92:93]
	v_cvt_f32_f64_e32 v104, v[104:105]
	v_cvt_f32_f64_e32 v102, v[102:103]
	v_min3_f32 v106, v104, v102, v185
	v_add_f64 v[102:103], v[54:55], v[90:91]
	v_add_f64 v[104:105], v[52:53], v[88:89]
	v_cvt_f32_f64_e32 v104, v[104:105]
	v_cvt_f32_f64_e32 v102, v[102:103]
	v_min_f32_e32 v107, v104, v102
	v_add_f64 v[102:103], v[50:51], v[90:91]
	v_add_f64 v[104:105], v[48:49], v[88:89]
	v_cvt_f32_f64_e32 v104, v[104:105]
	v_cvt_f32_f64_e32 v102, v[102:103]
	v_min3_f32 v100, v100, v107, v101
	v_min3_f32 v104, v104, v102, v106
	v_cvt_f64_f32_e32 v[100:101], v100
	v_lshl_add_u64 v[102:103], v[128:129], 3, v[96:97]
	flat_store_dwordx2 v[102:103], v[100:101]
	s_mov_b64 s[2:3], -1
	v_max_f32_e32 v101, v104, v104
	s_mov_b64 vcc, s[4:5]
	s_cbranch_vccz .LBB118_81
; %bb.80:
	v_min_f32_e32 v100, 0, v101
	v_cvt_f64_f32_e32 v[102:103], v100
	v_lshl_add_u64 v[104:105], v[138:139], 3, v[96:97]
	flat_store_dwordx2 v[104:105], v[102:103]
	s_mov_b64 s[2:3], 0
.LBB118_81:
	s_andn2_b64 vcc, exec, s[2:3]
	v_mov_b32_e32 v100, 0
	s_cbranch_vccnz .LBB118_83
; %bb.82:
	v_lshl_add_u64 v[102:103], v[98:99], 0, v[144:145]
	flat_load_dwordx2 v[102:103], v[102:103]
	v_lshl_add_u64 v[104:105], v[96:97], 0, v[144:145]
	s_waitcnt vmcnt(0) lgkmcnt(0)
	v_mul_f64 v[102:103], s[6:7], v[102:103]
	v_cvt_f32_f64_e32 v100, v[102:103]
	v_min_f32_e32 v100, v100, v101
	v_cvt_f64_f32_e32 v[100:101], v100
	flat_store_dwordx2 v[104:105], v[100:101]
	v_lshl_add_u64 v[100:101], v[130:131], 3, v[98:99]
	flat_load_dwordx2 v[100:101], v[100:101]
	s_waitcnt vmcnt(0) lgkmcnt(0)
	v_mul_f64 v[100:101], s[6:7], v[100:101]
	v_cvt_f32_f64_e32 v100, v[100:101]
.LBB118_83:
	v_add_f64 v[102:103], v[46:47], v[94:95]
	v_add_f64 v[104:105], v[44:45], v[92:93]
	v_cvt_f32_f64_e32 v101, v[104:105]
	v_cvt_f32_f64_e32 v102, v[102:103]
	v_min3_f32 v101, v101, v102, v182
	v_add_f64 v[102:103], v[42:43], v[94:95]
	v_add_f64 v[104:105], v[40:41], v[92:93]
	v_cvt_f32_f64_e32 v104, v[104:105]
	v_cvt_f32_f64_e32 v102, v[102:103]
	v_min3_f32 v106, v104, v102, v183
	v_add_f64 v[102:103], v[38:39], v[90:91]
	v_add_f64 v[104:105], v[36:37], v[88:89]
	v_cvt_f32_f64_e32 v104, v[104:105]
	v_cvt_f32_f64_e32 v102, v[102:103]
	v_min_f32_e32 v107, v104, v102
	v_add_f64 v[102:103], v[34:35], v[90:91]
	v_add_f64 v[104:105], v[32:33], v[88:89]
	v_cvt_f32_f64_e32 v104, v[104:105]
	v_cvt_f32_f64_e32 v102, v[102:103]
	v_min3_f32 v100, v100, v107, v101
	v_min3_f32 v104, v104, v102, v106
	v_cvt_f64_f32_e32 v[100:101], v100
	v_lshl_add_u64 v[102:103], v[130:131], 3, v[96:97]
	flat_store_dwordx2 v[102:103], v[100:101]
	s_mov_b64 s[2:3], -1
	v_max_f32_e32 v101, v104, v104
	s_mov_b64 vcc, s[4:5]
	s_cbranch_vccz .LBB118_85
; %bb.84:
	v_min_f32_e32 v100, 0, v101
	v_cvt_f64_f32_e32 v[102:103], v100
	v_lshl_add_u64 v[104:105], v[142:143], 3, v[96:97]
	flat_store_dwordx2 v[104:105], v[102:103]
	s_mov_b64 s[2:3], 0
.LBB118_85:
	s_andn2_b64 vcc, exec, s[2:3]
	v_mov_b32_e32 v100, 0
	s_cbranch_vccnz .LBB118_87
; %bb.86:
	v_lshl_add_u64 v[102:103], v[98:99], 0, v[148:149]
	flat_load_dwordx2 v[102:103], v[102:103]
	v_lshl_add_u64 v[104:105], v[96:97], 0, v[148:149]
	s_waitcnt vmcnt(0) lgkmcnt(0)
	v_mul_f64 v[102:103], s[6:7], v[102:103]
	v_cvt_f32_f64_e32 v100, v[102:103]
	v_min_f32_e32 v100, v100, v101
	v_cvt_f64_f32_e32 v[100:101], v100
	flat_store_dwordx2 v[104:105], v[100:101]
	v_lshl_add_u64 v[100:101], v[132:133], 3, v[98:99]
	flat_load_dwordx2 v[100:101], v[100:101]
	s_waitcnt vmcnt(0) lgkmcnt(0)
	v_mul_f64 v[100:101], s[6:7], v[100:101]
	v_cvt_f32_f64_e32 v100, v[100:101]
.LBB118_87:
	v_add_f64 v[102:103], v[30:31], v[94:95]
	v_add_f64 v[104:105], v[28:29], v[92:93]
	v_cvt_f32_f64_e32 v101, v[104:105]
	v_cvt_f32_f64_e32 v102, v[102:103]
	v_min3_f32 v101, v101, v102, v179
	v_add_f64 v[102:103], v[26:27], v[94:95]
	v_add_f64 v[104:105], v[24:25], v[92:93]
	v_cvt_f32_f64_e32 v104, v[104:105]
	v_cvt_f32_f64_e32 v102, v[102:103]
	v_min3_f32 v106, v104, v102, v181
	v_add_f64 v[102:103], v[22:23], v[90:91]
	v_add_f64 v[104:105], v[20:21], v[88:89]
	v_cvt_f32_f64_e32 v104, v[104:105]
	v_cvt_f32_f64_e32 v102, v[102:103]
	v_min_f32_e32 v107, v104, v102
	v_add_f64 v[102:103], v[18:19], v[90:91]
	v_add_f64 v[104:105], v[16:17], v[88:89]
	v_cvt_f32_f64_e32 v104, v[104:105]
	v_cvt_f32_f64_e32 v102, v[102:103]
	v_min3_f32 v100, v100, v107, v101
	v_min3_f32 v104, v104, v102, v106
	v_cvt_f64_f32_e32 v[100:101], v100
	v_lshl_add_u64 v[102:103], v[132:133], 3, v[96:97]
	flat_store_dwordx2 v[102:103], v[100:101]
	s_mov_b64 s[2:3], -1
	v_max_f32_e32 v101, v104, v104
	s_mov_b64 vcc, s[4:5]
	s_cbranch_vccz .LBB118_89
; %bb.88:
	v_min_f32_e32 v100, 0, v101
	v_cvt_f64_f32_e32 v[102:103], v100
	v_lshl_add_u64 v[104:105], v[146:147], 3, v[96:97]
	flat_store_dwordx2 v[104:105], v[102:103]
	s_mov_b64 s[2:3], 0
.LBB118_89:
	s_andn2_b64 vcc, exec, s[2:3]
	v_mov_b32_e32 v100, 0
	s_cbranch_vccnz .LBB118_91
; %bb.90:
	v_lshl_add_u64 v[102:103], v[98:99], 0, v[150:151]
	flat_load_dwordx2 v[102:103], v[102:103]
	v_lshl_add_u64 v[104:105], v[96:97], 0, v[150:151]
	v_lshl_add_u64 v[98:99], v[134:135], 3, v[98:99]
	s_waitcnt vmcnt(0) lgkmcnt(0)
	v_mul_f64 v[102:103], s[6:7], v[102:103]
	v_cvt_f32_f64_e32 v100, v[102:103]
	v_min_f32_e32 v100, v100, v101
	v_cvt_f64_f32_e32 v[100:101], v100
	flat_store_dwordx2 v[104:105], v[100:101]
	flat_load_dwordx2 v[98:99], v[98:99]
	s_waitcnt vmcnt(0) lgkmcnt(0)
	v_mul_f64 v[98:99], s[6:7], v[98:99]
	v_cvt_f32_f64_e32 v100, v[98:99]
.LBB118_91:
	v_add_f64 v[94:95], v[2:3], v[94:95]
	v_add_f64 v[92:93], v[0:1], v[92:93]
	v_cvt_f32_f64_e32 v92, v[92:93]
	v_cvt_f32_f64_e32 v93, v[94:95]
	v_add_f64 v[90:91], v[10:11], v[90:91]
	v_add_f64 v[88:89], v[8:9], v[88:89]
	v_min3_f32 v98, v92, v93, v178
	v_add_f64 v[92:93], v[70:71], v[86:87]
	v_add_f64 v[94:95], v[68:69], v[84:85]
	v_cvt_f32_f64_e32 v88, v[88:89]
	v_cvt_f32_f64_e32 v89, v[90:91]
	v_cvt_f32_f64_e32 v94, v[94:95]
	v_cvt_f32_f64_e32 v92, v[92:93]
	v_min_f32_e32 v93, v88, v89
	v_add_f64 v[88:89], v[66:67], v[82:83]
	v_add_f64 v[90:91], v[64:65], v[80:81]
	v_min3_f32 v92, v94, v92, v180
	v_cvt_f32_f64_e32 v90, v[90:91]
	v_cvt_f32_f64_e32 v88, v[88:89]
	v_min3_f32 v92, v90, v88, v92
	v_min3_f32 v88, v100, v93, v98
	v_cvt_f64_f32_e32 v[88:89], v88
	v_lshl_add_u64 v[90:91], v[134:135], 3, v[96:97]
	flat_store_dwordx2 v[90:91], v[88:89]
	v_add_u32_e32 v90, 0xa0, v213
	v_mad_i64_i32 v[88:89], s[2:3], v90, s9, 0
	v_mad_i64_i32 v[90:91], s[2:3], v90, s8, 0
	v_lshl_add_u64 v[88:89], v[88:89], 3, s[0:1]
	s_mov_b64 s[2:3], -1
	v_max_f32_e32 v93, v92, v92
	s_mov_b64 vcc, s[4:5]
	s_cbranch_vccz .LBB118_93
; %bb.92:
	v_min_f32_e32 v92, 0, v93
	v_cvt_f64_f32_e32 v[94:95], v92
	v_lshl_add_u64 v[96:97], v[136:137], 3, v[88:89]
	flat_store_dwordx2 v[96:97], v[94:95]
	s_mov_b64 s[2:3], 0
.LBB118_93:
	v_lshl_add_u64 v[90:91], v[90:91], 3, s[12:13]
	s_andn2_b64 vcc, exec, s[2:3]
	v_mov_b32_e32 v92, 0
	s_cbranch_vccnz .LBB118_95
; %bb.94:
	v_lshl_add_u64 v[94:95], v[90:91], 0, v[140:141]
	flat_load_dwordx2 v[94:95], v[94:95]
	v_lshl_add_u64 v[96:97], v[88:89], 0, v[140:141]
	s_waitcnt vmcnt(0) lgkmcnt(0)
	v_mul_f64 v[94:95], s[6:7], v[94:95]
	v_cvt_f32_f64_e32 v92, v[94:95]
	v_min_f32_e32 v92, v92, v93
	v_cvt_f64_f32_e32 v[92:93], v92
	flat_store_dwordx2 v[96:97], v[92:93]
	v_lshl_add_u64 v[92:93], v[128:129], 3, v[90:91]
	flat_load_dwordx2 v[92:93], v[92:93]
	s_waitcnt vmcnt(0) lgkmcnt(0)
	v_mul_f64 v[92:93], s[6:7], v[92:93]
	v_cvt_f32_f64_e32 v92, v[92:93]
.LBB118_95:
	v_add_f64 v[94:95], v[62:63], v[86:87]
	v_add_f64 v[96:97], v[60:61], v[84:85]
	v_cvt_f32_f64_e32 v93, v[96:97]
	v_cvt_f32_f64_e32 v94, v[94:95]
	v_min3_f32 v93, v93, v94, v176
	v_add_f64 v[94:95], v[58:59], v[86:87]
	v_add_f64 v[96:97], v[56:57], v[84:85]
	v_cvt_f32_f64_e32 v96, v[96:97]
	v_cvt_f32_f64_e32 v94, v[94:95]
	v_min3_f32 v98, v96, v94, v177
	v_add_f64 v[94:95], v[54:55], v[82:83]
	v_add_f64 v[96:97], v[52:53], v[80:81]
	v_cvt_f32_f64_e32 v96, v[96:97]
	v_cvt_f32_f64_e32 v94, v[94:95]
	v_min_f32_e32 v99, v96, v94
	v_add_f64 v[94:95], v[50:51], v[82:83]
	v_add_f64 v[96:97], v[48:49], v[80:81]
	v_cvt_f32_f64_e32 v96, v[96:97]
	v_cvt_f32_f64_e32 v94, v[94:95]
	v_min3_f32 v92, v92, v99, v93
	v_min3_f32 v96, v96, v94, v98
	v_cvt_f64_f32_e32 v[92:93], v92
	v_lshl_add_u64 v[94:95], v[128:129], 3, v[88:89]
	flat_store_dwordx2 v[94:95], v[92:93]
	s_mov_b64 s[2:3], -1
	v_max_f32_e32 v93, v96, v96
	s_mov_b64 vcc, s[4:5]
	s_cbranch_vccz .LBB118_97
; %bb.96:
	v_min_f32_e32 v92, 0, v93
	v_cvt_f64_f32_e32 v[94:95], v92
	v_lshl_add_u64 v[96:97], v[138:139], 3, v[88:89]
	flat_store_dwordx2 v[96:97], v[94:95]
	s_mov_b64 s[2:3], 0
.LBB118_97:
	s_andn2_b64 vcc, exec, s[2:3]
	v_mov_b32_e32 v92, 0
	s_cbranch_vccnz .LBB118_99
; %bb.98:
	v_lshl_add_u64 v[94:95], v[90:91], 0, v[144:145]
	flat_load_dwordx2 v[94:95], v[94:95]
	v_lshl_add_u64 v[96:97], v[88:89], 0, v[144:145]
	s_waitcnt vmcnt(0) lgkmcnt(0)
	v_mul_f64 v[94:95], s[6:7], v[94:95]
	v_cvt_f32_f64_e32 v92, v[94:95]
	v_min_f32_e32 v92, v92, v93
	v_cvt_f64_f32_e32 v[92:93], v92
	flat_store_dwordx2 v[96:97], v[92:93]
	v_lshl_add_u64 v[92:93], v[130:131], 3, v[90:91]
	flat_load_dwordx2 v[92:93], v[92:93]
	s_waitcnt vmcnt(0) lgkmcnt(0)
	v_mul_f64 v[92:93], s[6:7], v[92:93]
	v_cvt_f32_f64_e32 v92, v[92:93]
.LBB118_99:
	v_add_f64 v[94:95], v[46:47], v[86:87]
	v_add_f64 v[96:97], v[44:45], v[84:85]
	v_cvt_f32_f64_e32 v93, v[96:97]
	v_cvt_f32_f64_e32 v94, v[94:95]
	v_min3_f32 v93, v93, v94, v174
	v_add_f64 v[94:95], v[42:43], v[86:87]
	v_add_f64 v[96:97], v[40:41], v[84:85]
	v_cvt_f32_f64_e32 v96, v[96:97]
	v_cvt_f32_f64_e32 v94, v[94:95]
	v_min3_f32 v98, v96, v94, v175
	v_add_f64 v[94:95], v[38:39], v[82:83]
	v_add_f64 v[96:97], v[36:37], v[80:81]
	v_cvt_f32_f64_e32 v96, v[96:97]
	v_cvt_f32_f64_e32 v94, v[94:95]
	v_min_f32_e32 v99, v96, v94
	v_add_f64 v[94:95], v[34:35], v[82:83]
	v_add_f64 v[96:97], v[32:33], v[80:81]
	v_cvt_f32_f64_e32 v96, v[96:97]
	v_cvt_f32_f64_e32 v94, v[94:95]
	v_min3_f32 v92, v92, v99, v93
	v_min3_f32 v96, v96, v94, v98
	v_cvt_f64_f32_e32 v[92:93], v92
	v_lshl_add_u64 v[94:95], v[130:131], 3, v[88:89]
	flat_store_dwordx2 v[94:95], v[92:93]
	s_mov_b64 s[2:3], -1
	v_max_f32_e32 v93, v96, v96
	s_mov_b64 vcc, s[4:5]
	s_cbranch_vccz .LBB118_101
; %bb.100:
	v_min_f32_e32 v92, 0, v93
	v_cvt_f64_f32_e32 v[94:95], v92
	v_lshl_add_u64 v[96:97], v[142:143], 3, v[88:89]
	flat_store_dwordx2 v[96:97], v[94:95]
	s_mov_b64 s[2:3], 0
.LBB118_101:
	;; [unrolled: 54-line block ×3, first 2 shown]
	s_andn2_b64 vcc, exec, s[2:3]
	v_mov_b32_e32 v92, 0
	s_cbranch_vccnz .LBB118_107
; %bb.106:
	v_lshl_add_u64 v[94:95], v[90:91], 0, v[150:151]
	flat_load_dwordx2 v[94:95], v[94:95]
	v_lshl_add_u64 v[96:97], v[88:89], 0, v[150:151]
	v_lshl_add_u64 v[90:91], v[134:135], 3, v[90:91]
	s_waitcnt vmcnt(0) lgkmcnt(0)
	v_mul_f64 v[94:95], s[6:7], v[94:95]
	v_cvt_f32_f64_e32 v92, v[94:95]
	v_min_f32_e32 v92, v92, v93
	v_cvt_f64_f32_e32 v[92:93], v92
	flat_store_dwordx2 v[96:97], v[92:93]
	flat_load_dwordx2 v[90:91], v[90:91]
	s_waitcnt vmcnt(0) lgkmcnt(0)
	v_mul_f64 v[90:91], s[6:7], v[90:91]
	v_cvt_f32_f64_e32 v92, v[90:91]
.LBB118_107:
	v_add_f64 v[86:87], v[2:3], v[86:87]
	v_add_f64 v[84:85], v[0:1], v[84:85]
	v_cvt_f32_f64_e32 v84, v[84:85]
	v_cvt_f32_f64_e32 v85, v[86:87]
	v_add_f64 v[82:83], v[10:11], v[82:83]
	v_add_f64 v[80:81], v[8:9], v[80:81]
	v_min3_f32 v90, v84, v85, v170
	v_add_f64 v[84:85], v[70:71], v[78:79]
	v_add_f64 v[86:87], v[68:69], v[76:77]
	v_cvt_f32_f64_e32 v80, v[80:81]
	v_cvt_f32_f64_e32 v81, v[82:83]
	;; [unrolled: 1-line block ×4, first 2 shown]
	v_min_f32_e32 v85, v80, v81
	v_add_f64 v[80:81], v[66:67], v[74:75]
	v_add_f64 v[82:83], v[64:65], v[72:73]
	v_min3_f32 v84, v86, v84, v172
	v_cvt_f32_f64_e32 v82, v[82:83]
	v_cvt_f32_f64_e32 v80, v[80:81]
	v_min3_f32 v84, v82, v80, v84
	v_min3_f32 v80, v92, v85, v90
	v_cvt_f64_f32_e32 v[80:81], v80
	v_lshl_add_u64 v[82:83], v[134:135], 3, v[88:89]
	flat_store_dwordx2 v[82:83], v[80:81]
	v_add_u32_e32 v82, 0xc0, v213
	v_mad_i64_i32 v[80:81], s[2:3], v82, s9, 0
	v_mad_i64_i32 v[82:83], s[2:3], v82, s8, 0
	v_lshl_add_u64 v[80:81], v[80:81], 3, s[0:1]
	s_mov_b64 s[2:3], -1
	v_max_f32_e32 v85, v84, v84
	s_mov_b64 vcc, s[4:5]
	s_cbranch_vccz .LBB118_109
; %bb.108:
	v_min_f32_e32 v84, 0, v85
	v_cvt_f64_f32_e32 v[86:87], v84
	v_lshl_add_u64 v[88:89], v[136:137], 3, v[80:81]
	flat_store_dwordx2 v[88:89], v[86:87]
	s_mov_b64 s[2:3], 0
.LBB118_109:
	v_lshl_add_u64 v[82:83], v[82:83], 3, s[12:13]
	s_andn2_b64 vcc, exec, s[2:3]
	v_mov_b32_e32 v84, 0
	s_cbranch_vccnz .LBB118_111
; %bb.110:
	v_lshl_add_u64 v[86:87], v[82:83], 0, v[140:141]
	flat_load_dwordx2 v[86:87], v[86:87]
	v_lshl_add_u64 v[88:89], v[80:81], 0, v[140:141]
	s_waitcnt vmcnt(0) lgkmcnt(0)
	v_mul_f64 v[86:87], s[6:7], v[86:87]
	v_cvt_f32_f64_e32 v84, v[86:87]
	v_min_f32_e32 v84, v84, v85
	v_cvt_f64_f32_e32 v[84:85], v84
	flat_store_dwordx2 v[88:89], v[84:85]
	v_lshl_add_u64 v[84:85], v[128:129], 3, v[82:83]
	flat_load_dwordx2 v[84:85], v[84:85]
	s_waitcnt vmcnt(0) lgkmcnt(0)
	v_mul_f64 v[84:85], s[6:7], v[84:85]
	v_cvt_f32_f64_e32 v84, v[84:85]
.LBB118_111:
	v_add_f64 v[86:87], v[62:63], v[78:79]
	v_add_f64 v[88:89], v[60:61], v[76:77]
	v_cvt_f32_f64_e32 v85, v[88:89]
	v_cvt_f32_f64_e32 v86, v[86:87]
	v_min3_f32 v85, v85, v86, v168
	v_add_f64 v[86:87], v[58:59], v[78:79]
	v_add_f64 v[88:89], v[56:57], v[76:77]
	v_cvt_f32_f64_e32 v88, v[88:89]
	v_cvt_f32_f64_e32 v86, v[86:87]
	v_min3_f32 v90, v88, v86, v169
	v_add_f64 v[86:87], v[54:55], v[74:75]
	v_add_f64 v[88:89], v[52:53], v[72:73]
	v_cvt_f32_f64_e32 v88, v[88:89]
	v_cvt_f32_f64_e32 v86, v[86:87]
	v_min_f32_e32 v91, v88, v86
	v_add_f64 v[86:87], v[50:51], v[74:75]
	v_add_f64 v[88:89], v[48:49], v[72:73]
	v_cvt_f32_f64_e32 v88, v[88:89]
	v_cvt_f32_f64_e32 v86, v[86:87]
	v_min3_f32 v84, v84, v91, v85
	v_min3_f32 v88, v88, v86, v90
	v_cvt_f64_f32_e32 v[84:85], v84
	v_lshl_add_u64 v[86:87], v[128:129], 3, v[80:81]
	flat_store_dwordx2 v[86:87], v[84:85]
	s_mov_b64 s[2:3], -1
	v_max_f32_e32 v85, v88, v88
	s_mov_b64 vcc, s[4:5]
	s_cbranch_vccz .LBB118_113
; %bb.112:
	v_min_f32_e32 v84, 0, v85
	v_cvt_f64_f32_e32 v[86:87], v84
	v_lshl_add_u64 v[88:89], v[138:139], 3, v[80:81]
	flat_store_dwordx2 v[88:89], v[86:87]
	s_mov_b64 s[2:3], 0
.LBB118_113:
	s_andn2_b64 vcc, exec, s[2:3]
	v_mov_b32_e32 v84, 0
	s_cbranch_vccnz .LBB118_115
; %bb.114:
	v_lshl_add_u64 v[86:87], v[82:83], 0, v[144:145]
	flat_load_dwordx2 v[86:87], v[86:87]
	v_lshl_add_u64 v[88:89], v[80:81], 0, v[144:145]
	s_waitcnt vmcnt(0) lgkmcnt(0)
	v_mul_f64 v[86:87], s[6:7], v[86:87]
	v_cvt_f32_f64_e32 v84, v[86:87]
	v_min_f32_e32 v84, v84, v85
	v_cvt_f64_f32_e32 v[84:85], v84
	flat_store_dwordx2 v[88:89], v[84:85]
	v_lshl_add_u64 v[84:85], v[130:131], 3, v[82:83]
	flat_load_dwordx2 v[84:85], v[84:85]
	s_waitcnt vmcnt(0) lgkmcnt(0)
	v_mul_f64 v[84:85], s[6:7], v[84:85]
	v_cvt_f32_f64_e32 v84, v[84:85]
.LBB118_115:
	v_add_f64 v[86:87], v[46:47], v[78:79]
	v_add_f64 v[88:89], v[44:45], v[76:77]
	v_cvt_f32_f64_e32 v85, v[88:89]
	v_cvt_f32_f64_e32 v86, v[86:87]
	v_min3_f32 v85, v85, v86, v166
	v_add_f64 v[86:87], v[42:43], v[78:79]
	v_add_f64 v[88:89], v[40:41], v[76:77]
	v_cvt_f32_f64_e32 v88, v[88:89]
	v_cvt_f32_f64_e32 v86, v[86:87]
	v_min3_f32 v90, v88, v86, v167
	v_add_f64 v[86:87], v[38:39], v[74:75]
	v_add_f64 v[88:89], v[36:37], v[72:73]
	v_cvt_f32_f64_e32 v88, v[88:89]
	v_cvt_f32_f64_e32 v86, v[86:87]
	v_min_f32_e32 v91, v88, v86
	v_add_f64 v[86:87], v[34:35], v[74:75]
	v_add_f64 v[88:89], v[32:33], v[72:73]
	v_cvt_f32_f64_e32 v88, v[88:89]
	v_cvt_f32_f64_e32 v86, v[86:87]
	v_min3_f32 v84, v84, v91, v85
	v_min3_f32 v88, v88, v86, v90
	v_cvt_f64_f32_e32 v[84:85], v84
	v_lshl_add_u64 v[86:87], v[130:131], 3, v[80:81]
	flat_store_dwordx2 v[86:87], v[84:85]
	s_mov_b64 s[2:3], -1
	v_max_f32_e32 v85, v88, v88
	s_mov_b64 vcc, s[4:5]
	s_cbranch_vccz .LBB118_117
; %bb.116:
	v_min_f32_e32 v84, 0, v85
	v_cvt_f64_f32_e32 v[86:87], v84
	v_lshl_add_u64 v[88:89], v[142:143], 3, v[80:81]
	flat_store_dwordx2 v[88:89], v[86:87]
	s_mov_b64 s[2:3], 0
.LBB118_117:
	;; [unrolled: 54-line block ×3, first 2 shown]
	s_andn2_b64 vcc, exec, s[2:3]
	v_mov_b32_e32 v84, 0
	s_cbranch_vccnz .LBB118_123
; %bb.122:
	v_lshl_add_u64 v[86:87], v[82:83], 0, v[150:151]
	flat_load_dwordx2 v[86:87], v[86:87]
	v_lshl_add_u64 v[88:89], v[80:81], 0, v[150:151]
	v_lshl_add_u64 v[82:83], v[134:135], 3, v[82:83]
	s_waitcnt vmcnt(0) lgkmcnt(0)
	v_mul_f64 v[86:87], s[6:7], v[86:87]
	v_cvt_f32_f64_e32 v84, v[86:87]
	v_min_f32_e32 v84, v84, v85
	v_cvt_f64_f32_e32 v[84:85], v84
	flat_store_dwordx2 v[88:89], v[84:85]
	flat_load_dwordx2 v[82:83], v[82:83]
	s_waitcnt vmcnt(0) lgkmcnt(0)
	v_mul_f64 v[82:83], s[6:7], v[82:83]
	v_cvt_f32_f64_e32 v84, v[82:83]
.LBB118_123:
	v_add_f64 v[78:79], v[2:3], v[78:79]
	v_add_f64 v[76:77], v[0:1], v[76:77]
	v_add_f64 v[70:71], v[70:71], v[6:7]
	v_add_f64 v[68:69], v[68:69], v[4:5]
	v_cvt_f32_f64_e32 v76, v[76:77]
	v_cvt_f32_f64_e32 v77, v[78:79]
	;; [unrolled: 1-line block ×4, first 2 shown]
	v_min3_f32 v76, v76, v77, v162
	v_min3_f32 v77, v68, v69, v163
	v_add_f64 v[68:69], v[10:11], v[74:75]
	v_add_f64 v[70:71], v[8:9], v[72:73]
	v_cvt_f32_f64_e32 v70, v[70:71]
	v_cvt_f32_f64_e32 v68, v[68:69]
	v_add_f64 v[66:67], v[66:67], v[14:15]
	v_add_f64 v[64:65], v[64:65], v[12:13]
	v_min_f32_e32 v68, v70, v68
	v_cvt_f32_f64_e32 v64, v[64:65]
	v_cvt_f32_f64_e32 v65, v[66:67]
	v_min3_f32 v69, v64, v65, v77
	v_min3_f32 v64, v84, v68, v76
	v_cvt_f64_f32_e32 v[64:65], v64
	v_lshl_add_u64 v[66:67], v[134:135], 3, v[80:81]
	flat_store_dwordx2 v[66:67], v[64:65]
	v_add_u32_e32 v66, 0xe0, v213
	v_mad_i64_i32 v[64:65], s[2:3], v66, s9, 0
	v_lshl_add_u64 v[64:65], v[64:65], 3, s[0:1]
	v_mad_i64_i32 v[66:67], s[0:1], v66, s8, 0
	s_mov_b64 s[0:1], -1
	v_max_f32_e32 v69, v69, v69
	s_mov_b64 vcc, s[4:5]
	s_cbranch_vccz .LBB118_125
; %bb.124:
	v_min_f32_e32 v68, 0, v69
	v_cvt_f64_f32_e32 v[70:71], v68
	v_lshl_add_u64 v[72:73], v[136:137], 3, v[64:65]
	flat_store_dwordx2 v[72:73], v[70:71]
	s_mov_b64 s[0:1], 0
.LBB118_125:
	v_lshl_add_u64 v[66:67], v[66:67], 3, s[12:13]
	s_andn2_b64 vcc, exec, s[0:1]
	v_mov_b32_e32 v68, 0
	s_cbranch_vccnz .LBB118_127
; %bb.126:
	v_lshl_add_u64 v[70:71], v[66:67], 0, v[140:141]
	flat_load_dwordx2 v[70:71], v[70:71]
	v_lshl_add_u64 v[72:73], v[64:65], 0, v[140:141]
	s_waitcnt vmcnt(0) lgkmcnt(0)
	v_mul_f64 v[70:71], s[6:7], v[70:71]
	v_cvt_f32_f64_e32 v68, v[70:71]
	v_min_f32_e32 v68, v68, v69
	v_cvt_f64_f32_e32 v[68:69], v68
	flat_store_dwordx2 v[72:73], v[68:69]
	v_lshl_add_u64 v[68:69], v[128:129], 3, v[66:67]
	flat_load_dwordx2 v[68:69], v[68:69]
	s_waitcnt vmcnt(0) lgkmcnt(0)
	v_mul_f64 v[68:69], s[6:7], v[68:69]
	v_cvt_f32_f64_e32 v68, v[68:69]
.LBB118_127:
	v_add_f64 v[62:63], v[62:63], v[6:7]
	v_add_f64 v[60:61], v[60:61], v[4:5]
	v_add_f64 v[58:59], v[58:59], v[6:7]
	v_add_f64 v[56:57], v[56:57], v[4:5]
	v_add_f64 v[54:55], v[54:55], v[14:15]
	v_add_f64 v[52:53], v[52:53], v[12:13]
	v_cvt_f32_f64_e32 v60, v[60:61]
	v_cvt_f32_f64_e32 v61, v[62:63]
	v_cvt_f32_f64_e32 v56, v[56:57]
	v_cvt_f32_f64_e32 v57, v[58:59]
	v_cvt_f32_f64_e32 v52, v[52:53]
	v_cvt_f32_f64_e32 v53, v[54:55]
	v_add_f64 v[50:51], v[50:51], v[14:15]
	v_add_f64 v[48:49], v[48:49], v[12:13]
	v_min3_f32 v60, v60, v61, v160
	v_min3_f32 v56, v56, v57, v161
	v_min_f32_e32 v52, v52, v53
	v_cvt_f32_f64_e32 v48, v[48:49]
	v_cvt_f32_f64_e32 v49, v[50:51]
	v_min3_f32 v53, v48, v49, v56
	v_min3_f32 v48, v68, v52, v60
	v_cvt_f64_f32_e32 v[48:49], v48
	v_lshl_add_u64 v[50:51], v[128:129], 3, v[64:65]
	flat_store_dwordx2 v[50:51], v[48:49]
	s_mov_b64 s[0:1], -1
	v_max_f32_e32 v49, v53, v53
	s_mov_b64 vcc, s[4:5]
	s_cbranch_vccz .LBB118_129
; %bb.128:
	v_min_f32_e32 v48, 0, v49
	v_cvt_f64_f32_e32 v[50:51], v48
	v_lshl_add_u64 v[52:53], v[138:139], 3, v[64:65]
	flat_store_dwordx2 v[52:53], v[50:51]
	s_mov_b64 s[0:1], 0
.LBB118_129:
	s_andn2_b64 vcc, exec, s[0:1]
	v_mov_b32_e32 v48, 0
	s_cbranch_vccnz .LBB118_131
; %bb.130:
	v_lshl_add_u64 v[50:51], v[66:67], 0, v[144:145]
	flat_load_dwordx2 v[50:51], v[50:51]
	v_lshl_add_u64 v[52:53], v[64:65], 0, v[144:145]
	s_waitcnt vmcnt(0) lgkmcnt(0)
	v_mul_f64 v[50:51], s[6:7], v[50:51]
	v_cvt_f32_f64_e32 v48, v[50:51]
	v_min_f32_e32 v48, v48, v49
	v_cvt_f64_f32_e32 v[48:49], v48
	flat_store_dwordx2 v[52:53], v[48:49]
	v_lshl_add_u64 v[48:49], v[130:131], 3, v[66:67]
	flat_load_dwordx2 v[48:49], v[48:49]
	s_waitcnt vmcnt(0) lgkmcnt(0)
	v_mul_f64 v[48:49], s[6:7], v[48:49]
	v_cvt_f32_f64_e32 v48, v[48:49]
.LBB118_131:
	v_add_f64 v[46:47], v[46:47], v[6:7]
	v_add_f64 v[44:45], v[44:45], v[4:5]
	v_add_f64 v[42:43], v[42:43], v[6:7]
	v_add_f64 v[40:41], v[40:41], v[4:5]
	v_add_f64 v[38:39], v[38:39], v[14:15]
	v_add_f64 v[36:37], v[36:37], v[12:13]
	v_cvt_f32_f64_e32 v44, v[44:45]
	v_cvt_f32_f64_e32 v45, v[46:47]
	v_cvt_f32_f64_e32 v40, v[40:41]
	v_cvt_f32_f64_e32 v41, v[42:43]
	v_cvt_f32_f64_e32 v36, v[36:37]
	v_cvt_f32_f64_e32 v37, v[38:39]
	v_add_f64 v[34:35], v[34:35], v[14:15]
	v_add_f64 v[32:33], v[32:33], v[12:13]
	v_min3_f32 v44, v44, v45, v158
	v_min3_f32 v40, v40, v41, v159
	v_min_f32_e32 v36, v36, v37
	v_cvt_f32_f64_e32 v32, v[32:33]
	v_cvt_f32_f64_e32 v33, v[34:35]
	v_min3_f32 v37, v32, v33, v40
	v_min3_f32 v32, v48, v36, v44
	v_cvt_f64_f32_e32 v[32:33], v32
	v_lshl_add_u64 v[34:35], v[130:131], 3, v[64:65]
	flat_store_dwordx2 v[34:35], v[32:33]
	s_mov_b64 s[0:1], -1
	v_max_f32_e32 v33, v37, v37
	s_mov_b64 vcc, s[4:5]
	s_cbranch_vccz .LBB118_133
; %bb.132:
	v_min_f32_e32 v32, 0, v33
	v_cvt_f64_f32_e32 v[34:35], v32
	v_lshl_add_u64 v[36:37], v[142:143], 3, v[64:65]
	flat_store_dwordx2 v[36:37], v[34:35]
	s_mov_b64 s[0:1], 0
.LBB118_133:
	;; [unrolled: 54-line block ×3, first 2 shown]
	s_andn2_b64 vcc, exec, s[0:1]
	v_mov_b32_e32 v16, 0
	s_cbranch_vccnz .LBB118_139
; %bb.138:
	v_lshl_add_u64 v[18:19], v[66:67], 0, v[150:151]
	flat_load_dwordx2 v[18:19], v[18:19]
	v_lshl_add_u64 v[20:21], v[64:65], 0, v[150:151]
	s_waitcnt vmcnt(0) lgkmcnt(0)
	v_mul_f64 v[18:19], s[6:7], v[18:19]
	v_cvt_f32_f64_e32 v16, v[18:19]
	v_min_f32_e32 v16, v16, v17
	v_cvt_f64_f32_e32 v[16:17], v16
	flat_store_dwordx2 v[20:21], v[16:17]
	v_lshl_add_u64 v[16:17], v[134:135], 3, v[66:67]
	flat_load_dwordx2 v[16:17], v[16:17]
	s_waitcnt vmcnt(0) lgkmcnt(0)
	v_mul_f64 v[16:17], s[6:7], v[16:17]
	v_cvt_f32_f64_e32 v16, v[16:17]
.LBB118_139:
	v_add_f64 v[10:11], v[10:11], v[14:15]
	v_add_f64 v[8:9], v[8:9], v[12:13]
	;; [unrolled: 1-line block ×4, first 2 shown]
	v_cvt_f32_f64_e32 v8, v[8:9]
	v_cvt_f32_f64_e32 v9, v[10:11]
	;; [unrolled: 1-line block ×4, first 2 shown]
	v_min_f32_e32 v8, v8, v9
	v_min3_f32 v0, v0, v1, v198
	v_min3_f32 v0, v16, v8, v0
	v_cvt_f64_f32_e32 v[0:1], v0
	v_lshl_add_u64 v[2:3], v[134:135], 3, v[64:65]
	flat_store_dwordx2 v[2:3], v[0:1]
	s_endpgm
	.section	.rodata,"a",@progbits
	.p2align	6, 0x0
	.amdhsa_kernel _ZN12_GLOBAL__N_120geam_min_plus_kernelId15HIP_vector_typeIdLj2EEdLi8ELi32ELi64ELi256ELi4ELi64ELi4ELi64ELi4ELc78ELc84ELb1ELb0ELb1EdKPKdKPdEEviiiT16_PT17_ilSA_ilS8_SA_ilPT18_ili26rocblas_geam_ex_operation_
		.amdhsa_group_segment_fixed_size 20480
		.amdhsa_private_segment_fixed_size 0
		.amdhsa_kernarg_size 136
		.amdhsa_user_sgpr_count 2
		.amdhsa_user_sgpr_dispatch_ptr 0
		.amdhsa_user_sgpr_queue_ptr 0
		.amdhsa_user_sgpr_kernarg_segment_ptr 1
		.amdhsa_user_sgpr_dispatch_id 0
		.amdhsa_user_sgpr_kernarg_preload_length 0
		.amdhsa_user_sgpr_kernarg_preload_offset 0
		.amdhsa_user_sgpr_private_segment_size 0
		.amdhsa_uses_dynamic_stack 0
		.amdhsa_enable_private_segment 0
		.amdhsa_system_sgpr_workgroup_id_x 1
		.amdhsa_system_sgpr_workgroup_id_y 0
		.amdhsa_system_sgpr_workgroup_id_z 1
		.amdhsa_system_sgpr_workgroup_info 0
		.amdhsa_system_vgpr_workitem_id 1
		.amdhsa_next_free_vgpr 220
		.amdhsa_next_free_sgpr 25
		.amdhsa_accum_offset 220
		.amdhsa_reserve_vcc 1
		.amdhsa_float_round_mode_32 0
		.amdhsa_float_round_mode_16_64 0
		.amdhsa_float_denorm_mode_32 3
		.amdhsa_float_denorm_mode_16_64 3
		.amdhsa_dx10_clamp 1
		.amdhsa_ieee_mode 1
		.amdhsa_fp16_overflow 0
		.amdhsa_tg_split 0
		.amdhsa_exception_fp_ieee_invalid_op 0
		.amdhsa_exception_fp_denorm_src 0
		.amdhsa_exception_fp_ieee_div_zero 0
		.amdhsa_exception_fp_ieee_overflow 0
		.amdhsa_exception_fp_ieee_underflow 0
		.amdhsa_exception_fp_ieee_inexact 0
		.amdhsa_exception_int_div_zero 0
	.end_amdhsa_kernel
	.section	.text._ZN12_GLOBAL__N_120geam_min_plus_kernelId15HIP_vector_typeIdLj2EEdLi8ELi32ELi64ELi256ELi4ELi64ELi4ELi64ELi4ELc78ELc84ELb1ELb0ELb1EdKPKdKPdEEviiiT16_PT17_ilSA_ilS8_SA_ilPT18_ili26rocblas_geam_ex_operation_,"axG",@progbits,_ZN12_GLOBAL__N_120geam_min_plus_kernelId15HIP_vector_typeIdLj2EEdLi8ELi32ELi64ELi256ELi4ELi64ELi4ELi64ELi4ELc78ELc84ELb1ELb0ELb1EdKPKdKPdEEviiiT16_PT17_ilSA_ilS8_SA_ilPT18_ili26rocblas_geam_ex_operation_,comdat
.Lfunc_end118:
	.size	_ZN12_GLOBAL__N_120geam_min_plus_kernelId15HIP_vector_typeIdLj2EEdLi8ELi32ELi64ELi256ELi4ELi64ELi4ELi64ELi4ELc78ELc84ELb1ELb0ELb1EdKPKdKPdEEviiiT16_PT17_ilSA_ilS8_SA_ilPT18_ili26rocblas_geam_ex_operation_, .Lfunc_end118-_ZN12_GLOBAL__N_120geam_min_plus_kernelId15HIP_vector_typeIdLj2EEdLi8ELi32ELi64ELi256ELi4ELi64ELi4ELi64ELi4ELc78ELc84ELb1ELb0ELb1EdKPKdKPdEEviiiT16_PT17_ilSA_ilS8_SA_ilPT18_ili26rocblas_geam_ex_operation_
                                        ; -- End function
	.set _ZN12_GLOBAL__N_120geam_min_plus_kernelId15HIP_vector_typeIdLj2EEdLi8ELi32ELi64ELi256ELi4ELi64ELi4ELi64ELi4ELc78ELc84ELb1ELb0ELb1EdKPKdKPdEEviiiT16_PT17_ilSA_ilS8_SA_ilPT18_ili26rocblas_geam_ex_operation_.num_vgpr, 220
	.set _ZN12_GLOBAL__N_120geam_min_plus_kernelId15HIP_vector_typeIdLj2EEdLi8ELi32ELi64ELi256ELi4ELi64ELi4ELi64ELi4ELc78ELc84ELb1ELb0ELb1EdKPKdKPdEEviiiT16_PT17_ilSA_ilS8_SA_ilPT18_ili26rocblas_geam_ex_operation_.num_agpr, 0
	.set _ZN12_GLOBAL__N_120geam_min_plus_kernelId15HIP_vector_typeIdLj2EEdLi8ELi32ELi64ELi256ELi4ELi64ELi4ELi64ELi4ELc78ELc84ELb1ELb0ELb1EdKPKdKPdEEviiiT16_PT17_ilSA_ilS8_SA_ilPT18_ili26rocblas_geam_ex_operation_.numbered_sgpr, 25
	.set _ZN12_GLOBAL__N_120geam_min_plus_kernelId15HIP_vector_typeIdLj2EEdLi8ELi32ELi64ELi256ELi4ELi64ELi4ELi64ELi4ELc78ELc84ELb1ELb0ELb1EdKPKdKPdEEviiiT16_PT17_ilSA_ilS8_SA_ilPT18_ili26rocblas_geam_ex_operation_.num_named_barrier, 0
	.set _ZN12_GLOBAL__N_120geam_min_plus_kernelId15HIP_vector_typeIdLj2EEdLi8ELi32ELi64ELi256ELi4ELi64ELi4ELi64ELi4ELc78ELc84ELb1ELb0ELb1EdKPKdKPdEEviiiT16_PT17_ilSA_ilS8_SA_ilPT18_ili26rocblas_geam_ex_operation_.private_seg_size, 0
	.set _ZN12_GLOBAL__N_120geam_min_plus_kernelId15HIP_vector_typeIdLj2EEdLi8ELi32ELi64ELi256ELi4ELi64ELi4ELi64ELi4ELc78ELc84ELb1ELb0ELb1EdKPKdKPdEEviiiT16_PT17_ilSA_ilS8_SA_ilPT18_ili26rocblas_geam_ex_operation_.uses_vcc, 1
	.set _ZN12_GLOBAL__N_120geam_min_plus_kernelId15HIP_vector_typeIdLj2EEdLi8ELi32ELi64ELi256ELi4ELi64ELi4ELi64ELi4ELc78ELc84ELb1ELb0ELb1EdKPKdKPdEEviiiT16_PT17_ilSA_ilS8_SA_ilPT18_ili26rocblas_geam_ex_operation_.uses_flat_scratch, 0
	.set _ZN12_GLOBAL__N_120geam_min_plus_kernelId15HIP_vector_typeIdLj2EEdLi8ELi32ELi64ELi256ELi4ELi64ELi4ELi64ELi4ELc78ELc84ELb1ELb0ELb1EdKPKdKPdEEviiiT16_PT17_ilSA_ilS8_SA_ilPT18_ili26rocblas_geam_ex_operation_.has_dyn_sized_stack, 0
	.set _ZN12_GLOBAL__N_120geam_min_plus_kernelId15HIP_vector_typeIdLj2EEdLi8ELi32ELi64ELi256ELi4ELi64ELi4ELi64ELi4ELc78ELc84ELb1ELb0ELb1EdKPKdKPdEEviiiT16_PT17_ilSA_ilS8_SA_ilPT18_ili26rocblas_geam_ex_operation_.has_recursion, 0
	.set _ZN12_GLOBAL__N_120geam_min_plus_kernelId15HIP_vector_typeIdLj2EEdLi8ELi32ELi64ELi256ELi4ELi64ELi4ELi64ELi4ELc78ELc84ELb1ELb0ELb1EdKPKdKPdEEviiiT16_PT17_ilSA_ilS8_SA_ilPT18_ili26rocblas_geam_ex_operation_.has_indirect_call, 0
	.section	.AMDGPU.csdata,"",@progbits
; Kernel info:
; codeLenInByte = 24472
; TotalNumSgprs: 31
; NumVgprs: 220
; NumAgprs: 0
; TotalNumVgprs: 220
; ScratchSize: 0
; MemoryBound: 0
; FloatMode: 240
; IeeeMode: 1
; LDSByteSize: 20480 bytes/workgroup (compile time only)
; SGPRBlocks: 3
; VGPRBlocks: 27
; NumSGPRsForWavesPerEU: 31
; NumVGPRsForWavesPerEU: 220
; AccumOffset: 220
; Occupancy: 2
; WaveLimiterHint : 1
; COMPUTE_PGM_RSRC2:SCRATCH_EN: 0
; COMPUTE_PGM_RSRC2:USER_SGPR: 2
; COMPUTE_PGM_RSRC2:TRAP_HANDLER: 0
; COMPUTE_PGM_RSRC2:TGID_X_EN: 1
; COMPUTE_PGM_RSRC2:TGID_Y_EN: 0
; COMPUTE_PGM_RSRC2:TGID_Z_EN: 1
; COMPUTE_PGM_RSRC2:TIDIG_COMP_CNT: 1
; COMPUTE_PGM_RSRC3_GFX90A:ACCUM_OFFSET: 54
; COMPUTE_PGM_RSRC3_GFX90A:TG_SPLIT: 0
	.section	.text._ZN12_GLOBAL__N_120geam_min_plus_kernelId15HIP_vector_typeIdLj2EEdLi8ELi32ELi64ELi256ELi4ELi64ELi4ELi64ELi4ELc78ELc84ELb0ELb0ELb1EdKPKdKPdEEviiiT16_PT17_ilSA_ilS8_SA_ilPT18_ili26rocblas_geam_ex_operation_,"axG",@progbits,_ZN12_GLOBAL__N_120geam_min_plus_kernelId15HIP_vector_typeIdLj2EEdLi8ELi32ELi64ELi256ELi4ELi64ELi4ELi64ELi4ELc78ELc84ELb0ELb0ELb1EdKPKdKPdEEviiiT16_PT17_ilSA_ilS8_SA_ilPT18_ili26rocblas_geam_ex_operation_,comdat
	.globl	_ZN12_GLOBAL__N_120geam_min_plus_kernelId15HIP_vector_typeIdLj2EEdLi8ELi32ELi64ELi256ELi4ELi64ELi4ELi64ELi4ELc78ELc84ELb0ELb0ELb1EdKPKdKPdEEviiiT16_PT17_ilSA_ilS8_SA_ilPT18_ili26rocblas_geam_ex_operation_ ; -- Begin function _ZN12_GLOBAL__N_120geam_min_plus_kernelId15HIP_vector_typeIdLj2EEdLi8ELi32ELi64ELi256ELi4ELi64ELi4ELi64ELi4ELc78ELc84ELb0ELb0ELb1EdKPKdKPdEEviiiT16_PT17_ilSA_ilS8_SA_ilPT18_ili26rocblas_geam_ex_operation_
	.p2align	8
	.type	_ZN12_GLOBAL__N_120geam_min_plus_kernelId15HIP_vector_typeIdLj2EEdLi8ELi32ELi64ELi256ELi4ELi64ELi4ELi64ELi4ELc78ELc84ELb0ELb0ELb1EdKPKdKPdEEviiiT16_PT17_ilSA_ilS8_SA_ilPT18_ili26rocblas_geam_ex_operation_,@function
_ZN12_GLOBAL__N_120geam_min_plus_kernelId15HIP_vector_typeIdLj2EEdLi8ELi32ELi64ELi256ELi4ELi64ELi4ELi64ELi4ELc78ELc84ELb0ELb0ELb1EdKPKdKPdEEviiiT16_PT17_ilSA_ilS8_SA_ilPT18_ili26rocblas_geam_ex_operation_: ; @_ZN12_GLOBAL__N_120geam_min_plus_kernelId15HIP_vector_typeIdLj2EEdLi8ELi32ELi64ELi256ELi4ELi64ELi4ELi64ELi4ELc78ELc84ELb0ELb0ELb1EdKPKdKPdEEviiiT16_PT17_ilSA_ilS8_SA_ilPT18_ili26rocblas_geam_ex_operation_
; %bb.0:
	s_load_dwordx4 s[12:15], s[0:1], 0x10
	s_load_dwordx4 s[16:19], s[0:1], 0x28
	s_mov_b32 s6, s3
	s_mov_b64 s[20:21], 0
	s_waitcnt lgkmcnt(0)
	v_cmp_eq_f64_e64 s[22:23], s[12:13], 0
	s_and_b64 s[4:5], exec, s[22:23]
	s_mov_b64 vcc, s[4:5]
	s_cbranch_vccnz .LBB119_2
; %bb.1:
	s_mov_b32 s7, 0
	s_lshl_b64 s[8:9], s[6:7], 3
	s_add_u32 s8, s14, s8
	s_addc_u32 s9, s15, s9
	s_load_dwordx2 s[8:9], s[8:9], 0x0
	s_lshl_b64 s[10:11], s[16:17], 3
	s_waitcnt lgkmcnt(0)
	s_add_u32 s20, s8, s10
	s_addc_u32 s21, s9, s11
.LBB119_2:
	s_load_dwordx4 s[8:11], s[0:1], 0x40
	s_load_dwordx2 s[24:25], s[0:1], 0x50
	s_andn2_b64 vcc, exec, s[22:23]
	s_mov_b32 s7, 0
	s_cbranch_vccnz .LBB119_4
; %bb.3:
	s_mov_b64 s[14:15], 0
	s_mov_b64 s[22:23], 0
	s_cbranch_execz .LBB119_5
	s_branch .LBB119_6
.LBB119_4:
	s_mov_b64 s[14:15], 0
	s_mov_b64 s[22:23], 0
.LBB119_5:
	s_lshl_b64 s[16:17], s[6:7], 3
	s_add_u32 s16, s18, s16
	s_addc_u32 s17, s19, s17
	s_load_dwordx2 s[16:17], s[16:17], 0x0
	s_waitcnt lgkmcnt(0)
	s_lshl_b64 s[8:9], s[8:9], 3
	s_add_u32 s22, s16, s8
	s_addc_u32 s23, s17, s9
.LBB119_6:
	s_load_dwordx4 s[16:19], s[0:1], 0x60
	s_waitcnt lgkmcnt(0)
	v_cmp_eq_f64_e64 s[8:9], s[10:11], 0
	s_and_b64 s[8:9], exec, s[8:9]
	v_cmp_neq_f64_e64 s[28:29], s[12:13], 0
	s_mov_b64 vcc, s[8:9]
	s_cbranch_vccnz .LBB119_8
; %bb.7:
	s_lshl_b64 s[14:15], s[6:7], 3
	s_add_u32 s14, s24, s14
	s_addc_u32 s15, s25, s15
	s_load_dwordx2 s[14:15], s[14:15], 0x0
	s_lshl_b64 s[16:17], s[16:17], 3
	s_waitcnt lgkmcnt(0)
	s_add_u32 s14, s14, s16
	s_addc_u32 s15, s15, s17
.LBB119_8:
	s_load_dword s24, s[0:1], 0x20
	s_load_dword s3, s[0:1], 0x0
	s_lshl_b64 s[6:7], s[6:7], 3
	v_and_b32_e32 v156, 0x3ff, v0
	v_bfe_u32 v157, v0, 10, 10
	s_waitcnt lgkmcnt(0)
	s_ashr_i32 s25, s24, 31
	s_add_u32 s26, s18, s6
	s_addc_u32 s27, s19, s7
	s_add_i32 s3, s3, -1
	s_ashr_i32 s6, s3, 31
	s_lshr_b32 s6, s6, 26
	s_add_i32 s3, s3, s6
	s_ashr_i32 s3, s3, 6
	s_add_i32 s6, s3, 1
	v_cvt_f32_u32_e32 v1, s6
	s_not_b32 s3, s3
	v_lshl_add_u32 v3, v157, 3, v156
	v_and_b32_e32 v111, 63, v3
	v_rcp_iflag_f32_e32 v2, v1
	v_mov_b64_e32 v[0:1], 0
	v_lshrrev_b32_e32 v110, 6, v3
	v_mul_f32_e32 v2, 0x4f7ffffe, v2
	v_cvt_u32_f32_e32 v2, v2
	s_nop 0
	v_readfirstlane_b32 s7, v2
	s_mul_i32 s3, s3, s7
	s_mul_hi_u32 s3, s7, s3
	s_add_i32 s7, s7, s3
	s_mul_hi_u32 s3, s2, s7
	s_mul_i32 s7, s3, s6
	s_sub_i32 s7, s2, s7
	s_add_i32 s16, s3, 1
	s_sub_i32 s17, s7, s6
	s_cmp_ge_u32 s7, s6
	s_cselect_b32 s3, s16, s3
	s_cselect_b32 s7, s17, s7
	s_add_i32 s16, s3, 1
	s_cmp_ge_u32 s7, s6
	s_cselect_b32 s16, s16, s3
	s_mul_i32 s3, s16, s6
	s_sub_i32 s6, s2, s3
	s_lshl_b32 s30, s6, 6
	v_cndmask_b32_e64 v2, 0, 1, s[28:29]
	v_or_b32_e32 v12, s30, v111
	v_cmp_ne_u32_e64 s[6:7], 1, v2
	s_andn2_b64 vcc, exec, s[28:29]
	v_ashrrev_i32_e32 v13, 31, v12
	v_mov_b64_e32 v[2:3], 0
	s_cbranch_vccnz .LBB119_10
; %bb.9:
	v_mad_i64_i32 v[2:3], s[18:19], s24, v110, 0
	v_lshl_add_u64 v[2:3], v[2:3], 3, s[20:21]
	v_lshl_add_u64 v[2:3], v[12:13], 3, v[2:3]
	flat_load_dwordx2 v[2:3], v[2:3]
	s_waitcnt vmcnt(0) lgkmcnt(0)
	v_mul_f64 v[2:3], s[12:13], v[2:3]
.LBB119_10:
	s_load_dword s18, s[0:1], 0x38
	s_lshl_b32 s28, s16, 8
	v_or_b32_e32 v6, s28, v111
	s_and_b64 vcc, exec, s[6:7]
	v_ashrrev_i32_e32 v7, 31, v6
	s_waitcnt lgkmcnt(0)
	v_mad_i64_i32 v[4:5], s[16:17], v110, s18, 0
	v_lshl_add_u64 v[14:15], v[4:5], 3, s[22:23]
	v_mov_b64_e32 v[4:5], 0
	s_cbranch_vccnz .LBB119_12
; %bb.11:
	v_lshl_add_u64 v[0:1], v[6:7], 3, v[14:15]
	flat_load_dwordx2 v[4:5], v[0:1]
	flat_load_dwordx2 v[8:9], v[0:1] offset:512
	s_waitcnt vmcnt(0) lgkmcnt(0)
	v_mul_f64 v[4:5], s[12:13], v[4:5]
	v_mul_f64 v[0:1], s[12:13], v[8:9]
.LBB119_12:
	s_ashr_i32 s19, s18, 31
	s_mov_b64 vcc, s[4:5]
	s_cbranch_vccz .LBB119_14
; %bb.13:
	s_mov_b32 s16, 0
	v_mov_b32_e32 v8, s16
	v_mov_b32_e32 v9, s16
	v_mov_b64_e32 v[100:101], 0
	v_mov_b64_e32 v[10:11], 0
	s_cbranch_execz .LBB119_15
	s_branch .LBB119_16
.LBB119_14:
                                        ; implicit-def: $vgpr8_vgpr9
	v_mov_b64_e32 v[100:101], 0
	v_mov_b64_e32 v[10:11], 0
.LBB119_15:
	v_lshl_add_u64 v[8:9], v[6:7], 3, v[14:15]
	flat_load_dwordx2 v[10:11], v[8:9] offset:1024
	flat_load_dwordx2 v[14:15], v[8:9] offset:1536
	s_waitcnt vmcnt(0) lgkmcnt(0)
	v_mul_f64 v[8:9], s[12:13], v[10:11]
	v_mul_f64 v[10:11], s[12:13], v[14:15]
.LBB119_16:
	s_and_b64 vcc, exec, s[6:7]
	v_add_u32_e32 v14, 4, v110
	s_cbranch_vccnz .LBB119_18
; %bb.17:
	v_mad_i64_i32 v[16:17], s[16:17], s24, v14, 0
	v_lshl_add_u64 v[16:17], v[16:17], 3, s[20:21]
	v_lshl_add_u64 v[12:13], v[12:13], 3, v[16:17]
	flat_load_dwordx2 v[12:13], v[12:13]
	s_waitcnt vmcnt(0) lgkmcnt(0)
	v_mul_f64 v[100:101], s[12:13], v[12:13]
.LBB119_18:
	v_mad_i64_i32 v[12:13], s[16:17], v14, s18, 0
	s_and_b64 vcc, exec, s[6:7]
	v_lshl_add_u64 v[12:13], v[12:13], 3, s[22:23]
	s_cbranch_vccnz .LBB119_21
; %bb.19:
	v_lshl_add_u64 v[14:15], v[6:7], 3, v[12:13]
	flat_load_dwordx2 v[16:17], v[14:15]
	flat_load_dwordx2 v[18:19], v[14:15] offset:512
	s_waitcnt vmcnt(0) lgkmcnt(0)
	v_mul_f64 v[104:105], s[12:13], v[16:17]
	v_mul_f64 v[102:103], s[12:13], v[18:19]
	s_mov_b64 vcc, s[4:5]
	s_cbranch_vccz .LBB119_22
.LBB119_20:
	s_mov_b32 s16, 0
	v_mov_b32_e32 v106, s16
	v_mov_b32_e32 v107, s16
	v_mov_b64_e32 v[108:109], 0
	s_cbranch_execz .LBB119_23
	s_branch .LBB119_24
.LBB119_21:
	v_mov_b64_e32 v[102:103], 0
	v_mov_b64_e32 v[104:105], v[102:103]
	s_mov_b64 vcc, s[4:5]
	s_cbranch_vccnz .LBB119_20
.LBB119_22:
                                        ; implicit-def: $vgpr106_vgpr107
	v_mov_b64_e32 v[108:109], 0
.LBB119_23:
	v_lshl_add_u64 v[6:7], v[6:7], 3, v[12:13]
	flat_load_dwordx2 v[12:13], v[6:7] offset:1024
	flat_load_dwordx2 v[14:15], v[6:7] offset:1536
	s_waitcnt vmcnt(0) lgkmcnt(0)
	v_mul_f64 v[106:107], s[12:13], v[12:13]
	v_mul_f64 v[108:109], s[12:13], v[14:15]
.LBB119_24:
	v_lshlrev_b32_e32 v6, 5, v111
	v_lshl_add_u32 v163, v110, 3, v6
	v_lshlrev_b32_e32 v159, 5, v156
	s_load_dwordx2 s[16:17], s[26:27], 0x0
	s_load_dword s29, s[0:1], 0x8
	ds_write_b64 v163, v[2:3] offset:16384
	ds_write2st64_b64 v163, v[4:5], v[0:1] offset1:4
	ds_write2st64_b64 v163, v[8:9], v[10:11] offset0:8 offset1:12
	s_waitcnt lgkmcnt(0)
	s_barrier
	v_lshlrev_b32_e32 v158, 5, v157
	ds_read_b128 v[32:35], v159 offset:16640
	ds_read_b128 v[28:31], v159 offset:16896
	ds_read_b128 v[24:27], v159 offset:17152
	ds_read_b128 v[20:23], v159 offset:17408
	ds_read_b128 v[16:19], v159 offset:17664
	ds_read_b128 v[12:15], v159 offset:17920
	ds_read_b128 v[8:11], v159 offset:18176
	ds_read_b128 v[92:95], v158 offset:1024
	ds_read_b128 v[88:91], v158 offset:2048
	ds_read_b128 v[84:87], v158 offset:3072
	ds_read_b128 v[52:55], v158 offset:4096
	ds_read_b128 v[48:51], v158 offset:5120
	ds_read_b128 v[40:43], v159 offset:16384
	ds_read_b128 v[96:99], v158
	ds_read_b128 v[44:47], v158 offset:6144
	ds_read_b128 v[36:39], v158 offset:7168
	;; [unrolled: 1-line block ×4, first 2 shown]
	s_waitcnt lgkmcnt(5)
	v_add_f64 v[114:115], v[42:43], v[94:95]
	v_add_f64 v[116:117], v[40:41], v[92:93]
	s_mov_b32 s26, 0x7f800000
	v_cvt_f32_f64_e32 v113, v[116:117]
	v_cvt_f32_f64_e32 v114, v[114:115]
	v_min3_f32 v175, v113, v114, s26
	v_add_f64 v[114:115], v[34:35], v[94:95]
	v_add_f64 v[116:117], v[32:33], v[92:93]
	v_cvt_f32_f64_e32 v113, v[116:117]
	v_cvt_f32_f64_e32 v114, v[114:115]
	v_min3_f32 v176, v113, v114, s26
	v_add_f64 v[114:115], v[30:31], v[94:95]
	v_add_f64 v[116:117], v[28:29], v[92:93]
	;; [unrolled: 5-line block ×34, first 2 shown]
	v_cvt_f32_f64_e32 v113, v[116:117]
	v_cvt_f32_f64_e32 v114, v[114:115]
	v_min3_f32 v119, v113, v114, s26
	s_waitcnt lgkmcnt(3)
	v_add_f64 v[114:115], v[42:43], v[46:47]
	v_add_f64 v[164:165], v[40:41], v[44:45]
	v_cvt_f32_f64_e32 v113, v[164:165]
	v_cvt_f32_f64_e32 v114, v[114:115]
	v_min3_f32 v125, v113, v114, s26
	v_add_f64 v[114:115], v[34:35], v[46:47]
	v_add_f64 v[164:165], v[32:33], v[44:45]
	v_cvt_f32_f64_e32 v113, v[164:165]
	v_cvt_f32_f64_e32 v114, v[114:115]
	v_min3_f32 v122, v113, v114, s26
	v_add_f64 v[114:115], v[30:31], v[46:47]
	v_add_f64 v[164:165], v[28:29], v[44:45]
	v_cvt_f32_f64_e32 v113, v[164:165]
	v_cvt_f32_f64_e32 v114, v[114:115]
	v_add_f64 v[56:57], v[42:43], v[98:99]
	v_add_f64 v[58:59], v[40:41], v[96:97]
	v_min3_f32 v120, v113, v114, s26
	v_add_f64 v[114:115], v[26:27], v[46:47]
	v_add_f64 v[164:165], v[24:25], v[44:45]
	v_cvt_f32_f64_e32 v58, v[58:59]
	v_cvt_f32_f64_e32 v56, v[56:57]
	;; [unrolled: 1-line block ×4, first 2 shown]
	v_min3_f32 v112, v58, v56, s26
	ds_read_b128 v[56:59], v159 offset:16656
	v_add_f64 v[60:61], v[34:35], v[98:99]
	v_add_f64 v[62:63], v[32:33], v[96:97]
	v_min3_f32 v118, v113, v114, s26
	v_add_f64 v[114:115], v[22:23], v[46:47]
	v_add_f64 v[164:165], v[20:21], v[44:45]
	v_cvt_f32_f64_e32 v62, v[62:63]
	v_cvt_f32_f64_e32 v60, v[60:61]
	;; [unrolled: 1-line block ×4, first 2 shown]
	v_add_f64 v[164:165], v[16:17], v[44:45]
	v_min3_f32 v168, v62, v60, s26
	ds_read_b128 v[60:63], v159 offset:16912
	v_add_f64 v[64:65], v[30:31], v[98:99]
	v_add_f64 v[66:67], v[28:29], v[96:97]
	v_add_f64 v[68:69], v[26:27], v[98:99]
	v_add_f64 v[70:71], v[24:25], v[96:97]
	v_add_f64 v[72:73], v[22:23], v[98:99]
	v_add_f64 v[74:75], v[20:21], v[96:97]
	v_add_f64 v[76:77], v[18:19], v[98:99]
	v_add_f64 v[78:79], v[16:17], v[96:97]
	v_add_f64 v[80:81], v[14:15], v[98:99]
	v_add_f64 v[82:83], v[12:13], v[96:97]
	v_add_f64 v[98:99], v[10:11], v[98:99]
	v_add_f64 v[96:97], v[8:9], v[96:97]
	v_add_f64 v[94:95], v[10:11], v[94:95]
	v_add_f64 v[92:93], v[8:9], v[92:93]
	v_add_f64 v[90:91], v[10:11], v[90:91]
	v_add_f64 v[88:89], v[8:9], v[88:89]
	v_add_f64 v[86:87], v[10:11], v[86:87]
	v_add_f64 v[84:85], v[8:9], v[84:85]
	v_add_f64 v[54:55], v[10:11], v[54:55]
	v_add_f64 v[52:53], v[8:9], v[52:53]
	v_add_f64 v[50:51], v[10:11], v[50:51]
	v_add_f64 v[48:49], v[8:9], v[48:49]
	v_min3_f32 v116, v113, v114, s26
	v_add_f64 v[114:115], v[18:19], v[46:47]
	v_cvt_f32_f64_e32 v113, v[164:165]
	v_add_f64 v[164:165], v[14:15], v[46:47]
	v_add_f64 v[166:167], v[12:13], v[44:45]
	;; [unrolled: 1-line block ×4, first 2 shown]
	s_waitcnt lgkmcnt(4)
	v_add_f64 v[14:15], v[14:15], v[38:39]
	v_add_f64 v[12:13], v[12:13], v[36:37]
	;; [unrolled: 1-line block ×4, first 2 shown]
	v_cvt_f32_f64_e32 v66, v[66:67]
	v_cvt_f32_f64_e32 v64, v[64:65]
	;; [unrolled: 1-line block ×7, first 2 shown]
	s_waitcnt lgkmcnt(2)
	v_add_f64 v[10:11], v[2:3], v[6:7]
	v_add_f64 v[14:15], v[0:1], v[4:5]
	v_min3_f32 v169, v66, v64, s26
	ds_read_b128 v[64:67], v159 offset:17168
	v_min3_f32 v115, v113, v114, s26
	v_cvt_f32_f64_e32 v113, v[166:167]
	v_cvt_f32_f64_e32 v114, v[164:165]
	;; [unrolled: 1-line block ×4, first 2 shown]
	v_min3_f32 v8, v8, v9, s26
	v_cvt_f32_f64_e32 v9, v[14:15]
	v_cvt_f32_f64_e32 v10, v[10:11]
	v_cvt_f32_f64_e32 v70, v[70:71]
	v_cvt_f32_f64_e32 v68, v[68:69]
	v_min3_f32 v114, v113, v114, s26
	v_min3_f32 v113, v44, v45, s26
	ds_read_b128 v[44:47], v158 offset:7184
	v_min3_f32 v230, v9, v10, v112
	s_waitcnt lgkmcnt(3)
	v_add_f64 v[10:11], v[58:59], v[6:7]
	v_add_f64 v[14:15], v[56:57], v[4:5]
	v_min3_f32 v170, v70, v68, s26
	ds_read_b128 v[68:71], v159 offset:17424
	v_cvt_f32_f64_e32 v9, v[14:15]
	v_cvt_f32_f64_e32 v10, v[10:11]
	v_cvt_f32_f64_e32 v74, v[74:75]
	v_cvt_f32_f64_e32 v72, v[72:73]
	v_min3_f32 v228, v9, v10, v168
	s_waitcnt lgkmcnt(3)
	v_add_f64 v[10:11], v[62:63], v[6:7]
	v_add_f64 v[14:15], v[60:61], v[4:5]
	v_min3_f32 v171, v74, v72, s26
	ds_read_b128 v[72:75], v159 offset:17680
	v_cvt_f32_f64_e32 v9, v[14:15]
	v_cvt_f32_f64_e32 v10, v[10:11]
	;; [unrolled: 1-line block ×6, first 2 shown]
	v_min3_f32 v229, v9, v10, v169
	s_waitcnt lgkmcnt(3)
	v_add_f64 v[10:11], v[66:67], v[6:7]
	v_add_f64 v[14:15], v[64:65], v[4:5]
	v_min3_f32 v172, v78, v76, s26
	ds_read_b128 v[76:79], v159 offset:17936
	v_min3_f32 v173, v82, v80, s26
	ds_read_b128 v[80:83], v159 offset:18192
	v_cvt_f32_f64_e32 v9, v[14:15]
	v_cvt_f32_f64_e32 v10, v[10:11]
	;; [unrolled: 1-line block ×4, first 2 shown]
	v_min3_f32 v226, v9, v10, v170
	s_waitcnt lgkmcnt(3)
	v_add_f64 v[10:11], v[70:71], v[6:7]
	v_add_f64 v[14:15], v[68:69], v[4:5]
	v_min3_f32 v174, v96, v97, s26
	ds_read_b128 v[96:99], v158 offset:1040
	v_cvt_f32_f64_e32 v9, v[14:15]
	v_cvt_f32_f64_e32 v10, v[10:11]
	v_min3_f32 v227, v9, v10, v171
	s_waitcnt lgkmcnt(3)
	v_add_f64 v[10:11], v[74:75], v[6:7]
	v_add_f64 v[14:15], v[72:73], v[4:5]
	v_cvt_f32_f64_e32 v9, v[14:15]
	v_cvt_f32_f64_e32 v10, v[10:11]
	v_min3_f32 v224, v9, v10, v172
	s_waitcnt lgkmcnt(2)
	v_add_f64 v[10:11], v[78:79], v[6:7]
	v_add_f64 v[14:15], v[76:77], v[4:5]
	s_waitcnt lgkmcnt(1)
	v_add_f64 v[6:7], v[82:83], v[6:7]
	v_add_f64 v[4:5], v[80:81], v[4:5]
	v_cvt_f32_f64_e32 v92, v[92:93]
	v_cvt_f32_f64_e32 v93, v[94:95]
	;; [unrolled: 1-line block ×4, first 2 shown]
	v_min3_f32 v148, v92, v93, s26
	ds_read_b128 v[92:95], v158 offset:2064
	v_min3_f32 v217, v4, v5, v174
	s_waitcnt lgkmcnt(1)
	v_add_f64 v[4:5], v[2:3], v[98:99]
	v_add_f64 v[6:7], v[0:1], v[96:97]
	v_cvt_f32_f64_e32 v6, v[6:7]
	v_cvt_f32_f64_e32 v4, v[4:5]
	v_min3_f32 v216, v6, v4, v175
	v_add_f64 v[4:5], v[58:59], v[98:99]
	v_add_f64 v[6:7], v[56:57], v[96:97]
	v_cvt_f32_f64_e32 v6, v[6:7]
	v_cvt_f32_f64_e32 v4, v[4:5]
	v_min3_f32 v215, v6, v4, v176
	;; [unrolled: 5-line block ×8, first 2 shown]
	s_waitcnt lgkmcnt(0)
	v_add_f64 v[4:5], v[2:3], v[94:95]
	v_add_f64 v[6:7], v[0:1], v[92:93]
	v_cvt_f32_f64_e32 v6, v[6:7]
	v_cvt_f32_f64_e32 v4, v[4:5]
	v_min3_f32 v208, v6, v4, v160
	v_add_f64 v[4:5], v[58:59], v[94:95]
	v_add_f64 v[6:7], v[56:57], v[92:93]
	v_cvt_f32_f64_e32 v6, v[6:7]
	v_cvt_f32_f64_e32 v4, v[4:5]
	v_min3_f32 v207, v6, v4, v154
	;; [unrolled: 5-line block ×4, first 2 shown]
	v_add_f64 v[4:5], v[70:71], v[94:95]
	v_add_f64 v[6:7], v[68:69], v[92:93]
	v_cvt_f32_f64_e32 v6, v[6:7]
	v_cvt_f32_f64_e32 v4, v[4:5]
	;; [unrolled: 1-line block ×4, first 2 shown]
	v_min3_f32 v204, v6, v4, v147
	v_add_f64 v[4:5], v[74:75], v[94:95]
	v_add_f64 v[6:7], v[72:73], v[92:93]
	v_min3_f32 v140, v88, v89, s26
	ds_read_b128 v[88:91], v158 offset:3088
	v_cvt_f32_f64_e32 v6, v[6:7]
	v_cvt_f32_f64_e32 v4, v[4:5]
	v_min3_f32 v203, v6, v4, v145
	v_add_f64 v[4:5], v[78:79], v[94:95]
	v_add_f64 v[6:7], v[76:77], v[92:93]
	v_cvt_f32_f64_e32 v6, v[6:7]
	v_cvt_f32_f64_e32 v4, v[4:5]
	v_min3_f32 v202, v6, v4, v143
	v_add_f64 v[4:5], v[82:83], v[94:95]
	v_add_f64 v[6:7], v[80:81], v[92:93]
	v_cvt_f32_f64_e32 v84, v[84:85]
	v_cvt_f32_f64_e32 v85, v[86:87]
	;; [unrolled: 1-line block ×4, first 2 shown]
	v_min3_f32 v132, v84, v85, s26
	ds_read_b128 v[84:87], v158 offset:4112
	v_min3_f32 v201, v6, v4, v140
	s_waitcnt lgkmcnt(1)
	v_add_f64 v[4:5], v[2:3], v[90:91]
	v_add_f64 v[6:7], v[0:1], v[88:89]
	v_cvt_f32_f64_e32 v6, v[6:7]
	v_cvt_f32_f64_e32 v4, v[4:5]
	v_min3_f32 v200, v6, v4, v149
	v_add_f64 v[4:5], v[58:59], v[90:91]
	v_add_f64 v[6:7], v[56:57], v[88:89]
	v_cvt_f32_f64_e32 v6, v[6:7]
	v_cvt_f32_f64_e32 v4, v[4:5]
	v_min3_f32 v199, v6, v4, v146
	;; [unrolled: 5-line block ×8, first 2 shown]
	s_waitcnt lgkmcnt(0)
	v_add_f64 v[4:5], v[2:3], v[86:87]
	v_add_f64 v[6:7], v[0:1], v[84:85]
	v_cvt_f32_f64_e32 v6, v[6:7]
	v_cvt_f32_f64_e32 v4, v[4:5]
	v_min3_f32 v192, v6, v4, v141
	v_add_f64 v[4:5], v[58:59], v[86:87]
	v_add_f64 v[6:7], v[56:57], v[84:85]
	v_cvt_f32_f64_e32 v6, v[6:7]
	v_cvt_f32_f64_e32 v4, v[4:5]
	v_min3_f32 v191, v6, v4, v138
	;; [unrolled: 5-line block ×4, first 2 shown]
	v_add_f64 v[4:5], v[70:71], v[86:87]
	v_add_f64 v[6:7], v[68:69], v[84:85]
	v_cvt_f32_f64_e32 v6, v[6:7]
	v_cvt_f32_f64_e32 v4, v[4:5]
	v_cvt_f32_f64_e32 v52, v[52:53]
	v_cvt_f32_f64_e32 v53, v[54:55]
	v_min3_f32 v188, v6, v4, v131
	v_add_f64 v[4:5], v[74:75], v[86:87]
	v_add_f64 v[6:7], v[72:73], v[84:85]
	v_min3_f32 v124, v52, v53, s26
	ds_read_b128 v[52:55], v158 offset:5136
	v_cvt_f32_f64_e32 v6, v[6:7]
	v_cvt_f32_f64_e32 v4, v[4:5]
	v_min3_f32 v187, v6, v4, v129
	v_add_f64 v[4:5], v[78:79], v[86:87]
	v_add_f64 v[6:7], v[76:77], v[84:85]
	v_cvt_f32_f64_e32 v6, v[6:7]
	v_cvt_f32_f64_e32 v4, v[4:5]
	v_min3_f32 v186, v6, v4, v127
	v_add_f64 v[4:5], v[82:83], v[86:87]
	v_add_f64 v[6:7], v[80:81], v[84:85]
	v_cvt_f32_f64_e32 v48, v[48:49]
	v_cvt_f32_f64_e32 v49, v[50:51]
	v_cvt_f32_f64_e32 v6, v[6:7]
	v_cvt_f32_f64_e32 v4, v[4:5]
	v_min3_f32 v117, v48, v49, s26
	ds_read_b128 v[48:51], v158 offset:6160
	v_min3_f32 v185, v6, v4, v124
	s_waitcnt lgkmcnt(1)
	v_add_f64 v[4:5], v[2:3], v[54:55]
	v_add_f64 v[6:7], v[0:1], v[52:53]
	v_cvt_f32_f64_e32 v6, v[6:7]
	v_cvt_f32_f64_e32 v4, v[4:5]
	v_min3_f32 v184, v6, v4, v133
	v_add_f64 v[4:5], v[58:59], v[54:55]
	v_add_f64 v[6:7], v[56:57], v[52:53]
	v_cvt_f32_f64_e32 v6, v[6:7]
	v_cvt_f32_f64_e32 v4, v[4:5]
	v_min3_f32 v183, v6, v4, v130
	v_add_f64 v[4:5], v[62:63], v[54:55]
	v_add_f64 v[6:7], v[60:61], v[52:53]
	v_cvt_f32_f64_e32 v6, v[6:7]
	v_cvt_f32_f64_e32 v4, v[4:5]
	v_min3_f32 v182, v6, v4, v128
	v_add_f64 v[4:5], v[66:67], v[54:55]
	v_add_f64 v[6:7], v[64:65], v[52:53]
	v_cvt_f32_f64_e32 v6, v[6:7]
	v_cvt_f32_f64_e32 v4, v[4:5]
	v_min3_f32 v181, v6, v4, v126
	v_add_f64 v[4:5], v[70:71], v[54:55]
	v_add_f64 v[6:7], v[68:69], v[52:53]
	v_cvt_f32_f64_e32 v6, v[6:7]
	v_cvt_f32_f64_e32 v4, v[4:5]
	v_min3_f32 v180, v6, v4, v123
	v_add_f64 v[4:5], v[74:75], v[54:55]
	v_add_f64 v[6:7], v[72:73], v[52:53]
	v_cvt_f32_f64_e32 v6, v[6:7]
	v_cvt_f32_f64_e32 v4, v[4:5]
	v_min3_f32 v179, v6, v4, v121
	v_add_f64 v[4:5], v[78:79], v[54:55]
	v_add_f64 v[6:7], v[76:77], v[52:53]
	v_cvt_f32_f64_e32 v6, v[6:7]
	v_cvt_f32_f64_e32 v4, v[4:5]
	v_min3_f32 v178, v6, v4, v119
	v_add_f64 v[4:5], v[82:83], v[54:55]
	v_add_f64 v[6:7], v[80:81], v[52:53]
	;; [unrolled: 1-line block ×4, first 2 shown]
	v_cvt_f32_f64_e32 v6, v[6:7]
	v_cvt_f32_f64_e32 v4, v[4:5]
	;; [unrolled: 1-line block ×4, first 2 shown]
	v_min3_f32 v177, v6, v4, v117
	s_waitcnt lgkmcnt(0)
	v_add_f64 v[4:5], v[2:3], v[50:51]
	v_add_f64 v[6:7], v[0:1], v[48:49]
	;; [unrolled: 1-line block ×4, first 2 shown]
	v_min3_f32 v40, v40, v41, s26
	v_add_f64 v[34:35], v[34:35], v[38:39]
	v_add_f64 v[32:33], v[32:33], v[36:37]
	v_cvt_f32_f64_e32 v6, v[6:7]
	v_cvt_f32_f64_e32 v4, v[4:5]
	v_cvt_f32_f64_e32 v0, v[0:1]
	v_cvt_f32_f64_e32 v1, v[2:3]
	v_cvt_f32_f64_e32 v32, v[32:33]
	v_cvt_f32_f64_e32 v33, v[34:35]
	v_min3_f32 v176, v6, v4, v125
	v_add_f64 v[4:5], v[58:59], v[50:51]
	v_add_f64 v[6:7], v[56:57], v[48:49]
	v_min3_f32 v168, v0, v1, v40
	v_add_f64 v[0:1], v[58:59], v[46:47]
	v_add_f64 v[2:3], v[56:57], v[44:45]
	v_min3_f32 v32, v32, v33, s26
	v_add_f64 v[30:31], v[30:31], v[38:39]
	v_add_f64 v[28:29], v[28:29], v[36:37]
	v_cvt_f32_f64_e32 v6, v[6:7]
	v_cvt_f32_f64_e32 v4, v[4:5]
	v_cvt_f32_f64_e32 v2, v[2:3]
	v_cvt_f32_f64_e32 v0, v[0:1]
	v_cvt_f32_f64_e32 v28, v[28:29]
	v_cvt_f32_f64_e32 v29, v[30:31]
	v_min3_f32 v175, v6, v4, v122
	v_add_f64 v[4:5], v[62:63], v[50:51]
	v_add_f64 v[6:7], v[60:61], v[48:49]
	v_min3_f32 v167, v2, v0, v32
	v_add_f64 v[0:1], v[62:63], v[46:47]
	v_add_f64 v[2:3], v[60:61], v[44:45]
	;; [unrolled: 15-line block ×3, first 2 shown]
	v_min3_f32 v24, v24, v25, s26
	v_add_f64 v[22:23], v[22:23], v[38:39]
	v_add_f64 v[20:21], v[20:21], v[36:37]
	v_cvt_f32_f64_e32 v9, v[14:15]
	v_cvt_f32_f64_e32 v10, v[10:11]
	;; [unrolled: 1-line block ×8, first 2 shown]
	v_min3_f32 v225, v9, v10, v173
	v_min3_f32 v173, v6, v4, v118
	v_add_f64 v[4:5], v[70:71], v[50:51]
	v_add_f64 v[6:7], v[68:69], v[48:49]
	v_min3_f32 v165, v2, v0, v24
	v_add_f64 v[0:1], v[70:71], v[46:47]
	v_add_f64 v[2:3], v[68:69], v[44:45]
	;; [unrolled: 3-line block ×3, first 2 shown]
	v_cvt_f32_f64_e32 v6, v[6:7]
	v_cvt_f32_f64_e32 v4, v[4:5]
	;; [unrolled: 1-line block ×6, first 2 shown]
	v_min3_f32 v172, v6, v4, v116
	v_add_f64 v[4:5], v[74:75], v[50:51]
	v_add_f64 v[6:7], v[72:73], v[48:49]
	v_min3_f32 v164, v2, v0, v20
	v_add_f64 v[0:1], v[74:75], v[46:47]
	v_add_f64 v[2:3], v[72:73], v[44:45]
	v_min3_f32 v16, v16, v17, s26
	v_cvt_f32_f64_e32 v6, v[6:7]
	v_cvt_f32_f64_e32 v4, v[4:5]
	;; [unrolled: 1-line block ×4, first 2 shown]
	v_min3_f32 v171, v6, v4, v115
	v_add_f64 v[4:5], v[78:79], v[50:51]
	v_add_f64 v[6:7], v[76:77], v[48:49]
	v_min3_f32 v162, v2, v0, v16
	v_add_f64 v[0:1], v[78:79], v[46:47]
	v_add_f64 v[2:3], v[76:77], v[44:45]
	v_min3_f32 v12, v12, v13, s26
	v_cvt_f32_f64_e32 v6, v[6:7]
	v_cvt_f32_f64_e32 v4, v[4:5]
	;; [unrolled: 1-line block ×4, first 2 shown]
	v_min3_f32 v170, v6, v4, v114
	v_add_f64 v[4:5], v[82:83], v[50:51]
	v_add_f64 v[6:7], v[80:81], v[48:49]
	v_min3_f32 v161, v2, v0, v12
	v_add_f64 v[0:1], v[82:83], v[46:47]
	v_add_f64 v[2:3], v[80:81], v[44:45]
	v_cvt_f32_f64_e32 v6, v[6:7]
	v_cvt_f32_f64_e32 v4, v[4:5]
	;; [unrolled: 1-line block ×4, first 2 shown]
	v_min3_f32 v169, v6, v4, v113
	v_min3_f32 v160, v2, v0, v8
	s_cmp_lt_i32 s29, 9
	ds_write_b64 v163, v[100:101] offset:18432
	ds_write2st64_b64 v163, v[104:105], v[102:103] offset0:16 offset1:20
	ds_write2st64_b64 v163, v[106:107], v[108:109] offset0:24 offset1:28
	s_waitcnt lgkmcnt(0)
	s_barrier
	s_cbranch_scc1 .LBB119_47
; %bb.25:
	v_mov_b32_e32 v0, 0x4800
	v_lshl_add_u32 v222, v156, 5, v0
	v_mov_b32_e32 v0, 0x2000
	v_add_u32_e32 v2, 12, v110
	v_lshl_add_u32 v223, v157, 5, v0
	v_mad_i64_i32 v[0:1], s[34:35], v2, s24, 0
	v_lshlrev_b64 v[136:137], 3, v[0:1]
	v_lshl_or_b32 v0, s2, 6, v111
	s_lshl_b32 s2, s3, 6
	v_subrev_u32_e32 v0, s2, v0
	v_ashrrev_i32_e32 v1, 31, v0
	v_lshl_add_u64 v[138:139], v[0:1], 3, s[20:21]
	v_mad_i64_i32 v[0:1], s[20:21], v2, s18, 0
	v_lshlrev_b64 v[140:141], 3, v[0:1]
	v_add_u32_e32 v0, s28, v111
	v_ashrrev_i32_e32 v1, 31, v0
	v_add_u32_e32 v2, 8, v110
	v_lshl_add_u64 v[142:143], v[0:1], 3, s[22:23]
	v_mad_i64_i32 v[0:1], s[22:23], v2, s24, 0
	s_lshl_b64 s[20:21], s[18:19], 6
	v_lshlrev_b64 v[144:145], 3, v[0:1]
	v_mad_i64_i32 v[0:1], s[18:19], v2, s18, 0
	v_or_b32_e32 v218, 0x4000, v163
	v_add_u32_e32 v219, 0x4000, v159
	v_add_u32_e32 v220, 0x4800, v163
	v_or_b32_e32 v221, 0x2000, v163
	s_add_i32 s26, s29, -8
	s_lshl_b64 s[2:3], s[24:25], 6
	v_lshlrev_b64 v[146:147], 3, v[0:1]
	s_mov_b32 s22, 0
	s_mov_b32 s23, 0
	s_branch .LBB119_27
.LBB119_26:                             ;   in Loop: Header=BB119_27 Depth=1
	v_add_f64 v[2:3], v[106:107], v[134:135]
	v_add_f64 v[4:5], v[104:105], v[132:133]
	v_cvt_f32_f64_e32 v4, v[4:5]
	v_cvt_f32_f64_e32 v2, v[2:3]
	v_min3_f32 v6, v4, v2, v230
	v_add_f64 v[2:3], v[102:103], v[134:135]
	v_add_f64 v[4:5], v[100:101], v[132:133]
	v_cvt_f32_f64_e32 v4, v[4:5]
	v_cvt_f32_f64_e32 v2, v[2:3]
	v_min3_f32 v7, v4, v2, v228
	;; [unrolled: 5-line block ×128, first 2 shown]
	ds_read_b128 v[38:41], v219 offset:256
	ds_read_b128 v[34:37], v219 offset:512
	;; [unrolled: 1-line block ×12, first 2 shown]
	ds_read_b128 v[98:101], v158
	ds_read_b128 v[50:53], v219
	ds_read_b128 v[74:77], v158 offset:6144
	ds_read_b128 v[26:29], v158 offset:7168
	;; [unrolled: 1-line block ×4, first 2 shown]
	s_waitcnt lgkmcnt(5)
	v_add_f64 v[46:47], v[40:41], v[100:101]
	v_add_f64 v[48:49], v[38:39], v[98:99]
	;; [unrolled: 1-line block ×4, first 2 shown]
	v_cvt_f32_f64_e32 v48, v[48:49]
	v_cvt_f32_f64_e32 v46, v[46:47]
	;; [unrolled: 1-line block ×4, first 2 shown]
	v_min3_f32 v189, v48, v46, v72
	v_min3_f32 v190, v56, v54, v73
	v_add_f64 v[58:59], v[32:33], v[100:101]
	v_add_f64 v[60:61], v[30:31], v[98:99]
	;; [unrolled: 1-line block ×8, first 2 shown]
	v_cvt_f32_f64_e32 v60, v[60:61]
	v_cvt_f32_f64_e32 v58, v[58:59]
	;; [unrolled: 1-line block ×8, first 2 shown]
	v_min3_f32 v191, v60, v58, v102
	v_min3_f32 v192, v64, v62, v103
	;; [unrolled: 1-line block ×4, first 2 shown]
	s_waitcnt lgkmcnt(4)
	v_add_f64 v[102:103], v[52:53], v[96:97]
	v_add_f64 v[104:105], v[50:51], v[94:95]
	v_cvt_f32_f64_e32 v104, v[104:105]
	v_cvt_f32_f64_e32 v102, v[102:103]
	v_min3_f32 v107, v104, v102, v107
	v_add_f64 v[102:103], v[40:41], v[96:97]
	v_add_f64 v[104:105], v[38:39], v[94:95]
	v_cvt_f32_f64_e32 v104, v[104:105]
	v_cvt_f32_f64_e32 v102, v[102:103]
	v_min3_f32 v108, v104, v102, v108
	;; [unrolled: 5-line block ×35, first 2 shown]
	s_waitcnt lgkmcnt(3)
	v_add_f64 v[102:103], v[52:53], v[76:77]
	v_add_f64 v[104:105], v[50:51], v[74:75]
	v_cvt_f32_f64_e32 v104, v[104:105]
	v_cvt_f32_f64_e32 v102, v[102:103]
	v_min3_f32 v172, v104, v102, v172
	v_add_f64 v[102:103], v[40:41], v[76:77]
	v_add_f64 v[104:105], v[38:39], v[74:75]
	v_cvt_f32_f64_e32 v104, v[104:105]
	v_cvt_f32_f64_e32 v102, v[102:103]
	v_min3_f32 v173, v104, v102, v173
	;; [unrolled: 5-line block ×4, first 2 shown]
	v_add_f64 v[102:103], v[24:25], v[76:77]
	v_add_f64 v[104:105], v[22:23], v[74:75]
	;; [unrolled: 1-line block ×4, first 2 shown]
	v_cvt_f32_f64_e32 v104, v[104:105]
	v_cvt_f32_f64_e32 v102, v[102:103]
	;; [unrolled: 1-line block ×4, first 2 shown]
	v_min3_f32 v232, v104, v102, v176
	v_add_f64 v[102:103], v[20:21], v[76:77]
	v_add_f64 v[104:105], v[18:19], v[74:75]
	v_min3_f32 v188, v44, v42, v208
	ds_read_b128 v[42:45], v219 offset:272
	v_cvt_f32_f64_e32 v104, v[104:105]
	v_cvt_f32_f64_e32 v102, v[102:103]
	v_add_f64 v[100:101], v[12:13], v[100:101]
	v_add_f64 v[98:99], v[10:11], v[98:99]
	;; [unrolled: 1-line block ×12, first 2 shown]
	v_min3_f32 v233, v104, v102, v177
	v_add_f64 v[102:103], v[16:17], v[76:77]
	v_add_f64 v[104:105], v[14:15], v[74:75]
	;; [unrolled: 1-line block ×4, first 2 shown]
	s_waitcnt lgkmcnt(3)
	v_add_f64 v[16:17], v[16:17], v[28:29]
	v_add_f64 v[14:15], v[14:15], v[26:27]
	;; [unrolled: 1-line block ×4, first 2 shown]
	ds_read_b128 v[46:49], v219 offset:528
	ds_read_b128 v[54:57], v219 offset:784
	v_cvt_f32_f64_e32 v14, v[14:15]
	v_cvt_f32_f64_e32 v15, v[16:17]
	;; [unrolled: 1-line block ×4, first 2 shown]
	v_min3_f32 v14, v14, v15, v186
	v_min3_f32 v15, v10, v11, v187
	s_waitcnt lgkmcnt(3)
	v_add_f64 v[10:11], v[4:5], v[8:9]
	v_add_f64 v[12:13], v[2:3], v[6:7]
	v_cvt_f32_f64_e32 v74, v[74:75]
	v_cvt_f32_f64_e32 v75, v[76:77]
	;; [unrolled: 1-line block ×5, first 2 shown]
	v_min3_f32 v103, v74, v75, v179
	ds_read_b128 v[74:77], v158 offset:7184
	v_min3_f32 v230, v12, v10, v188
	s_waitcnt lgkmcnt(3)
	v_add_f64 v[10:11], v[44:45], v[8:9]
	v_add_f64 v[12:13], v[42:43], v[6:7]
	ds_read_b128 v[58:61], v219 offset:1040
	ds_read_b128 v[62:65], v219 offset:1296
	v_cvt_f32_f64_e32 v12, v[12:13]
	v_cvt_f32_f64_e32 v10, v[10:11]
	v_min3_f32 v228, v12, v10, v189
	s_waitcnt lgkmcnt(4)
	v_add_f64 v[10:11], v[48:49], v[8:9]
	v_add_f64 v[12:13], v[46:47], v[6:7]
	v_cvt_f32_f64_e32 v12, v[12:13]
	v_cvt_f32_f64_e32 v10, v[10:11]
	v_min3_f32 v229, v12, v10, v190
	s_waitcnt lgkmcnt(3)
	v_add_f64 v[10:11], v[56:57], v[8:9]
	v_add_f64 v[12:13], v[54:55], v[6:7]
	ds_read_b128 v[66:69], v219 offset:1552
	ds_read_b128 v[70:73], v219 offset:1808
	v_cvt_f32_f64_e32 v12, v[12:13]
	v_cvt_f32_f64_e32 v10, v[10:11]
	;; [unrolled: 1-line block ×4, first 2 shown]
	v_min3_f32 v226, v12, v10, v191
	s_waitcnt lgkmcnt(3)
	v_add_f64 v[10:11], v[60:61], v[8:9]
	v_add_f64 v[12:13], v[58:59], v[6:7]
	v_min3_f32 v106, v98, v99, v106
	ds_read_b128 v[98:101], v158 offset:1040
	v_cvt_f32_f64_e32 v12, v[12:13]
	v_cvt_f32_f64_e32 v10, v[10:11]
	v_min3_f32 v227, v12, v10, v192
	s_waitcnt lgkmcnt(3)
	v_add_f64 v[10:11], v[64:65], v[8:9]
	v_add_f64 v[12:13], v[62:63], v[6:7]
	v_cvt_f32_f64_e32 v12, v[12:13]
	v_cvt_f32_f64_e32 v10, v[10:11]
	v_min3_f32 v224, v12, v10, v193
	s_waitcnt lgkmcnt(2)
	v_add_f64 v[10:11], v[68:69], v[8:9]
	v_add_f64 v[12:13], v[66:67], v[6:7]
	s_waitcnt lgkmcnt(1)
	v_add_f64 v[8:9], v[72:73], v[8:9]
	v_add_f64 v[6:7], v[70:71], v[6:7]
	v_cvt_f32_f64_e32 v94, v[94:95]
	v_cvt_f32_f64_e32 v95, v[96:97]
	;; [unrolled: 1-line block ×4, first 2 shown]
	v_min3_f32 v114, v94, v95, v114
	ds_read_b128 v[94:97], v158 offset:2064
	v_min3_f32 v217, v6, v7, v106
	s_waitcnt lgkmcnt(1)
	v_add_f64 v[6:7], v[4:5], v[100:101]
	v_add_f64 v[8:9], v[2:3], v[98:99]
	v_cvt_f32_f64_e32 v8, v[8:9]
	v_cvt_f32_f64_e32 v6, v[6:7]
	v_min3_f32 v216, v8, v6, v107
	v_add_f64 v[6:7], v[44:45], v[100:101]
	v_add_f64 v[8:9], v[42:43], v[98:99]
	v_cvt_f32_f64_e32 v8, v[8:9]
	v_cvt_f32_f64_e32 v6, v[6:7]
	v_min3_f32 v215, v8, v6, v108
	;; [unrolled: 5-line block ×8, first 2 shown]
	s_waitcnt lgkmcnt(0)
	v_add_f64 v[6:7], v[4:5], v[96:97]
	v_add_f64 v[8:9], v[2:3], v[94:95]
	v_cvt_f32_f64_e32 v8, v[8:9]
	v_cvt_f32_f64_e32 v6, v[6:7]
	v_min3_f32 v208, v8, v6, v115
	v_add_f64 v[6:7], v[44:45], v[96:97]
	v_add_f64 v[8:9], v[42:43], v[94:95]
	v_cvt_f32_f64_e32 v8, v[8:9]
	v_cvt_f32_f64_e32 v6, v[6:7]
	v_min3_f32 v207, v8, v6, v116
	v_add_f64 v[6:7], v[48:49], v[96:97]
	v_add_f64 v[8:9], v[46:47], v[94:95]
	v_cvt_f32_f64_e32 v8, v[8:9]
	v_cvt_f32_f64_e32 v6, v[6:7]
	v_min3_f32 v206, v8, v6, v117
	v_add_f64 v[6:7], v[56:57], v[96:97]
	v_add_f64 v[8:9], v[54:55], v[94:95]
	v_cvt_f32_f64_e32 v8, v[8:9]
	v_cvt_f32_f64_e32 v6, v[6:7]
	v_min3_f32 v205, v8, v6, v118
	v_add_f64 v[6:7], v[60:61], v[96:97]
	v_add_f64 v[8:9], v[58:59], v[94:95]
	v_cvt_f32_f64_e32 v8, v[8:9]
	v_cvt_f32_f64_e32 v6, v[6:7]
	;; [unrolled: 1-line block ×4, first 2 shown]
	v_min3_f32 v204, v8, v6, v119
	v_add_f64 v[6:7], v[64:65], v[96:97]
	v_add_f64 v[8:9], v[62:63], v[94:95]
	v_min3_f32 v122, v90, v91, v122
	ds_read_b128 v[90:93], v158 offset:3088
	v_cvt_f32_f64_e32 v8, v[8:9]
	v_cvt_f32_f64_e32 v6, v[6:7]
	v_min3_f32 v203, v8, v6, v120
	v_add_f64 v[6:7], v[68:69], v[96:97]
	v_add_f64 v[8:9], v[66:67], v[94:95]
	v_cvt_f32_f64_e32 v8, v[8:9]
	v_cvt_f32_f64_e32 v6, v[6:7]
	v_min3_f32 v202, v8, v6, v121
	v_add_f64 v[6:7], v[72:73], v[96:97]
	v_add_f64 v[8:9], v[70:71], v[94:95]
	v_cvt_f32_f64_e32 v86, v[86:87]
	v_cvt_f32_f64_e32 v87, v[88:89]
	;; [unrolled: 1-line block ×4, first 2 shown]
	v_min3_f32 v130, v86, v87, v130
	ds_read_b128 v[86:89], v158 offset:4112
	v_min3_f32 v201, v8, v6, v122
	s_waitcnt lgkmcnt(1)
	v_add_f64 v[6:7], v[4:5], v[92:93]
	v_add_f64 v[8:9], v[2:3], v[90:91]
	v_cvt_f32_f64_e32 v8, v[8:9]
	v_cvt_f32_f64_e32 v6, v[6:7]
	v_min3_f32 v200, v8, v6, v123
	v_add_f64 v[6:7], v[44:45], v[92:93]
	v_add_f64 v[8:9], v[42:43], v[90:91]
	v_cvt_f32_f64_e32 v8, v[8:9]
	v_cvt_f32_f64_e32 v6, v[6:7]
	v_min3_f32 v199, v8, v6, v124
	;; [unrolled: 5-line block ×6, first 2 shown]
	v_add_f64 v[6:7], v[68:69], v[92:93]
	v_add_f64 v[8:9], v[66:67], v[90:91]
	v_cvt_f32_f64_e32 v12, v[12:13]
	v_cvt_f32_f64_e32 v10, v[10:11]
	;; [unrolled: 1-line block ×4, first 2 shown]
	v_min3_f32 v225, v12, v10, v194
	v_min3_f32 v194, v8, v6, v129
	v_add_f64 v[6:7], v[72:73], v[92:93]
	v_add_f64 v[8:9], v[70:71], v[90:91]
	v_cvt_f32_f64_e32 v8, v[8:9]
	v_cvt_f32_f64_e32 v6, v[6:7]
	v_min3_f32 v193, v8, v6, v130
	s_waitcnt lgkmcnt(0)
	v_add_f64 v[6:7], v[4:5], v[88:89]
	v_add_f64 v[8:9], v[2:3], v[86:87]
	v_cvt_f32_f64_e32 v8, v[8:9]
	v_cvt_f32_f64_e32 v6, v[6:7]
	v_min3_f32 v192, v8, v6, v131
	v_add_f64 v[6:7], v[44:45], v[88:89]
	v_add_f64 v[8:9], v[42:43], v[86:87]
	v_cvt_f32_f64_e32 v8, v[8:9]
	v_cvt_f32_f64_e32 v6, v[6:7]
	v_min3_f32 v191, v8, v6, v132
	;; [unrolled: 5-line block ×4, first 2 shown]
	v_add_f64 v[6:7], v[60:61], v[88:89]
	v_add_f64 v[8:9], v[58:59], v[86:87]
	v_cvt_f32_f64_e32 v8, v[8:9]
	v_cvt_f32_f64_e32 v6, v[6:7]
	v_cvt_f32_f64_e32 v82, v[82:83]
	v_cvt_f32_f64_e32 v83, v[84:85]
	v_min3_f32 v188, v8, v6, v135
	v_add_f64 v[6:7], v[64:65], v[88:89]
	v_add_f64 v[8:9], v[62:63], v[86:87]
	v_min3_f32 v162, v82, v83, v162
	ds_read_b128 v[82:85], v158 offset:5136
	v_cvt_f32_f64_e32 v8, v[8:9]
	v_cvt_f32_f64_e32 v6, v[6:7]
	v_min3_f32 v187, v8, v6, v160
	v_add_f64 v[6:7], v[68:69], v[88:89]
	v_add_f64 v[8:9], v[66:67], v[86:87]
	v_cvt_f32_f64_e32 v8, v[8:9]
	v_cvt_f32_f64_e32 v6, v[6:7]
	v_add_f64 v[20:21], v[20:21], v[28:29]
	v_add_f64 v[18:19], v[18:19], v[26:27]
	v_min3_f32 v186, v8, v6, v161
	v_add_f64 v[6:7], v[72:73], v[88:89]
	v_add_f64 v[8:9], v[70:71], v[86:87]
	v_cvt_f32_f64_e32 v78, v[78:79]
	v_cvt_f32_f64_e32 v79, v[80:81]
	;; [unrolled: 1-line block ×6, first 2 shown]
	v_min3_f32 v171, v78, v79, v171
	ds_read_b128 v[78:81], v158 offset:6160
	v_add_f64 v[24:25], v[24:25], v[28:29]
	v_add_f64 v[22:23], v[22:23], v[26:27]
	v_min3_f32 v18, v18, v19, v185
	v_min3_f32 v185, v8, v6, v162
	s_waitcnt lgkmcnt(1)
	v_add_f64 v[6:7], v[4:5], v[84:85]
	v_add_f64 v[8:9], v[2:3], v[82:83]
	v_cvt_f32_f64_e32 v22, v[22:23]
	v_cvt_f32_f64_e32 v23, v[24:25]
	v_cvt_f32_f64_e32 v8, v[8:9]
	v_cvt_f32_f64_e32 v6, v[6:7]
	v_add_f64 v[32:33], v[32:33], v[28:29]
	v_add_f64 v[30:31], v[30:31], v[26:27]
	v_min3_f32 v22, v22, v23, v184
	v_min3_f32 v184, v8, v6, v164
	v_add_f64 v[6:7], v[44:45], v[84:85]
	v_add_f64 v[8:9], v[42:43], v[82:83]
	v_cvt_f32_f64_e32 v30, v[30:31]
	v_cvt_f32_f64_e32 v31, v[32:33]
	v_cvt_f32_f64_e32 v8, v[8:9]
	v_cvt_f32_f64_e32 v6, v[6:7]
	v_add_f64 v[36:37], v[36:37], v[28:29]
	v_add_f64 v[34:35], v[34:35], v[26:27]
	v_min3_f32 v30, v30, v31, v183
	v_min3_f32 v183, v8, v6, v165
	;; [unrolled: 10-line block ×4, first 2 shown]
	v_add_f64 v[6:7], v[60:61], v[84:85]
	v_add_f64 v[8:9], v[58:59], v[82:83]
	v_cvt_f32_f64_e32 v50, v[50:51]
	v_cvt_f32_f64_e32 v51, v[52:53]
	;; [unrolled: 1-line block ×4, first 2 shown]
	v_min3_f32 v50, v50, v51, v180
	v_min3_f32 v180, v8, v6, v168
	v_add_f64 v[6:7], v[64:65], v[84:85]
	v_add_f64 v[8:9], v[62:63], v[82:83]
	v_cvt_f32_f64_e32 v8, v[8:9]
	v_cvt_f32_f64_e32 v6, v[6:7]
	v_min3_f32 v179, v8, v6, v169
	v_add_f64 v[6:7], v[68:69], v[84:85]
	v_add_f64 v[8:9], v[66:67], v[82:83]
	v_cvt_f32_f64_e32 v104, v[104:105]
	v_cvt_f32_f64_e32 v8, v[8:9]
	v_cvt_f32_f64_e32 v6, v[6:7]
	v_min3_f32 v102, v104, v102, v178
	v_min3_f32 v178, v8, v6, v170
	v_add_f64 v[6:7], v[72:73], v[84:85]
	v_add_f64 v[8:9], v[70:71], v[82:83]
	v_cvt_f32_f64_e32 v8, v[8:9]
	v_cvt_f32_f64_e32 v6, v[6:7]
	v_min3_f32 v177, v8, v6, v171
	s_waitcnt lgkmcnt(0)
	v_add_f64 v[6:7], v[4:5], v[80:81]
	v_add_f64 v[8:9], v[2:3], v[78:79]
	;; [unrolled: 1-line block ×4, first 2 shown]
	v_cvt_f32_f64_e32 v8, v[8:9]
	v_cvt_f32_f64_e32 v6, v[6:7]
	v_cvt_f32_f64_e32 v2, v[2:3]
	v_cvt_f32_f64_e32 v3, v[4:5]
	v_min3_f32 v176, v8, v6, v172
	v_add_f64 v[6:7], v[44:45], v[80:81]
	v_add_f64 v[8:9], v[42:43], v[78:79]
	v_min3_f32 v168, v2, v3, v50
	v_add_f64 v[2:3], v[44:45], v[76:77]
	v_add_f64 v[4:5], v[42:43], v[74:75]
	v_cvt_f32_f64_e32 v8, v[8:9]
	v_cvt_f32_f64_e32 v6, v[6:7]
	v_cvt_f32_f64_e32 v4, v[4:5]
	v_cvt_f32_f64_e32 v2, v[2:3]
	v_min3_f32 v175, v8, v6, v173
	v_add_f64 v[6:7], v[48:49], v[80:81]
	v_add_f64 v[8:9], v[46:47], v[78:79]
	v_min3_f32 v167, v4, v2, v38
	v_add_f64 v[2:3], v[48:49], v[76:77]
	v_add_f64 v[4:5], v[46:47], v[74:75]
	;; [unrolled: 10-line block ×7, first 2 shown]
	v_cvt_f32_f64_e32 v8, v[8:9]
	v_cvt_f32_f64_e32 v6, v[6:7]
	v_cvt_f32_f64_e32 v4, v[4:5]
	v_cvt_f32_f64_e32 v2, v[2:3]
	s_add_i32 s23, s23, 8
	v_min3_f32 v169, v8, v6, v103
	v_min3_f32 v160, v4, v2, v15
	v_lshl_add_u64 v[138:139], v[138:139], 0, s[2:3]
	s_cmp_ge_i32 s23, s26
	v_lshl_add_u64 v[142:143], v[142:143], 0, s[20:21]
	ds_write_b64 v220, v[148:149]
	ds_write2st64_b64 v221, v[0:1], v[150:151] offset1:4
	ds_write2st64_b64 v221, v[152:153], v[154:155] offset0:8 offset1:12
	s_waitcnt lgkmcnt(0)
	s_barrier
	s_cbranch_scc1 .LBB119_47
.LBB119_27:                             ; =>This Inner Loop Header: Depth=1
	s_and_b64 vcc, exec, s[6:7]
	s_cbranch_vccnz .LBB119_46
; %bb.28:                               ;   in Loop: Header=BB119_27 Depth=1
	v_lshl_add_u64 v[0:1], v[138:139], 0, v[144:145]
	flat_load_dwordx2 v[0:1], v[0:1]
	s_waitcnt vmcnt(0) lgkmcnt(0)
	v_mul_f64 v[150:151], s[12:13], v[0:1]
	s_mov_b64 s[18:19], -1
	s_mov_b64 vcc, s[4:5]
                                        ; implicit-def: $vgpr0_vgpr1_vgpr2_vgpr3_vgpr4_vgpr5_vgpr6_vgpr7
	s_cbranch_vccz .LBB119_30
.LBB119_29:                             ;   in Loop: Header=BB119_27 Depth=1
	v_mov_b32_e32 v0, s22
	v_mov_b32_e32 v1, s22
	s_mov_b64 s[18:19], 0
.LBB119_30:                             ;   in Loop: Header=BB119_27 Depth=1
	v_mov_b64_e32 v[2:3], 0
	s_andn2_b64 vcc, exec, s[18:19]
	v_lshl_add_u64 v[8:9], v[142:143], 0, v[146:147]
	s_cbranch_vccz .LBB119_40
; %bb.31:                               ;   in Loop: Header=BB119_27 Depth=1
	s_mov_b64 s[18:19], -1
	s_mov_b64 vcc, s[4:5]
                                        ; implicit-def: $vgpr4_vgpr5
	s_cbranch_vccnz .LBB119_41
.LBB119_32:                             ;   in Loop: Header=BB119_27 Depth=1
	v_mov_b64_e32 v[148:149], 0
	s_andn2_b64 vcc, exec, s[18:19]
	v_mov_b64_e32 v[6:7], 0
	s_cbranch_vccnz .LBB119_34
.LBB119_33:                             ;   in Loop: Header=BB119_27 Depth=1
	flat_load_dwordx2 v[4:5], v[8:9] offset:1024
	flat_load_dwordx2 v[6:7], v[8:9] offset:1536
	s_waitcnt vmcnt(0) lgkmcnt(0)
	v_mul_f64 v[4:5], s[12:13], v[4:5]
	v_mul_f64 v[6:7], s[12:13], v[6:7]
.LBB119_34:                             ;   in Loop: Header=BB119_27 Depth=1
	ds_read_b128 v[132:135], v223
	ds_read_b128 v[68:71], v223 offset:16
	ds_read_b128 v[104:107], v222
	ds_read_b128 v[40:43], v222 offset:16
	ds_read_b128 v[100:103], v222 offset:256
	;; [unrolled: 1-line block ×29, first 2 shown]
	s_and_b64 vcc, exec, s[6:7]
	ds_write_b64 v218, v[150:151]
	ds_write2st64_b64 v163, v[0:1], v[2:3] offset1:4
	ds_write2st64_b64 v163, v[4:5], v[6:7] offset0:8 offset1:12
	s_waitcnt lgkmcnt(0)
	s_barrier
	s_cbranch_vccnz .LBB119_36
; %bb.35:                               ;   in Loop: Header=BB119_27 Depth=1
	v_lshl_add_u64 v[0:1], v[138:139], 0, v[136:137]
	flat_load_dwordx2 v[0:1], v[0:1]
	s_waitcnt vmcnt(0) lgkmcnt(0)
	v_mul_f64 v[148:149], s[12:13], v[0:1]
.LBB119_36:                             ;   in Loop: Header=BB119_27 Depth=1
	s_mov_b64 s[18:19], -1
	s_mov_b64 vcc, s[4:5]
                                        ; implicit-def: $vgpr0_vgpr1_vgpr2_vgpr3_vgpr4_vgpr5_vgpr6_vgpr7
	s_cbranch_vccnz .LBB119_42
; %bb.37:                               ;   in Loop: Header=BB119_27 Depth=1
	v_mov_b64_e32 v[150:151], 0
	s_andn2_b64 vcc, exec, s[18:19]
	v_lshl_add_u64 v[2:3], v[142:143], 0, v[140:141]
	s_cbranch_vccz .LBB119_43
.LBB119_38:                             ;   in Loop: Header=BB119_27 Depth=1
	s_mov_b64 s[18:19], -1
	s_mov_b64 vcc, s[4:5]
                                        ; implicit-def: $vgpr152_vgpr153
	s_cbranch_vccnz .LBB119_44
.LBB119_39:                             ;   in Loop: Header=BB119_27 Depth=1
	s_andn2_b64 vcc, exec, s[18:19]
	v_mov_b64_e32 v[154:155], 0
	s_cbranch_vccnz .LBB119_26
	s_branch .LBB119_45
.LBB119_40:                             ;   in Loop: Header=BB119_27 Depth=1
	flat_load_dwordx2 v[0:1], v[8:9]
	flat_load_dwordx2 v[2:3], v[8:9] offset:512
	s_waitcnt vmcnt(0) lgkmcnt(0)
	v_mul_f64 v[0:1], s[12:13], v[0:1]
	v_mul_f64 v[2:3], s[12:13], v[2:3]
	s_mov_b64 s[18:19], -1
	s_mov_b64 vcc, s[4:5]
                                        ; implicit-def: $vgpr4_vgpr5
	s_cbranch_vccz .LBB119_32
.LBB119_41:                             ;   in Loop: Header=BB119_27 Depth=1
	v_mov_b32_e32 v4, s22
	v_mov_b32_e32 v5, s22
	v_mov_b64_e32 v[148:149], 0
	v_mov_b64_e32 v[6:7], 0
	s_cbranch_execz .LBB119_33
	s_branch .LBB119_34
.LBB119_42:                             ;   in Loop: Header=BB119_27 Depth=1
	v_mov_b32_e32 v0, s22
	v_mov_b32_e32 v1, s22
	v_mov_b64_e32 v[150:151], 0
	v_lshl_add_u64 v[2:3], v[142:143], 0, v[140:141]
	s_cbranch_execnz .LBB119_38
.LBB119_43:                             ;   in Loop: Header=BB119_27 Depth=1
	flat_load_dwordx2 v[0:1], v[2:3]
	flat_load_dwordx2 v[4:5], v[2:3] offset:512
	s_waitcnt vmcnt(0) lgkmcnt(0)
	v_mul_f64 v[0:1], s[12:13], v[0:1]
	v_mul_f64 v[150:151], s[12:13], v[4:5]
	s_mov_b64 s[18:19], -1
	s_mov_b64 vcc, s[4:5]
                                        ; implicit-def: $vgpr152_vgpr153
	s_cbranch_vccz .LBB119_39
.LBB119_44:                             ;   in Loop: Header=BB119_27 Depth=1
	v_mov_b32_e32 v152, s22
	v_mov_b32_e32 v153, s22
	v_mov_b64_e32 v[154:155], 0
	s_cbranch_execnz .LBB119_26
.LBB119_45:                             ;   in Loop: Header=BB119_27 Depth=1
	flat_load_dwordx2 v[4:5], v[2:3] offset:1024
	s_nop 0
	flat_load_dwordx2 v[2:3], v[2:3] offset:1536
	s_waitcnt vmcnt(0) lgkmcnt(0)
	v_mul_f64 v[152:153], s[12:13], v[4:5]
	v_mul_f64 v[154:155], s[12:13], v[2:3]
	s_branch .LBB119_26
.LBB119_46:                             ;   in Loop: Header=BB119_27 Depth=1
	v_mov_b64_e32 v[150:151], 0
	s_mov_b64 s[18:19], -1
	s_mov_b64 vcc, s[4:5]
                                        ; implicit-def: $vgpr0_vgpr1_vgpr2_vgpr3_vgpr4_vgpr5_vgpr6_vgpr7
	s_cbranch_vccnz .LBB119_29
	s_branch .LBB119_30
.LBB119_47:
	s_load_dwordx2 s[2:3], s[0:1], 0x78
	s_load_dword s4, s[0:1], 0x58
	s_load_dword s5, s[0:1], 0x70
	ds_read_b128 v[68:71], v159 offset:18432
	ds_read_b128 v[124:127], v158 offset:8192
	;; [unrolled: 1-line block ×4, first 2 shown]
	s_waitcnt lgkmcnt(0)
	s_lshl_b64 s[0:1], s[2:3], 3
	s_add_u32 s0, s16, s0
	v_add_u32_e32 v136, s30, v156
	v_add_f64 v[0:1], v[70:71], v[126:127]
	v_add_f64 v[2:3], v[68:69], v[124:125]
	v_cvt_f32_f64_e32 v2, v[2:3]
	v_cvt_f32_f64_e32 v0, v[0:1]
	v_min3_f32 v132, v2, v0, v230
	ds_read_b128 v[60:63], v159 offset:18688
	ds_read_b128 v[52:55], v159 offset:18704
	;; [unrolled: 1-line block ×28, first 2 shown]
	v_add_f64 v[128:129], v[66:67], v[122:123]
	v_add_f64 v[130:131], v[64:65], v[120:121]
	v_cvt_f32_f64_e32 v130, v[130:131]
	v_cvt_f32_f64_e32 v128, v[128:129]
	v_add_u32_e32 v156, s28, v157
	s_addc_u32 s1, s17, s1
	v_min3_f32 v132, v130, v128, v132
	v_mad_i64_i32 v[130:131], s[2:3], v156, s5, 0
	v_add_u32_e32 v128, 8, v136
	v_lshl_add_u64 v[152:153], v[130:131], 3, s[0:1]
	v_mad_i64_i32 v[130:131], s[2:3], v156, s4, 0
	v_ashrrev_i32_e32 v137, 31, v136
	v_ashrrev_i32_e32 v129, 31, v128
	s_mov_b64 s[2:3], -1
	v_max_f32_e32 v133, v132, v132
	s_mov_b64 vcc, s[8:9]
	s_cbranch_vccz .LBB119_49
; %bb.48:
	v_min_f32_e32 v132, 0, v133
	v_cvt_f64_f32_e32 v[134:135], v132
	v_lshl_add_u64 v[138:139], v[136:137], 3, v[152:153]
	flat_store_dwordx2 v[138:139], v[134:135]
	s_mov_b64 s[2:3], 0
.LBB119_49:
	v_lshl_add_u64 v[154:155], v[130:131], 3, s[14:15]
	v_mov_b32_e32 v132, 0
	s_andn2_b64 vcc, exec, s[2:3]
	v_lshlrev_b64 v[140:141], 3, v[136:137]
	s_cbranch_vccnz .LBB119_51
; %bb.50:
	v_lshl_add_u64 v[130:131], v[154:155], 0, v[140:141]
	flat_load_dwordx2 v[130:131], v[130:131]
	v_lshl_add_u64 v[134:135], v[152:153], 0, v[140:141]
	s_waitcnt vmcnt(0) lgkmcnt(0)
	v_mul_f64 v[130:131], s[10:11], v[130:131]
	v_cvt_f32_f64_e32 v130, v[130:131]
	v_min_f32_e32 v130, v130, v133
	v_cvt_f64_f32_e32 v[130:131], v130
	flat_store_dwordx2 v[134:135], v[130:131]
	v_lshl_add_u64 v[130:131], v[128:129], 3, v[154:155]
	flat_load_dwordx2 v[130:131], v[130:131]
	s_waitcnt vmcnt(0) lgkmcnt(0)
	v_mul_f64 v[130:131], s[10:11], v[130:131]
	v_cvt_f32_f64_e32 v132, v[130:131]
.LBB119_51:
	s_waitcnt lgkmcnt(0)
	v_add_f64 v[130:131], v[62:63], v[126:127]
	v_add_f64 v[134:135], v[60:61], v[124:125]
	v_cvt_f32_f64_e32 v133, v[134:135]
	v_cvt_f32_f64_e32 v130, v[130:131]
	v_min3_f32 v133, v133, v130, v228
	v_add_f64 v[130:131], v[58:59], v[126:127]
	v_add_f64 v[134:135], v[56:57], v[124:125]
	v_cvt_f32_f64_e32 v134, v[134:135]
	v_cvt_f32_f64_e32 v130, v[130:131]
	v_min3_f32 v138, v134, v130, v229
	v_add_f64 v[130:131], v[54:55], v[122:123]
	v_add_f64 v[134:135], v[52:53], v[120:121]
	v_cvt_f32_f64_e32 v134, v[134:135]
	v_cvt_f32_f64_e32 v130, v[130:131]
	v_min_f32_e32 v142, v134, v130
	v_add_f64 v[130:131], v[50:51], v[122:123]
	v_add_f64 v[134:135], v[48:49], v[120:121]
	v_cvt_f32_f64_e32 v134, v[134:135]
	v_cvt_f32_f64_e32 v130, v[130:131]
	v_min3_f32 v132, v132, v142, v133
	v_min3_f32 v143, v134, v130, v138
	v_add_u32_e32 v138, 16, v136
	v_add_u32_e32 v130, 24, v136
	v_cvt_f64_f32_e32 v[132:133], v132
	v_lshl_add_u64 v[134:135], v[128:129], 3, v[152:153]
	v_ashrrev_i32_e32 v139, 31, v138
	v_ashrrev_i32_e32 v131, 31, v130
	flat_store_dwordx2 v[134:135], v[132:133]
	s_mov_b64 s[2:3], -1
	v_max_f32_e32 v132, v143, v143
	s_mov_b64 vcc, s[8:9]
	s_cbranch_vccz .LBB119_53
; %bb.52:
	v_min_f32_e32 v133, 0, v132
	v_cvt_f64_f32_e32 v[134:135], v133
	v_lshl_add_u64 v[142:143], v[138:139], 3, v[152:153]
	flat_store_dwordx2 v[142:143], v[134:135]
	s_mov_b64 s[2:3], 0
.LBB119_53:
	v_mov_b32_e32 v134, 0
	s_andn2_b64 vcc, exec, s[2:3]
	v_lshlrev_b64 v[144:145], 3, v[138:139]
	s_cbranch_vccnz .LBB119_55
; %bb.54:
	v_lshl_add_u64 v[134:135], v[154:155], 0, v[144:145]
	flat_load_dwordx2 v[134:135], v[134:135]
	v_lshl_add_u64 v[142:143], v[152:153], 0, v[144:145]
	s_waitcnt vmcnt(0) lgkmcnt(0)
	v_mul_f64 v[134:135], s[10:11], v[134:135]
	v_cvt_f32_f64_e32 v133, v[134:135]
	v_min_f32_e32 v132, v133, v132
	v_cvt_f64_f32_e32 v[132:133], v132
	flat_store_dwordx2 v[142:143], v[132:133]
	v_lshl_add_u64 v[132:133], v[130:131], 3, v[154:155]
	flat_load_dwordx2 v[132:133], v[132:133]
	s_waitcnt vmcnt(0) lgkmcnt(0)
	v_mul_f64 v[132:133], s[10:11], v[132:133]
	v_cvt_f32_f64_e32 v134, v[132:133]
.LBB119_55:
	v_add_f64 v[132:133], v[46:47], v[126:127]
	v_add_f64 v[142:143], v[44:45], v[124:125]
	v_cvt_f32_f64_e32 v135, v[142:143]
	v_cvt_f32_f64_e32 v132, v[132:133]
	v_min3_f32 v135, v135, v132, v226
	v_add_f64 v[132:133], v[42:43], v[126:127]
	v_add_f64 v[142:143], v[40:41], v[124:125]
	v_cvt_f32_f64_e32 v142, v[142:143]
	v_cvt_f32_f64_e32 v132, v[132:133]
	v_min3_f32 v146, v142, v132, v227
	v_add_f64 v[132:133], v[38:39], v[122:123]
	v_add_f64 v[142:143], v[36:37], v[120:121]
	v_cvt_f32_f64_e32 v142, v[142:143]
	v_cvt_f32_f64_e32 v132, v[132:133]
	v_min_f32_e32 v147, v142, v132
	v_add_f64 v[132:133], v[34:35], v[122:123]
	v_add_f64 v[142:143], v[32:33], v[120:121]
	v_cvt_f32_f64_e32 v142, v[142:143]
	v_cvt_f32_f64_e32 v132, v[132:133]
	v_min3_f32 v134, v134, v147, v135
	v_min3_f32 v148, v142, v132, v146
	v_add_u32_e32 v142, 32, v136
	v_add_u32_e32 v132, 40, v136
	v_cvt_f64_f32_e32 v[134:135], v134
	v_lshl_add_u64 v[146:147], v[130:131], 3, v[152:153]
	v_ashrrev_i32_e32 v143, 31, v142
	v_ashrrev_i32_e32 v133, 31, v132
	flat_store_dwordx2 v[146:147], v[134:135]
	s_mov_b64 s[2:3], -1
	v_max_f32_e32 v134, v148, v148
	s_mov_b64 vcc, s[8:9]
	s_cbranch_vccz .LBB119_57
; %bb.56:
	v_min_f32_e32 v135, 0, v134
	v_cvt_f64_f32_e32 v[146:147], v135
	v_lshl_add_u64 v[148:149], v[142:143], 3, v[152:153]
	flat_store_dwordx2 v[148:149], v[146:147]
	s_mov_b64 s[2:3], 0
.LBB119_57:
	v_mov_b32_e32 v150, 0
	s_andn2_b64 vcc, exec, s[2:3]
	v_lshlrev_b64 v[148:149], 3, v[142:143]
	s_cbranch_vccnz .LBB119_59
; %bb.58:
	v_lshl_add_u64 v[146:147], v[154:155], 0, v[148:149]
	flat_load_dwordx2 v[146:147], v[146:147]
	v_lshl_add_u64 v[150:151], v[152:153], 0, v[148:149]
	s_waitcnt vmcnt(0) lgkmcnt(0)
	v_mul_f64 v[146:147], s[10:11], v[146:147]
	v_cvt_f32_f64_e32 v135, v[146:147]
	v_min_f32_e32 v134, v135, v134
	v_cvt_f64_f32_e32 v[134:135], v134
	flat_store_dwordx2 v[150:151], v[134:135]
	v_lshl_add_u64 v[134:135], v[132:133], 3, v[154:155]
	flat_load_dwordx2 v[134:135], v[134:135]
	s_waitcnt vmcnt(0) lgkmcnt(0)
	v_mul_f64 v[134:135], s[10:11], v[134:135]
	v_cvt_f32_f64_e32 v150, v[134:135]
.LBB119_59:
	v_add_f64 v[134:135], v[30:31], v[126:127]
	v_add_f64 v[146:147], v[28:29], v[124:125]
	v_cvt_f32_f64_e32 v146, v[146:147]
	v_cvt_f32_f64_e32 v134, v[134:135]
	v_min3_f32 v151, v146, v134, v224
	v_add_f64 v[134:135], v[26:27], v[126:127]
	v_add_f64 v[146:147], v[24:25], v[124:125]
	v_cvt_f32_f64_e32 v146, v[146:147]
	v_cvt_f32_f64_e32 v134, v[134:135]
	v_min3_f32 v157, v146, v134, v225
	v_add_f64 v[134:135], v[22:23], v[122:123]
	v_add_f64 v[146:147], v[20:21], v[120:121]
	v_cvt_f32_f64_e32 v146, v[146:147]
	v_cvt_f32_f64_e32 v134, v[134:135]
	v_min_f32_e32 v158, v146, v134
	v_add_f64 v[134:135], v[18:19], v[122:123]
	v_add_f64 v[146:147], v[16:17], v[120:121]
	v_cvt_f32_f64_e32 v146, v[146:147]
	v_cvt_f32_f64_e32 v134, v[134:135]
	v_min3_f32 v150, v150, v158, v151
	v_min3_f32 v157, v146, v134, v157
	v_add_u32_e32 v146, 48, v136
	v_add_u32_e32 v134, 56, v136
	v_cvt_f64_f32_e32 v[150:151], v150
	v_lshl_add_u64 v[158:159], v[132:133], 3, v[152:153]
	v_ashrrev_i32_e32 v147, 31, v146
	v_ashrrev_i32_e32 v135, 31, v134
	flat_store_dwordx2 v[158:159], v[150:151]
	s_mov_b64 s[2:3], -1
	v_max_f32_e32 v158, v157, v157
	s_mov_b64 vcc, s[8:9]
	s_cbranch_vccz .LBB119_61
; %bb.60:
	v_min_f32_e32 v150, 0, v158
	v_cvt_f64_f32_e32 v[150:151], v150
	v_lshl_add_u64 v[218:219], v[146:147], 3, v[152:153]
	flat_store_dwordx2 v[218:219], v[150:151]
	s_mov_b64 s[2:3], 0
.LBB119_61:
	v_mov_b32_e32 v157, 0
	s_andn2_b64 vcc, exec, s[2:3]
	v_lshlrev_b64 v[150:151], 3, v[146:147]
	s_cbranch_vccnz .LBB119_63
; %bb.62:
	v_lshl_add_u64 v[218:219], v[154:155], 0, v[150:151]
	flat_load_dwordx2 v[218:219], v[218:219]
	v_lshl_add_u64 v[220:221], v[152:153], 0, v[150:151]
	v_lshl_add_u64 v[154:155], v[134:135], 3, v[154:155]
	s_waitcnt vmcnt(0) lgkmcnt(0)
	v_mul_f64 v[218:219], s[10:11], v[218:219]
	v_cvt_f32_f64_e32 v157, v[218:219]
	v_min_f32_e32 v157, v157, v158
	v_cvt_f64_f32_e32 v[158:159], v157
	flat_store_dwordx2 v[220:221], v[158:159]
	flat_load_dwordx2 v[154:155], v[154:155]
	s_waitcnt vmcnt(0) lgkmcnt(0)
	v_mul_f64 v[154:155], s[10:11], v[154:155]
	v_cvt_f32_f64_e32 v157, v[154:155]
.LBB119_63:
	v_add_f64 v[126:127], v[2:3], v[126:127]
	v_add_f64 v[124:125], v[0:1], v[124:125]
	v_cvt_f32_f64_e32 v124, v[124:125]
	v_cvt_f32_f64_e32 v125, v[126:127]
	v_add_f64 v[122:123], v[10:11], v[122:123]
	v_add_f64 v[120:121], v[8:9], v[120:121]
	v_min3_f32 v154, v124, v125, v217
	v_add_f64 v[124:125], v[70:71], v[118:119]
	v_add_f64 v[126:127], v[68:69], v[116:117]
	v_cvt_f32_f64_e32 v120, v[120:121]
	v_cvt_f32_f64_e32 v121, v[122:123]
	;; [unrolled: 1-line block ×4, first 2 shown]
	v_min_f32_e32 v125, v120, v121
	v_add_f64 v[120:121], v[66:67], v[114:115]
	v_add_f64 v[122:123], v[64:65], v[112:113]
	v_min3_f32 v124, v126, v124, v216
	v_cvt_f32_f64_e32 v122, v[122:123]
	v_cvt_f32_f64_e32 v120, v[120:121]
	v_min3_f32 v124, v122, v120, v124
	v_min3_f32 v120, v157, v125, v154
	v_cvt_f64_f32_e32 v[120:121], v120
	v_lshl_add_u64 v[122:123], v[134:135], 3, v[152:153]
	flat_store_dwordx2 v[122:123], v[120:121]
	v_add_u32_e32 v122, 32, v156
	v_mad_i64_i32 v[120:121], s[2:3], v122, s5, 0
	v_mad_i64_i32 v[122:123], s[2:3], v122, s4, 0
	v_lshl_add_u64 v[120:121], v[120:121], 3, s[0:1]
	s_mov_b64 s[2:3], -1
	v_max_f32_e32 v125, v124, v124
	s_mov_b64 vcc, s[8:9]
	s_cbranch_vccz .LBB119_65
; %bb.64:
	v_min_f32_e32 v124, 0, v125
	v_cvt_f64_f32_e32 v[126:127], v124
	v_lshl_add_u64 v[152:153], v[136:137], 3, v[120:121]
	flat_store_dwordx2 v[152:153], v[126:127]
	s_mov_b64 s[2:3], 0
.LBB119_65:
	v_lshl_add_u64 v[122:123], v[122:123], 3, s[14:15]
	s_andn2_b64 vcc, exec, s[2:3]
	v_mov_b32_e32 v124, 0
	s_cbranch_vccnz .LBB119_67
; %bb.66:
	v_lshl_add_u64 v[126:127], v[122:123], 0, v[140:141]
	flat_load_dwordx2 v[126:127], v[126:127]
	v_lshl_add_u64 v[152:153], v[120:121], 0, v[140:141]
	s_waitcnt vmcnt(0) lgkmcnt(0)
	v_mul_f64 v[126:127], s[10:11], v[126:127]
	v_cvt_f32_f64_e32 v124, v[126:127]
	v_min_f32_e32 v124, v124, v125
	v_cvt_f64_f32_e32 v[124:125], v124
	flat_store_dwordx2 v[152:153], v[124:125]
	v_lshl_add_u64 v[124:125], v[128:129], 3, v[122:123]
	flat_load_dwordx2 v[124:125], v[124:125]
	s_waitcnt vmcnt(0) lgkmcnt(0)
	v_mul_f64 v[124:125], s[10:11], v[124:125]
	v_cvt_f32_f64_e32 v124, v[124:125]
.LBB119_67:
	v_add_f64 v[126:127], v[62:63], v[118:119]
	v_add_f64 v[152:153], v[60:61], v[116:117]
	v_cvt_f32_f64_e32 v125, v[152:153]
	v_cvt_f32_f64_e32 v126, v[126:127]
	v_min3_f32 v125, v125, v126, v215
	v_add_f64 v[126:127], v[58:59], v[118:119]
	v_add_f64 v[152:153], v[56:57], v[116:117]
	v_cvt_f32_f64_e32 v152, v[152:153]
	v_cvt_f32_f64_e32 v126, v[126:127]
	v_min3_f32 v154, v152, v126, v214
	v_add_f64 v[126:127], v[54:55], v[114:115]
	v_add_f64 v[152:153], v[52:53], v[112:113]
	v_cvt_f32_f64_e32 v152, v[152:153]
	v_cvt_f32_f64_e32 v126, v[126:127]
	v_min_f32_e32 v155, v152, v126
	v_add_f64 v[126:127], v[50:51], v[114:115]
	v_add_f64 v[152:153], v[48:49], v[112:113]
	v_cvt_f32_f64_e32 v152, v[152:153]
	v_cvt_f32_f64_e32 v126, v[126:127]
	v_min3_f32 v124, v124, v155, v125
	v_min3_f32 v152, v152, v126, v154
	v_cvt_f64_f32_e32 v[124:125], v124
	v_lshl_add_u64 v[126:127], v[128:129], 3, v[120:121]
	flat_store_dwordx2 v[126:127], v[124:125]
	s_mov_b64 s[2:3], -1
	v_max_f32_e32 v125, v152, v152
	s_mov_b64 vcc, s[8:9]
	s_cbranch_vccz .LBB119_69
; %bb.68:
	v_min_f32_e32 v124, 0, v125
	v_cvt_f64_f32_e32 v[126:127], v124
	v_lshl_add_u64 v[152:153], v[138:139], 3, v[120:121]
	flat_store_dwordx2 v[152:153], v[126:127]
	s_mov_b64 s[2:3], 0
.LBB119_69:
	s_andn2_b64 vcc, exec, s[2:3]
	v_mov_b32_e32 v124, 0
	s_cbranch_vccnz .LBB119_71
; %bb.70:
	v_lshl_add_u64 v[126:127], v[122:123], 0, v[144:145]
	flat_load_dwordx2 v[126:127], v[126:127]
	v_lshl_add_u64 v[152:153], v[120:121], 0, v[144:145]
	s_waitcnt vmcnt(0) lgkmcnt(0)
	v_mul_f64 v[126:127], s[10:11], v[126:127]
	v_cvt_f32_f64_e32 v124, v[126:127]
	v_min_f32_e32 v124, v124, v125
	v_cvt_f64_f32_e32 v[124:125], v124
	flat_store_dwordx2 v[152:153], v[124:125]
	v_lshl_add_u64 v[124:125], v[130:131], 3, v[122:123]
	flat_load_dwordx2 v[124:125], v[124:125]
	s_waitcnt vmcnt(0) lgkmcnt(0)
	v_mul_f64 v[124:125], s[10:11], v[124:125]
	v_cvt_f32_f64_e32 v124, v[124:125]
.LBB119_71:
	v_add_f64 v[126:127], v[46:47], v[118:119]
	v_add_f64 v[152:153], v[44:45], v[116:117]
	v_cvt_f32_f64_e32 v125, v[152:153]
	v_cvt_f32_f64_e32 v126, v[126:127]
	v_min3_f32 v125, v125, v126, v213
	v_add_f64 v[126:127], v[42:43], v[118:119]
	v_add_f64 v[152:153], v[40:41], v[116:117]
	v_cvt_f32_f64_e32 v152, v[152:153]
	v_cvt_f32_f64_e32 v126, v[126:127]
	v_min3_f32 v154, v152, v126, v212
	v_add_f64 v[126:127], v[38:39], v[114:115]
	v_add_f64 v[152:153], v[36:37], v[112:113]
	v_cvt_f32_f64_e32 v152, v[152:153]
	v_cvt_f32_f64_e32 v126, v[126:127]
	v_min_f32_e32 v155, v152, v126
	v_add_f64 v[126:127], v[34:35], v[114:115]
	v_add_f64 v[152:153], v[32:33], v[112:113]
	v_cvt_f32_f64_e32 v152, v[152:153]
	v_cvt_f32_f64_e32 v126, v[126:127]
	v_min3_f32 v124, v124, v155, v125
	v_min3_f32 v152, v152, v126, v154
	v_cvt_f64_f32_e32 v[124:125], v124
	v_lshl_add_u64 v[126:127], v[130:131], 3, v[120:121]
	flat_store_dwordx2 v[126:127], v[124:125]
	s_mov_b64 s[2:3], -1
	v_max_f32_e32 v125, v152, v152
	s_mov_b64 vcc, s[8:9]
	s_cbranch_vccz .LBB119_73
; %bb.72:
	v_min_f32_e32 v124, 0, v125
	v_cvt_f64_f32_e32 v[126:127], v124
	v_lshl_add_u64 v[152:153], v[142:143], 3, v[120:121]
	flat_store_dwordx2 v[152:153], v[126:127]
	s_mov_b64 s[2:3], 0
.LBB119_73:
	;; [unrolled: 54-line block ×3, first 2 shown]
	s_andn2_b64 vcc, exec, s[2:3]
	v_mov_b32_e32 v124, 0
	s_cbranch_vccnz .LBB119_79
; %bb.78:
	v_lshl_add_u64 v[126:127], v[122:123], 0, v[150:151]
	flat_load_dwordx2 v[126:127], v[126:127]
	v_lshl_add_u64 v[152:153], v[120:121], 0, v[150:151]
	v_lshl_add_u64 v[122:123], v[134:135], 3, v[122:123]
	s_waitcnt vmcnt(0) lgkmcnt(0)
	v_mul_f64 v[126:127], s[10:11], v[126:127]
	v_cvt_f32_f64_e32 v124, v[126:127]
	v_min_f32_e32 v124, v124, v125
	v_cvt_f64_f32_e32 v[124:125], v124
	flat_store_dwordx2 v[152:153], v[124:125]
	flat_load_dwordx2 v[122:123], v[122:123]
	s_waitcnt vmcnt(0) lgkmcnt(0)
	v_mul_f64 v[122:123], s[10:11], v[122:123]
	v_cvt_f32_f64_e32 v124, v[122:123]
.LBB119_79:
	v_add_f64 v[118:119], v[2:3], v[118:119]
	v_add_f64 v[116:117], v[0:1], v[116:117]
	v_cvt_f32_f64_e32 v116, v[116:117]
	v_cvt_f32_f64_e32 v117, v[118:119]
	v_add_f64 v[114:115], v[10:11], v[114:115]
	v_add_f64 v[112:113], v[8:9], v[112:113]
	v_min3_f32 v122, v116, v117, v209
	v_add_f64 v[116:117], v[70:71], v[110:111]
	v_add_f64 v[118:119], v[68:69], v[108:109]
	v_cvt_f32_f64_e32 v112, v[112:113]
	v_cvt_f32_f64_e32 v113, v[114:115]
	v_cvt_f32_f64_e32 v118, v[118:119]
	v_cvt_f32_f64_e32 v116, v[116:117]
	v_min_f32_e32 v117, v112, v113
	v_add_f64 v[112:113], v[66:67], v[106:107]
	v_add_f64 v[114:115], v[64:65], v[104:105]
	v_min3_f32 v116, v118, v116, v208
	v_cvt_f32_f64_e32 v114, v[114:115]
	v_cvt_f32_f64_e32 v112, v[112:113]
	v_min3_f32 v116, v114, v112, v116
	v_min3_f32 v112, v124, v117, v122
	v_cvt_f64_f32_e32 v[112:113], v112
	v_lshl_add_u64 v[114:115], v[134:135], 3, v[120:121]
	flat_store_dwordx2 v[114:115], v[112:113]
	v_add_u32_e32 v114, 64, v156
	v_mad_i64_i32 v[112:113], s[2:3], v114, s5, 0
	v_mad_i64_i32 v[114:115], s[2:3], v114, s4, 0
	v_lshl_add_u64 v[112:113], v[112:113], 3, s[0:1]
	s_mov_b64 s[2:3], -1
	v_max_f32_e32 v117, v116, v116
	s_mov_b64 vcc, s[8:9]
	s_cbranch_vccz .LBB119_81
; %bb.80:
	v_min_f32_e32 v116, 0, v117
	v_cvt_f64_f32_e32 v[118:119], v116
	v_lshl_add_u64 v[120:121], v[136:137], 3, v[112:113]
	flat_store_dwordx2 v[120:121], v[118:119]
	s_mov_b64 s[2:3], 0
.LBB119_81:
	v_lshl_add_u64 v[114:115], v[114:115], 3, s[14:15]
	s_andn2_b64 vcc, exec, s[2:3]
	v_mov_b32_e32 v116, 0
	s_cbranch_vccnz .LBB119_83
; %bb.82:
	v_lshl_add_u64 v[118:119], v[114:115], 0, v[140:141]
	flat_load_dwordx2 v[118:119], v[118:119]
	v_lshl_add_u64 v[120:121], v[112:113], 0, v[140:141]
	s_waitcnt vmcnt(0) lgkmcnt(0)
	v_mul_f64 v[118:119], s[10:11], v[118:119]
	v_cvt_f32_f64_e32 v116, v[118:119]
	v_min_f32_e32 v116, v116, v117
	v_cvt_f64_f32_e32 v[116:117], v116
	flat_store_dwordx2 v[120:121], v[116:117]
	v_lshl_add_u64 v[116:117], v[128:129], 3, v[114:115]
	flat_load_dwordx2 v[116:117], v[116:117]
	s_waitcnt vmcnt(0) lgkmcnt(0)
	v_mul_f64 v[116:117], s[10:11], v[116:117]
	v_cvt_f32_f64_e32 v116, v[116:117]
.LBB119_83:
	v_add_f64 v[118:119], v[62:63], v[110:111]
	v_add_f64 v[120:121], v[60:61], v[108:109]
	v_cvt_f32_f64_e32 v117, v[120:121]
	v_cvt_f32_f64_e32 v118, v[118:119]
	v_min3_f32 v117, v117, v118, v207
	v_add_f64 v[118:119], v[58:59], v[110:111]
	v_add_f64 v[120:121], v[56:57], v[108:109]
	v_cvt_f32_f64_e32 v120, v[120:121]
	v_cvt_f32_f64_e32 v118, v[118:119]
	v_min3_f32 v122, v120, v118, v206
	v_add_f64 v[118:119], v[54:55], v[106:107]
	v_add_f64 v[120:121], v[52:53], v[104:105]
	v_cvt_f32_f64_e32 v120, v[120:121]
	v_cvt_f32_f64_e32 v118, v[118:119]
	v_min_f32_e32 v123, v120, v118
	v_add_f64 v[118:119], v[50:51], v[106:107]
	v_add_f64 v[120:121], v[48:49], v[104:105]
	v_cvt_f32_f64_e32 v120, v[120:121]
	v_cvt_f32_f64_e32 v118, v[118:119]
	v_min3_f32 v116, v116, v123, v117
	v_min3_f32 v120, v120, v118, v122
	v_cvt_f64_f32_e32 v[116:117], v116
	v_lshl_add_u64 v[118:119], v[128:129], 3, v[112:113]
	flat_store_dwordx2 v[118:119], v[116:117]
	s_mov_b64 s[2:3], -1
	v_max_f32_e32 v117, v120, v120
	s_mov_b64 vcc, s[8:9]
	s_cbranch_vccz .LBB119_85
; %bb.84:
	v_min_f32_e32 v116, 0, v117
	v_cvt_f64_f32_e32 v[118:119], v116
	v_lshl_add_u64 v[120:121], v[138:139], 3, v[112:113]
	flat_store_dwordx2 v[120:121], v[118:119]
	s_mov_b64 s[2:3], 0
.LBB119_85:
	s_andn2_b64 vcc, exec, s[2:3]
	v_mov_b32_e32 v116, 0
	s_cbranch_vccnz .LBB119_87
; %bb.86:
	v_lshl_add_u64 v[118:119], v[114:115], 0, v[144:145]
	flat_load_dwordx2 v[118:119], v[118:119]
	v_lshl_add_u64 v[120:121], v[112:113], 0, v[144:145]
	s_waitcnt vmcnt(0) lgkmcnt(0)
	v_mul_f64 v[118:119], s[10:11], v[118:119]
	v_cvt_f32_f64_e32 v116, v[118:119]
	v_min_f32_e32 v116, v116, v117
	v_cvt_f64_f32_e32 v[116:117], v116
	flat_store_dwordx2 v[120:121], v[116:117]
	v_lshl_add_u64 v[116:117], v[130:131], 3, v[114:115]
	flat_load_dwordx2 v[116:117], v[116:117]
	s_waitcnt vmcnt(0) lgkmcnt(0)
	v_mul_f64 v[116:117], s[10:11], v[116:117]
	v_cvt_f32_f64_e32 v116, v[116:117]
.LBB119_87:
	v_add_f64 v[118:119], v[46:47], v[110:111]
	v_add_f64 v[120:121], v[44:45], v[108:109]
	v_cvt_f32_f64_e32 v117, v[120:121]
	v_cvt_f32_f64_e32 v118, v[118:119]
	v_min3_f32 v117, v117, v118, v205
	v_add_f64 v[118:119], v[42:43], v[110:111]
	v_add_f64 v[120:121], v[40:41], v[108:109]
	v_cvt_f32_f64_e32 v120, v[120:121]
	v_cvt_f32_f64_e32 v118, v[118:119]
	v_min3_f32 v122, v120, v118, v204
	v_add_f64 v[118:119], v[38:39], v[106:107]
	v_add_f64 v[120:121], v[36:37], v[104:105]
	v_cvt_f32_f64_e32 v120, v[120:121]
	v_cvt_f32_f64_e32 v118, v[118:119]
	v_min_f32_e32 v123, v120, v118
	v_add_f64 v[118:119], v[34:35], v[106:107]
	v_add_f64 v[120:121], v[32:33], v[104:105]
	v_cvt_f32_f64_e32 v120, v[120:121]
	v_cvt_f32_f64_e32 v118, v[118:119]
	v_min3_f32 v116, v116, v123, v117
	v_min3_f32 v120, v120, v118, v122
	v_cvt_f64_f32_e32 v[116:117], v116
	v_lshl_add_u64 v[118:119], v[130:131], 3, v[112:113]
	flat_store_dwordx2 v[118:119], v[116:117]
	s_mov_b64 s[2:3], -1
	v_max_f32_e32 v117, v120, v120
	s_mov_b64 vcc, s[8:9]
	s_cbranch_vccz .LBB119_89
; %bb.88:
	v_min_f32_e32 v116, 0, v117
	v_cvt_f64_f32_e32 v[118:119], v116
	v_lshl_add_u64 v[120:121], v[142:143], 3, v[112:113]
	flat_store_dwordx2 v[120:121], v[118:119]
	s_mov_b64 s[2:3], 0
.LBB119_89:
	;; [unrolled: 54-line block ×3, first 2 shown]
	s_andn2_b64 vcc, exec, s[2:3]
	v_mov_b32_e32 v116, 0
	s_cbranch_vccnz .LBB119_95
; %bb.94:
	v_lshl_add_u64 v[118:119], v[114:115], 0, v[150:151]
	flat_load_dwordx2 v[118:119], v[118:119]
	v_lshl_add_u64 v[120:121], v[112:113], 0, v[150:151]
	v_lshl_add_u64 v[114:115], v[134:135], 3, v[114:115]
	s_waitcnt vmcnt(0) lgkmcnt(0)
	v_mul_f64 v[118:119], s[10:11], v[118:119]
	v_cvt_f32_f64_e32 v116, v[118:119]
	v_min_f32_e32 v116, v116, v117
	v_cvt_f64_f32_e32 v[116:117], v116
	flat_store_dwordx2 v[120:121], v[116:117]
	flat_load_dwordx2 v[114:115], v[114:115]
	s_waitcnt vmcnt(0) lgkmcnt(0)
	v_mul_f64 v[114:115], s[10:11], v[114:115]
	v_cvt_f32_f64_e32 v116, v[114:115]
.LBB119_95:
	v_add_f64 v[110:111], v[2:3], v[110:111]
	v_add_f64 v[108:109], v[0:1], v[108:109]
	v_cvt_f32_f64_e32 v108, v[108:109]
	v_cvt_f32_f64_e32 v109, v[110:111]
	v_add_f64 v[106:107], v[10:11], v[106:107]
	v_add_f64 v[104:105], v[8:9], v[104:105]
	v_min3_f32 v114, v108, v109, v201
	v_add_f64 v[108:109], v[70:71], v[102:103]
	v_add_f64 v[110:111], v[68:69], v[100:101]
	v_cvt_f32_f64_e32 v104, v[104:105]
	v_cvt_f32_f64_e32 v105, v[106:107]
	v_cvt_f32_f64_e32 v110, v[110:111]
	v_cvt_f32_f64_e32 v108, v[108:109]
	v_min_f32_e32 v109, v104, v105
	v_add_f64 v[104:105], v[66:67], v[98:99]
	v_add_f64 v[106:107], v[64:65], v[96:97]
	v_min3_f32 v108, v110, v108, v200
	v_cvt_f32_f64_e32 v106, v[106:107]
	v_cvt_f32_f64_e32 v104, v[104:105]
	v_min3_f32 v108, v106, v104, v108
	v_min3_f32 v104, v116, v109, v114
	v_cvt_f64_f32_e32 v[104:105], v104
	v_lshl_add_u64 v[106:107], v[134:135], 3, v[112:113]
	flat_store_dwordx2 v[106:107], v[104:105]
	v_add_u32_e32 v106, 0x60, v156
	v_mad_i64_i32 v[104:105], s[2:3], v106, s5, 0
	v_mad_i64_i32 v[106:107], s[2:3], v106, s4, 0
	v_lshl_add_u64 v[104:105], v[104:105], 3, s[0:1]
	s_mov_b64 s[2:3], -1
	v_max_f32_e32 v109, v108, v108
	s_mov_b64 vcc, s[8:9]
	s_cbranch_vccz .LBB119_97
; %bb.96:
	v_min_f32_e32 v108, 0, v109
	v_cvt_f64_f32_e32 v[110:111], v108
	v_lshl_add_u64 v[112:113], v[136:137], 3, v[104:105]
	flat_store_dwordx2 v[112:113], v[110:111]
	s_mov_b64 s[2:3], 0
.LBB119_97:
	v_lshl_add_u64 v[106:107], v[106:107], 3, s[14:15]
	s_andn2_b64 vcc, exec, s[2:3]
	v_mov_b32_e32 v108, 0
	s_cbranch_vccnz .LBB119_99
; %bb.98:
	v_lshl_add_u64 v[110:111], v[106:107], 0, v[140:141]
	flat_load_dwordx2 v[110:111], v[110:111]
	v_lshl_add_u64 v[112:113], v[104:105], 0, v[140:141]
	s_waitcnt vmcnt(0) lgkmcnt(0)
	v_mul_f64 v[110:111], s[10:11], v[110:111]
	v_cvt_f32_f64_e32 v108, v[110:111]
	v_min_f32_e32 v108, v108, v109
	v_cvt_f64_f32_e32 v[108:109], v108
	flat_store_dwordx2 v[112:113], v[108:109]
	v_lshl_add_u64 v[108:109], v[128:129], 3, v[106:107]
	flat_load_dwordx2 v[108:109], v[108:109]
	s_waitcnt vmcnt(0) lgkmcnt(0)
	v_mul_f64 v[108:109], s[10:11], v[108:109]
	v_cvt_f32_f64_e32 v108, v[108:109]
.LBB119_99:
	v_add_f64 v[110:111], v[62:63], v[102:103]
	v_add_f64 v[112:113], v[60:61], v[100:101]
	v_cvt_f32_f64_e32 v109, v[112:113]
	v_cvt_f32_f64_e32 v110, v[110:111]
	v_min3_f32 v109, v109, v110, v199
	v_add_f64 v[110:111], v[58:59], v[102:103]
	v_add_f64 v[112:113], v[56:57], v[100:101]
	v_cvt_f32_f64_e32 v112, v[112:113]
	v_cvt_f32_f64_e32 v110, v[110:111]
	v_min3_f32 v114, v112, v110, v198
	v_add_f64 v[110:111], v[54:55], v[98:99]
	v_add_f64 v[112:113], v[52:53], v[96:97]
	v_cvt_f32_f64_e32 v112, v[112:113]
	v_cvt_f32_f64_e32 v110, v[110:111]
	v_min_f32_e32 v115, v112, v110
	v_add_f64 v[110:111], v[50:51], v[98:99]
	v_add_f64 v[112:113], v[48:49], v[96:97]
	v_cvt_f32_f64_e32 v112, v[112:113]
	v_cvt_f32_f64_e32 v110, v[110:111]
	v_min3_f32 v108, v108, v115, v109
	v_min3_f32 v112, v112, v110, v114
	v_cvt_f64_f32_e32 v[108:109], v108
	v_lshl_add_u64 v[110:111], v[128:129], 3, v[104:105]
	flat_store_dwordx2 v[110:111], v[108:109]
	s_mov_b64 s[2:3], -1
	v_max_f32_e32 v109, v112, v112
	s_mov_b64 vcc, s[8:9]
	s_cbranch_vccz .LBB119_101
; %bb.100:
	v_min_f32_e32 v108, 0, v109
	v_cvt_f64_f32_e32 v[110:111], v108
	v_lshl_add_u64 v[112:113], v[138:139], 3, v[104:105]
	flat_store_dwordx2 v[112:113], v[110:111]
	s_mov_b64 s[2:3], 0
.LBB119_101:
	s_andn2_b64 vcc, exec, s[2:3]
	v_mov_b32_e32 v108, 0
	s_cbranch_vccnz .LBB119_103
; %bb.102:
	v_lshl_add_u64 v[110:111], v[106:107], 0, v[144:145]
	flat_load_dwordx2 v[110:111], v[110:111]
	v_lshl_add_u64 v[112:113], v[104:105], 0, v[144:145]
	s_waitcnt vmcnt(0) lgkmcnt(0)
	v_mul_f64 v[110:111], s[10:11], v[110:111]
	v_cvt_f32_f64_e32 v108, v[110:111]
	v_min_f32_e32 v108, v108, v109
	v_cvt_f64_f32_e32 v[108:109], v108
	flat_store_dwordx2 v[112:113], v[108:109]
	v_lshl_add_u64 v[108:109], v[130:131], 3, v[106:107]
	flat_load_dwordx2 v[108:109], v[108:109]
	s_waitcnt vmcnt(0) lgkmcnt(0)
	v_mul_f64 v[108:109], s[10:11], v[108:109]
	v_cvt_f32_f64_e32 v108, v[108:109]
.LBB119_103:
	v_add_f64 v[110:111], v[46:47], v[102:103]
	v_add_f64 v[112:113], v[44:45], v[100:101]
	v_cvt_f32_f64_e32 v109, v[112:113]
	v_cvt_f32_f64_e32 v110, v[110:111]
	v_min3_f32 v109, v109, v110, v197
	v_add_f64 v[110:111], v[42:43], v[102:103]
	v_add_f64 v[112:113], v[40:41], v[100:101]
	v_cvt_f32_f64_e32 v112, v[112:113]
	v_cvt_f32_f64_e32 v110, v[110:111]
	v_min3_f32 v114, v112, v110, v196
	v_add_f64 v[110:111], v[38:39], v[98:99]
	v_add_f64 v[112:113], v[36:37], v[96:97]
	v_cvt_f32_f64_e32 v112, v[112:113]
	v_cvt_f32_f64_e32 v110, v[110:111]
	v_min_f32_e32 v115, v112, v110
	v_add_f64 v[110:111], v[34:35], v[98:99]
	v_add_f64 v[112:113], v[32:33], v[96:97]
	v_cvt_f32_f64_e32 v112, v[112:113]
	v_cvt_f32_f64_e32 v110, v[110:111]
	v_min3_f32 v108, v108, v115, v109
	v_min3_f32 v112, v112, v110, v114
	v_cvt_f64_f32_e32 v[108:109], v108
	v_lshl_add_u64 v[110:111], v[130:131], 3, v[104:105]
	flat_store_dwordx2 v[110:111], v[108:109]
	s_mov_b64 s[2:3], -1
	v_max_f32_e32 v109, v112, v112
	s_mov_b64 vcc, s[8:9]
	s_cbranch_vccz .LBB119_105
; %bb.104:
	v_min_f32_e32 v108, 0, v109
	v_cvt_f64_f32_e32 v[110:111], v108
	v_lshl_add_u64 v[112:113], v[142:143], 3, v[104:105]
	flat_store_dwordx2 v[112:113], v[110:111]
	s_mov_b64 s[2:3], 0
.LBB119_105:
	;; [unrolled: 54-line block ×3, first 2 shown]
	s_andn2_b64 vcc, exec, s[2:3]
	v_mov_b32_e32 v108, 0
	s_cbranch_vccnz .LBB119_111
; %bb.110:
	v_lshl_add_u64 v[110:111], v[106:107], 0, v[150:151]
	flat_load_dwordx2 v[110:111], v[110:111]
	v_lshl_add_u64 v[112:113], v[104:105], 0, v[150:151]
	v_lshl_add_u64 v[106:107], v[134:135], 3, v[106:107]
	s_waitcnt vmcnt(0) lgkmcnt(0)
	v_mul_f64 v[110:111], s[10:11], v[110:111]
	v_cvt_f32_f64_e32 v108, v[110:111]
	v_min_f32_e32 v108, v108, v109
	v_cvt_f64_f32_e32 v[108:109], v108
	flat_store_dwordx2 v[112:113], v[108:109]
	flat_load_dwordx2 v[106:107], v[106:107]
	s_waitcnt vmcnt(0) lgkmcnt(0)
	v_mul_f64 v[106:107], s[10:11], v[106:107]
	v_cvt_f32_f64_e32 v108, v[106:107]
.LBB119_111:
	v_add_f64 v[102:103], v[2:3], v[102:103]
	v_add_f64 v[100:101], v[0:1], v[100:101]
	v_cvt_f32_f64_e32 v100, v[100:101]
	v_cvt_f32_f64_e32 v101, v[102:103]
	v_add_f64 v[98:99], v[10:11], v[98:99]
	v_add_f64 v[96:97], v[8:9], v[96:97]
	v_min3_f32 v106, v100, v101, v193
	v_add_f64 v[100:101], v[70:71], v[94:95]
	v_add_f64 v[102:103], v[68:69], v[92:93]
	v_cvt_f32_f64_e32 v96, v[96:97]
	v_cvt_f32_f64_e32 v97, v[98:99]
	;; [unrolled: 1-line block ×4, first 2 shown]
	v_min_f32_e32 v101, v96, v97
	v_add_f64 v[96:97], v[66:67], v[90:91]
	v_add_f64 v[98:99], v[64:65], v[88:89]
	v_min3_f32 v100, v102, v100, v192
	v_cvt_f32_f64_e32 v98, v[98:99]
	v_cvt_f32_f64_e32 v96, v[96:97]
	v_min3_f32 v100, v98, v96, v100
	v_min3_f32 v96, v108, v101, v106
	v_cvt_f64_f32_e32 v[96:97], v96
	v_lshl_add_u64 v[98:99], v[134:135], 3, v[104:105]
	flat_store_dwordx2 v[98:99], v[96:97]
	v_add_u32_e32 v98, 0x80, v156
	v_mad_i64_i32 v[96:97], s[2:3], v98, s5, 0
	v_mad_i64_i32 v[98:99], s[2:3], v98, s4, 0
	v_lshl_add_u64 v[96:97], v[96:97], 3, s[0:1]
	s_mov_b64 s[2:3], -1
	v_max_f32_e32 v101, v100, v100
	s_mov_b64 vcc, s[8:9]
	s_cbranch_vccz .LBB119_113
; %bb.112:
	v_min_f32_e32 v100, 0, v101
	v_cvt_f64_f32_e32 v[102:103], v100
	v_lshl_add_u64 v[104:105], v[136:137], 3, v[96:97]
	flat_store_dwordx2 v[104:105], v[102:103]
	s_mov_b64 s[2:3], 0
.LBB119_113:
	v_lshl_add_u64 v[98:99], v[98:99], 3, s[14:15]
	s_andn2_b64 vcc, exec, s[2:3]
	v_mov_b32_e32 v100, 0
	s_cbranch_vccnz .LBB119_115
; %bb.114:
	v_lshl_add_u64 v[102:103], v[98:99], 0, v[140:141]
	flat_load_dwordx2 v[102:103], v[102:103]
	v_lshl_add_u64 v[104:105], v[96:97], 0, v[140:141]
	s_waitcnt vmcnt(0) lgkmcnt(0)
	v_mul_f64 v[102:103], s[10:11], v[102:103]
	v_cvt_f32_f64_e32 v100, v[102:103]
	v_min_f32_e32 v100, v100, v101
	v_cvt_f64_f32_e32 v[100:101], v100
	flat_store_dwordx2 v[104:105], v[100:101]
	v_lshl_add_u64 v[100:101], v[128:129], 3, v[98:99]
	flat_load_dwordx2 v[100:101], v[100:101]
	s_waitcnt vmcnt(0) lgkmcnt(0)
	v_mul_f64 v[100:101], s[10:11], v[100:101]
	v_cvt_f32_f64_e32 v100, v[100:101]
.LBB119_115:
	v_add_f64 v[102:103], v[62:63], v[94:95]
	v_add_f64 v[104:105], v[60:61], v[92:93]
	v_cvt_f32_f64_e32 v101, v[104:105]
	v_cvt_f32_f64_e32 v102, v[102:103]
	v_min3_f32 v101, v101, v102, v191
	v_add_f64 v[102:103], v[58:59], v[94:95]
	v_add_f64 v[104:105], v[56:57], v[92:93]
	v_cvt_f32_f64_e32 v104, v[104:105]
	v_cvt_f32_f64_e32 v102, v[102:103]
	v_min3_f32 v106, v104, v102, v190
	v_add_f64 v[102:103], v[54:55], v[90:91]
	v_add_f64 v[104:105], v[52:53], v[88:89]
	v_cvt_f32_f64_e32 v104, v[104:105]
	v_cvt_f32_f64_e32 v102, v[102:103]
	v_min_f32_e32 v107, v104, v102
	v_add_f64 v[102:103], v[50:51], v[90:91]
	v_add_f64 v[104:105], v[48:49], v[88:89]
	v_cvt_f32_f64_e32 v104, v[104:105]
	v_cvt_f32_f64_e32 v102, v[102:103]
	v_min3_f32 v100, v100, v107, v101
	v_min3_f32 v104, v104, v102, v106
	v_cvt_f64_f32_e32 v[100:101], v100
	v_lshl_add_u64 v[102:103], v[128:129], 3, v[96:97]
	flat_store_dwordx2 v[102:103], v[100:101]
	s_mov_b64 s[2:3], -1
	v_max_f32_e32 v101, v104, v104
	s_mov_b64 vcc, s[8:9]
	s_cbranch_vccz .LBB119_117
; %bb.116:
	v_min_f32_e32 v100, 0, v101
	v_cvt_f64_f32_e32 v[102:103], v100
	v_lshl_add_u64 v[104:105], v[138:139], 3, v[96:97]
	flat_store_dwordx2 v[104:105], v[102:103]
	s_mov_b64 s[2:3], 0
.LBB119_117:
	s_andn2_b64 vcc, exec, s[2:3]
	v_mov_b32_e32 v100, 0
	s_cbranch_vccnz .LBB119_119
; %bb.118:
	v_lshl_add_u64 v[102:103], v[98:99], 0, v[144:145]
	flat_load_dwordx2 v[102:103], v[102:103]
	v_lshl_add_u64 v[104:105], v[96:97], 0, v[144:145]
	s_waitcnt vmcnt(0) lgkmcnt(0)
	v_mul_f64 v[102:103], s[10:11], v[102:103]
	v_cvt_f32_f64_e32 v100, v[102:103]
	v_min_f32_e32 v100, v100, v101
	v_cvt_f64_f32_e32 v[100:101], v100
	flat_store_dwordx2 v[104:105], v[100:101]
	v_lshl_add_u64 v[100:101], v[130:131], 3, v[98:99]
	flat_load_dwordx2 v[100:101], v[100:101]
	s_waitcnt vmcnt(0) lgkmcnt(0)
	v_mul_f64 v[100:101], s[10:11], v[100:101]
	v_cvt_f32_f64_e32 v100, v[100:101]
.LBB119_119:
	v_add_f64 v[102:103], v[46:47], v[94:95]
	v_add_f64 v[104:105], v[44:45], v[92:93]
	v_cvt_f32_f64_e32 v101, v[104:105]
	v_cvt_f32_f64_e32 v102, v[102:103]
	v_min3_f32 v101, v101, v102, v189
	v_add_f64 v[102:103], v[42:43], v[94:95]
	v_add_f64 v[104:105], v[40:41], v[92:93]
	v_cvt_f32_f64_e32 v104, v[104:105]
	v_cvt_f32_f64_e32 v102, v[102:103]
	v_min3_f32 v106, v104, v102, v188
	v_add_f64 v[102:103], v[38:39], v[90:91]
	v_add_f64 v[104:105], v[36:37], v[88:89]
	v_cvt_f32_f64_e32 v104, v[104:105]
	v_cvt_f32_f64_e32 v102, v[102:103]
	v_min_f32_e32 v107, v104, v102
	v_add_f64 v[102:103], v[34:35], v[90:91]
	v_add_f64 v[104:105], v[32:33], v[88:89]
	v_cvt_f32_f64_e32 v104, v[104:105]
	v_cvt_f32_f64_e32 v102, v[102:103]
	v_min3_f32 v100, v100, v107, v101
	v_min3_f32 v104, v104, v102, v106
	v_cvt_f64_f32_e32 v[100:101], v100
	v_lshl_add_u64 v[102:103], v[130:131], 3, v[96:97]
	flat_store_dwordx2 v[102:103], v[100:101]
	s_mov_b64 s[2:3], -1
	v_max_f32_e32 v101, v104, v104
	s_mov_b64 vcc, s[8:9]
	s_cbranch_vccz .LBB119_121
; %bb.120:
	v_min_f32_e32 v100, 0, v101
	v_cvt_f64_f32_e32 v[102:103], v100
	v_lshl_add_u64 v[104:105], v[142:143], 3, v[96:97]
	flat_store_dwordx2 v[104:105], v[102:103]
	s_mov_b64 s[2:3], 0
.LBB119_121:
	;; [unrolled: 54-line block ×3, first 2 shown]
	s_andn2_b64 vcc, exec, s[2:3]
	v_mov_b32_e32 v100, 0
	s_cbranch_vccnz .LBB119_127
; %bb.126:
	v_lshl_add_u64 v[102:103], v[98:99], 0, v[150:151]
	flat_load_dwordx2 v[102:103], v[102:103]
	v_lshl_add_u64 v[104:105], v[96:97], 0, v[150:151]
	v_lshl_add_u64 v[98:99], v[134:135], 3, v[98:99]
	s_waitcnt vmcnt(0) lgkmcnt(0)
	v_mul_f64 v[102:103], s[10:11], v[102:103]
	v_cvt_f32_f64_e32 v100, v[102:103]
	v_min_f32_e32 v100, v100, v101
	v_cvt_f64_f32_e32 v[100:101], v100
	flat_store_dwordx2 v[104:105], v[100:101]
	flat_load_dwordx2 v[98:99], v[98:99]
	s_waitcnt vmcnt(0) lgkmcnt(0)
	v_mul_f64 v[98:99], s[10:11], v[98:99]
	v_cvt_f32_f64_e32 v100, v[98:99]
.LBB119_127:
	v_add_f64 v[94:95], v[2:3], v[94:95]
	v_add_f64 v[92:93], v[0:1], v[92:93]
	v_cvt_f32_f64_e32 v92, v[92:93]
	v_cvt_f32_f64_e32 v93, v[94:95]
	v_add_f64 v[90:91], v[10:11], v[90:91]
	v_add_f64 v[88:89], v[8:9], v[88:89]
	v_min3_f32 v98, v92, v93, v185
	v_add_f64 v[92:93], v[70:71], v[86:87]
	v_add_f64 v[94:95], v[68:69], v[84:85]
	v_cvt_f32_f64_e32 v88, v[88:89]
	v_cvt_f32_f64_e32 v89, v[90:91]
	;; [unrolled: 1-line block ×4, first 2 shown]
	v_min_f32_e32 v93, v88, v89
	v_add_f64 v[88:89], v[66:67], v[82:83]
	v_add_f64 v[90:91], v[64:65], v[80:81]
	v_min3_f32 v92, v94, v92, v184
	v_cvt_f32_f64_e32 v90, v[90:91]
	v_cvt_f32_f64_e32 v88, v[88:89]
	v_min3_f32 v92, v90, v88, v92
	v_min3_f32 v88, v100, v93, v98
	v_cvt_f64_f32_e32 v[88:89], v88
	v_lshl_add_u64 v[90:91], v[134:135], 3, v[96:97]
	flat_store_dwordx2 v[90:91], v[88:89]
	v_add_u32_e32 v90, 0xa0, v156
	v_mad_i64_i32 v[88:89], s[2:3], v90, s5, 0
	v_mad_i64_i32 v[90:91], s[2:3], v90, s4, 0
	v_lshl_add_u64 v[88:89], v[88:89], 3, s[0:1]
	s_mov_b64 s[2:3], -1
	v_max_f32_e32 v93, v92, v92
	s_mov_b64 vcc, s[8:9]
	s_cbranch_vccz .LBB119_129
; %bb.128:
	v_min_f32_e32 v92, 0, v93
	v_cvt_f64_f32_e32 v[94:95], v92
	v_lshl_add_u64 v[96:97], v[136:137], 3, v[88:89]
	flat_store_dwordx2 v[96:97], v[94:95]
	s_mov_b64 s[2:3], 0
.LBB119_129:
	v_lshl_add_u64 v[90:91], v[90:91], 3, s[14:15]
	s_andn2_b64 vcc, exec, s[2:3]
	v_mov_b32_e32 v92, 0
	s_cbranch_vccnz .LBB119_131
; %bb.130:
	v_lshl_add_u64 v[94:95], v[90:91], 0, v[140:141]
	flat_load_dwordx2 v[94:95], v[94:95]
	v_lshl_add_u64 v[96:97], v[88:89], 0, v[140:141]
	s_waitcnt vmcnt(0) lgkmcnt(0)
	v_mul_f64 v[94:95], s[10:11], v[94:95]
	v_cvt_f32_f64_e32 v92, v[94:95]
	v_min_f32_e32 v92, v92, v93
	v_cvt_f64_f32_e32 v[92:93], v92
	flat_store_dwordx2 v[96:97], v[92:93]
	v_lshl_add_u64 v[92:93], v[128:129], 3, v[90:91]
	flat_load_dwordx2 v[92:93], v[92:93]
	s_waitcnt vmcnt(0) lgkmcnt(0)
	v_mul_f64 v[92:93], s[10:11], v[92:93]
	v_cvt_f32_f64_e32 v92, v[92:93]
.LBB119_131:
	v_add_f64 v[94:95], v[62:63], v[86:87]
	v_add_f64 v[96:97], v[60:61], v[84:85]
	v_cvt_f32_f64_e32 v93, v[96:97]
	v_cvt_f32_f64_e32 v94, v[94:95]
	v_min3_f32 v93, v93, v94, v183
	v_add_f64 v[94:95], v[58:59], v[86:87]
	v_add_f64 v[96:97], v[56:57], v[84:85]
	v_cvt_f32_f64_e32 v96, v[96:97]
	v_cvt_f32_f64_e32 v94, v[94:95]
	v_min3_f32 v98, v96, v94, v182
	v_add_f64 v[94:95], v[54:55], v[82:83]
	v_add_f64 v[96:97], v[52:53], v[80:81]
	v_cvt_f32_f64_e32 v96, v[96:97]
	v_cvt_f32_f64_e32 v94, v[94:95]
	v_min_f32_e32 v99, v96, v94
	v_add_f64 v[94:95], v[50:51], v[82:83]
	v_add_f64 v[96:97], v[48:49], v[80:81]
	v_cvt_f32_f64_e32 v96, v[96:97]
	v_cvt_f32_f64_e32 v94, v[94:95]
	v_min3_f32 v92, v92, v99, v93
	v_min3_f32 v96, v96, v94, v98
	v_cvt_f64_f32_e32 v[92:93], v92
	v_lshl_add_u64 v[94:95], v[128:129], 3, v[88:89]
	flat_store_dwordx2 v[94:95], v[92:93]
	s_mov_b64 s[2:3], -1
	v_max_f32_e32 v93, v96, v96
	s_mov_b64 vcc, s[8:9]
	s_cbranch_vccz .LBB119_133
; %bb.132:
	v_min_f32_e32 v92, 0, v93
	v_cvt_f64_f32_e32 v[94:95], v92
	v_lshl_add_u64 v[96:97], v[138:139], 3, v[88:89]
	flat_store_dwordx2 v[96:97], v[94:95]
	s_mov_b64 s[2:3], 0
.LBB119_133:
	s_andn2_b64 vcc, exec, s[2:3]
	v_mov_b32_e32 v92, 0
	s_cbranch_vccnz .LBB119_135
; %bb.134:
	v_lshl_add_u64 v[94:95], v[90:91], 0, v[144:145]
	flat_load_dwordx2 v[94:95], v[94:95]
	v_lshl_add_u64 v[96:97], v[88:89], 0, v[144:145]
	s_waitcnt vmcnt(0) lgkmcnt(0)
	v_mul_f64 v[94:95], s[10:11], v[94:95]
	v_cvt_f32_f64_e32 v92, v[94:95]
	v_min_f32_e32 v92, v92, v93
	v_cvt_f64_f32_e32 v[92:93], v92
	flat_store_dwordx2 v[96:97], v[92:93]
	v_lshl_add_u64 v[92:93], v[130:131], 3, v[90:91]
	flat_load_dwordx2 v[92:93], v[92:93]
	s_waitcnt vmcnt(0) lgkmcnt(0)
	v_mul_f64 v[92:93], s[10:11], v[92:93]
	v_cvt_f32_f64_e32 v92, v[92:93]
.LBB119_135:
	v_add_f64 v[94:95], v[46:47], v[86:87]
	v_add_f64 v[96:97], v[44:45], v[84:85]
	v_cvt_f32_f64_e32 v93, v[96:97]
	v_cvt_f32_f64_e32 v94, v[94:95]
	v_min3_f32 v93, v93, v94, v181
	v_add_f64 v[94:95], v[42:43], v[86:87]
	v_add_f64 v[96:97], v[40:41], v[84:85]
	v_cvt_f32_f64_e32 v96, v[96:97]
	v_cvt_f32_f64_e32 v94, v[94:95]
	v_min3_f32 v98, v96, v94, v180
	v_add_f64 v[94:95], v[38:39], v[82:83]
	v_add_f64 v[96:97], v[36:37], v[80:81]
	v_cvt_f32_f64_e32 v96, v[96:97]
	v_cvt_f32_f64_e32 v94, v[94:95]
	v_min_f32_e32 v99, v96, v94
	v_add_f64 v[94:95], v[34:35], v[82:83]
	v_add_f64 v[96:97], v[32:33], v[80:81]
	v_cvt_f32_f64_e32 v96, v[96:97]
	v_cvt_f32_f64_e32 v94, v[94:95]
	v_min3_f32 v92, v92, v99, v93
	v_min3_f32 v96, v96, v94, v98
	v_cvt_f64_f32_e32 v[92:93], v92
	v_lshl_add_u64 v[94:95], v[130:131], 3, v[88:89]
	flat_store_dwordx2 v[94:95], v[92:93]
	s_mov_b64 s[2:3], -1
	v_max_f32_e32 v93, v96, v96
	s_mov_b64 vcc, s[8:9]
	s_cbranch_vccz .LBB119_137
; %bb.136:
	v_min_f32_e32 v92, 0, v93
	v_cvt_f64_f32_e32 v[94:95], v92
	v_lshl_add_u64 v[96:97], v[142:143], 3, v[88:89]
	flat_store_dwordx2 v[96:97], v[94:95]
	s_mov_b64 s[2:3], 0
.LBB119_137:
	s_andn2_b64 vcc, exec, s[2:3]
	v_mov_b32_e32 v92, 0
	s_cbranch_vccnz .LBB119_139
; %bb.138:
	v_lshl_add_u64 v[94:95], v[90:91], 0, v[148:149]
	flat_load_dwordx2 v[94:95], v[94:95]
	v_lshl_add_u64 v[96:97], v[88:89], 0, v[148:149]
	s_waitcnt vmcnt(0) lgkmcnt(0)
	v_mul_f64 v[94:95], s[10:11], v[94:95]
	v_cvt_f32_f64_e32 v92, v[94:95]
	v_min_f32_e32 v92, v92, v93
	v_cvt_f64_f32_e32 v[92:93], v92
	flat_store_dwordx2 v[96:97], v[92:93]
	v_lshl_add_u64 v[92:93], v[132:133], 3, v[90:91]
	flat_load_dwordx2 v[92:93], v[92:93]
	s_waitcnt vmcnt(0) lgkmcnt(0)
	v_mul_f64 v[92:93], s[10:11], v[92:93]
	v_cvt_f32_f64_e32 v92, v[92:93]
.LBB119_139:
	v_add_f64 v[94:95], v[30:31], v[86:87]
	v_add_f64 v[96:97], v[28:29], v[84:85]
	v_cvt_f32_f64_e32 v93, v[96:97]
	v_cvt_f32_f64_e32 v94, v[94:95]
	v_min3_f32 v93, v93, v94, v179
	v_add_f64 v[94:95], v[26:27], v[86:87]
	v_add_f64 v[96:97], v[24:25], v[84:85]
	v_cvt_f32_f64_e32 v96, v[96:97]
	v_cvt_f32_f64_e32 v94, v[94:95]
	v_min3_f32 v98, v96, v94, v178
	v_add_f64 v[94:95], v[22:23], v[82:83]
	v_add_f64 v[96:97], v[20:21], v[80:81]
	v_cvt_f32_f64_e32 v96, v[96:97]
	v_cvt_f32_f64_e32 v94, v[94:95]
	v_min_f32_e32 v99, v96, v94
	v_add_f64 v[94:95], v[18:19], v[82:83]
	v_add_f64 v[96:97], v[16:17], v[80:81]
	v_cvt_f32_f64_e32 v96, v[96:97]
	v_cvt_f32_f64_e32 v94, v[94:95]
	v_min3_f32 v92, v92, v99, v93
	v_min3_f32 v96, v96, v94, v98
	v_cvt_f64_f32_e32 v[92:93], v92
	v_lshl_add_u64 v[94:95], v[132:133], 3, v[88:89]
	flat_store_dwordx2 v[94:95], v[92:93]
	s_mov_b64 s[2:3], -1
	v_max_f32_e32 v93, v96, v96
	s_mov_b64 vcc, s[8:9]
	s_cbranch_vccz .LBB119_141
; %bb.140:
	v_min_f32_e32 v92, 0, v93
	v_cvt_f64_f32_e32 v[94:95], v92
	v_lshl_add_u64 v[96:97], v[146:147], 3, v[88:89]
	flat_store_dwordx2 v[96:97], v[94:95]
	s_mov_b64 s[2:3], 0
.LBB119_141:
	s_andn2_b64 vcc, exec, s[2:3]
	v_mov_b32_e32 v92, 0
	s_cbranch_vccnz .LBB119_143
; %bb.142:
	v_lshl_add_u64 v[94:95], v[90:91], 0, v[150:151]
	flat_load_dwordx2 v[94:95], v[94:95]
	v_lshl_add_u64 v[96:97], v[88:89], 0, v[150:151]
	v_lshl_add_u64 v[90:91], v[134:135], 3, v[90:91]
	s_waitcnt vmcnt(0) lgkmcnt(0)
	v_mul_f64 v[94:95], s[10:11], v[94:95]
	v_cvt_f32_f64_e32 v92, v[94:95]
	v_min_f32_e32 v92, v92, v93
	v_cvt_f64_f32_e32 v[92:93], v92
	flat_store_dwordx2 v[96:97], v[92:93]
	flat_load_dwordx2 v[90:91], v[90:91]
	s_waitcnt vmcnt(0) lgkmcnt(0)
	v_mul_f64 v[90:91], s[10:11], v[90:91]
	v_cvt_f32_f64_e32 v92, v[90:91]
.LBB119_143:
	v_add_f64 v[86:87], v[2:3], v[86:87]
	v_add_f64 v[84:85], v[0:1], v[84:85]
	v_cvt_f32_f64_e32 v84, v[84:85]
	v_cvt_f32_f64_e32 v85, v[86:87]
	v_add_f64 v[82:83], v[10:11], v[82:83]
	v_add_f64 v[80:81], v[8:9], v[80:81]
	v_min3_f32 v90, v84, v85, v177
	v_add_f64 v[84:85], v[70:71], v[78:79]
	v_add_f64 v[86:87], v[68:69], v[76:77]
	v_cvt_f32_f64_e32 v80, v[80:81]
	v_cvt_f32_f64_e32 v81, v[82:83]
	;; [unrolled: 1-line block ×4, first 2 shown]
	v_min_f32_e32 v85, v80, v81
	v_add_f64 v[80:81], v[66:67], v[74:75]
	v_add_f64 v[82:83], v[64:65], v[72:73]
	v_min3_f32 v84, v86, v84, v176
	v_cvt_f32_f64_e32 v82, v[82:83]
	v_cvt_f32_f64_e32 v80, v[80:81]
	v_min3_f32 v84, v82, v80, v84
	v_min3_f32 v80, v92, v85, v90
	v_cvt_f64_f32_e32 v[80:81], v80
	v_lshl_add_u64 v[82:83], v[134:135], 3, v[88:89]
	flat_store_dwordx2 v[82:83], v[80:81]
	v_add_u32_e32 v82, 0xc0, v156
	v_mad_i64_i32 v[80:81], s[2:3], v82, s5, 0
	v_mad_i64_i32 v[82:83], s[2:3], v82, s4, 0
	v_lshl_add_u64 v[80:81], v[80:81], 3, s[0:1]
	s_mov_b64 s[2:3], -1
	v_max_f32_e32 v85, v84, v84
	s_mov_b64 vcc, s[8:9]
	s_cbranch_vccz .LBB119_145
; %bb.144:
	v_min_f32_e32 v84, 0, v85
	v_cvt_f64_f32_e32 v[86:87], v84
	v_lshl_add_u64 v[88:89], v[136:137], 3, v[80:81]
	flat_store_dwordx2 v[88:89], v[86:87]
	s_mov_b64 s[2:3], 0
.LBB119_145:
	v_lshl_add_u64 v[82:83], v[82:83], 3, s[14:15]
	s_andn2_b64 vcc, exec, s[2:3]
	v_mov_b32_e32 v84, 0
	s_cbranch_vccnz .LBB119_147
; %bb.146:
	v_lshl_add_u64 v[86:87], v[82:83], 0, v[140:141]
	flat_load_dwordx2 v[86:87], v[86:87]
	v_lshl_add_u64 v[88:89], v[80:81], 0, v[140:141]
	s_waitcnt vmcnt(0) lgkmcnt(0)
	v_mul_f64 v[86:87], s[10:11], v[86:87]
	v_cvt_f32_f64_e32 v84, v[86:87]
	v_min_f32_e32 v84, v84, v85
	v_cvt_f64_f32_e32 v[84:85], v84
	flat_store_dwordx2 v[88:89], v[84:85]
	v_lshl_add_u64 v[84:85], v[128:129], 3, v[82:83]
	flat_load_dwordx2 v[84:85], v[84:85]
	s_waitcnt vmcnt(0) lgkmcnt(0)
	v_mul_f64 v[84:85], s[10:11], v[84:85]
	v_cvt_f32_f64_e32 v84, v[84:85]
.LBB119_147:
	v_add_f64 v[86:87], v[62:63], v[78:79]
	v_add_f64 v[88:89], v[60:61], v[76:77]
	v_cvt_f32_f64_e32 v85, v[88:89]
	v_cvt_f32_f64_e32 v86, v[86:87]
	v_min3_f32 v85, v85, v86, v175
	v_add_f64 v[86:87], v[58:59], v[78:79]
	v_add_f64 v[88:89], v[56:57], v[76:77]
	v_cvt_f32_f64_e32 v88, v[88:89]
	v_cvt_f32_f64_e32 v86, v[86:87]
	v_min3_f32 v90, v88, v86, v174
	v_add_f64 v[86:87], v[54:55], v[74:75]
	v_add_f64 v[88:89], v[52:53], v[72:73]
	v_cvt_f32_f64_e32 v88, v[88:89]
	v_cvt_f32_f64_e32 v86, v[86:87]
	v_min_f32_e32 v91, v88, v86
	v_add_f64 v[86:87], v[50:51], v[74:75]
	v_add_f64 v[88:89], v[48:49], v[72:73]
	v_cvt_f32_f64_e32 v88, v[88:89]
	v_cvt_f32_f64_e32 v86, v[86:87]
	v_min3_f32 v84, v84, v91, v85
	v_min3_f32 v88, v88, v86, v90
	v_cvt_f64_f32_e32 v[84:85], v84
	v_lshl_add_u64 v[86:87], v[128:129], 3, v[80:81]
	flat_store_dwordx2 v[86:87], v[84:85]
	s_mov_b64 s[2:3], -1
	v_max_f32_e32 v85, v88, v88
	s_mov_b64 vcc, s[8:9]
	s_cbranch_vccz .LBB119_149
; %bb.148:
	v_min_f32_e32 v84, 0, v85
	v_cvt_f64_f32_e32 v[86:87], v84
	v_lshl_add_u64 v[88:89], v[138:139], 3, v[80:81]
	flat_store_dwordx2 v[88:89], v[86:87]
	s_mov_b64 s[2:3], 0
.LBB119_149:
	s_andn2_b64 vcc, exec, s[2:3]
	v_mov_b32_e32 v84, 0
	s_cbranch_vccnz .LBB119_151
; %bb.150:
	v_lshl_add_u64 v[86:87], v[82:83], 0, v[144:145]
	flat_load_dwordx2 v[86:87], v[86:87]
	v_lshl_add_u64 v[88:89], v[80:81], 0, v[144:145]
	s_waitcnt vmcnt(0) lgkmcnt(0)
	v_mul_f64 v[86:87], s[10:11], v[86:87]
	v_cvt_f32_f64_e32 v84, v[86:87]
	v_min_f32_e32 v84, v84, v85
	v_cvt_f64_f32_e32 v[84:85], v84
	flat_store_dwordx2 v[88:89], v[84:85]
	v_lshl_add_u64 v[84:85], v[130:131], 3, v[82:83]
	flat_load_dwordx2 v[84:85], v[84:85]
	s_waitcnt vmcnt(0) lgkmcnt(0)
	v_mul_f64 v[84:85], s[10:11], v[84:85]
	v_cvt_f32_f64_e32 v84, v[84:85]
.LBB119_151:
	v_add_f64 v[86:87], v[46:47], v[78:79]
	v_add_f64 v[88:89], v[44:45], v[76:77]
	v_cvt_f32_f64_e32 v85, v[88:89]
	v_cvt_f32_f64_e32 v86, v[86:87]
	v_min3_f32 v85, v85, v86, v173
	v_add_f64 v[86:87], v[42:43], v[78:79]
	v_add_f64 v[88:89], v[40:41], v[76:77]
	v_cvt_f32_f64_e32 v88, v[88:89]
	v_cvt_f32_f64_e32 v86, v[86:87]
	v_min3_f32 v90, v88, v86, v172
	v_add_f64 v[86:87], v[38:39], v[74:75]
	v_add_f64 v[88:89], v[36:37], v[72:73]
	v_cvt_f32_f64_e32 v88, v[88:89]
	v_cvt_f32_f64_e32 v86, v[86:87]
	v_min_f32_e32 v91, v88, v86
	v_add_f64 v[86:87], v[34:35], v[74:75]
	v_add_f64 v[88:89], v[32:33], v[72:73]
	v_cvt_f32_f64_e32 v88, v[88:89]
	v_cvt_f32_f64_e32 v86, v[86:87]
	v_min3_f32 v84, v84, v91, v85
	v_min3_f32 v88, v88, v86, v90
	v_cvt_f64_f32_e32 v[84:85], v84
	v_lshl_add_u64 v[86:87], v[130:131], 3, v[80:81]
	flat_store_dwordx2 v[86:87], v[84:85]
	s_mov_b64 s[2:3], -1
	v_max_f32_e32 v85, v88, v88
	s_mov_b64 vcc, s[8:9]
	s_cbranch_vccz .LBB119_153
; %bb.152:
	v_min_f32_e32 v84, 0, v85
	v_cvt_f64_f32_e32 v[86:87], v84
	v_lshl_add_u64 v[88:89], v[142:143], 3, v[80:81]
	flat_store_dwordx2 v[88:89], v[86:87]
	s_mov_b64 s[2:3], 0
.LBB119_153:
	;; [unrolled: 54-line block ×3, first 2 shown]
	s_andn2_b64 vcc, exec, s[2:3]
	v_mov_b32_e32 v84, 0
	s_cbranch_vccnz .LBB119_159
; %bb.158:
	v_lshl_add_u64 v[86:87], v[82:83], 0, v[150:151]
	flat_load_dwordx2 v[86:87], v[86:87]
	v_lshl_add_u64 v[88:89], v[80:81], 0, v[150:151]
	v_lshl_add_u64 v[82:83], v[134:135], 3, v[82:83]
	s_waitcnt vmcnt(0) lgkmcnt(0)
	v_mul_f64 v[86:87], s[10:11], v[86:87]
	v_cvt_f32_f64_e32 v84, v[86:87]
	v_min_f32_e32 v84, v84, v85
	v_cvt_f64_f32_e32 v[84:85], v84
	flat_store_dwordx2 v[88:89], v[84:85]
	flat_load_dwordx2 v[82:83], v[82:83]
	s_waitcnt vmcnt(0) lgkmcnt(0)
	v_mul_f64 v[82:83], s[10:11], v[82:83]
	v_cvt_f32_f64_e32 v84, v[82:83]
.LBB119_159:
	v_add_f64 v[78:79], v[2:3], v[78:79]
	v_add_f64 v[76:77], v[0:1], v[76:77]
	;; [unrolled: 1-line block ×4, first 2 shown]
	v_cvt_f32_f64_e32 v76, v[76:77]
	v_cvt_f32_f64_e32 v77, v[78:79]
	;; [unrolled: 1-line block ×4, first 2 shown]
	v_min3_f32 v76, v76, v77, v169
	v_min3_f32 v77, v68, v69, v168
	v_add_f64 v[68:69], v[10:11], v[74:75]
	v_add_f64 v[70:71], v[8:9], v[72:73]
	v_cvt_f32_f64_e32 v70, v[70:71]
	v_cvt_f32_f64_e32 v68, v[68:69]
	v_add_f64 v[66:67], v[66:67], v[14:15]
	v_add_f64 v[64:65], v[64:65], v[12:13]
	v_min_f32_e32 v68, v70, v68
	v_cvt_f32_f64_e32 v64, v[64:65]
	v_cvt_f32_f64_e32 v65, v[66:67]
	v_min3_f32 v69, v64, v65, v77
	v_min3_f32 v64, v84, v68, v76
	v_cvt_f64_f32_e32 v[64:65], v64
	v_lshl_add_u64 v[66:67], v[134:135], 3, v[80:81]
	flat_store_dwordx2 v[66:67], v[64:65]
	v_add_u32_e32 v66, 0xe0, v156
	v_mad_i64_i32 v[64:65], s[2:3], v66, s5, 0
	v_lshl_add_u64 v[64:65], v[64:65], 3, s[0:1]
	v_mad_i64_i32 v[66:67], s[0:1], v66, s4, 0
	s_mov_b64 s[0:1], -1
	v_max_f32_e32 v69, v69, v69
	s_mov_b64 vcc, s[8:9]
	s_cbranch_vccz .LBB119_161
; %bb.160:
	v_min_f32_e32 v68, 0, v69
	v_cvt_f64_f32_e32 v[70:71], v68
	v_lshl_add_u64 v[72:73], v[136:137], 3, v[64:65]
	flat_store_dwordx2 v[72:73], v[70:71]
	s_mov_b64 s[0:1], 0
.LBB119_161:
	v_lshl_add_u64 v[66:67], v[66:67], 3, s[14:15]
	s_andn2_b64 vcc, exec, s[0:1]
	v_mov_b32_e32 v68, 0
	s_cbranch_vccnz .LBB119_163
; %bb.162:
	v_lshl_add_u64 v[70:71], v[66:67], 0, v[140:141]
	flat_load_dwordx2 v[70:71], v[70:71]
	v_lshl_add_u64 v[72:73], v[64:65], 0, v[140:141]
	s_waitcnt vmcnt(0) lgkmcnt(0)
	v_mul_f64 v[70:71], s[10:11], v[70:71]
	v_cvt_f32_f64_e32 v68, v[70:71]
	v_min_f32_e32 v68, v68, v69
	v_cvt_f64_f32_e32 v[68:69], v68
	flat_store_dwordx2 v[72:73], v[68:69]
	v_lshl_add_u64 v[68:69], v[128:129], 3, v[66:67]
	flat_load_dwordx2 v[68:69], v[68:69]
	s_waitcnt vmcnt(0) lgkmcnt(0)
	v_mul_f64 v[68:69], s[10:11], v[68:69]
	v_cvt_f32_f64_e32 v68, v[68:69]
.LBB119_163:
	v_add_f64 v[62:63], v[62:63], v[6:7]
	v_add_f64 v[60:61], v[60:61], v[4:5]
	v_add_f64 v[58:59], v[58:59], v[6:7]
	v_add_f64 v[56:57], v[56:57], v[4:5]
	v_add_f64 v[54:55], v[54:55], v[14:15]
	v_add_f64 v[52:53], v[52:53], v[12:13]
	v_cvt_f32_f64_e32 v60, v[60:61]
	v_cvt_f32_f64_e32 v61, v[62:63]
	v_cvt_f32_f64_e32 v56, v[56:57]
	v_cvt_f32_f64_e32 v57, v[58:59]
	v_cvt_f32_f64_e32 v52, v[52:53]
	v_cvt_f32_f64_e32 v53, v[54:55]
	v_add_f64 v[50:51], v[50:51], v[14:15]
	v_add_f64 v[48:49], v[48:49], v[12:13]
	v_min3_f32 v60, v60, v61, v167
	v_min3_f32 v56, v56, v57, v166
	v_min_f32_e32 v52, v52, v53
	v_cvt_f32_f64_e32 v48, v[48:49]
	v_cvt_f32_f64_e32 v49, v[50:51]
	v_min3_f32 v53, v48, v49, v56
	v_min3_f32 v48, v68, v52, v60
	v_cvt_f64_f32_e32 v[48:49], v48
	v_lshl_add_u64 v[50:51], v[128:129], 3, v[64:65]
	flat_store_dwordx2 v[50:51], v[48:49]
	s_mov_b64 s[0:1], -1
	v_max_f32_e32 v49, v53, v53
	s_mov_b64 vcc, s[8:9]
	s_cbranch_vccz .LBB119_165
; %bb.164:
	v_min_f32_e32 v48, 0, v49
	v_cvt_f64_f32_e32 v[50:51], v48
	v_lshl_add_u64 v[52:53], v[138:139], 3, v[64:65]
	flat_store_dwordx2 v[52:53], v[50:51]
	s_mov_b64 s[0:1], 0
.LBB119_165:
	s_andn2_b64 vcc, exec, s[0:1]
	v_mov_b32_e32 v48, 0
	s_cbranch_vccnz .LBB119_167
; %bb.166:
	v_lshl_add_u64 v[50:51], v[66:67], 0, v[144:145]
	flat_load_dwordx2 v[50:51], v[50:51]
	v_lshl_add_u64 v[52:53], v[64:65], 0, v[144:145]
	s_waitcnt vmcnt(0) lgkmcnt(0)
	v_mul_f64 v[50:51], s[10:11], v[50:51]
	v_cvt_f32_f64_e32 v48, v[50:51]
	v_min_f32_e32 v48, v48, v49
	v_cvt_f64_f32_e32 v[48:49], v48
	flat_store_dwordx2 v[52:53], v[48:49]
	v_lshl_add_u64 v[48:49], v[130:131], 3, v[66:67]
	flat_load_dwordx2 v[48:49], v[48:49]
	s_waitcnt vmcnt(0) lgkmcnt(0)
	v_mul_f64 v[48:49], s[10:11], v[48:49]
	v_cvt_f32_f64_e32 v48, v[48:49]
.LBB119_167:
	v_add_f64 v[46:47], v[46:47], v[6:7]
	v_add_f64 v[44:45], v[44:45], v[4:5]
	v_add_f64 v[42:43], v[42:43], v[6:7]
	v_add_f64 v[40:41], v[40:41], v[4:5]
	v_add_f64 v[38:39], v[38:39], v[14:15]
	v_add_f64 v[36:37], v[36:37], v[12:13]
	v_cvt_f32_f64_e32 v44, v[44:45]
	v_cvt_f32_f64_e32 v45, v[46:47]
	v_cvt_f32_f64_e32 v40, v[40:41]
	v_cvt_f32_f64_e32 v41, v[42:43]
	v_cvt_f32_f64_e32 v36, v[36:37]
	v_cvt_f32_f64_e32 v37, v[38:39]
	v_add_f64 v[34:35], v[34:35], v[14:15]
	v_add_f64 v[32:33], v[32:33], v[12:13]
	v_min3_f32 v44, v44, v45, v165
	v_min3_f32 v40, v40, v41, v164
	v_min_f32_e32 v36, v36, v37
	v_cvt_f32_f64_e32 v32, v[32:33]
	v_cvt_f32_f64_e32 v33, v[34:35]
	v_min3_f32 v37, v32, v33, v40
	v_min3_f32 v32, v48, v36, v44
	v_cvt_f64_f32_e32 v[32:33], v32
	v_lshl_add_u64 v[34:35], v[130:131], 3, v[64:65]
	flat_store_dwordx2 v[34:35], v[32:33]
	s_mov_b64 s[0:1], -1
	v_max_f32_e32 v33, v37, v37
	s_mov_b64 vcc, s[8:9]
	s_cbranch_vccz .LBB119_169
; %bb.168:
	v_min_f32_e32 v32, 0, v33
	v_cvt_f64_f32_e32 v[34:35], v32
	v_lshl_add_u64 v[36:37], v[142:143], 3, v[64:65]
	flat_store_dwordx2 v[36:37], v[34:35]
	s_mov_b64 s[0:1], 0
.LBB119_169:
	;; [unrolled: 54-line block ×3, first 2 shown]
	s_andn2_b64 vcc, exec, s[0:1]
	v_mov_b32_e32 v16, 0
	s_cbranch_vccnz .LBB119_175
; %bb.174:
	v_lshl_add_u64 v[18:19], v[66:67], 0, v[150:151]
	flat_load_dwordx2 v[18:19], v[18:19]
	v_lshl_add_u64 v[20:21], v[64:65], 0, v[150:151]
	s_waitcnt vmcnt(0) lgkmcnt(0)
	v_mul_f64 v[18:19], s[10:11], v[18:19]
	v_cvt_f32_f64_e32 v16, v[18:19]
	v_min_f32_e32 v16, v16, v17
	v_cvt_f64_f32_e32 v[16:17], v16
	flat_store_dwordx2 v[20:21], v[16:17]
	v_lshl_add_u64 v[16:17], v[134:135], 3, v[66:67]
	flat_load_dwordx2 v[16:17], v[16:17]
	s_waitcnt vmcnt(0) lgkmcnt(0)
	v_mul_f64 v[16:17], s[10:11], v[16:17]
	v_cvt_f32_f64_e32 v16, v[16:17]
.LBB119_175:
	v_add_f64 v[10:11], v[10:11], v[14:15]
	v_add_f64 v[8:9], v[8:9], v[12:13]
	;; [unrolled: 1-line block ×4, first 2 shown]
	v_cvt_f32_f64_e32 v8, v[8:9]
	v_cvt_f32_f64_e32 v9, v[10:11]
	;; [unrolled: 1-line block ×4, first 2 shown]
	v_min_f32_e32 v8, v8, v9
	v_min3_f32 v0, v0, v1, v160
	v_min3_f32 v0, v16, v8, v0
	v_cvt_f64_f32_e32 v[0:1], v0
	v_lshl_add_u64 v[2:3], v[134:135], 3, v[64:65]
	flat_store_dwordx2 v[2:3], v[0:1]
	s_endpgm
	.section	.rodata,"a",@progbits
	.p2align	6, 0x0
	.amdhsa_kernel _ZN12_GLOBAL__N_120geam_min_plus_kernelId15HIP_vector_typeIdLj2EEdLi8ELi32ELi64ELi256ELi4ELi64ELi4ELi64ELi4ELc78ELc84ELb0ELb0ELb1EdKPKdKPdEEviiiT16_PT17_ilSA_ilS8_SA_ilPT18_ili26rocblas_geam_ex_operation_
		.amdhsa_group_segment_fixed_size 20480
		.amdhsa_private_segment_fixed_size 0
		.amdhsa_kernarg_size 136
		.amdhsa_user_sgpr_count 2
		.amdhsa_user_sgpr_dispatch_ptr 0
		.amdhsa_user_sgpr_queue_ptr 0
		.amdhsa_user_sgpr_kernarg_segment_ptr 1
		.amdhsa_user_sgpr_dispatch_id 0
		.amdhsa_user_sgpr_kernarg_preload_length 0
		.amdhsa_user_sgpr_kernarg_preload_offset 0
		.amdhsa_user_sgpr_private_segment_size 0
		.amdhsa_uses_dynamic_stack 0
		.amdhsa_enable_private_segment 0
		.amdhsa_system_sgpr_workgroup_id_x 1
		.amdhsa_system_sgpr_workgroup_id_y 0
		.amdhsa_system_sgpr_workgroup_id_z 1
		.amdhsa_system_sgpr_workgroup_info 0
		.amdhsa_system_vgpr_workitem_id 1
		.amdhsa_next_free_vgpr 234
		.amdhsa_next_free_sgpr 36
		.amdhsa_accum_offset 236
		.amdhsa_reserve_vcc 1
		.amdhsa_float_round_mode_32 0
		.amdhsa_float_round_mode_16_64 0
		.amdhsa_float_denorm_mode_32 3
		.amdhsa_float_denorm_mode_16_64 3
		.amdhsa_dx10_clamp 1
		.amdhsa_ieee_mode 1
		.amdhsa_fp16_overflow 0
		.amdhsa_tg_split 0
		.amdhsa_exception_fp_ieee_invalid_op 0
		.amdhsa_exception_fp_denorm_src 0
		.amdhsa_exception_fp_ieee_div_zero 0
		.amdhsa_exception_fp_ieee_overflow 0
		.amdhsa_exception_fp_ieee_underflow 0
		.amdhsa_exception_fp_ieee_inexact 0
		.amdhsa_exception_int_div_zero 0
	.end_amdhsa_kernel
	.section	.text._ZN12_GLOBAL__N_120geam_min_plus_kernelId15HIP_vector_typeIdLj2EEdLi8ELi32ELi64ELi256ELi4ELi64ELi4ELi64ELi4ELc78ELc84ELb0ELb0ELb1EdKPKdKPdEEviiiT16_PT17_ilSA_ilS8_SA_ilPT18_ili26rocblas_geam_ex_operation_,"axG",@progbits,_ZN12_GLOBAL__N_120geam_min_plus_kernelId15HIP_vector_typeIdLj2EEdLi8ELi32ELi64ELi256ELi4ELi64ELi4ELi64ELi4ELc78ELc84ELb0ELb0ELb1EdKPKdKPdEEviiiT16_PT17_ilSA_ilS8_SA_ilPT18_ili26rocblas_geam_ex_operation_,comdat
.Lfunc_end119:
	.size	_ZN12_GLOBAL__N_120geam_min_plus_kernelId15HIP_vector_typeIdLj2EEdLi8ELi32ELi64ELi256ELi4ELi64ELi4ELi64ELi4ELc78ELc84ELb0ELb0ELb1EdKPKdKPdEEviiiT16_PT17_ilSA_ilS8_SA_ilPT18_ili26rocblas_geam_ex_operation_, .Lfunc_end119-_ZN12_GLOBAL__N_120geam_min_plus_kernelId15HIP_vector_typeIdLj2EEdLi8ELi32ELi64ELi256ELi4ELi64ELi4ELi64ELi4ELc78ELc84ELb0ELb0ELb1EdKPKdKPdEEviiiT16_PT17_ilSA_ilS8_SA_ilPT18_ili26rocblas_geam_ex_operation_
                                        ; -- End function
	.set _ZN12_GLOBAL__N_120geam_min_plus_kernelId15HIP_vector_typeIdLj2EEdLi8ELi32ELi64ELi256ELi4ELi64ELi4ELi64ELi4ELc78ELc84ELb0ELb0ELb1EdKPKdKPdEEviiiT16_PT17_ilSA_ilS8_SA_ilPT18_ili26rocblas_geam_ex_operation_.num_vgpr, 234
	.set _ZN12_GLOBAL__N_120geam_min_plus_kernelId15HIP_vector_typeIdLj2EEdLi8ELi32ELi64ELi256ELi4ELi64ELi4ELi64ELi4ELc78ELc84ELb0ELb0ELb1EdKPKdKPdEEviiiT16_PT17_ilSA_ilS8_SA_ilPT18_ili26rocblas_geam_ex_operation_.num_agpr, 0
	.set _ZN12_GLOBAL__N_120geam_min_plus_kernelId15HIP_vector_typeIdLj2EEdLi8ELi32ELi64ELi256ELi4ELi64ELi4ELi64ELi4ELc78ELc84ELb0ELb0ELb1EdKPKdKPdEEviiiT16_PT17_ilSA_ilS8_SA_ilPT18_ili26rocblas_geam_ex_operation_.numbered_sgpr, 36
	.set _ZN12_GLOBAL__N_120geam_min_plus_kernelId15HIP_vector_typeIdLj2EEdLi8ELi32ELi64ELi256ELi4ELi64ELi4ELi64ELi4ELc78ELc84ELb0ELb0ELb1EdKPKdKPdEEviiiT16_PT17_ilSA_ilS8_SA_ilPT18_ili26rocblas_geam_ex_operation_.num_named_barrier, 0
	.set _ZN12_GLOBAL__N_120geam_min_plus_kernelId15HIP_vector_typeIdLj2EEdLi8ELi32ELi64ELi256ELi4ELi64ELi4ELi64ELi4ELc78ELc84ELb0ELb0ELb1EdKPKdKPdEEviiiT16_PT17_ilSA_ilS8_SA_ilPT18_ili26rocblas_geam_ex_operation_.private_seg_size, 0
	.set _ZN12_GLOBAL__N_120geam_min_plus_kernelId15HIP_vector_typeIdLj2EEdLi8ELi32ELi64ELi256ELi4ELi64ELi4ELi64ELi4ELc78ELc84ELb0ELb0ELb1EdKPKdKPdEEviiiT16_PT17_ilSA_ilS8_SA_ilPT18_ili26rocblas_geam_ex_operation_.uses_vcc, 1
	.set _ZN12_GLOBAL__N_120geam_min_plus_kernelId15HIP_vector_typeIdLj2EEdLi8ELi32ELi64ELi256ELi4ELi64ELi4ELi64ELi4ELc78ELc84ELb0ELb0ELb1EdKPKdKPdEEviiiT16_PT17_ilSA_ilS8_SA_ilPT18_ili26rocblas_geam_ex_operation_.uses_flat_scratch, 0
	.set _ZN12_GLOBAL__N_120geam_min_plus_kernelId15HIP_vector_typeIdLj2EEdLi8ELi32ELi64ELi256ELi4ELi64ELi4ELi64ELi4ELc78ELc84ELb0ELb0ELb1EdKPKdKPdEEviiiT16_PT17_ilSA_ilS8_SA_ilPT18_ili26rocblas_geam_ex_operation_.has_dyn_sized_stack, 0
	.set _ZN12_GLOBAL__N_120geam_min_plus_kernelId15HIP_vector_typeIdLj2EEdLi8ELi32ELi64ELi256ELi4ELi64ELi4ELi64ELi4ELc78ELc84ELb0ELb0ELb1EdKPKdKPdEEviiiT16_PT17_ilSA_ilS8_SA_ilPT18_ili26rocblas_geam_ex_operation_.has_recursion, 0
	.set _ZN12_GLOBAL__N_120geam_min_plus_kernelId15HIP_vector_typeIdLj2EEdLi8ELi32ELi64ELi256ELi4ELi64ELi4ELi64ELi4ELc78ELc84ELb0ELb0ELb1EdKPKdKPdEEviiiT16_PT17_ilSA_ilS8_SA_ilPT18_ili26rocblas_geam_ex_operation_.has_indirect_call, 0
	.section	.AMDGPU.csdata,"",@progbits
; Kernel info:
; codeLenInByte = 25188
; TotalNumSgprs: 42
; NumVgprs: 234
; NumAgprs: 0
; TotalNumVgprs: 234
; ScratchSize: 0
; MemoryBound: 0
; FloatMode: 240
; IeeeMode: 1
; LDSByteSize: 20480 bytes/workgroup (compile time only)
; SGPRBlocks: 5
; VGPRBlocks: 29
; NumSGPRsForWavesPerEU: 42
; NumVGPRsForWavesPerEU: 234
; AccumOffset: 236
; Occupancy: 2
; WaveLimiterHint : 1
; COMPUTE_PGM_RSRC2:SCRATCH_EN: 0
; COMPUTE_PGM_RSRC2:USER_SGPR: 2
; COMPUTE_PGM_RSRC2:TRAP_HANDLER: 0
; COMPUTE_PGM_RSRC2:TGID_X_EN: 1
; COMPUTE_PGM_RSRC2:TGID_Y_EN: 0
; COMPUTE_PGM_RSRC2:TGID_Z_EN: 1
; COMPUTE_PGM_RSRC2:TIDIG_COMP_CNT: 1
; COMPUTE_PGM_RSRC3_GFX90A:ACCUM_OFFSET: 58
; COMPUTE_PGM_RSRC3_GFX90A:TG_SPLIT: 0
	.section	.text._ZN12_GLOBAL__N_120geam_min_plus_kernelId15HIP_vector_typeIdLj2EEdLi8ELi32ELi64ELi256ELi4ELi64ELi4ELi64ELi4ELc78ELc84ELb0ELb1ELb1EPKdKS4_KPdEEviiiT16_PT17_ilSA_ilS8_SA_ilPT18_ili26rocblas_geam_ex_operation_,"axG",@progbits,_ZN12_GLOBAL__N_120geam_min_plus_kernelId15HIP_vector_typeIdLj2EEdLi8ELi32ELi64ELi256ELi4ELi64ELi4ELi64ELi4ELc78ELc84ELb0ELb1ELb1EPKdKS4_KPdEEviiiT16_PT17_ilSA_ilS8_SA_ilPT18_ili26rocblas_geam_ex_operation_,comdat
	.globl	_ZN12_GLOBAL__N_120geam_min_plus_kernelId15HIP_vector_typeIdLj2EEdLi8ELi32ELi64ELi256ELi4ELi64ELi4ELi64ELi4ELc78ELc84ELb0ELb1ELb1EPKdKS4_KPdEEviiiT16_PT17_ilSA_ilS8_SA_ilPT18_ili26rocblas_geam_ex_operation_ ; -- Begin function _ZN12_GLOBAL__N_120geam_min_plus_kernelId15HIP_vector_typeIdLj2EEdLi8ELi32ELi64ELi256ELi4ELi64ELi4ELi64ELi4ELc78ELc84ELb0ELb1ELb1EPKdKS4_KPdEEviiiT16_PT17_ilSA_ilS8_SA_ilPT18_ili26rocblas_geam_ex_operation_
	.p2align	8
	.type	_ZN12_GLOBAL__N_120geam_min_plus_kernelId15HIP_vector_typeIdLj2EEdLi8ELi32ELi64ELi256ELi4ELi64ELi4ELi64ELi4ELc78ELc84ELb0ELb1ELb1EPKdKS4_KPdEEviiiT16_PT17_ilSA_ilS8_SA_ilPT18_ili26rocblas_geam_ex_operation_,@function
_ZN12_GLOBAL__N_120geam_min_plus_kernelId15HIP_vector_typeIdLj2EEdLi8ELi32ELi64ELi256ELi4ELi64ELi4ELi64ELi4ELc78ELc84ELb0ELb1ELb1EPKdKS4_KPdEEviiiT16_PT17_ilSA_ilS8_SA_ilPT18_ili26rocblas_geam_ex_operation_: ; @_ZN12_GLOBAL__N_120geam_min_plus_kernelId15HIP_vector_typeIdLj2EEdLi8ELi32ELi64ELi256ELi4ELi64ELi4ELi64ELi4ELc78ELc84ELb0ELb1ELb1EPKdKS4_KPdEEviiiT16_PT17_ilSA_ilS8_SA_ilPT18_ili26rocblas_geam_ex_operation_
; %bb.0:
	s_load_dwordx4 s[12:15], s[0:1], 0x10
	s_load_dwordx4 s[8:11], s[0:1], 0x28
	;; [unrolled: 1-line block ×3, first 2 shown]
	s_mov_b32 s16, s3
	s_mov_b32 s17, 0
	s_lshl_b64 s[28:29], s[16:17], 3
	s_waitcnt lgkmcnt(0)
	s_add_u32 s18, s12, s28
	s_addc_u32 s19, s13, s29
	s_load_dwordx2 s[16:17], s[18:19], 0x0
	s_load_dwordx2 s[12:13], s[0:1], 0x50
	s_add_u32 s6, s6, s28
	s_addc_u32 s7, s7, s29
	s_mov_b64 s[18:19], 0
	s_waitcnt lgkmcnt(0)
	v_cmp_eq_f64_e64 s[22:23], s[16:17], 0
	v_cmp_neq_f64_e64 s[20:21], s[16:17], 0
	s_and_b64 vcc, exec, s[22:23]
	s_mov_b64 s[34:35], 0
	s_cbranch_vccnz .LBB120_2
; %bb.1:
	s_add_u32 s14, s14, s28
	s_addc_u32 s15, s15, s29
	s_load_dwordx2 s[14:15], s[14:15], 0x0
	s_lshl_b64 s[8:9], s[8:9], 3
	s_waitcnt lgkmcnt(0)
	s_add_u32 s34, s14, s8
	s_addc_u32 s35, s15, s9
.LBB120_2:
	s_load_dwordx2 s[24:25], s[6:7], 0x0
	s_andn2_b64 vcc, exec, s[20:21]
	s_cbranch_vccnz .LBB120_4
; %bb.3:
	s_add_u32 s6, s10, s28
	s_addc_u32 s7, s11, s29
	s_load_dwordx2 s[6:7], s[6:7], 0x0
	s_lshl_b64 s[4:5], s[4:5], 3
	s_waitcnt lgkmcnt(0)
	s_add_u32 s18, s6, s4
	s_addc_u32 s19, s7, s5
.LBB120_4:
	s_load_dwordx4 s[4:7], s[0:1], 0x60
	s_waitcnt lgkmcnt(0)
	v_cmp_eq_f64_e64 s[8:9], s[24:25], 0
	s_mov_b64 s[26:27], 0
	v_cmp_neq_f64_e64 s[14:15], s[24:25], 0
	s_and_b64 vcc, exec, s[8:9]
	s_cbranch_vccnz .LBB120_6
; %bb.5:
	s_add_u32 s8, s12, s28
	s_addc_u32 s9, s13, s29
	s_load_dwordx2 s[8:9], s[8:9], 0x0
	s_lshl_b64 s[4:5], s[4:5], 3
	s_waitcnt lgkmcnt(0)
	s_add_u32 s26, s8, s4
	s_addc_u32 s27, s9, s5
.LBB120_6:
	s_load_dword s36, s[0:1], 0x20
	s_load_dwordx4 s[20:23], s[0:1], 0x0
	v_and_b32_e32 v150, 0x3ff, v0
	v_bfe_u32 v151, v0, 10, 10
	s_waitcnt lgkmcnt(0)
	s_ashr_i32 s37, s36, 31
	s_add_u32 s30, s6, s28
	s_addc_u32 s31, s7, s29
	s_add_i32 s3, s20, -1
	s_ashr_i32 s4, s3, 31
	s_lshr_b32 s4, s4, 26
	s_add_i32 s3, s3, s4
	s_ashr_i32 s3, s3, 6
	s_add_i32 s4, s3, 1
	v_cvt_f32_u32_e32 v1, s4
	s_not_b32 s3, s3
	v_cmp_eq_f64_e64 s[28:29], s[16:17], 0
	v_rcp_iflag_f32_e32 v0, v1
	v_lshl_add_u32 v1, v151, 3, v150
	v_and_b32_e32 v12, 63, v1
	v_lshrrev_b32_e32 v158, 6, v1
	v_mul_f32_e32 v0, 0x4f7ffffe, v0
	v_cvt_u32_f32_e32 v0, v0
	v_cmp_le_i32_e64 s[10:11], s22, v158
	v_readfirstlane_b32 s5, v0
	s_mul_i32 s3, s3, s5
	s_mul_hi_u32 s3, s5, s3
	s_add_i32 s5, s5, s3
	s_mul_hi_u32 s3, s2, s5
	s_mul_i32 s5, s3, s4
	s_sub_i32 s5, s2, s5
	s_add_i32 s6, s3, 1
	s_sub_i32 s7, s5, s4
	s_cmp_ge_u32 s5, s4
	s_cselect_b32 s3, s6, s3
	s_cselect_b32 s5, s7, s5
	s_add_i32 s6, s3, 1
	s_cmp_ge_u32 s5, s4
	s_cselect_b32 s6, s6, s3
	s_mul_i32 s3, s6, s4
	s_sub_i32 s2, s2, s3
	s_lshl_b32 s33, s2, 6
	v_or_b32_e32 v100, s33, v12
	v_cmp_le_i32_e32 vcc, s20, v100
	s_or_b64 s[2:3], vcc, s[10:11]
	s_nor_b64 s[4:5], s[28:29], s[2:3]
	v_ashrrev_i32_e32 v101, 31, v100
                                        ; implicit-def: $vgpr0_vgpr1
                                        ; implicit-def: $sgpr7
	s_and_saveexec_b64 s[8:9], s[4:5]
	s_xor_b64 s[4:5], exec, s[8:9]
	s_cbranch_execz .LBB120_8
; %bb.7:
	s_add_i32 s7, s22, -1
	v_min_u32_e32 v0, s7, v158
	v_mad_i64_i32 v[0:1], s[8:9], s36, v0, 0
	v_lshl_add_u64 v[0:1], v[0:1], 3, s[34:35]
	v_lshl_add_u64 v[0:1], v[100:101], 3, v[0:1]
	flat_load_dwordx2 v[0:1], v[0:1]
	s_waitcnt vmcnt(0) lgkmcnt(0)
	v_mul_f64 v[0:1], s[16:17], v[0:1]
.LBB120_8:
	s_or_saveexec_b64 s[4:5], s[4:5]
	v_mov_b32_e32 v2, s7
	s_xor_b64 exec, exec, s[4:5]
; %bb.9:
	v_mov_b32_e32 v0, 0x7fefffff
	v_cndmask_b32_e64 v1, 0, v0, s[2:3]
	v_cndmask_b32_e64 v0, 0, -1, s[2:3]
	s_add_i32 s2, s22, -1
	v_mov_b32_e32 v2, s2
; %bb.10:
	s_or_b64 exec, exec, s[4:5]
	s_load_dword s23, s[0:1], 0x38
	s_lshl_b32 s40, s6, 8
	v_min_i32_e32 v2, v158, v2
	v_or_b32_e32 v128, s40, v12
	v_mov_b32_e32 v4, 0x7fefffff
	s_waitcnt lgkmcnt(0)
	v_mad_i64_i32 v[2:3], s[2:3], v2, s23, 0
	v_cmp_le_i32_e64 s[2:3], s21, v128
	s_or_b64 s[4:5], s[2:3], s[10:11]
	v_lshl_add_u64 v[10:11], v[2:3], 3, s[18:19]
	v_cndmask_b32_e64 v3, 0, v4, s[4:5]
	s_nor_b64 s[6:7], s[28:29], s[4:5]
	v_cndmask_b32_e64 v2, 0, -1, s[4:5]
	v_ashrrev_i32_e32 v129, 31, v128
	s_and_saveexec_b64 s[4:5], s[6:7]
	s_cbranch_execz .LBB120_12
; %bb.11:
	v_lshl_add_u64 v[2:3], v[128:129], 3, v[10:11]
	flat_load_dwordx2 v[2:3], v[2:3]
	s_waitcnt vmcnt(0) lgkmcnt(0)
	v_mul_f64 v[2:3], s[16:17], v[2:3]
.LBB120_12:
	s_or_b64 exec, exec, s[4:5]
	v_or_b32_e32 v5, 64, v128
	v_cmp_le_i32_e64 s[4:5], s21, v5
	s_or_b64 s[6:7], s[4:5], s[10:11]
	v_cndmask_b32_e64 v5, 0, v4, s[6:7]
	s_nor_b64 s[8:9], s[28:29], s[6:7]
	v_cndmask_b32_e64 v4, 0, -1, s[6:7]
	s_and_saveexec_b64 s[6:7], s[8:9]
	s_cbranch_execz .LBB120_14
; %bb.13:
	v_lshl_add_u64 v[4:5], v[128:129], 3, v[10:11]
	flat_load_dwordx2 v[4:5], v[4:5] offset:512
	s_waitcnt vmcnt(0) lgkmcnt(0)
	v_mul_f64 v[4:5], s[16:17], v[4:5]
.LBB120_14:
	s_or_b64 exec, exec, s[6:7]
	v_or_b32_e32 v6, 0x80, v128
	v_cmp_le_i32_e64 s[6:7], s21, v6
	v_mov_b32_e32 v8, 0x7fefffff
	s_or_b64 s[8:9], s[6:7], s[10:11]
	v_cndmask_b32_e64 v7, 0, v8, s[8:9]
	s_nor_b64 s[12:13], s[28:29], s[8:9]
	v_cndmask_b32_e64 v6, 0, -1, s[8:9]
	s_and_saveexec_b64 s[8:9], s[12:13]
	s_cbranch_execz .LBB120_16
; %bb.15:
	v_lshl_add_u64 v[6:7], v[128:129], 3, v[10:11]
	flat_load_dwordx2 v[6:7], v[6:7] offset:1024
	s_waitcnt vmcnt(0) lgkmcnt(0)
	v_mul_f64 v[6:7], s[16:17], v[6:7]
.LBB120_16:
	s_or_b64 exec, exec, s[8:9]
	v_or_b32_e32 v9, 0xc0, v128
	v_cmp_le_i32_e64 s[8:9], s21, v9
	s_or_b64 s[10:11], s[8:9], s[10:11]
	v_cndmask_b32_e64 v9, 0, v8, s[10:11]
	s_nor_b64 s[12:13], s[28:29], s[10:11]
	v_cndmask_b32_e64 v8, 0, -1, s[10:11]
	s_and_saveexec_b64 s[10:11], s[12:13]
	s_cbranch_execz .LBB120_18
; %bb.17:
	v_lshl_add_u64 v[8:9], v[128:129], 3, v[10:11]
	flat_load_dwordx2 v[8:9], v[8:9] offset:1536
	s_waitcnt vmcnt(0) lgkmcnt(0)
	v_mul_f64 v[8:9], s[16:17], v[8:9]
.LBB120_18:
	s_or_b64 exec, exec, s[10:11]
	v_add_u32_e32 v10, 4, v158
	v_cmp_le_i32_e64 s[10:11], s22, v10
	s_or_b64 s[12:13], vcc, s[10:11]
	s_nor_b64 s[38:39], s[28:29], s[12:13]
                                        ; implicit-def: $vgpr102_vgpr103
                                        ; implicit-def: $sgpr41
	s_and_saveexec_b64 s[42:43], s[38:39]
	s_xor_b64 s[38:39], exec, s[42:43]
	s_cbranch_execz .LBB120_20
; %bb.19:
	s_add_i32 s41, s22, -1
	v_min_u32_e32 v11, s41, v10
	v_mad_u64_u32 v[14:15], s[42:43], s36, v11, 0
	v_mov_b32_e32 v16, v15
	v_mad_u64_u32 v[16:17], s[42:43], s37, v11, v[16:17]
	v_mov_b32_e32 v15, v16
	v_lshl_add_u64 v[14:15], v[14:15], 3, s[34:35]
	v_lshl_add_u64 v[14:15], v[100:101], 3, v[14:15]
	flat_load_dwordx2 v[14:15], v[14:15]
	s_waitcnt vmcnt(0) lgkmcnt(0)
	v_mul_f64 v[102:103], s[16:17], v[14:15]
.LBB120_20:
	s_or_saveexec_b64 s[38:39], s[38:39]
	v_mov_b32_e32 v11, s41
	s_xor_b64 exec, exec, s[38:39]
; %bb.21:
	v_mov_b32_e32 v11, 0x7fefffff
	v_cndmask_b32_e64 v103, 0, v11, s[12:13]
	v_cndmask_b32_e64 v102, 0, -1, s[12:13]
	s_add_i32 s12, s22, -1
	v_mov_b32_e32 v11, s12
; %bb.22:
	s_or_b64 exec, exec, s[38:39]
	v_min_i32_e32 v10, v10, v11
	v_mad_i64_i32 v[10:11], s[12:13], v10, s23, 0
	v_mov_b32_e32 v13, 0x7fefffff
	s_or_b64 s[12:13], s[2:3], s[10:11]
	v_lshl_add_u64 v[10:11], v[10:11], 3, s[18:19]
	v_cndmask_b32_e64 v105, 0, v13, s[12:13]
	s_nor_b64 s[38:39], s[28:29], s[12:13]
	v_cndmask_b32_e64 v104, 0, -1, s[12:13]
	s_and_saveexec_b64 s[12:13], s[38:39]
	s_cbranch_execz .LBB120_24
; %bb.23:
	v_lshl_add_u64 v[14:15], v[128:129], 3, v[10:11]
	flat_load_dwordx2 v[14:15], v[14:15]
	s_waitcnt vmcnt(0) lgkmcnt(0)
	v_mul_f64 v[104:105], s[16:17], v[14:15]
.LBB120_24:
	s_or_b64 exec, exec, s[12:13]
	s_or_b64 s[12:13], s[4:5], s[10:11]
	v_cndmask_b32_e64 v107, 0, v13, s[12:13]
	s_nor_b64 s[38:39], s[28:29], s[12:13]
	v_cndmask_b32_e64 v106, 0, -1, s[12:13]
	s_and_saveexec_b64 s[12:13], s[38:39]
	s_cbranch_execz .LBB120_26
; %bb.25:
	v_lshl_add_u64 v[14:15], v[128:129], 3, v[10:11]
	flat_load_dwordx2 v[14:15], v[14:15] offset:512
	s_waitcnt vmcnt(0) lgkmcnt(0)
	v_mul_f64 v[106:107], s[16:17], v[14:15]
.LBB120_26:
	s_or_b64 exec, exec, s[12:13]
	v_mov_b32_e32 v13, 0x7fefffff
	s_or_b64 s[12:13], s[6:7], s[10:11]
	v_cndmask_b32_e64 v109, 0, v13, s[12:13]
	s_nor_b64 s[38:39], s[28:29], s[12:13]
	v_cndmask_b32_e64 v108, 0, -1, s[12:13]
	s_and_saveexec_b64 s[12:13], s[38:39]
	s_cbranch_execz .LBB120_28
; %bb.27:
	v_lshl_add_u64 v[14:15], v[128:129], 3, v[10:11]
	flat_load_dwordx2 v[14:15], v[14:15] offset:1024
	s_waitcnt vmcnt(0) lgkmcnt(0)
	v_mul_f64 v[108:109], s[16:17], v[14:15]
.LBB120_28:
	s_or_b64 exec, exec, s[12:13]
	s_or_b64 s[10:11], s[8:9], s[10:11]
	v_cndmask_b32_e64 v111, 0, v13, s[10:11]
	s_nor_b64 s[12:13], s[28:29], s[10:11]
	v_cndmask_b32_e64 v110, 0, -1, s[10:11]
	s_and_saveexec_b64 s[10:11], s[12:13]
	s_cbranch_execz .LBB120_30
; %bb.29:
	v_lshl_add_u64 v[10:11], v[128:129], 3, v[10:11]
	flat_load_dwordx2 v[10:11], v[10:11] offset:1536
	s_waitcnt vmcnt(0) lgkmcnt(0)
	v_mul_f64 v[110:111], s[16:17], v[10:11]
.LBB120_30:
	s_or_b64 exec, exec, s[10:11]
	v_lshlrev_b32_e32 v10, 5, v12
	v_lshl_add_u32 v168, v158, 3, v10
	v_lshlrev_b32_e32 v162, 5, v150
	s_load_dwordx2 s[30:31], s[30:31], 0x0
	ds_write_b64 v168, v[0:1] offset:16384
	ds_write2st64_b64 v168, v[2:3], v[4:5] offset1:4
	ds_write2st64_b64 v168, v[6:7], v[8:9] offset0:8 offset1:12
	s_waitcnt lgkmcnt(0)
	s_barrier
	v_lshlrev_b32_e32 v161, 5, v151
	ds_read_b128 v[32:35], v162 offset:16640
	ds_read_b128 v[28:31], v162 offset:16896
	;; [unrolled: 1-line block ×13, first 2 shown]
	ds_read_b128 v[96:99], v161
	ds_read_b128 v[44:47], v161 offset:6144
	ds_read_b128 v[36:39], v161 offset:7168
	;; [unrolled: 1-line block ×4, first 2 shown]
	s_waitcnt lgkmcnt(5)
	v_add_f64 v[114:115], v[42:43], v[94:95]
	v_add_f64 v[116:117], v[40:41], v[92:93]
	s_mov_b32 s10, 0x7f800000
	v_cvt_f32_f64_e32 v113, v[116:117]
	v_cvt_f32_f64_e32 v114, v[114:115]
	v_min3_f32 v178, v113, v114, s10
	v_add_f64 v[114:115], v[34:35], v[94:95]
	v_add_f64 v[116:117], v[32:33], v[92:93]
	v_cvt_f32_f64_e32 v113, v[116:117]
	v_cvt_f32_f64_e32 v114, v[114:115]
	v_min3_f32 v179, v113, v114, s10
	v_add_f64 v[114:115], v[30:31], v[94:95]
	v_add_f64 v[116:117], v[28:29], v[92:93]
	v_cvt_f32_f64_e32 v113, v[116:117]
	v_cvt_f32_f64_e32 v114, v[114:115]
	v_min3_f32 v165, v113, v114, s10
	v_add_f64 v[114:115], v[26:27], v[94:95]
	v_add_f64 v[116:117], v[24:25], v[92:93]
	v_cvt_f32_f64_e32 v113, v[116:117]
	v_cvt_f32_f64_e32 v114, v[114:115]
	v_min3_f32 v164, v113, v114, s10
	v_add_f64 v[114:115], v[22:23], v[94:95]
	v_add_f64 v[116:117], v[20:21], v[92:93]
	v_cvt_f32_f64_e32 v113, v[116:117]
	v_cvt_f32_f64_e32 v114, v[114:115]
	v_min3_f32 v160, v113, v114, s10
	v_add_f64 v[114:115], v[18:19], v[94:95]
	v_add_f64 v[116:117], v[16:17], v[92:93]
	v_cvt_f32_f64_e32 v113, v[116:117]
	v_cvt_f32_f64_e32 v114, v[114:115]
	v_min3_f32 v157, v113, v114, s10
	v_add_f64 v[114:115], v[14:15], v[94:95]
	v_add_f64 v[116:117], v[12:13], v[92:93]
	v_cvt_f32_f64_e32 v113, v[116:117]
	v_cvt_f32_f64_e32 v114, v[114:115]
	v_min3_f32 v155, v113, v114, s10
	v_add_f64 v[114:115], v[42:43], v[90:91]
	v_add_f64 v[116:117], v[40:41], v[88:89]
	v_cvt_f32_f64_e32 v113, v[116:117]
	v_cvt_f32_f64_e32 v114, v[114:115]
	v_min3_f32 v163, v113, v114, s10
	v_add_f64 v[114:115], v[34:35], v[90:91]
	v_add_f64 v[116:117], v[32:33], v[88:89]
	v_cvt_f32_f64_e32 v113, v[116:117]
	v_cvt_f32_f64_e32 v114, v[114:115]
	v_min3_f32 v159, v113, v114, s10
	v_add_f64 v[114:115], v[30:31], v[90:91]
	v_add_f64 v[116:117], v[28:29], v[88:89]
	v_cvt_f32_f64_e32 v113, v[116:117]
	v_cvt_f32_f64_e32 v114, v[114:115]
	v_min3_f32 v156, v113, v114, s10
	v_add_f64 v[114:115], v[26:27], v[90:91]
	v_add_f64 v[116:117], v[24:25], v[88:89]
	v_cvt_f32_f64_e32 v113, v[116:117]
	v_cvt_f32_f64_e32 v114, v[114:115]
	v_min3_f32 v154, v113, v114, s10
	v_add_f64 v[114:115], v[22:23], v[90:91]
	v_add_f64 v[116:117], v[20:21], v[88:89]
	v_cvt_f32_f64_e32 v113, v[116:117]
	v_cvt_f32_f64_e32 v114, v[114:115]
	v_min3_f32 v149, v113, v114, s10
	v_add_f64 v[114:115], v[18:19], v[90:91]
	v_add_f64 v[116:117], v[16:17], v[88:89]
	v_cvt_f32_f64_e32 v113, v[116:117]
	v_cvt_f32_f64_e32 v114, v[114:115]
	v_min3_f32 v147, v113, v114, s10
	v_add_f64 v[114:115], v[14:15], v[90:91]
	v_add_f64 v[116:117], v[12:13], v[88:89]
	v_cvt_f32_f64_e32 v113, v[116:117]
	v_cvt_f32_f64_e32 v114, v[114:115]
	v_min3_f32 v145, v113, v114, s10
	v_add_f64 v[114:115], v[42:43], v[86:87]
	v_add_f64 v[116:117], v[40:41], v[84:85]
	v_cvt_f32_f64_e32 v113, v[116:117]
	v_cvt_f32_f64_e32 v114, v[114:115]
	v_min3_f32 v153, v113, v114, s10
	v_add_f64 v[114:115], v[34:35], v[86:87]
	v_add_f64 v[116:117], v[32:33], v[84:85]
	v_cvt_f32_f64_e32 v113, v[116:117]
	v_cvt_f32_f64_e32 v114, v[114:115]
	v_min3_f32 v148, v113, v114, s10
	v_add_f64 v[114:115], v[30:31], v[86:87]
	v_add_f64 v[116:117], v[28:29], v[84:85]
	v_cvt_f32_f64_e32 v113, v[116:117]
	v_cvt_f32_f64_e32 v114, v[114:115]
	v_min3_f32 v146, v113, v114, s10
	v_add_f64 v[114:115], v[26:27], v[86:87]
	v_add_f64 v[116:117], v[24:25], v[84:85]
	v_cvt_f32_f64_e32 v113, v[116:117]
	v_cvt_f32_f64_e32 v114, v[114:115]
	v_min3_f32 v144, v113, v114, s10
	v_add_f64 v[114:115], v[22:23], v[86:87]
	v_add_f64 v[116:117], v[20:21], v[84:85]
	v_cvt_f32_f64_e32 v113, v[116:117]
	v_cvt_f32_f64_e32 v114, v[114:115]
	v_min3_f32 v141, v113, v114, s10
	v_add_f64 v[114:115], v[18:19], v[86:87]
	v_add_f64 v[116:117], v[16:17], v[84:85]
	v_cvt_f32_f64_e32 v113, v[116:117]
	v_cvt_f32_f64_e32 v114, v[114:115]
	v_min3_f32 v139, v113, v114, s10
	v_add_f64 v[114:115], v[14:15], v[86:87]
	v_add_f64 v[116:117], v[12:13], v[84:85]
	v_cvt_f32_f64_e32 v113, v[116:117]
	v_cvt_f32_f64_e32 v114, v[114:115]
	v_min3_f32 v137, v113, v114, s10
	v_add_f64 v[114:115], v[42:43], v[54:55]
	v_add_f64 v[116:117], v[40:41], v[52:53]
	v_cvt_f32_f64_e32 v113, v[116:117]
	v_cvt_f32_f64_e32 v114, v[114:115]
	v_min3_f32 v143, v113, v114, s10
	v_add_f64 v[114:115], v[34:35], v[54:55]
	v_add_f64 v[116:117], v[32:33], v[52:53]
	v_cvt_f32_f64_e32 v113, v[116:117]
	v_cvt_f32_f64_e32 v114, v[114:115]
	v_min3_f32 v140, v113, v114, s10
	v_add_f64 v[114:115], v[30:31], v[54:55]
	v_add_f64 v[116:117], v[28:29], v[52:53]
	v_cvt_f32_f64_e32 v113, v[116:117]
	v_cvt_f32_f64_e32 v114, v[114:115]
	v_min3_f32 v138, v113, v114, s10
	v_add_f64 v[114:115], v[26:27], v[54:55]
	v_add_f64 v[116:117], v[24:25], v[52:53]
	v_cvt_f32_f64_e32 v113, v[116:117]
	v_cvt_f32_f64_e32 v114, v[114:115]
	v_min3_f32 v136, v113, v114, s10
	v_add_f64 v[114:115], v[22:23], v[54:55]
	v_add_f64 v[116:117], v[20:21], v[52:53]
	v_cvt_f32_f64_e32 v113, v[116:117]
	v_cvt_f32_f64_e32 v114, v[114:115]
	v_min3_f32 v133, v113, v114, s10
	v_add_f64 v[114:115], v[18:19], v[54:55]
	v_add_f64 v[116:117], v[16:17], v[52:53]
	v_cvt_f32_f64_e32 v113, v[116:117]
	v_cvt_f32_f64_e32 v114, v[114:115]
	v_min3_f32 v131, v113, v114, s10
	v_add_f64 v[114:115], v[14:15], v[54:55]
	v_add_f64 v[116:117], v[12:13], v[52:53]
	v_cvt_f32_f64_e32 v113, v[116:117]
	v_cvt_f32_f64_e32 v114, v[114:115]
	v_min3_f32 v127, v113, v114, s10
	v_add_f64 v[114:115], v[42:43], v[50:51]
	v_add_f64 v[116:117], v[40:41], v[48:49]
	v_cvt_f32_f64_e32 v113, v[116:117]
	v_cvt_f32_f64_e32 v114, v[114:115]
	v_min3_f32 v135, v113, v114, s10
	v_add_f64 v[114:115], v[34:35], v[50:51]
	v_add_f64 v[116:117], v[32:33], v[48:49]
	v_cvt_f32_f64_e32 v113, v[116:117]
	v_cvt_f32_f64_e32 v114, v[114:115]
	v_min3_f32 v132, v113, v114, s10
	v_add_f64 v[114:115], v[30:31], v[50:51]
	v_add_f64 v[116:117], v[28:29], v[48:49]
	v_cvt_f32_f64_e32 v113, v[116:117]
	v_cvt_f32_f64_e32 v114, v[114:115]
	v_min3_f32 v130, v113, v114, s10
	v_add_f64 v[114:115], v[26:27], v[50:51]
	v_add_f64 v[116:117], v[24:25], v[48:49]
	v_cvt_f32_f64_e32 v113, v[116:117]
	v_cvt_f32_f64_e32 v114, v[114:115]
	v_min3_f32 v126, v113, v114, s10
	v_add_f64 v[114:115], v[22:23], v[50:51]
	v_add_f64 v[116:117], v[20:21], v[48:49]
	v_cvt_f32_f64_e32 v113, v[116:117]
	v_cvt_f32_f64_e32 v114, v[114:115]
	v_min3_f32 v123, v113, v114, s10
	v_add_f64 v[114:115], v[18:19], v[50:51]
	v_add_f64 v[116:117], v[16:17], v[48:49]
	v_cvt_f32_f64_e32 v113, v[116:117]
	v_cvt_f32_f64_e32 v114, v[114:115]
	v_min3_f32 v121, v113, v114, s10
	v_add_f64 v[114:115], v[14:15], v[50:51]
	v_add_f64 v[116:117], v[12:13], v[48:49]
	v_cvt_f32_f64_e32 v113, v[116:117]
	v_cvt_f32_f64_e32 v114, v[114:115]
	v_min3_f32 v119, v113, v114, s10
	s_waitcnt lgkmcnt(3)
	v_add_f64 v[114:115], v[42:43], v[46:47]
	v_add_f64 v[166:167], v[40:41], v[44:45]
	v_cvt_f32_f64_e32 v113, v[166:167]
	v_cvt_f32_f64_e32 v114, v[114:115]
	v_min3_f32 v125, v113, v114, s10
	v_add_f64 v[114:115], v[34:35], v[46:47]
	v_add_f64 v[166:167], v[32:33], v[44:45]
	v_cvt_f32_f64_e32 v113, v[166:167]
	v_cvt_f32_f64_e32 v114, v[114:115]
	v_min3_f32 v122, v113, v114, s10
	v_add_f64 v[114:115], v[30:31], v[46:47]
	v_add_f64 v[166:167], v[28:29], v[44:45]
	v_cvt_f32_f64_e32 v113, v[166:167]
	v_cvt_f32_f64_e32 v114, v[114:115]
	v_add_f64 v[56:57], v[42:43], v[98:99]
	v_add_f64 v[58:59], v[40:41], v[96:97]
	v_min3_f32 v120, v113, v114, s10
	v_add_f64 v[114:115], v[26:27], v[46:47]
	v_add_f64 v[166:167], v[24:25], v[44:45]
	v_cvt_f32_f64_e32 v58, v[58:59]
	v_cvt_f32_f64_e32 v56, v[56:57]
	;; [unrolled: 1-line block ×4, first 2 shown]
	v_min3_f32 v112, v58, v56, s10
	ds_read_b128 v[56:59], v162 offset:16656
	v_add_f64 v[60:61], v[34:35], v[98:99]
	v_add_f64 v[62:63], v[32:33], v[96:97]
	v_min3_f32 v118, v113, v114, s10
	v_add_f64 v[114:115], v[22:23], v[46:47]
	v_add_f64 v[166:167], v[20:21], v[44:45]
	v_cvt_f32_f64_e32 v62, v[62:63]
	v_cvt_f32_f64_e32 v60, v[60:61]
	;; [unrolled: 1-line block ×4, first 2 shown]
	v_add_f64 v[166:167], v[16:17], v[44:45]
	v_min3_f32 v169, v62, v60, s10
	ds_read_b128 v[60:63], v162 offset:16912
	v_add_f64 v[64:65], v[30:31], v[98:99]
	v_add_f64 v[66:67], v[28:29], v[96:97]
	;; [unrolled: 1-line block ×22, first 2 shown]
	v_min3_f32 v116, v113, v114, s10
	v_add_f64 v[114:115], v[18:19], v[46:47]
	v_cvt_f32_f64_e32 v113, v[166:167]
	v_add_f64 v[166:167], v[14:15], v[46:47]
	v_add_f64 v[170:171], v[12:13], v[44:45]
	;; [unrolled: 1-line block ×4, first 2 shown]
	s_waitcnt lgkmcnt(4)
	v_add_f64 v[14:15], v[14:15], v[38:39]
	v_add_f64 v[12:13], v[12:13], v[36:37]
	;; [unrolled: 1-line block ×4, first 2 shown]
	v_cvt_f32_f64_e32 v66, v[66:67]
	v_cvt_f32_f64_e32 v64, v[64:65]
	;; [unrolled: 1-line block ×7, first 2 shown]
	s_waitcnt lgkmcnt(2)
	v_add_f64 v[10:11], v[2:3], v[6:7]
	v_add_f64 v[14:15], v[0:1], v[4:5]
	v_min3_f32 v172, v66, v64, s10
	ds_read_b128 v[64:67], v162 offset:17168
	v_min3_f32 v115, v113, v114, s10
	v_cvt_f32_f64_e32 v113, v[170:171]
	v_cvt_f32_f64_e32 v114, v[166:167]
	;; [unrolled: 1-line block ×4, first 2 shown]
	v_min3_f32 v8, v8, v9, s10
	v_cvt_f32_f64_e32 v9, v[14:15]
	v_cvt_f32_f64_e32 v10, v[10:11]
	;; [unrolled: 1-line block ×4, first 2 shown]
	v_min3_f32 v114, v113, v114, s10
	v_min3_f32 v113, v44, v45, s10
	ds_read_b128 v[44:47], v161 offset:7184
	v_min3_f32 v224, v9, v10, v112
	s_waitcnt lgkmcnt(3)
	v_add_f64 v[10:11], v[58:59], v[6:7]
	v_add_f64 v[14:15], v[56:57], v[4:5]
	v_min3_f32 v173, v70, v68, s10
	ds_read_b128 v[68:71], v162 offset:17424
	v_cvt_f32_f64_e32 v9, v[14:15]
	v_cvt_f32_f64_e32 v10, v[10:11]
	;; [unrolled: 1-line block ×4, first 2 shown]
	v_min3_f32 v223, v9, v10, v169
	s_waitcnt lgkmcnt(3)
	v_add_f64 v[10:11], v[62:63], v[6:7]
	v_add_f64 v[14:15], v[60:61], v[4:5]
	v_min3_f32 v174, v74, v72, s10
	ds_read_b128 v[72:75], v162 offset:17680
	v_cvt_f32_f64_e32 v9, v[14:15]
	v_cvt_f32_f64_e32 v10, v[10:11]
	;; [unrolled: 1-line block ×6, first 2 shown]
	v_min3_f32 v222, v9, v10, v172
	s_waitcnt lgkmcnt(3)
	v_add_f64 v[10:11], v[66:67], v[6:7]
	v_add_f64 v[14:15], v[64:65], v[4:5]
	v_min3_f32 v175, v78, v76, s10
	ds_read_b128 v[76:79], v162 offset:17936
	v_min3_f32 v176, v82, v80, s10
	ds_read_b128 v[80:83], v162 offset:18192
	v_cvt_f32_f64_e32 v9, v[14:15]
	v_cvt_f32_f64_e32 v10, v[10:11]
	;; [unrolled: 1-line block ×4, first 2 shown]
	v_min3_f32 v221, v9, v10, v173
	s_waitcnt lgkmcnt(3)
	v_add_f64 v[10:11], v[70:71], v[6:7]
	v_add_f64 v[14:15], v[68:69], v[4:5]
	v_min3_f32 v177, v96, v97, s10
	ds_read_b128 v[96:99], v161 offset:1040
	v_cvt_f32_f64_e32 v9, v[14:15]
	v_cvt_f32_f64_e32 v10, v[10:11]
	v_min3_f32 v220, v9, v10, v174
	s_waitcnt lgkmcnt(3)
	v_add_f64 v[10:11], v[74:75], v[6:7]
	v_add_f64 v[14:15], v[72:73], v[4:5]
	v_cvt_f32_f64_e32 v9, v[14:15]
	v_cvt_f32_f64_e32 v10, v[10:11]
	v_min3_f32 v212, v9, v10, v175
	s_waitcnt lgkmcnt(2)
	v_add_f64 v[10:11], v[78:79], v[6:7]
	v_add_f64 v[14:15], v[76:77], v[4:5]
	s_waitcnt lgkmcnt(1)
	v_add_f64 v[6:7], v[82:83], v[6:7]
	v_add_f64 v[4:5], v[80:81], v[4:5]
	v_cvt_f32_f64_e32 v92, v[92:93]
	v_cvt_f32_f64_e32 v93, v[94:95]
	;; [unrolled: 1-line block ×4, first 2 shown]
	v_min3_f32 v152, v92, v93, s10
	ds_read_b128 v[92:95], v161 offset:2064
	v_min3_f32 v210, v4, v5, v177
	s_waitcnt lgkmcnt(1)
	v_add_f64 v[4:5], v[2:3], v[98:99]
	v_add_f64 v[6:7], v[0:1], v[96:97]
	v_cvt_f32_f64_e32 v6, v[6:7]
	v_cvt_f32_f64_e32 v4, v[4:5]
	v_min3_f32 v209, v6, v4, v178
	v_add_f64 v[4:5], v[58:59], v[98:99]
	v_add_f64 v[6:7], v[56:57], v[96:97]
	v_cvt_f32_f64_e32 v6, v[6:7]
	v_cvt_f32_f64_e32 v4, v[4:5]
	v_min3_f32 v208, v6, v4, v179
	;; [unrolled: 5-line block ×8, first 2 shown]
	s_waitcnt lgkmcnt(0)
	v_add_f64 v[4:5], v[2:3], v[94:95]
	v_add_f64 v[6:7], v[0:1], v[92:93]
	v_cvt_f32_f64_e32 v6, v[6:7]
	v_cvt_f32_f64_e32 v4, v[4:5]
	v_min3_f32 v201, v6, v4, v163
	v_add_f64 v[4:5], v[58:59], v[94:95]
	v_add_f64 v[6:7], v[56:57], v[92:93]
	v_cvt_f32_f64_e32 v6, v[6:7]
	v_cvt_f32_f64_e32 v4, v[4:5]
	v_min3_f32 v200, v6, v4, v159
	;; [unrolled: 5-line block ×4, first 2 shown]
	v_add_f64 v[4:5], v[70:71], v[94:95]
	v_add_f64 v[6:7], v[68:69], v[92:93]
	v_cvt_f32_f64_e32 v6, v[6:7]
	v_cvt_f32_f64_e32 v4, v[4:5]
	;; [unrolled: 1-line block ×4, first 2 shown]
	v_min3_f32 v197, v6, v4, v149
	v_add_f64 v[4:5], v[74:75], v[94:95]
	v_add_f64 v[6:7], v[72:73], v[92:93]
	v_min3_f32 v142, v88, v89, s10
	ds_read_b128 v[88:91], v161 offset:3088
	v_cvt_f32_f64_e32 v6, v[6:7]
	v_cvt_f32_f64_e32 v4, v[4:5]
	v_min3_f32 v196, v6, v4, v147
	v_add_f64 v[4:5], v[78:79], v[94:95]
	v_add_f64 v[6:7], v[76:77], v[92:93]
	v_cvt_f32_f64_e32 v6, v[6:7]
	v_cvt_f32_f64_e32 v4, v[4:5]
	v_min3_f32 v195, v6, v4, v145
	v_add_f64 v[4:5], v[82:83], v[94:95]
	v_add_f64 v[6:7], v[80:81], v[92:93]
	v_cvt_f32_f64_e32 v84, v[84:85]
	v_cvt_f32_f64_e32 v85, v[86:87]
	;; [unrolled: 1-line block ×4, first 2 shown]
	v_min3_f32 v134, v84, v85, s10
	ds_read_b128 v[84:87], v161 offset:4112
	v_min3_f32 v194, v6, v4, v142
	s_waitcnt lgkmcnt(1)
	v_add_f64 v[4:5], v[2:3], v[90:91]
	v_add_f64 v[6:7], v[0:1], v[88:89]
	v_cvt_f32_f64_e32 v6, v[6:7]
	v_cvt_f32_f64_e32 v4, v[4:5]
	v_min3_f32 v193, v6, v4, v153
	v_add_f64 v[4:5], v[58:59], v[90:91]
	v_add_f64 v[6:7], v[56:57], v[88:89]
	v_cvt_f32_f64_e32 v6, v[6:7]
	v_cvt_f32_f64_e32 v4, v[4:5]
	v_min3_f32 v192, v6, v4, v148
	;; [unrolled: 5-line block ×8, first 2 shown]
	s_waitcnt lgkmcnt(0)
	v_add_f64 v[4:5], v[2:3], v[86:87]
	v_add_f64 v[6:7], v[0:1], v[84:85]
	v_cvt_f32_f64_e32 v6, v[6:7]
	v_cvt_f32_f64_e32 v4, v[4:5]
	v_min3_f32 v185, v6, v4, v143
	v_add_f64 v[4:5], v[58:59], v[86:87]
	v_add_f64 v[6:7], v[56:57], v[84:85]
	v_cvt_f32_f64_e32 v6, v[6:7]
	v_cvt_f32_f64_e32 v4, v[4:5]
	v_min3_f32 v184, v6, v4, v140
	v_add_f64 v[4:5], v[62:63], v[86:87]
	v_add_f64 v[6:7], v[60:61], v[84:85]
	v_cvt_f32_f64_e32 v6, v[6:7]
	v_cvt_f32_f64_e32 v4, v[4:5]
	v_min3_f32 v183, v6, v4, v138
	v_add_f64 v[4:5], v[66:67], v[86:87]
	v_add_f64 v[6:7], v[64:65], v[84:85]
	v_cvt_f32_f64_e32 v6, v[6:7]
	v_cvt_f32_f64_e32 v4, v[4:5]
	v_min3_f32 v182, v6, v4, v136
	v_add_f64 v[4:5], v[70:71], v[86:87]
	v_add_f64 v[6:7], v[68:69], v[84:85]
	v_cvt_f32_f64_e32 v6, v[6:7]
	v_cvt_f32_f64_e32 v4, v[4:5]
	;; [unrolled: 1-line block ×4, first 2 shown]
	v_min3_f32 v181, v6, v4, v133
	v_add_f64 v[4:5], v[74:75], v[86:87]
	v_add_f64 v[6:7], v[72:73], v[84:85]
	v_min3_f32 v124, v52, v53, s10
	ds_read_b128 v[52:55], v161 offset:5136
	v_cvt_f32_f64_e32 v6, v[6:7]
	v_cvt_f32_f64_e32 v4, v[4:5]
	v_min3_f32 v180, v6, v4, v131
	v_add_f64 v[4:5], v[78:79], v[86:87]
	v_add_f64 v[6:7], v[76:77], v[84:85]
	v_cvt_f32_f64_e32 v6, v[6:7]
	v_cvt_f32_f64_e32 v4, v[4:5]
	v_min3_f32 v179, v6, v4, v127
	v_add_f64 v[4:5], v[82:83], v[86:87]
	v_add_f64 v[6:7], v[80:81], v[84:85]
	v_cvt_f32_f64_e32 v48, v[48:49]
	v_cvt_f32_f64_e32 v49, v[50:51]
	;; [unrolled: 1-line block ×4, first 2 shown]
	v_min3_f32 v117, v48, v49, s10
	ds_read_b128 v[48:51], v161 offset:6160
	v_min3_f32 v178, v6, v4, v124
	s_waitcnt lgkmcnt(1)
	v_add_f64 v[4:5], v[2:3], v[54:55]
	v_add_f64 v[6:7], v[0:1], v[52:53]
	v_cvt_f32_f64_e32 v6, v[6:7]
	v_cvt_f32_f64_e32 v4, v[4:5]
	v_min3_f32 v177, v6, v4, v135
	v_add_f64 v[4:5], v[58:59], v[54:55]
	v_add_f64 v[6:7], v[56:57], v[52:53]
	v_cvt_f32_f64_e32 v9, v[14:15]
	v_cvt_f32_f64_e32 v10, v[10:11]
	;; [unrolled: 1-line block ×4, first 2 shown]
	v_min3_f32 v211, v9, v10, v176
	v_min3_f32 v176, v6, v4, v132
	v_add_f64 v[4:5], v[62:63], v[54:55]
	v_add_f64 v[6:7], v[60:61], v[52:53]
	v_cvt_f32_f64_e32 v6, v[6:7]
	v_cvt_f32_f64_e32 v4, v[4:5]
	v_min3_f32 v175, v6, v4, v130
	v_add_f64 v[4:5], v[66:67], v[54:55]
	v_add_f64 v[6:7], v[64:65], v[52:53]
	v_cvt_f32_f64_e32 v6, v[6:7]
	v_cvt_f32_f64_e32 v4, v[4:5]
	;; [unrolled: 5-line block ×5, first 2 shown]
	v_min3_f32 v171, v6, v4, v119
	v_add_f64 v[4:5], v[82:83], v[54:55]
	v_add_f64 v[6:7], v[80:81], v[52:53]
	;; [unrolled: 1-line block ×4, first 2 shown]
	v_cvt_f32_f64_e32 v6, v[6:7]
	v_cvt_f32_f64_e32 v4, v[4:5]
	;; [unrolled: 1-line block ×4, first 2 shown]
	v_min3_f32 v170, v6, v4, v117
	s_waitcnt lgkmcnt(0)
	v_add_f64 v[4:5], v[2:3], v[50:51]
	v_add_f64 v[6:7], v[0:1], v[48:49]
	;; [unrolled: 1-line block ×4, first 2 shown]
	v_min3_f32 v40, v40, v41, s10
	v_add_f64 v[34:35], v[34:35], v[38:39]
	v_add_f64 v[32:33], v[32:33], v[36:37]
	v_cvt_f32_f64_e32 v6, v[6:7]
	v_cvt_f32_f64_e32 v4, v[4:5]
	v_cvt_f32_f64_e32 v0, v[0:1]
	v_cvt_f32_f64_e32 v1, v[2:3]
	v_cvt_f32_f64_e32 v32, v[32:33]
	v_cvt_f32_f64_e32 v33, v[34:35]
	v_min3_f32 v169, v6, v4, v125
	v_add_f64 v[4:5], v[58:59], v[50:51]
	v_add_f64 v[6:7], v[56:57], v[48:49]
	v_min3_f32 v157, v0, v1, v40
	v_add_f64 v[0:1], v[58:59], v[46:47]
	v_add_f64 v[2:3], v[56:57], v[44:45]
	v_min3_f32 v32, v32, v33, s10
	v_add_f64 v[30:31], v[30:31], v[38:39]
	v_add_f64 v[28:29], v[28:29], v[36:37]
	v_cvt_f32_f64_e32 v6, v[6:7]
	v_cvt_f32_f64_e32 v4, v[4:5]
	v_cvt_f32_f64_e32 v2, v[2:3]
	v_cvt_f32_f64_e32 v0, v[0:1]
	v_cvt_f32_f64_e32 v28, v[28:29]
	v_cvt_f32_f64_e32 v29, v[30:31]
	v_min3_f32 v167, v6, v4, v122
	v_add_f64 v[4:5], v[62:63], v[50:51]
	v_add_f64 v[6:7], v[60:61], v[48:49]
	v_min3_f32 v156, v2, v0, v32
	v_add_f64 v[0:1], v[62:63], v[46:47]
	v_add_f64 v[2:3], v[60:61], v[44:45]
	;; [unrolled: 15-line block ×5, first 2 shown]
	v_min3_f32 v16, v16, v17, s10
	v_cvt_f32_f64_e32 v6, v[6:7]
	v_cvt_f32_f64_e32 v4, v[4:5]
	;; [unrolled: 1-line block ×4, first 2 shown]
	v_min3_f32 v163, v6, v4, v115
	v_add_f64 v[4:5], v[78:79], v[50:51]
	v_add_f64 v[6:7], v[76:77], v[48:49]
	v_min3_f32 v152, v2, v0, v16
	v_add_f64 v[0:1], v[78:79], v[46:47]
	v_add_f64 v[2:3], v[76:77], v[44:45]
	v_min3_f32 v12, v12, v13, s10
	v_cvt_f32_f64_e32 v6, v[6:7]
	v_cvt_f32_f64_e32 v4, v[4:5]
	;; [unrolled: 1-line block ×4, first 2 shown]
	v_min3_f32 v160, v6, v4, v114
	v_add_f64 v[4:5], v[82:83], v[50:51]
	v_add_f64 v[6:7], v[80:81], v[48:49]
	v_min3_f32 v149, v2, v0, v12
	v_add_f64 v[0:1], v[82:83], v[46:47]
	v_add_f64 v[2:3], v[80:81], v[44:45]
	v_cvt_f32_f64_e32 v6, v[6:7]
	v_cvt_f32_f64_e32 v4, v[4:5]
	;; [unrolled: 1-line block ×4, first 2 shown]
	v_min3_f32 v159, v6, v4, v113
	v_min3_f32 v148, v2, v0, v8
	s_cmp_lt_i32 s22, 9
	ds_write_b64 v168, v[102:103] offset:18432
	ds_write2st64_b64 v168, v[104:105], v[106:107] offset0:16 offset1:20
	ds_write2st64_b64 v168, v[108:109], v[110:111] offset0:24 offset1:28
	s_waitcnt lgkmcnt(0)
	s_barrier
	s_cbranch_scc1 .LBB120_57
; %bb.31:
	v_mov_b32_e32 v0, 0x4800
	v_lshl_add_u32 v217, v150, 5, v0
	v_mov_b32_e32 v0, 0x2000
	v_lshl_add_u32 v218, v151, 5, v0
	v_add_u32_e32 v0, 12, v158
	v_mad_i64_i32 v[0:1], s[10:11], v0, s36, 0
	v_lshlrev_b64 v[132:133], 3, v[0:1]
	v_add_u32_e32 v0, 8, v158
	v_mad_i64_i32 v[0:1], s[10:11], v0, s36, 0
	v_or_b32_e32 v213, 0x4000, v168
	v_add_u32_e32 v214, 0x4000, v162
	v_add_u32_e32 v215, 0x4800, v168
	v_or_b32_e32 v216, 0x2000, v168
	s_add_i32 s38, s22, -8
	v_lshl_add_u64 v[130:131], v[100:101], 3, s[34:35]
	s_add_i32 s39, s22, -1
	s_lshl_b64 s[34:35], s[36:37], 6
	v_lshlrev_b64 v[134:135], 3, v[0:1]
	s_mov_b32 s41, 0
	v_mov_b32_e32 v219, 0x7fefffff
	s_branch .LBB120_33
.LBB120_32:                             ;   in Loop: Header=BB120_33 Depth=1
	s_or_b64 exec, exec, s[10:11]
	v_add_f64 v[146:147], v[98:99], v[126:127]
	v_add_f64 v[226:227], v[96:97], v[124:125]
	v_cvt_f32_f64_e32 v225, v[226:227]
	v_cvt_f32_f64_e32 v146, v[146:147]
	v_min3_f32 v226, v225, v146, v224
	v_add_f64 v[146:147], v[94:95], v[126:127]
	v_add_f64 v[224:225], v[92:93], v[124:125]
	v_cvt_f32_f64_e32 v224, v[224:225]
	v_cvt_f32_f64_e32 v146, v[146:147]
	v_min3_f32 v227, v224, v146, v223
	;; [unrolled: 5-line block ×6, first 2 shown]
	v_add_f64 v[146:147], v[70:71], v[126:127]
	v_add_f64 v[220:221], v[68:69], v[124:125]
	;; [unrolled: 1-line block ×4, first 2 shown]
	v_cvt_f32_f64_e32 v124, v[124:125]
	v_cvt_f32_f64_e32 v125, v[126:127]
	;; [unrolled: 1-line block ×3, first 2 shown]
	v_min3_f32 v147, v124, v125, v210
	v_add_f64 v[124:125], v[98:99], v[122:123]
	v_add_f64 v[126:127], v[96:97], v[120:121]
	v_cvt_f32_f64_e32 v126, v[126:127]
	v_cvt_f32_f64_e32 v124, v[124:125]
	v_min3_f32 v209, v126, v124, v209
	v_add_f64 v[124:125], v[94:95], v[122:123]
	v_add_f64 v[126:127], v[92:93], v[120:121]
	v_cvt_f32_f64_e32 v126, v[126:127]
	v_cvt_f32_f64_e32 v124, v[124:125]
	;; [unrolled: 5-line block ×6, first 2 shown]
	v_min3_f32 v204, v126, v124, v204
	v_add_f64 v[124:125], v[70:71], v[122:123]
	v_add_f64 v[126:127], v[68:69], v[120:121]
	;; [unrolled: 1-line block ×4, first 2 shown]
	v_cvt_f32_f64_e32 v120, v[120:121]
	v_cvt_f32_f64_e32 v121, v[122:123]
	;; [unrolled: 1-line block ×3, first 2 shown]
	v_min3_f32 v125, v120, v121, v202
	v_add_f64 v[120:121], v[98:99], v[118:119]
	v_add_f64 v[122:123], v[96:97], v[116:117]
	v_cvt_f32_f64_e32 v126, v[126:127]
	v_cvt_f32_f64_e32 v122, v[122:123]
	;; [unrolled: 1-line block ×3, first 2 shown]
	v_min3_f32 v124, v126, v124, v203
	v_min3_f32 v126, v122, v120, v201
	v_add_f64 v[120:121], v[94:95], v[118:119]
	v_add_f64 v[122:123], v[92:93], v[116:117]
	v_cvt_f32_f64_e32 v122, v[122:123]
	v_cvt_f32_f64_e32 v120, v[120:121]
	v_min3_f32 v127, v122, v120, v200
	v_add_f64 v[120:121], v[90:91], v[118:119]
	v_add_f64 v[122:123], v[88:89], v[116:117]
	v_cvt_f32_f64_e32 v122, v[122:123]
	v_cvt_f32_f64_e32 v120, v[120:121]
	;; [unrolled: 5-line block ×5, first 2 shown]
	v_min3_f32 v196, v122, v120, v196
	v_add_f64 v[120:121], v[70:71], v[118:119]
	v_add_f64 v[122:123], v[68:69], v[116:117]
	;; [unrolled: 1-line block ×4, first 2 shown]
	v_cvt_f32_f64_e32 v116, v[116:117]
	v_cvt_f32_f64_e32 v117, v[118:119]
	v_cvt_f32_f64_e32 v120, v[120:121]
	v_min3_f32 v121, v116, v117, v194
	v_add_f64 v[116:117], v[98:99], v[114:115]
	v_add_f64 v[118:119], v[96:97], v[112:113]
	v_cvt_f32_f64_e32 v122, v[122:123]
	v_cvt_f32_f64_e32 v118, v[118:119]
	;; [unrolled: 1-line block ×3, first 2 shown]
	v_min3_f32 v120, v122, v120, v195
	v_min3_f32 v122, v118, v116, v193
	v_add_f64 v[116:117], v[94:95], v[114:115]
	v_add_f64 v[118:119], v[92:93], v[112:113]
	v_cvt_f32_f64_e32 v118, v[118:119]
	v_cvt_f32_f64_e32 v116, v[116:117]
	v_min3_f32 v123, v118, v116, v192
	v_add_f64 v[116:117], v[90:91], v[114:115]
	v_add_f64 v[118:119], v[88:89], v[112:113]
	v_cvt_f32_f64_e32 v118, v[118:119]
	v_cvt_f32_f64_e32 v116, v[116:117]
	v_min3_f32 v191, v118, v116, v191
	v_add_f64 v[116:117], v[82:83], v[114:115]
	v_add_f64 v[118:119], v[80:81], v[112:113]
	v_cvt_f32_f64_e32 v118, v[118:119]
	v_cvt_f32_f64_e32 v116, v[116:117]
	v_min3_f32 v190, v118, v116, v190
	v_add_f64 v[116:117], v[78:79], v[114:115]
	v_add_f64 v[118:119], v[76:77], v[112:113]
	v_cvt_f32_f64_e32 v118, v[118:119]
	v_cvt_f32_f64_e32 v116, v[116:117]
	v_min3_f32 v189, v118, v116, v189
	v_add_f64 v[116:117], v[74:75], v[114:115]
	v_add_f64 v[118:119], v[72:73], v[112:113]
	v_cvt_f32_f64_e32 v118, v[118:119]
	v_cvt_f32_f64_e32 v116, v[116:117]
	v_min3_f32 v188, v118, v116, v188
	v_add_f64 v[116:117], v[70:71], v[114:115]
	v_add_f64 v[118:119], v[68:69], v[112:113]
	v_add_f64 v[114:115], v[66:67], v[114:115]
	v_add_f64 v[112:113], v[64:65], v[112:113]
	v_cvt_f32_f64_e32 v112, v[112:113]
	v_cvt_f32_f64_e32 v113, v[114:115]
	v_min3_f32 v186, v112, v113, v186
	v_add_f64 v[112:113], v[98:99], v[110:111]
	v_add_f64 v[114:115], v[96:97], v[108:109]
	v_cvt_f32_f64_e32 v114, v[114:115]
	v_cvt_f32_f64_e32 v112, v[112:113]
	v_min3_f32 v185, v114, v112, v185
	v_add_f64 v[112:113], v[94:95], v[110:111]
	v_add_f64 v[114:115], v[92:93], v[108:109]
	v_cvt_f32_f64_e32 v114, v[114:115]
	v_cvt_f32_f64_e32 v112, v[112:113]
	v_min3_f32 v184, v114, v112, v184
	v_add_f64 v[112:113], v[90:91], v[110:111]
	v_add_f64 v[114:115], v[88:89], v[108:109]
	v_cvt_f32_f64_e32 v114, v[114:115]
	v_cvt_f32_f64_e32 v112, v[112:113]
	v_min3_f32 v183, v114, v112, v183
	v_add_f64 v[112:113], v[82:83], v[110:111]
	v_add_f64 v[114:115], v[80:81], v[108:109]
	v_cvt_f32_f64_e32 v114, v[114:115]
	v_cvt_f32_f64_e32 v112, v[112:113]
	v_min3_f32 v182, v114, v112, v182
	v_add_f64 v[112:113], v[78:79], v[110:111]
	v_add_f64 v[114:115], v[76:77], v[108:109]
	v_cvt_f32_f64_e32 v114, v[114:115]
	v_cvt_f32_f64_e32 v112, v[112:113]
	v_min3_f32 v181, v114, v112, v181
	v_add_f64 v[112:113], v[74:75], v[110:111]
	v_add_f64 v[114:115], v[72:73], v[108:109]
	v_cvt_f32_f64_e32 v114, v[114:115]
	v_cvt_f32_f64_e32 v112, v[112:113]
	v_min3_f32 v180, v114, v112, v180
	v_add_f64 v[112:113], v[70:71], v[110:111]
	v_add_f64 v[114:115], v[68:69], v[108:109]
	v_add_f64 v[110:111], v[66:67], v[110:111]
	v_add_f64 v[108:109], v[64:65], v[108:109]
	v_cvt_f32_f64_e32 v108, v[108:109]
	v_cvt_f32_f64_e32 v109, v[110:111]
	v_min3_f32 v178, v108, v109, v178
	v_add_f64 v[108:109], v[98:99], v[106:107]
	v_add_f64 v[110:111], v[96:97], v[104:105]
	v_cvt_f32_f64_e32 v110, v[110:111]
	v_cvt_f32_f64_e32 v108, v[108:109]
	v_min3_f32 v177, v110, v108, v177
	v_add_f64 v[108:109], v[94:95], v[106:107]
	v_add_f64 v[110:111], v[92:93], v[104:105]
	v_cvt_f32_f64_e32 v110, v[110:111]
	v_cvt_f32_f64_e32 v108, v[108:109]
	v_min3_f32 v176, v110, v108, v176
	v_add_f64 v[108:109], v[90:91], v[106:107]
	v_add_f64 v[110:111], v[88:89], v[104:105]
	v_cvt_f32_f64_e32 v110, v[110:111]
	v_cvt_f32_f64_e32 v108, v[108:109]
	v_min3_f32 v175, v110, v108, v175
	v_add_f64 v[108:109], v[82:83], v[106:107]
	v_add_f64 v[110:111], v[80:81], v[104:105]
	v_cvt_f32_f64_e32 v110, v[110:111]
	v_cvt_f32_f64_e32 v108, v[108:109]
	v_min3_f32 v174, v110, v108, v174
	v_add_f64 v[108:109], v[78:79], v[106:107]
	v_add_f64 v[110:111], v[76:77], v[104:105]
	v_cvt_f32_f64_e32 v110, v[110:111]
	v_cvt_f32_f64_e32 v108, v[108:109]
	v_min3_f32 v173, v110, v108, v173
	v_add_f64 v[108:109], v[74:75], v[106:107]
	v_add_f64 v[110:111], v[72:73], v[104:105]
	v_cvt_f32_f64_e32 v110, v[110:111]
	v_cvt_f32_f64_e32 v108, v[108:109]
	v_min3_f32 v172, v110, v108, v172
	v_add_f64 v[108:109], v[70:71], v[106:107]
	v_add_f64 v[110:111], v[68:69], v[104:105]
	v_add_f64 v[106:107], v[66:67], v[106:107]
	v_add_f64 v[104:105], v[64:65], v[104:105]
	v_cvt_f32_f64_e32 v104, v[104:105]
	v_cvt_f32_f64_e32 v105, v[106:107]
	v_min3_f32 v170, v104, v105, v170
	v_add_f64 v[104:105], v[98:99], v[102:103]
	v_add_f64 v[106:107], v[96:97], v[100:101]
	v_cvt_f32_f64_e32 v106, v[106:107]
	v_cvt_f32_f64_e32 v104, v[104:105]
	v_min3_f32 v169, v106, v104, v169
	v_add_f64 v[104:105], v[94:95], v[102:103]
	v_add_f64 v[106:107], v[92:93], v[100:101]
	v_cvt_f32_f64_e32 v106, v[106:107]
	v_cvt_f32_f64_e32 v104, v[104:105]
	v_min3_f32 v167, v106, v104, v167
	v_add_f64 v[104:105], v[90:91], v[102:103]
	v_add_f64 v[106:107], v[88:89], v[100:101]
	v_cvt_f32_f64_e32 v106, v[106:107]
	v_cvt_f32_f64_e32 v104, v[104:105]
	;; [unrolled: 5-line block ×5, first 2 shown]
	v_min3_f32 v194, v106, v104, v163
	v_add_f64 v[104:105], v[70:71], v[102:103]
	v_add_f64 v[106:107], v[68:69], v[100:101]
	;; [unrolled: 1-line block ×8, first 2 shown]
	v_cvt_f32_f64_e32 v76, v[76:77]
	v_cvt_f32_f64_e32 v77, v[78:79]
	;; [unrolled: 1-line block ×4, first 2 shown]
	v_min3_f32 v76, v76, v77, v153
	v_min3_f32 v77, v64, v65, v148
	v_add_f64 v[64:65], v[34:35], v[62:63]
	v_add_f64 v[66:67], v[32:33], v[60:61]
	v_cvt_f32_f64_e32 v66, v[66:67]
	v_cvt_f32_f64_e32 v64, v[64:65]
	v_add_f64 v[70:71], v[70:71], v[86:87]
	v_add_f64 v[68:69], v[68:69], v[84:85]
	v_min3_f32 v201, v66, v64, v226
	v_add_f64 v[64:65], v[30:31], v[62:63]
	v_add_f64 v[66:67], v[28:29], v[60:61]
	v_add_f64 v[74:75], v[74:75], v[86:87]
	v_add_f64 v[72:73], v[72:73], v[84:85]
	v_cvt_f32_f64_e32 v68, v[68:69]
	v_cvt_f32_f64_e32 v69, v[70:71]
	;; [unrolled: 1-line block ×6, first 2 shown]
	v_min3_f32 v75, v68, v69, v149
	v_min3_f32 v64, v66, v64, v227
	v_add_f64 v[66:67], v[26:27], v[62:63]
	v_add_f64 v[68:69], v[24:25], v[60:61]
	v_cvt_f32_f64_e32 v65, v[68:69]
	v_cvt_f32_f64_e32 v66, v[66:67]
	v_min3_f32 v65, v65, v66, v224
	v_add_f64 v[66:67], v[18:19], v[62:63]
	v_add_f64 v[68:69], v[16:17], v[60:61]
	v_cvt_f32_f64_e32 v68, v[68:69]
	v_cvt_f32_f64_e32 v66, v[66:67]
	;; [unrolled: 5-line block ×4, first 2 shown]
	v_min3_f32 v74, v72, v73, v152
	v_min3_f32 v68, v70, v68, v212
	v_add_f64 v[70:71], v[6:7], v[62:63]
	v_add_f64 v[72:73], v[4:5], v[60:61]
	v_add_f64 v[62:63], v[2:3], v[62:63]
	v_add_f64 v[60:61], v[0:1], v[60:61]
	v_cvt_f32_f64_e32 v100, v[100:101]
	v_cvt_f32_f64_e32 v101, v[102:103]
	v_cvt_f32_f64_e32 v60, v[60:61]
	v_cvt_f32_f64_e32 v61, v[62:63]
	v_min3_f32 v200, v100, v101, v159
	v_min3_f32 v100, v60, v61, v147
	v_add_f64 v[60:61], v[34:35], v[58:59]
	v_add_f64 v[62:63], v[32:33], v[56:57]
	v_cvt_f32_f64_e32 v62, v[62:63]
	v_cvt_f32_f64_e32 v60, v[60:61]
	v_min3_f32 v101, v62, v60, v209
	v_add_f64 v[60:61], v[30:31], v[58:59]
	v_add_f64 v[62:63], v[28:29], v[56:57]
	v_cvt_f32_f64_e32 v62, v[62:63]
	v_cvt_f32_f64_e32 v60, v[60:61]
	v_min3_f32 v102, v62, v60, v208
	v_add_f64 v[60:61], v[26:27], v[58:59]
	v_add_f64 v[62:63], v[24:25], v[56:57]
	v_cvt_f32_f64_e32 v62, v[62:63]
	v_cvt_f32_f64_e32 v60, v[60:61]
	v_min3_f32 v103, v62, v60, v207
	v_add_f64 v[60:61], v[18:19], v[58:59]
	v_add_f64 v[62:63], v[16:17], v[56:57]
	v_cvt_f32_f64_e32 v106, v[106:107]
	v_cvt_f32_f64_e32 v104, v[104:105]
	v_cvt_f32_f64_e32 v62, v[62:63]
	v_cvt_f32_f64_e32 v60, v[60:61]
	v_min3_f32 v195, v106, v104, v160
	v_min3_f32 v104, v62, v60, v206
	v_add_f64 v[60:61], v[14:15], v[58:59]
	v_add_f64 v[62:63], v[12:13], v[56:57]
	v_cvt_f32_f64_e32 v62, v[62:63]
	v_cvt_f32_f64_e32 v60, v[60:61]
	v_min3_f32 v105, v62, v60, v205
	v_add_f64 v[60:61], v[10:11], v[58:59]
	v_add_f64 v[62:63], v[8:9], v[56:57]
	v_cvt_f32_f64_e32 v62, v[62:63]
	v_cvt_f32_f64_e32 v60, v[60:61]
	v_min3_f32 v106, v62, v60, v204
	v_add_f64 v[60:61], v[6:7], v[58:59]
	v_add_f64 v[62:63], v[4:5], v[56:57]
	v_add_f64 v[58:59], v[2:3], v[58:59]
	v_add_f64 v[56:57], v[0:1], v[56:57]
	v_cvt_f32_f64_e32 v110, v[110:111]
	v_cvt_f32_f64_e32 v108, v[108:109]
	v_cvt_f32_f64_e32 v56, v[56:57]
	v_cvt_f32_f64_e32 v57, v[58:59]
	v_min3_f32 v171, v110, v108, v171
	v_min3_f32 v108, v56, v57, v125
	v_add_f64 v[56:57], v[34:35], v[54:55]
	v_add_f64 v[58:59], v[32:33], v[52:53]
	v_cvt_f32_f64_e32 v58, v[58:59]
	v_cvt_f32_f64_e32 v56, v[56:57]
	v_min3_f32 v109, v58, v56, v126
	v_add_f64 v[56:57], v[30:31], v[54:55]
	v_add_f64 v[58:59], v[28:29], v[52:53]
	v_cvt_f32_f64_e32 v58, v[58:59]
	v_cvt_f32_f64_e32 v56, v[56:57]
	v_min3_f32 v110, v58, v56, v127
	v_add_f64 v[56:57], v[26:27], v[54:55]
	v_add_f64 v[58:59], v[24:25], v[52:53]
	v_cvt_f32_f64_e32 v58, v[58:59]
	v_cvt_f32_f64_e32 v56, v[56:57]
	v_min3_f32 v111, v58, v56, v199
	v_add_f64 v[56:57], v[18:19], v[54:55]
	v_add_f64 v[58:59], v[16:17], v[52:53]
	v_cvt_f32_f64_e32 v114, v[114:115]
	v_cvt_f32_f64_e32 v112, v[112:113]
	v_cvt_f32_f64_e32 v58, v[58:59]
	v_cvt_f32_f64_e32 v56, v[56:57]
	v_min3_f32 v179, v114, v112, v179
	v_min3_f32 v112, v58, v56, v198
	v_add_f64 v[56:57], v[14:15], v[54:55]
	v_add_f64 v[58:59], v[12:13], v[52:53]
	v_cvt_f32_f64_e32 v58, v[58:59]
	v_cvt_f32_f64_e32 v56, v[56:57]
	v_min3_f32 v113, v58, v56, v197
	v_add_f64 v[56:57], v[10:11], v[54:55]
	v_add_f64 v[58:59], v[8:9], v[52:53]
	v_cvt_f32_f64_e32 v58, v[58:59]
	v_cvt_f32_f64_e32 v56, v[56:57]
	;; [unrolled: 43-line block ×3, first 2 shown]
	v_min3_f32 v122, v54, v52, v188
	v_add_f64 v[52:53], v[6:7], v[50:51]
	v_add_f64 v[54:55], v[4:5], v[48:49]
	;; [unrolled: 1-line block ×4, first 2 shown]
	v_cvt_f32_f64_e32 v62, v[62:63]
	v_cvt_f32_f64_e32 v60, v[60:61]
	;; [unrolled: 1-line block ×4, first 2 shown]
	v_min3_f32 v107, v62, v60, v124
	v_min3_f32 v124, v48, v49, v186
	v_add_f64 v[48:49], v[34:35], v[46:47]
	v_add_f64 v[50:51], v[32:33], v[44:45]
	v_cvt_f32_f64_e32 v50, v[50:51]
	v_cvt_f32_f64_e32 v48, v[48:49]
	v_min3_f32 v125, v50, v48, v185
	v_add_f64 v[48:49], v[30:31], v[46:47]
	v_add_f64 v[50:51], v[28:29], v[44:45]
	v_cvt_f32_f64_e32 v50, v[50:51]
	v_cvt_f32_f64_e32 v48, v[48:49]
	;; [unrolled: 5-line block ×3, first 2 shown]
	v_cvt_f32_f64_e32 v220, v[220:221]
	v_min3_f32 v127, v50, v48, v183
	v_add_f64 v[48:49], v[18:19], v[46:47]
	v_add_f64 v[50:51], v[16:17], v[44:45]
	v_min3_f32 v146, v220, v146, v211
	v_cvt_f32_f64_e32 v69, v[72:73]
	v_cvt_f32_f64_e32 v70, v[70:71]
	;; [unrolled: 1-line block ×4, first 2 shown]
	v_min3_f32 v69, v69, v70, v146
	v_min3_f32 v146, v50, v48, v182
	v_add_f64 v[48:49], v[14:15], v[46:47]
	v_add_f64 v[50:51], v[12:13], v[44:45]
	v_cvt_f32_f64_e32 v50, v[50:51]
	v_cvt_f32_f64_e32 v48, v[48:49]
	v_min3_f32 v147, v50, v48, v181
	v_add_f64 v[48:49], v[10:11], v[46:47]
	v_add_f64 v[50:51], v[8:9], v[44:45]
	v_cvt_f32_f64_e32 v50, v[50:51]
	v_cvt_f32_f64_e32 v48, v[48:49]
	v_min3_f32 v148, v50, v48, v180
	v_add_f64 v[48:49], v[6:7], v[46:47]
	v_add_f64 v[50:51], v[4:5], v[44:45]
	;; [unrolled: 1-line block ×4, first 2 shown]
	v_cvt_f32_f64_e32 v44, v[44:45]
	v_cvt_f32_f64_e32 v45, v[46:47]
	v_min3_f32 v152, v44, v45, v178
	v_add_f64 v[44:45], v[34:35], v[42:43]
	v_add_f64 v[46:47], v[32:33], v[40:41]
	v_cvt_f32_f64_e32 v46, v[46:47]
	v_cvt_f32_f64_e32 v44, v[44:45]
	v_add_f64 v[82:83], v[82:83], v[86:87]
	v_add_f64 v[80:81], v[80:81], v[84:85]
	v_min3_f32 v153, v46, v44, v177
	v_add_f64 v[44:45], v[30:31], v[42:43]
	v_add_f64 v[46:47], v[28:29], v[40:41]
	v_cvt_f32_f64_e32 v80, v[80:81]
	v_cvt_f32_f64_e32 v81, v[82:83]
	v_cvt_f32_f64_e32 v46, v[46:47]
	v_cvt_f32_f64_e32 v44, v[44:45]
	v_add_f64 v[90:91], v[90:91], v[86:87]
	v_add_f64 v[88:89], v[88:89], v[84:85]
	v_min3_f32 v80, v80, v81, v154
	v_min3_f32 v154, v46, v44, v176
	v_add_f64 v[44:45], v[26:27], v[42:43]
	v_add_f64 v[46:47], v[24:25], v[40:41]
	v_cvt_f32_f64_e32 v88, v[88:89]
	v_cvt_f32_f64_e32 v89, v[90:91]
	v_cvt_f32_f64_e32 v46, v[46:47]
	v_cvt_f32_f64_e32 v44, v[44:45]
	v_add_f64 v[94:95], v[94:95], v[86:87]
	v_add_f64 v[92:93], v[92:93], v[84:85]
	v_min3_f32 v88, v88, v89, v155
	;; [unrolled: 10-line block ×3, first 2 shown]
	v_min3_f32 v156, v46, v44, v174
	v_add_f64 v[44:45], v[14:15], v[42:43]
	v_add_f64 v[46:47], v[12:13], v[40:41]
	v_cvt_f32_f64_e32 v96, v[96:97]
	v_cvt_f32_f64_e32 v97, v[98:99]
	;; [unrolled: 1-line block ×4, first 2 shown]
	v_min3_f32 v96, v96, v97, v157
	v_min3_f32 v157, v46, v44, v173
	v_add_f64 v[44:45], v[10:11], v[42:43]
	v_add_f64 v[46:47], v[8:9], v[40:41]
	v_cvt_f32_f64_e32 v46, v[46:47]
	v_cvt_f32_f64_e32 v44, v[44:45]
	v_min3_f32 v159, v46, v44, v172
	v_add_f64 v[44:45], v[6:7], v[42:43]
	v_add_f64 v[46:47], v[4:5], v[40:41]
	;; [unrolled: 1-line block ×4, first 2 shown]
	v_cvt_f32_f64_e32 v40, v[40:41]
	v_cvt_f32_f64_e32 v41, v[42:43]
	v_min3_f32 v163, v40, v41, v170
	v_add_f64 v[40:41], v[34:35], v[38:39]
	v_add_f64 v[42:43], v[32:33], v[36:37]
	v_cvt_f32_f64_e32 v42, v[42:43]
	v_cvt_f32_f64_e32 v40, v[40:41]
	v_min3_f32 v164, v42, v40, v169
	v_add_f64 v[40:41], v[30:31], v[38:39]
	v_add_f64 v[42:43], v[28:29], v[36:37]
	;; [unrolled: 5-line block ×7, first 2 shown]
	v_add_f64 v[38:39], v[2:3], v[38:39]
	v_add_f64 v[36:37], v[0:1], v[36:37]
	;; [unrolled: 1-line block ×18, first 2 shown]
	v_cvt_f32_f64_e32 v54, v[54:55]
	v_cvt_f32_f64_e32 v52, v[52:53]
	;; [unrolled: 1-line block ×24, first 2 shown]
	v_min3_f32 v123, v54, v52, v187
	v_min3_f32 v149, v50, v48, v179
	;; [unrolled: 1-line block ×12, first 2 shown]
	ds_read_b128 v[36:39], v214 offset:256
	ds_read_b128 v[32:35], v214 offset:512
	;; [unrolled: 1-line block ×12, first 2 shown]
	ds_read_b128 v[96:99], v161
	ds_read_b128 v[48:51], v214
	ds_read_b128 v[72:75], v161 offset:6144
	ds_read_b128 v[24:27], v161 offset:7168
	;; [unrolled: 1-line block ×4, first 2 shown]
	s_waitcnt lgkmcnt(5)
	v_add_f64 v[44:45], v[38:39], v[98:99]
	v_add_f64 v[46:47], v[36:37], v[96:97]
	;; [unrolled: 1-line block ×8, first 2 shown]
	v_cvt_f32_f64_e32 v46, v[46:47]
	v_cvt_f32_f64_e32 v44, v[44:45]
	;; [unrolled: 1-line block ×10, first 2 shown]
	v_min3_f32 v186, v46, v44, v64
	v_min3_f32 v187, v54, v52, v65
	;; [unrolled: 1-line block ×4, first 2 shown]
	v_add_f64 v[64:65], v[18:19], v[98:99]
	v_add_f64 v[66:67], v[16:17], v[96:97]
	v_min3_f32 v171, v42, v40, v195
	s_waitcnt lgkmcnt(4)
	v_add_f64 v[40:41], v[50:51], v[98:99]
	v_add_f64 v[42:43], v[48:49], v[96:97]
	v_cvt_f32_f64_e32 v66, v[66:67]
	v_cvt_f32_f64_e32 v64, v[64:65]
	v_add_f64 v[70:71], v[14:15], v[98:99]
	v_add_f64 v[182:183], v[12:13], v[96:97]
	;; [unrolled: 1-line block ×4, first 2 shown]
	v_min3_f32 v190, v66, v64, v68
	v_cvt_f32_f64_e32 v68, v[182:183]
	v_cvt_f32_f64_e32 v96, v[96:97]
	;; [unrolled: 1-line block ×3, first 2 shown]
	v_add_f64 v[182:183], v[50:51], v[94:95]
	v_add_f64 v[184:185], v[48:49], v[92:93]
	v_min3_f32 v192, v96, v97, v100
	v_cvt_f32_f64_e32 v100, v[184:185]
	v_cvt_f32_f64_e32 v182, v[182:183]
	v_min3_f32 v184, v100, v182, v101
	v_add_f64 v[100:101], v[38:39], v[94:95]
	v_add_f64 v[182:183], v[36:37], v[92:93]
	v_cvt_f32_f64_e32 v182, v[182:183]
	v_cvt_f32_f64_e32 v100, v[100:101]
	v_min3_f32 v185, v182, v100, v102
	v_add_f64 v[100:101], v[34:35], v[94:95]
	v_add_f64 v[182:183], v[32:33], v[92:93]
	;; [unrolled: 5-line block ×34, first 2 shown]
	v_cvt_f32_f64_e32 v102, v[102:103]
	v_cvt_f32_f64_e32 v100, v[100:101]
	v_min3_f32 v160, v102, v100, v160
	s_waitcnt lgkmcnt(3)
	v_add_f64 v[100:101], v[50:51], v[74:75]
	v_add_f64 v[102:103], v[48:49], v[72:73]
	v_cvt_f32_f64_e32 v102, v[102:103]
	v_cvt_f32_f64_e32 v100, v[100:101]
	v_min3_f32 v164, v102, v100, v164
	v_add_f64 v[100:101], v[38:39], v[74:75]
	v_add_f64 v[102:103], v[36:37], v[72:73]
	v_cvt_f32_f64_e32 v102, v[102:103]
	v_cvt_f32_f64_e32 v100, v[100:101]
	v_min3_f32 v165, v102, v100, v165
	;; [unrolled: 5-line block ×4, first 2 shown]
	v_add_f64 v[100:101], v[22:23], v[74:75]
	v_add_f64 v[102:103], v[20:21], v[72:73]
	v_cvt_f32_f64_e32 v102, v[102:103]
	v_cvt_f32_f64_e32 v100, v[100:101]
	v_cvt_f32_f64_e32 v42, v[42:43]
	v_cvt_f32_f64_e32 v40, v[40:41]
	v_min3_f32 v226, v102, v100, v169
	v_add_f64 v[100:101], v[18:19], v[74:75]
	v_add_f64 v[102:103], v[16:17], v[72:73]
	v_min3_f32 v181, v42, v40, v201
	ds_read_b128 v[40:43], v214 offset:272
	v_cvt_f32_f64_e32 v102, v[102:103]
	v_cvt_f32_f64_e32 v100, v[100:101]
	v_add_f64 v[94:95], v[10:11], v[94:95]
	v_add_f64 v[92:93], v[8:9], v[92:93]
	;; [unrolled: 1-line block ×10, first 2 shown]
	v_min3_f32 v227, v102, v100, v170
	v_add_f64 v[100:101], v[14:15], v[74:75]
	v_add_f64 v[102:103], v[12:13], v[72:73]
	;; [unrolled: 1-line block ×4, first 2 shown]
	s_waitcnt lgkmcnt(3)
	v_add_f64 v[14:15], v[14:15], v[26:27]
	v_add_f64 v[12:13], v[12:13], v[24:25]
	;; [unrolled: 1-line block ×4, first 2 shown]
	ds_read_b128 v[44:47], v214 offset:528
	ds_read_b128 v[52:55], v214 offset:784
	v_cvt_f32_f64_e32 v12, v[12:13]
	v_cvt_f32_f64_e32 v13, v[14:15]
	;; [unrolled: 1-line block ×4, first 2 shown]
	v_min3_f32 v12, v12, v13, v179
	v_min3_f32 v13, v8, v9, v180
	s_waitcnt lgkmcnt(3)
	v_add_f64 v[8:9], v[2:3], v[6:7]
	v_add_f64 v[10:11], v[0:1], v[4:5]
	v_cvt_f32_f64_e32 v72, v[72:73]
	v_cvt_f32_f64_e32 v73, v[74:75]
	;; [unrolled: 1-line block ×5, first 2 shown]
	v_min3_f32 v101, v72, v73, v172
	ds_read_b128 v[72:75], v161 offset:7184
	v_min3_f32 v224, v10, v8, v181
	s_waitcnt lgkmcnt(3)
	v_add_f64 v[8:9], v[42:43], v[6:7]
	v_add_f64 v[10:11], v[40:41], v[4:5]
	ds_read_b128 v[56:59], v214 offset:1040
	ds_read_b128 v[60:63], v214 offset:1296
	v_cvt_f32_f64_e32 v10, v[10:11]
	v_cvt_f32_f64_e32 v8, v[8:9]
	v_min3_f32 v223, v10, v8, v186
	s_waitcnt lgkmcnt(4)
	v_add_f64 v[8:9], v[46:47], v[6:7]
	v_add_f64 v[10:11], v[44:45], v[4:5]
	v_cvt_f32_f64_e32 v10, v[10:11]
	v_cvt_f32_f64_e32 v8, v[8:9]
	;; [unrolled: 1-line block ×3, first 2 shown]
	v_min3_f32 v222, v10, v8, v187
	s_waitcnt lgkmcnt(3)
	v_add_f64 v[8:9], v[54:55], v[6:7]
	v_add_f64 v[10:11], v[52:53], v[4:5]
	ds_read_b128 v[64:67], v214 offset:1552
	v_min3_f32 v191, v68, v70, v69
	ds_read_b128 v[68:71], v214 offset:1808
	v_cvt_f32_f64_e32 v10, v[10:11]
	v_cvt_f32_f64_e32 v8, v[8:9]
	v_min3_f32 v221, v10, v8, v188
	s_waitcnt lgkmcnt(3)
	v_add_f64 v[8:9], v[58:59], v[6:7]
	v_add_f64 v[10:11], v[56:57], v[4:5]
	ds_read_b128 v[96:99], v161 offset:1040
	v_cvt_f32_f64_e32 v10, v[10:11]
	v_cvt_f32_f64_e32 v8, v[8:9]
	v_min3_f32 v220, v10, v8, v189
	s_waitcnt lgkmcnt(3)
	v_add_f64 v[8:9], v[62:63], v[6:7]
	v_add_f64 v[10:11], v[60:61], v[4:5]
	v_cvt_f32_f64_e32 v10, v[10:11]
	v_cvt_f32_f64_e32 v8, v[8:9]
	v_min3_f32 v212, v10, v8, v190
	s_waitcnt lgkmcnt(2)
	v_add_f64 v[8:9], v[66:67], v[6:7]
	v_add_f64 v[10:11], v[64:65], v[4:5]
	s_waitcnt lgkmcnt(1)
	v_add_f64 v[6:7], v[70:71], v[6:7]
	v_add_f64 v[4:5], v[68:69], v[4:5]
	v_cvt_f32_f64_e32 v92, v[92:93]
	v_cvt_f32_f64_e32 v93, v[94:95]
	;; [unrolled: 1-line block ×4, first 2 shown]
	v_min3_f32 v108, v92, v93, v108
	ds_read_b128 v[92:95], v161 offset:2064
	v_min3_f32 v210, v4, v5, v192
	s_waitcnt lgkmcnt(1)
	v_add_f64 v[4:5], v[2:3], v[98:99]
	v_add_f64 v[6:7], v[0:1], v[96:97]
	v_cvt_f32_f64_e32 v6, v[6:7]
	v_cvt_f32_f64_e32 v4, v[4:5]
	v_min3_f32 v209, v6, v4, v184
	v_add_f64 v[4:5], v[42:43], v[98:99]
	v_add_f64 v[6:7], v[40:41], v[96:97]
	v_cvt_f32_f64_e32 v6, v[6:7]
	v_cvt_f32_f64_e32 v4, v[4:5]
	v_min3_f32 v208, v6, v4, v185
	;; [unrolled: 5-line block ×8, first 2 shown]
	s_waitcnt lgkmcnt(0)
	v_add_f64 v[4:5], v[2:3], v[94:95]
	v_add_f64 v[6:7], v[0:1], v[92:93]
	v_cvt_f32_f64_e32 v6, v[6:7]
	v_cvt_f32_f64_e32 v4, v[4:5]
	v_min3_f32 v201, v6, v4, v109
	v_add_f64 v[4:5], v[42:43], v[94:95]
	v_add_f64 v[6:7], v[40:41], v[92:93]
	v_cvt_f32_f64_e32 v6, v[6:7]
	v_cvt_f32_f64_e32 v4, v[4:5]
	v_min3_f32 v200, v6, v4, v110
	;; [unrolled: 5-line block ×4, first 2 shown]
	v_add_f64 v[4:5], v[58:59], v[94:95]
	v_add_f64 v[6:7], v[56:57], v[92:93]
	v_cvt_f32_f64_e32 v6, v[6:7]
	v_cvt_f32_f64_e32 v4, v[4:5]
	;; [unrolled: 1-line block ×4, first 2 shown]
	v_min3_f32 v197, v6, v4, v113
	v_add_f64 v[4:5], v[62:63], v[94:95]
	v_add_f64 v[6:7], v[60:61], v[92:93]
	v_min3_f32 v116, v88, v89, v116
	ds_read_b128 v[88:91], v161 offset:3088
	v_cvt_f32_f64_e32 v6, v[6:7]
	v_cvt_f32_f64_e32 v4, v[4:5]
	v_min3_f32 v196, v6, v4, v114
	v_add_f64 v[4:5], v[66:67], v[94:95]
	v_add_f64 v[6:7], v[64:65], v[92:93]
	v_cvt_f32_f64_e32 v6, v[6:7]
	v_cvt_f32_f64_e32 v4, v[4:5]
	v_min3_f32 v195, v6, v4, v115
	v_add_f64 v[4:5], v[70:71], v[94:95]
	v_add_f64 v[6:7], v[68:69], v[92:93]
	v_cvt_f32_f64_e32 v84, v[84:85]
	v_cvt_f32_f64_e32 v85, v[86:87]
	;; [unrolled: 1-line block ×4, first 2 shown]
	v_min3_f32 v124, v84, v85, v124
	ds_read_b128 v[84:87], v161 offset:4112
	v_min3_f32 v194, v6, v4, v116
	s_waitcnt lgkmcnt(1)
	v_add_f64 v[4:5], v[2:3], v[90:91]
	v_add_f64 v[6:7], v[0:1], v[88:89]
	v_cvt_f32_f64_e32 v6, v[6:7]
	v_cvt_f32_f64_e32 v4, v[4:5]
	v_min3_f32 v193, v6, v4, v117
	v_add_f64 v[4:5], v[42:43], v[90:91]
	v_add_f64 v[6:7], v[40:41], v[88:89]
	v_cvt_f32_f64_e32 v6, v[6:7]
	v_cvt_f32_f64_e32 v4, v[4:5]
	v_min3_f32 v192, v6, v4, v118
	v_add_f64 v[4:5], v[46:47], v[90:91]
	v_add_f64 v[6:7], v[44:45], v[88:89]
	v_cvt_f32_f64_e32 v10, v[10:11]
	v_cvt_f32_f64_e32 v8, v[8:9]
	;; [unrolled: 1-line block ×4, first 2 shown]
	v_min3_f32 v211, v10, v8, v191
	v_min3_f32 v191, v6, v4, v119
	v_add_f64 v[4:5], v[54:55], v[90:91]
	v_add_f64 v[6:7], v[52:53], v[88:89]
	v_cvt_f32_f64_e32 v6, v[6:7]
	v_cvt_f32_f64_e32 v4, v[4:5]
	v_min3_f32 v190, v6, v4, v120
	v_add_f64 v[4:5], v[58:59], v[90:91]
	v_add_f64 v[6:7], v[56:57], v[88:89]
	v_cvt_f32_f64_e32 v6, v[6:7]
	v_cvt_f32_f64_e32 v4, v[4:5]
	;; [unrolled: 5-line block ×5, first 2 shown]
	v_min3_f32 v186, v6, v4, v124
	s_waitcnt lgkmcnt(0)
	v_add_f64 v[4:5], v[2:3], v[86:87]
	v_add_f64 v[6:7], v[0:1], v[84:85]
	v_cvt_f32_f64_e32 v6, v[6:7]
	v_cvt_f32_f64_e32 v4, v[4:5]
	v_min3_f32 v185, v6, v4, v125
	v_add_f64 v[4:5], v[42:43], v[86:87]
	v_add_f64 v[6:7], v[40:41], v[84:85]
	v_cvt_f32_f64_e32 v6, v[6:7]
	v_cvt_f32_f64_e32 v4, v[4:5]
	v_min3_f32 v184, v6, v4, v126
	;; [unrolled: 5-line block ×4, first 2 shown]
	v_add_f64 v[4:5], v[58:59], v[86:87]
	v_add_f64 v[6:7], v[56:57], v[84:85]
	v_cvt_f32_f64_e32 v6, v[6:7]
	v_cvt_f32_f64_e32 v4, v[4:5]
	;; [unrolled: 1-line block ×4, first 2 shown]
	v_min3_f32 v181, v6, v4, v147
	v_add_f64 v[4:5], v[62:63], v[86:87]
	v_add_f64 v[6:7], v[60:61], v[84:85]
	v_min3_f32 v152, v80, v81, v152
	ds_read_b128 v[80:83], v161 offset:5136
	v_cvt_f32_f64_e32 v6, v[6:7]
	v_cvt_f32_f64_e32 v4, v[4:5]
	v_min3_f32 v180, v6, v4, v148
	v_add_f64 v[4:5], v[66:67], v[86:87]
	v_add_f64 v[6:7], v[64:65], v[84:85]
	v_cvt_f32_f64_e32 v6, v[6:7]
	v_cvt_f32_f64_e32 v4, v[4:5]
	v_add_f64 v[18:19], v[18:19], v[26:27]
	v_add_f64 v[16:17], v[16:17], v[24:25]
	v_min3_f32 v179, v6, v4, v149
	v_add_f64 v[4:5], v[70:71], v[86:87]
	v_add_f64 v[6:7], v[68:69], v[84:85]
	v_cvt_f32_f64_e32 v76, v[76:77]
	v_cvt_f32_f64_e32 v77, v[78:79]
	;; [unrolled: 1-line block ×6, first 2 shown]
	v_min3_f32 v163, v76, v77, v163
	ds_read_b128 v[76:79], v161 offset:6160
	v_add_f64 v[22:23], v[22:23], v[26:27]
	v_add_f64 v[20:21], v[20:21], v[24:25]
	v_min3_f32 v16, v16, v17, v178
	v_min3_f32 v178, v6, v4, v152
	s_waitcnt lgkmcnt(1)
	v_add_f64 v[4:5], v[2:3], v[82:83]
	v_add_f64 v[6:7], v[0:1], v[80:81]
	v_cvt_f32_f64_e32 v20, v[20:21]
	v_cvt_f32_f64_e32 v21, v[22:23]
	v_cvt_f32_f64_e32 v6, v[6:7]
	v_cvt_f32_f64_e32 v4, v[4:5]
	v_add_f64 v[30:31], v[30:31], v[26:27]
	v_add_f64 v[28:29], v[28:29], v[24:25]
	v_min3_f32 v20, v20, v21, v177
	v_min3_f32 v177, v6, v4, v153
	v_add_f64 v[4:5], v[42:43], v[82:83]
	v_add_f64 v[6:7], v[40:41], v[80:81]
	v_cvt_f32_f64_e32 v28, v[28:29]
	v_cvt_f32_f64_e32 v29, v[30:31]
	v_cvt_f32_f64_e32 v6, v[6:7]
	v_cvt_f32_f64_e32 v4, v[4:5]
	v_add_f64 v[34:35], v[34:35], v[26:27]
	v_add_f64 v[32:33], v[32:33], v[24:25]
	v_min3_f32 v28, v28, v29, v176
	v_min3_f32 v176, v6, v4, v154
	;; [unrolled: 10-line block ×4, first 2 shown]
	v_add_f64 v[4:5], v[58:59], v[82:83]
	v_add_f64 v[6:7], v[56:57], v[80:81]
	v_cvt_f32_f64_e32 v48, v[48:49]
	v_cvt_f32_f64_e32 v49, v[50:51]
	;; [unrolled: 1-line block ×4, first 2 shown]
	v_min3_f32 v48, v48, v49, v173
	v_min3_f32 v173, v6, v4, v157
	v_add_f64 v[4:5], v[62:63], v[82:83]
	v_add_f64 v[6:7], v[60:61], v[80:81]
	v_cvt_f32_f64_e32 v6, v[6:7]
	v_cvt_f32_f64_e32 v4, v[4:5]
	v_min3_f32 v172, v6, v4, v159
	v_add_f64 v[4:5], v[66:67], v[82:83]
	v_add_f64 v[6:7], v[64:65], v[80:81]
	v_cvt_f32_f64_e32 v102, v[102:103]
	v_cvt_f32_f64_e32 v6, v[6:7]
	;; [unrolled: 1-line block ×3, first 2 shown]
	v_min3_f32 v100, v102, v100, v171
	v_min3_f32 v171, v6, v4, v160
	v_add_f64 v[4:5], v[70:71], v[82:83]
	v_add_f64 v[6:7], v[68:69], v[80:81]
	v_cvt_f32_f64_e32 v6, v[6:7]
	v_cvt_f32_f64_e32 v4, v[4:5]
	v_min3_f32 v170, v6, v4, v163
	s_waitcnt lgkmcnt(0)
	v_add_f64 v[4:5], v[2:3], v[78:79]
	v_add_f64 v[6:7], v[0:1], v[76:77]
	;; [unrolled: 1-line block ×4, first 2 shown]
	v_cvt_f32_f64_e32 v6, v[6:7]
	v_cvt_f32_f64_e32 v4, v[4:5]
	v_cvt_f32_f64_e32 v0, v[0:1]
	v_cvt_f32_f64_e32 v1, v[2:3]
	v_min3_f32 v169, v6, v4, v164
	v_add_f64 v[4:5], v[42:43], v[78:79]
	v_add_f64 v[6:7], v[40:41], v[76:77]
	v_min3_f32 v157, v0, v1, v48
	v_add_f64 v[0:1], v[42:43], v[74:75]
	v_add_f64 v[2:3], v[40:41], v[72:73]
	v_cvt_f32_f64_e32 v6, v[6:7]
	v_cvt_f32_f64_e32 v4, v[4:5]
	v_cvt_f32_f64_e32 v2, v[2:3]
	v_cvt_f32_f64_e32 v0, v[0:1]
	v_min3_f32 v167, v6, v4, v165
	v_add_f64 v[4:5], v[46:47], v[78:79]
	v_add_f64 v[6:7], v[44:45], v[76:77]
	v_min3_f32 v156, v2, v0, v36
	v_add_f64 v[0:1], v[46:47], v[74:75]
	v_add_f64 v[2:3], v[44:45], v[72:73]
	;; [unrolled: 10-line block ×7, first 2 shown]
	v_cvt_f32_f64_e32 v6, v[6:7]
	v_cvt_f32_f64_e32 v4, v[4:5]
	;; [unrolled: 1-line block ×4, first 2 shown]
	s_add_i32 s41, s41, 8
	v_min3_f32 v159, v6, v4, v101
	v_min3_f32 v148, v2, v0, v13
	s_cmp_ge_i32 s41, s38
	v_lshl_add_u64 v[130:131], v[130:131], 0, s[34:35]
	ds_write_b64 v215, v[136:137]
	ds_write2st64_b64 v216, v[138:139], v[140:141] offset1:4
	ds_write2st64_b64 v216, v[142:143], v[144:145] offset0:8 offset1:12
	s_waitcnt lgkmcnt(0)
	s_barrier
	s_cbranch_scc1 .LBB120_57
.LBB120_33:                             ; =>This Inner Loop Header: Depth=1
	v_add_u32_e32 v146, s41, v158
	v_add_u32_e32 v0, 8, v146
	v_cmp_le_i32_e64 s[10:11], s22, v0
	s_or_b64 s[12:13], vcc, s[10:11]
	s_nor_b64 s[36:37], s[28:29], s[12:13]
                                        ; implicit-def: $vgpr136_vgpr137
	s_and_saveexec_b64 s[42:43], s[36:37]
	s_xor_b64 s[36:37], exec, s[42:43]
	s_cbranch_execz .LBB120_35
; %bb.34:                               ;   in Loop: Header=BB120_33 Depth=1
	v_lshl_add_u64 v[2:3], v[130:131], 0, v[134:135]
	flat_load_dwordx2 v[2:3], v[2:3]
	s_waitcnt vmcnt(0) lgkmcnt(0)
	v_mul_f64 v[136:137], s[16:17], v[2:3]
.LBB120_35:                             ;   in Loop: Header=BB120_33 Depth=1
	s_andn2_saveexec_b64 s[36:37], s[36:37]
; %bb.36:                               ;   in Loop: Header=BB120_33 Depth=1
	v_cndmask_b32_e64 v137, 0, v219, s[12:13]
	v_cndmask_b32_e64 v136, 0, -1, s[12:13]
; %bb.37:                               ;   in Loop: Header=BB120_33 Depth=1
	s_or_b64 exec, exec, s[36:37]
	v_min_i32_e32 v0, s39, v0
	v_mad_i64_i32 v[0:1], s[12:13], v0, s23, 0
	v_lshl_add_u64 v[0:1], v[0:1], 3, s[18:19]
	s_or_b64 s[12:13], s[2:3], s[10:11]
	v_cndmask_b32_e64 v139, 0, v219, s[12:13]
	s_nor_b64 s[36:37], s[28:29], s[12:13]
	v_cndmask_b32_e64 v138, 0, -1, s[12:13]
	v_lshl_add_u64 v[0:1], v[128:129], 3, v[0:1]
	s_and_saveexec_b64 s[12:13], s[36:37]
	s_cbranch_execz .LBB120_39
; %bb.38:                               ;   in Loop: Header=BB120_33 Depth=1
	flat_load_dwordx2 v[2:3], v[0:1]
	s_waitcnt vmcnt(0) lgkmcnt(0)
	v_mul_f64 v[138:139], s[16:17], v[2:3]
.LBB120_39:                             ;   in Loop: Header=BB120_33 Depth=1
	s_or_b64 exec, exec, s[12:13]
	s_or_b64 s[12:13], s[4:5], s[10:11]
	v_cndmask_b32_e64 v141, 0, v219, s[12:13]
	s_nor_b64 s[36:37], s[28:29], s[12:13]
	v_cndmask_b32_e64 v140, 0, -1, s[12:13]
	s_and_saveexec_b64 s[12:13], s[36:37]
	s_cbranch_execz .LBB120_41
; %bb.40:                               ;   in Loop: Header=BB120_33 Depth=1
	flat_load_dwordx2 v[2:3], v[0:1] offset:512
	s_waitcnt vmcnt(0) lgkmcnt(0)
	v_mul_f64 v[140:141], s[16:17], v[2:3]
.LBB120_41:                             ;   in Loop: Header=BB120_33 Depth=1
	s_or_b64 exec, exec, s[12:13]
	s_or_b64 s[12:13], s[6:7], s[10:11]
	v_cndmask_b32_e64 v143, 0, v219, s[12:13]
	s_nor_b64 s[36:37], s[28:29], s[12:13]
	v_cndmask_b32_e64 v142, 0, -1, s[12:13]
	s_and_saveexec_b64 s[12:13], s[36:37]
	s_cbranch_execz .LBB120_43
; %bb.42:                               ;   in Loop: Header=BB120_33 Depth=1
	flat_load_dwordx2 v[2:3], v[0:1] offset:1024
	s_waitcnt vmcnt(0) lgkmcnt(0)
	v_mul_f64 v[142:143], s[16:17], v[2:3]
.LBB120_43:                             ;   in Loop: Header=BB120_33 Depth=1
	;; [unrolled: 12-line block ×3, first 2 shown]
	s_or_b64 exec, exec, s[10:11]
	ds_read_b128 v[124:127], v218
	ds_read_b128 v[60:63], v218 offset:16
	ds_read_b128 v[96:99], v217
	ds_read_b128 v[32:35], v217 offset:16
	ds_read_b128 v[92:95], v217 offset:256
	;; [unrolled: 1-line block ×29, first 2 shown]
	ds_write_b64 v213, v[136:137]
	ds_write2st64_b64 v168, v[138:139], v[140:141] offset1:4
	ds_write2st64_b64 v168, v[142:143], v[144:145] offset0:8 offset1:12
	v_add_u32_e32 v138, 12, v146
	v_cmp_le_i32_e64 s[10:11], s22, v138
	s_or_b64 s[12:13], vcc, s[10:11]
	s_nor_b64 s[36:37], s[28:29], s[12:13]
	s_waitcnt lgkmcnt(0)
	s_barrier
                                        ; implicit-def: $vgpr136_vgpr137
	s_and_saveexec_b64 s[42:43], s[36:37]
	s_xor_b64 s[36:37], exec, s[42:43]
	s_cbranch_execz .LBB120_47
; %bb.46:                               ;   in Loop: Header=BB120_33 Depth=1
	v_lshl_add_u64 v[136:137], v[130:131], 0, v[132:133]
	flat_load_dwordx2 v[136:137], v[136:137]
	s_waitcnt vmcnt(0) lgkmcnt(0)
	v_mul_f64 v[136:137], s[16:17], v[136:137]
.LBB120_47:                             ;   in Loop: Header=BB120_33 Depth=1
	s_andn2_saveexec_b64 s[36:37], s[36:37]
; %bb.48:                               ;   in Loop: Header=BB120_33 Depth=1
	v_cndmask_b32_e64 v137, 0, v219, s[12:13]
	v_cndmask_b32_e64 v136, 0, -1, s[12:13]
; %bb.49:                               ;   in Loop: Header=BB120_33 Depth=1
	s_or_b64 exec, exec, s[36:37]
	v_min_i32_e32 v138, s39, v138
	v_mad_i64_i32 v[138:139], s[12:13], v138, s23, 0
	v_lshl_add_u64 v[140:141], v[138:139], 3, s[18:19]
	s_or_b64 s[12:13], s[2:3], s[10:11]
	v_cndmask_b32_e64 v139, 0, v219, s[12:13]
	s_nor_b64 s[36:37], s[28:29], s[12:13]
	v_cndmask_b32_e64 v138, 0, -1, s[12:13]
	v_lshl_add_u64 v[146:147], v[128:129], 3, v[140:141]
	s_and_saveexec_b64 s[12:13], s[36:37]
	s_cbranch_execz .LBB120_51
; %bb.50:                               ;   in Loop: Header=BB120_33 Depth=1
	flat_load_dwordx2 v[138:139], v[146:147]
	s_waitcnt vmcnt(0) lgkmcnt(0)
	v_mul_f64 v[138:139], s[16:17], v[138:139]
.LBB120_51:                             ;   in Loop: Header=BB120_33 Depth=1
	s_or_b64 exec, exec, s[12:13]
	s_or_b64 s[12:13], s[4:5], s[10:11]
	v_cndmask_b32_e64 v141, 0, v219, s[12:13]
	s_nor_b64 s[36:37], s[28:29], s[12:13]
	v_cndmask_b32_e64 v140, 0, -1, s[12:13]
	s_and_saveexec_b64 s[12:13], s[36:37]
	s_cbranch_execz .LBB120_53
; %bb.52:                               ;   in Loop: Header=BB120_33 Depth=1
	flat_load_dwordx2 v[140:141], v[146:147] offset:512
	s_waitcnt vmcnt(0) lgkmcnt(0)
	v_mul_f64 v[140:141], s[16:17], v[140:141]
.LBB120_53:                             ;   in Loop: Header=BB120_33 Depth=1
	s_or_b64 exec, exec, s[12:13]
	s_or_b64 s[12:13], s[6:7], s[10:11]
	v_cndmask_b32_e64 v143, 0, v219, s[12:13]
	s_nor_b64 s[36:37], s[28:29], s[12:13]
	v_cndmask_b32_e64 v142, 0, -1, s[12:13]
	s_and_saveexec_b64 s[12:13], s[36:37]
	s_cbranch_execz .LBB120_55
; %bb.54:                               ;   in Loop: Header=BB120_33 Depth=1
	flat_load_dwordx2 v[142:143], v[146:147] offset:1024
	s_waitcnt vmcnt(0) lgkmcnt(0)
	v_mul_f64 v[142:143], s[16:17], v[142:143]
.LBB120_55:                             ;   in Loop: Header=BB120_33 Depth=1
	s_or_b64 exec, exec, s[12:13]
	s_or_b64 s[10:11], s[8:9], s[10:11]
	v_cndmask_b32_e64 v145, 0, v219, s[10:11]
	s_nor_b64 s[12:13], s[28:29], s[10:11]
	v_cndmask_b32_e64 v144, 0, -1, s[10:11]
	s_and_saveexec_b64 s[10:11], s[12:13]
	s_cbranch_execz .LBB120_32
; %bb.56:                               ;   in Loop: Header=BB120_33 Depth=1
	flat_load_dwordx2 v[144:145], v[146:147] offset:1536
	s_waitcnt vmcnt(0) lgkmcnt(0)
	v_mul_f64 v[144:145], s[16:17], v[144:145]
	s_branch .LBB120_32
.LBB120_57:
	s_load_dwordx2 s[2:3], s[0:1], 0x78
	s_load_dword s35, s[0:1], 0x58
	s_load_dword s34, s[0:1], 0x70
	ds_read_b128 v[68:71], v162 offset:18432
	ds_read_b128 v[64:67], v162 offset:18448
	;; [unrolled: 1-line block ×32, first 2 shown]
	s_waitcnt lgkmcnt(0)
	s_lshl_b64 s[0:1], s[2:3], 3
	s_add_u32 s22, s30, s0
	v_add_u32_e32 v128, s33, v150
	v_add_u32_e32 v150, s40, v151
	s_addc_u32 s23, s31, s1
	v_mad_i64_i32 v[130:131], s[0:1], v150, s35, 0
	v_lshl_add_u64 v[146:147], v[130:131], 3, s[26:27]
	v_mad_i64_i32 v[130:131], s[0:1], v150, s34, 0
	v_cmp_gt_i32_e64 s[2:3], s20, v128
	v_cmp_gt_i32_e64 s[18:19], s21, v150
	v_lshl_add_u64 v[144:145], v[130:131], 3, s[22:23]
	v_cndmask_b32_e64 v130, 0, 1, s[14:15]
	v_ashrrev_i32_e32 v129, 31, v128
	s_and_b64 s[6:7], s[2:3], s[18:19]
	v_cmp_ne_u32_e64 s[0:1], 1, v130
	s_and_saveexec_b64 s[4:5], s[6:7]
	s_cbranch_execz .LBB120_62
; %bb.58:
	s_and_b64 vcc, exec, s[0:1]
	s_cbranch_vccnz .LBB120_60
; %bb.59:
	v_lshl_add_u64 v[130:131], v[128:129], 3, v[146:147]
	flat_load_dwordx2 v[130:131], v[130:131]
	s_waitcnt vmcnt(0) lgkmcnt(0)
	v_mul_f64 v[130:131], s[24:25], v[130:131]
	v_cvt_f32_f64_e32 v130, v[130:131]
	s_branch .LBB120_61
.LBB120_60:
	v_mov_b32_e32 v130, 0
.LBB120_61:
	v_add_f64 v[132:133], v[70:71], v[126:127]
	v_add_f64 v[134:135], v[68:69], v[124:125]
	v_cvt_f32_f64_e32 v131, v[134:135]
	v_cvt_f32_f64_e32 v132, v[132:133]
	v_min3_f32 v131, v131, v132, v224
	v_add_f64 v[132:133], v[66:67], v[122:123]
	v_add_f64 v[134:135], v[64:65], v[120:121]
	v_cvt_f32_f64_e32 v134, v[134:135]
	v_cvt_f32_f64_e32 v132, v[132:133]
	v_min_f32_e32 v132, v134, v132
	v_min3_f32 v130, v130, v132, v131
	v_cvt_f64_f32_e32 v[130:131], v130
	v_lshl_add_u64 v[132:133], v[128:129], 3, v[144:145]
	flat_store_dwordx2 v[132:133], v[130:131]
.LBB120_62:
	s_or_b64 exec, exec, s[4:5]
	v_add_u32_e32 v130, 8, v128
	v_cmp_gt_i32_e64 s[4:5], s20, v130
	v_ashrrev_i32_e32 v131, 31, v130
	s_and_b64 s[8:9], s[4:5], s[18:19]
	s_and_saveexec_b64 s[6:7], s[8:9]
	s_cbranch_execz .LBB120_67
; %bb.63:
	s_and_b64 vcc, exec, s[0:1]
	s_cbranch_vccnz .LBB120_65
; %bb.64:
	v_lshl_add_u64 v[132:133], v[130:131], 3, v[146:147]
	flat_load_dwordx2 v[132:133], v[132:133]
	s_waitcnt vmcnt(0) lgkmcnt(0)
	v_mul_f64 v[132:133], s[24:25], v[132:133]
	v_cvt_f32_f64_e32 v132, v[132:133]
	s_branch .LBB120_66
.LBB120_65:
	v_mov_b32_e32 v132, 0
.LBB120_66:
	v_add_f64 v[134:135], v[62:63], v[126:127]
	v_add_f64 v[136:137], v[60:61], v[124:125]
	v_cvt_f32_f64_e32 v133, v[136:137]
	v_cvt_f32_f64_e32 v134, v[134:135]
	v_min3_f32 v133, v133, v134, v223
	v_add_f64 v[134:135], v[58:59], v[122:123]
	v_add_f64 v[136:137], v[56:57], v[120:121]
	v_cvt_f32_f64_e32 v136, v[136:137]
	v_cvt_f32_f64_e32 v134, v[134:135]
	v_min_f32_e32 v134, v136, v134
	v_min3_f32 v132, v132, v134, v133
	v_cvt_f64_f32_e32 v[132:133], v132
	v_lshl_add_u64 v[134:135], v[130:131], 3, v[144:145]
	flat_store_dwordx2 v[134:135], v[132:133]
.LBB120_67:
	s_or_b64 exec, exec, s[6:7]
	v_add_u32_e32 v132, 16, v128
	v_cmp_gt_i32_e64 s[6:7], s20, v132
	v_ashrrev_i32_e32 v133, 31, v132
	s_and_b64 s[10:11], s[6:7], s[18:19]
	;; [unrolled: 35-line block ×6, first 2 shown]
	s_and_saveexec_b64 s[16:17], s[28:29]
	s_cbranch_execz .LBB120_92
; %bb.88:
	s_and_b64 vcc, exec, s[0:1]
	s_cbranch_vccnz .LBB120_90
; %bb.89:
	v_lshl_add_u64 v[142:143], v[140:141], 3, v[146:147]
	flat_load_dwordx2 v[142:143], v[142:143]
	s_waitcnt vmcnt(0) lgkmcnt(0)
	v_mul_f64 v[142:143], s[24:25], v[142:143]
	v_cvt_f32_f64_e32 v142, v[142:143]
	s_branch .LBB120_91
.LBB120_90:
	v_mov_b32_e32 v142, 0
.LBB120_91:
	v_add_f64 v[212:213], v[22:23], v[126:127]
	v_add_f64 v[214:215], v[20:21], v[124:125]
	v_cvt_f32_f64_e32 v143, v[214:215]
	v_cvt_f32_f64_e32 v151, v[212:213]
	v_add_f64 v[212:213], v[18:19], v[122:123]
	v_add_f64 v[214:215], v[16:17], v[120:121]
	v_min3_f32 v143, v143, v151, v211
	v_cvt_f32_f64_e32 v151, v[214:215]
	v_cvt_f32_f64_e32 v158, v[212:213]
	v_min_f32_e32 v151, v151, v158
	v_min3_f32 v142, v142, v151, v143
	v_cvt_f64_f32_e32 v[142:143], v142
	v_lshl_add_u64 v[212:213], v[140:141], 3, v[144:145]
	flat_store_dwordx2 v[212:213], v[142:143]
.LBB120_92:
	s_or_b64 exec, exec, s[16:17]
	v_add_u32_e32 v142, 56, v128
	v_cmp_gt_i32_e64 s[16:17], s20, v142
	v_ashrrev_i32_e32 v143, 31, v142
	s_and_b64 s[28:29], s[16:17], s[18:19]
	s_and_saveexec_b64 s[18:19], s[28:29]
	s_cbranch_execz .LBB120_97
; %bb.93:
	s_and_b64 vcc, exec, s[0:1]
	s_cbranch_vccnz .LBB120_95
; %bb.94:
	v_lshl_add_u64 v[146:147], v[142:143], 3, v[146:147]
	flat_load_dwordx2 v[146:147], v[146:147]
	s_waitcnt vmcnt(0) lgkmcnt(0)
	v_mul_f64 v[146:147], s[24:25], v[146:147]
	v_cvt_f32_f64_e32 v146, v[146:147]
	s_branch .LBB120_96
.LBB120_95:
	v_mov_b32_e32 v146, 0
.LBB120_96:
	v_add_f64 v[126:127], v[6:7], v[126:127]
	v_add_f64 v[124:125], v[4:5], v[124:125]
	;; [unrolled: 1-line block ×4, first 2 shown]
	v_cvt_f32_f64_e32 v124, v[124:125]
	v_cvt_f32_f64_e32 v125, v[126:127]
	;; [unrolled: 1-line block ×4, first 2 shown]
	v_min3_f32 v124, v124, v125, v210
	v_min_f32_e32 v120, v120, v121
	v_min3_f32 v120, v146, v120, v124
	v_cvt_f64_f32_e32 v[120:121], v120
	v_lshl_add_u64 v[122:123], v[142:143], 3, v[144:145]
	flat_store_dwordx2 v[122:123], v[120:121]
.LBB120_97:
	s_or_b64 exec, exec, s[18:19]
	v_add_u32_e32 v124, 32, v150
	v_mad_i64_i32 v[120:121], s[28:29], v124, s35, 0
	v_cmp_gt_i32_e64 s[18:19], s21, v124
	v_lshl_add_u64 v[122:123], v[120:121], 3, s[26:27]
	v_mad_i64_i32 v[120:121], s[28:29], v124, s34, 0
	v_lshl_add_u64 v[120:121], v[120:121], 3, s[22:23]
	s_and_b64 s[30:31], s[2:3], s[18:19]
	s_and_saveexec_b64 s[28:29], s[30:31]
	s_cbranch_execnz .LBB120_105
; %bb.98:
	s_or_b64 exec, exec, s[28:29]
	s_and_b64 s[30:31], s[4:5], s[18:19]
	s_and_saveexec_b64 s[28:29], s[30:31]
	s_cbranch_execnz .LBB120_109
.LBB120_99:
	s_or_b64 exec, exec, s[28:29]
	s_and_b64 s[30:31], s[6:7], s[18:19]
	s_and_saveexec_b64 s[28:29], s[30:31]
	s_cbranch_execnz .LBB120_113
.LBB120_100:
	s_or_b64 exec, exec, s[28:29]
	s_and_b64 s[30:31], s[8:9], s[18:19]
	s_and_saveexec_b64 s[28:29], s[30:31]
	s_cbranch_execnz .LBB120_117
.LBB120_101:
	s_or_b64 exec, exec, s[28:29]
	s_and_b64 s[30:31], s[10:11], s[18:19]
	s_and_saveexec_b64 s[28:29], s[30:31]
	s_cbranch_execnz .LBB120_121
.LBB120_102:
	s_or_b64 exec, exec, s[28:29]
	s_and_b64 s[30:31], s[12:13], s[18:19]
	s_and_saveexec_b64 s[28:29], s[30:31]
	s_cbranch_execnz .LBB120_125
.LBB120_103:
	s_or_b64 exec, exec, s[28:29]
	s_and_b64 s[30:31], s[14:15], s[18:19]
	s_and_saveexec_b64 s[28:29], s[30:31]
	s_cbranch_execnz .LBB120_129
.LBB120_104:
	s_or_b64 exec, exec, s[28:29]
	s_and_b64 s[28:29], s[16:17], s[18:19]
	s_and_saveexec_b64 s[18:19], s[28:29]
	s_cbranch_execnz .LBB120_133
	s_branch .LBB120_137
.LBB120_105:
	s_and_b64 vcc, exec, s[0:1]
	s_cbranch_vccnz .LBB120_107
; %bb.106:
	v_lshl_add_u64 v[124:125], v[128:129], 3, v[122:123]
	flat_load_dwordx2 v[124:125], v[124:125]
	s_waitcnt vmcnt(0) lgkmcnt(0)
	v_mul_f64 v[124:125], s[24:25], v[124:125]
	v_cvt_f32_f64_e32 v124, v[124:125]
	s_branch .LBB120_108
.LBB120_107:
	v_mov_b32_e32 v124, 0
.LBB120_108:
	v_add_f64 v[126:127], v[70:71], v[118:119]
	v_add_f64 v[144:145], v[68:69], v[116:117]
	v_cvt_f32_f64_e32 v125, v[144:145]
	v_cvt_f32_f64_e32 v126, v[126:127]
	v_min3_f32 v125, v125, v126, v209
	v_add_f64 v[126:127], v[66:67], v[114:115]
	v_add_f64 v[144:145], v[64:65], v[112:113]
	v_cvt_f32_f64_e32 v144, v[144:145]
	v_cvt_f32_f64_e32 v126, v[126:127]
	v_min_f32_e32 v126, v144, v126
	v_min3_f32 v124, v124, v126, v125
	v_cvt_f64_f32_e32 v[124:125], v124
	v_lshl_add_u64 v[126:127], v[128:129], 3, v[120:121]
	flat_store_dwordx2 v[126:127], v[124:125]
	s_or_b64 exec, exec, s[28:29]
	s_and_b64 s[30:31], s[4:5], s[18:19]
	s_and_saveexec_b64 s[28:29], s[30:31]
	s_cbranch_execz .LBB120_99
.LBB120_109:
	s_and_b64 vcc, exec, s[0:1]
	s_cbranch_vccnz .LBB120_111
; %bb.110:
	v_lshl_add_u64 v[124:125], v[130:131], 3, v[122:123]
	flat_load_dwordx2 v[124:125], v[124:125]
	s_waitcnt vmcnt(0) lgkmcnt(0)
	v_mul_f64 v[124:125], s[24:25], v[124:125]
	v_cvt_f32_f64_e32 v124, v[124:125]
	s_branch .LBB120_112
.LBB120_111:
	v_mov_b32_e32 v124, 0
.LBB120_112:
	v_add_f64 v[126:127], v[62:63], v[118:119]
	v_add_f64 v[144:145], v[60:61], v[116:117]
	v_cvt_f32_f64_e32 v125, v[144:145]
	v_cvt_f32_f64_e32 v126, v[126:127]
	v_min3_f32 v125, v125, v126, v208
	v_add_f64 v[126:127], v[58:59], v[114:115]
	v_add_f64 v[144:145], v[56:57], v[112:113]
	v_cvt_f32_f64_e32 v144, v[144:145]
	v_cvt_f32_f64_e32 v126, v[126:127]
	v_min_f32_e32 v126, v144, v126
	v_min3_f32 v124, v124, v126, v125
	v_cvt_f64_f32_e32 v[124:125], v124
	v_lshl_add_u64 v[126:127], v[130:131], 3, v[120:121]
	flat_store_dwordx2 v[126:127], v[124:125]
	s_or_b64 exec, exec, s[28:29]
	s_and_b64 s[30:31], s[6:7], s[18:19]
	s_and_saveexec_b64 s[28:29], s[30:31]
	s_cbranch_execz .LBB120_100
.LBB120_113:
	s_and_b64 vcc, exec, s[0:1]
	s_cbranch_vccnz .LBB120_115
; %bb.114:
	v_lshl_add_u64 v[124:125], v[132:133], 3, v[122:123]
	flat_load_dwordx2 v[124:125], v[124:125]
	s_waitcnt vmcnt(0) lgkmcnt(0)
	v_mul_f64 v[124:125], s[24:25], v[124:125]
	v_cvt_f32_f64_e32 v124, v[124:125]
	s_branch .LBB120_116
.LBB120_115:
	v_mov_b32_e32 v124, 0
.LBB120_116:
	v_add_f64 v[126:127], v[54:55], v[118:119]
	v_add_f64 v[144:145], v[52:53], v[116:117]
	v_cvt_f32_f64_e32 v125, v[144:145]
	v_cvt_f32_f64_e32 v126, v[126:127]
	v_min3_f32 v125, v125, v126, v207
	v_add_f64 v[126:127], v[50:51], v[114:115]
	v_add_f64 v[144:145], v[48:49], v[112:113]
	v_cvt_f32_f64_e32 v144, v[144:145]
	v_cvt_f32_f64_e32 v126, v[126:127]
	v_min_f32_e32 v126, v144, v126
	v_min3_f32 v124, v124, v126, v125
	v_cvt_f64_f32_e32 v[124:125], v124
	v_lshl_add_u64 v[126:127], v[132:133], 3, v[120:121]
	flat_store_dwordx2 v[126:127], v[124:125]
	s_or_b64 exec, exec, s[28:29]
	s_and_b64 s[30:31], s[8:9], s[18:19]
	s_and_saveexec_b64 s[28:29], s[30:31]
	s_cbranch_execz .LBB120_101
.LBB120_117:
	s_and_b64 vcc, exec, s[0:1]
	s_cbranch_vccnz .LBB120_119
; %bb.118:
	v_lshl_add_u64 v[124:125], v[134:135], 3, v[122:123]
	flat_load_dwordx2 v[124:125], v[124:125]
	s_waitcnt vmcnt(0) lgkmcnt(0)
	v_mul_f64 v[124:125], s[24:25], v[124:125]
	v_cvt_f32_f64_e32 v124, v[124:125]
	s_branch .LBB120_120
.LBB120_119:
	v_mov_b32_e32 v124, 0
.LBB120_120:
	v_add_f64 v[126:127], v[46:47], v[118:119]
	v_add_f64 v[144:145], v[44:45], v[116:117]
	v_cvt_f32_f64_e32 v125, v[144:145]
	v_cvt_f32_f64_e32 v126, v[126:127]
	v_min3_f32 v125, v125, v126, v206
	v_add_f64 v[126:127], v[42:43], v[114:115]
	v_add_f64 v[144:145], v[40:41], v[112:113]
	v_cvt_f32_f64_e32 v144, v[144:145]
	v_cvt_f32_f64_e32 v126, v[126:127]
	v_min_f32_e32 v126, v144, v126
	v_min3_f32 v124, v124, v126, v125
	v_cvt_f64_f32_e32 v[124:125], v124
	v_lshl_add_u64 v[126:127], v[134:135], 3, v[120:121]
	flat_store_dwordx2 v[126:127], v[124:125]
	s_or_b64 exec, exec, s[28:29]
	s_and_b64 s[30:31], s[10:11], s[18:19]
	s_and_saveexec_b64 s[28:29], s[30:31]
	s_cbranch_execz .LBB120_102
.LBB120_121:
	s_and_b64 vcc, exec, s[0:1]
	s_cbranch_vccnz .LBB120_123
; %bb.122:
	v_lshl_add_u64 v[124:125], v[136:137], 3, v[122:123]
	flat_load_dwordx2 v[124:125], v[124:125]
	s_waitcnt vmcnt(0) lgkmcnt(0)
	v_mul_f64 v[124:125], s[24:25], v[124:125]
	v_cvt_f32_f64_e32 v124, v[124:125]
	s_branch .LBB120_124
.LBB120_123:
	v_mov_b32_e32 v124, 0
.LBB120_124:
	v_add_f64 v[126:127], v[38:39], v[118:119]
	v_add_f64 v[144:145], v[36:37], v[116:117]
	v_cvt_f32_f64_e32 v125, v[144:145]
	v_cvt_f32_f64_e32 v126, v[126:127]
	v_min3_f32 v125, v125, v126, v205
	v_add_f64 v[126:127], v[34:35], v[114:115]
	v_add_f64 v[144:145], v[32:33], v[112:113]
	v_cvt_f32_f64_e32 v144, v[144:145]
	v_cvt_f32_f64_e32 v126, v[126:127]
	v_min_f32_e32 v126, v144, v126
	v_min3_f32 v124, v124, v126, v125
	v_cvt_f64_f32_e32 v[124:125], v124
	v_lshl_add_u64 v[126:127], v[136:137], 3, v[120:121]
	flat_store_dwordx2 v[126:127], v[124:125]
	s_or_b64 exec, exec, s[28:29]
	s_and_b64 s[30:31], s[12:13], s[18:19]
	s_and_saveexec_b64 s[28:29], s[30:31]
	s_cbranch_execz .LBB120_103
.LBB120_125:
	s_and_b64 vcc, exec, s[0:1]
	s_cbranch_vccnz .LBB120_127
; %bb.126:
	v_lshl_add_u64 v[124:125], v[138:139], 3, v[122:123]
	flat_load_dwordx2 v[124:125], v[124:125]
	s_waitcnt vmcnt(0) lgkmcnt(0)
	v_mul_f64 v[124:125], s[24:25], v[124:125]
	v_cvt_f32_f64_e32 v124, v[124:125]
	s_branch .LBB120_128
.LBB120_127:
	v_mov_b32_e32 v124, 0
.LBB120_128:
	v_add_f64 v[126:127], v[30:31], v[118:119]
	v_add_f64 v[144:145], v[28:29], v[116:117]
	v_cvt_f32_f64_e32 v125, v[144:145]
	v_cvt_f32_f64_e32 v126, v[126:127]
	v_min3_f32 v125, v125, v126, v204
	v_add_f64 v[126:127], v[26:27], v[114:115]
	v_add_f64 v[144:145], v[24:25], v[112:113]
	v_cvt_f32_f64_e32 v144, v[144:145]
	v_cvt_f32_f64_e32 v126, v[126:127]
	v_min_f32_e32 v126, v144, v126
	v_min3_f32 v124, v124, v126, v125
	v_cvt_f64_f32_e32 v[124:125], v124
	v_lshl_add_u64 v[126:127], v[138:139], 3, v[120:121]
	flat_store_dwordx2 v[126:127], v[124:125]
	s_or_b64 exec, exec, s[28:29]
	s_and_b64 s[30:31], s[14:15], s[18:19]
	s_and_saveexec_b64 s[28:29], s[30:31]
	s_cbranch_execz .LBB120_104
.LBB120_129:
	s_and_b64 vcc, exec, s[0:1]
	s_cbranch_vccnz .LBB120_131
; %bb.130:
	v_lshl_add_u64 v[124:125], v[140:141], 3, v[122:123]
	flat_load_dwordx2 v[124:125], v[124:125]
	s_waitcnt vmcnt(0) lgkmcnt(0)
	v_mul_f64 v[124:125], s[24:25], v[124:125]
	v_cvt_f32_f64_e32 v124, v[124:125]
	s_branch .LBB120_132
.LBB120_131:
	v_mov_b32_e32 v124, 0
.LBB120_132:
	v_add_f64 v[126:127], v[22:23], v[118:119]
	v_add_f64 v[144:145], v[20:21], v[116:117]
	v_cvt_f32_f64_e32 v125, v[144:145]
	v_cvt_f32_f64_e32 v126, v[126:127]
	v_min3_f32 v125, v125, v126, v203
	v_add_f64 v[126:127], v[18:19], v[114:115]
	v_add_f64 v[144:145], v[16:17], v[112:113]
	v_cvt_f32_f64_e32 v144, v[144:145]
	v_cvt_f32_f64_e32 v126, v[126:127]
	v_min_f32_e32 v126, v144, v126
	v_min3_f32 v124, v124, v126, v125
	v_cvt_f64_f32_e32 v[124:125], v124
	v_lshl_add_u64 v[126:127], v[140:141], 3, v[120:121]
	flat_store_dwordx2 v[126:127], v[124:125]
	s_or_b64 exec, exec, s[28:29]
	s_and_b64 s[28:29], s[16:17], s[18:19]
	s_and_saveexec_b64 s[18:19], s[28:29]
	s_cbranch_execz .LBB120_137
.LBB120_133:
	s_and_b64 vcc, exec, s[0:1]
	s_cbranch_vccnz .LBB120_135
; %bb.134:
	v_lshl_add_u64 v[122:123], v[142:143], 3, v[122:123]
	flat_load_dwordx2 v[122:123], v[122:123]
	s_waitcnt vmcnt(0) lgkmcnt(0)
	v_mul_f64 v[122:123], s[24:25], v[122:123]
	v_cvt_f32_f64_e32 v122, v[122:123]
	s_branch .LBB120_136
.LBB120_135:
	v_mov_b32_e32 v122, 0
.LBB120_136:
	v_add_f64 v[118:119], v[6:7], v[118:119]
	v_add_f64 v[116:117], v[4:5], v[116:117]
	;; [unrolled: 1-line block ×4, first 2 shown]
	v_cvt_f32_f64_e32 v116, v[116:117]
	v_cvt_f32_f64_e32 v117, v[118:119]
	;; [unrolled: 1-line block ×4, first 2 shown]
	v_min3_f32 v116, v116, v117, v202
	v_min_f32_e32 v112, v112, v113
	v_min3_f32 v112, v122, v112, v116
	v_cvt_f64_f32_e32 v[112:113], v112
	v_lshl_add_u64 v[114:115], v[142:143], 3, v[120:121]
	flat_store_dwordx2 v[114:115], v[112:113]
.LBB120_137:
	s_or_b64 exec, exec, s[18:19]
	v_add_u32_e32 v116, 64, v150
	v_mad_i64_i32 v[112:113], s[28:29], v116, s35, 0
	v_cmp_gt_i32_e64 s[18:19], s21, v116
	v_lshl_add_u64 v[114:115], v[112:113], 3, s[26:27]
	v_mad_i64_i32 v[112:113], s[28:29], v116, s34, 0
	v_lshl_add_u64 v[112:113], v[112:113], 3, s[22:23]
	s_and_b64 s[30:31], s[2:3], s[18:19]
	s_and_saveexec_b64 s[28:29], s[30:31]
	s_cbranch_execnz .LBB120_145
; %bb.138:
	s_or_b64 exec, exec, s[28:29]
	s_and_b64 s[30:31], s[4:5], s[18:19]
	s_and_saveexec_b64 s[28:29], s[30:31]
	s_cbranch_execnz .LBB120_149
.LBB120_139:
	s_or_b64 exec, exec, s[28:29]
	s_and_b64 s[30:31], s[6:7], s[18:19]
	s_and_saveexec_b64 s[28:29], s[30:31]
	s_cbranch_execnz .LBB120_153
.LBB120_140:
	s_or_b64 exec, exec, s[28:29]
	s_and_b64 s[30:31], s[8:9], s[18:19]
	s_and_saveexec_b64 s[28:29], s[30:31]
	s_cbranch_execnz .LBB120_157
.LBB120_141:
	s_or_b64 exec, exec, s[28:29]
	s_and_b64 s[30:31], s[10:11], s[18:19]
	s_and_saveexec_b64 s[28:29], s[30:31]
	s_cbranch_execnz .LBB120_161
.LBB120_142:
	s_or_b64 exec, exec, s[28:29]
	s_and_b64 s[30:31], s[12:13], s[18:19]
	s_and_saveexec_b64 s[28:29], s[30:31]
	s_cbranch_execnz .LBB120_165
.LBB120_143:
	s_or_b64 exec, exec, s[28:29]
	s_and_b64 s[30:31], s[14:15], s[18:19]
	s_and_saveexec_b64 s[28:29], s[30:31]
	s_cbranch_execnz .LBB120_169
.LBB120_144:
	s_or_b64 exec, exec, s[28:29]
	s_and_b64 s[28:29], s[16:17], s[18:19]
	s_and_saveexec_b64 s[18:19], s[28:29]
	s_cbranch_execnz .LBB120_173
	s_branch .LBB120_177
.LBB120_145:
	s_and_b64 vcc, exec, s[0:1]
	s_cbranch_vccnz .LBB120_147
; %bb.146:
	v_lshl_add_u64 v[116:117], v[128:129], 3, v[114:115]
	flat_load_dwordx2 v[116:117], v[116:117]
	s_waitcnt vmcnt(0) lgkmcnt(0)
	v_mul_f64 v[116:117], s[24:25], v[116:117]
	v_cvt_f32_f64_e32 v116, v[116:117]
	s_branch .LBB120_148
.LBB120_147:
	v_mov_b32_e32 v116, 0
.LBB120_148:
	v_add_f64 v[118:119], v[70:71], v[110:111]
	v_add_f64 v[120:121], v[68:69], v[108:109]
	v_cvt_f32_f64_e32 v117, v[120:121]
	v_cvt_f32_f64_e32 v118, v[118:119]
	v_min3_f32 v117, v117, v118, v201
	v_add_f64 v[118:119], v[66:67], v[106:107]
	v_add_f64 v[120:121], v[64:65], v[104:105]
	v_cvt_f32_f64_e32 v120, v[120:121]
	v_cvt_f32_f64_e32 v118, v[118:119]
	v_min_f32_e32 v118, v120, v118
	v_min3_f32 v116, v116, v118, v117
	v_cvt_f64_f32_e32 v[116:117], v116
	v_lshl_add_u64 v[118:119], v[128:129], 3, v[112:113]
	flat_store_dwordx2 v[118:119], v[116:117]
	s_or_b64 exec, exec, s[28:29]
	s_and_b64 s[30:31], s[4:5], s[18:19]
	s_and_saveexec_b64 s[28:29], s[30:31]
	s_cbranch_execz .LBB120_139
.LBB120_149:
	s_and_b64 vcc, exec, s[0:1]
	s_cbranch_vccnz .LBB120_151
; %bb.150:
	v_lshl_add_u64 v[116:117], v[130:131], 3, v[114:115]
	flat_load_dwordx2 v[116:117], v[116:117]
	s_waitcnt vmcnt(0) lgkmcnt(0)
	v_mul_f64 v[116:117], s[24:25], v[116:117]
	v_cvt_f32_f64_e32 v116, v[116:117]
	s_branch .LBB120_152
.LBB120_151:
	v_mov_b32_e32 v116, 0
.LBB120_152:
	v_add_f64 v[118:119], v[62:63], v[110:111]
	v_add_f64 v[120:121], v[60:61], v[108:109]
	v_cvt_f32_f64_e32 v117, v[120:121]
	v_cvt_f32_f64_e32 v118, v[118:119]
	v_min3_f32 v117, v117, v118, v200
	v_add_f64 v[118:119], v[58:59], v[106:107]
	v_add_f64 v[120:121], v[56:57], v[104:105]
	v_cvt_f32_f64_e32 v120, v[120:121]
	v_cvt_f32_f64_e32 v118, v[118:119]
	v_min_f32_e32 v118, v120, v118
	v_min3_f32 v116, v116, v118, v117
	v_cvt_f64_f32_e32 v[116:117], v116
	v_lshl_add_u64 v[118:119], v[130:131], 3, v[112:113]
	flat_store_dwordx2 v[118:119], v[116:117]
	s_or_b64 exec, exec, s[28:29]
	s_and_b64 s[30:31], s[6:7], s[18:19]
	s_and_saveexec_b64 s[28:29], s[30:31]
	s_cbranch_execz .LBB120_140
.LBB120_153:
	s_and_b64 vcc, exec, s[0:1]
	s_cbranch_vccnz .LBB120_155
; %bb.154:
	v_lshl_add_u64 v[116:117], v[132:133], 3, v[114:115]
	flat_load_dwordx2 v[116:117], v[116:117]
	s_waitcnt vmcnt(0) lgkmcnt(0)
	v_mul_f64 v[116:117], s[24:25], v[116:117]
	v_cvt_f32_f64_e32 v116, v[116:117]
	s_branch .LBB120_156
.LBB120_155:
	v_mov_b32_e32 v116, 0
.LBB120_156:
	v_add_f64 v[118:119], v[54:55], v[110:111]
	v_add_f64 v[120:121], v[52:53], v[108:109]
	v_cvt_f32_f64_e32 v117, v[120:121]
	v_cvt_f32_f64_e32 v118, v[118:119]
	v_min3_f32 v117, v117, v118, v199
	v_add_f64 v[118:119], v[50:51], v[106:107]
	v_add_f64 v[120:121], v[48:49], v[104:105]
	v_cvt_f32_f64_e32 v120, v[120:121]
	v_cvt_f32_f64_e32 v118, v[118:119]
	v_min_f32_e32 v118, v120, v118
	v_min3_f32 v116, v116, v118, v117
	v_cvt_f64_f32_e32 v[116:117], v116
	v_lshl_add_u64 v[118:119], v[132:133], 3, v[112:113]
	flat_store_dwordx2 v[118:119], v[116:117]
	s_or_b64 exec, exec, s[28:29]
	s_and_b64 s[30:31], s[8:9], s[18:19]
	s_and_saveexec_b64 s[28:29], s[30:31]
	s_cbranch_execz .LBB120_141
.LBB120_157:
	s_and_b64 vcc, exec, s[0:1]
	s_cbranch_vccnz .LBB120_159
; %bb.158:
	v_lshl_add_u64 v[116:117], v[134:135], 3, v[114:115]
	flat_load_dwordx2 v[116:117], v[116:117]
	s_waitcnt vmcnt(0) lgkmcnt(0)
	v_mul_f64 v[116:117], s[24:25], v[116:117]
	v_cvt_f32_f64_e32 v116, v[116:117]
	s_branch .LBB120_160
.LBB120_159:
	v_mov_b32_e32 v116, 0
.LBB120_160:
	v_add_f64 v[118:119], v[46:47], v[110:111]
	v_add_f64 v[120:121], v[44:45], v[108:109]
	v_cvt_f32_f64_e32 v117, v[120:121]
	v_cvt_f32_f64_e32 v118, v[118:119]
	v_min3_f32 v117, v117, v118, v198
	v_add_f64 v[118:119], v[42:43], v[106:107]
	v_add_f64 v[120:121], v[40:41], v[104:105]
	v_cvt_f32_f64_e32 v120, v[120:121]
	v_cvt_f32_f64_e32 v118, v[118:119]
	v_min_f32_e32 v118, v120, v118
	v_min3_f32 v116, v116, v118, v117
	v_cvt_f64_f32_e32 v[116:117], v116
	v_lshl_add_u64 v[118:119], v[134:135], 3, v[112:113]
	flat_store_dwordx2 v[118:119], v[116:117]
	s_or_b64 exec, exec, s[28:29]
	s_and_b64 s[30:31], s[10:11], s[18:19]
	s_and_saveexec_b64 s[28:29], s[30:31]
	s_cbranch_execz .LBB120_142
.LBB120_161:
	s_and_b64 vcc, exec, s[0:1]
	s_cbranch_vccnz .LBB120_163
; %bb.162:
	v_lshl_add_u64 v[116:117], v[136:137], 3, v[114:115]
	flat_load_dwordx2 v[116:117], v[116:117]
	s_waitcnt vmcnt(0) lgkmcnt(0)
	v_mul_f64 v[116:117], s[24:25], v[116:117]
	v_cvt_f32_f64_e32 v116, v[116:117]
	s_branch .LBB120_164
.LBB120_163:
	v_mov_b32_e32 v116, 0
.LBB120_164:
	v_add_f64 v[118:119], v[38:39], v[110:111]
	v_add_f64 v[120:121], v[36:37], v[108:109]
	v_cvt_f32_f64_e32 v117, v[120:121]
	v_cvt_f32_f64_e32 v118, v[118:119]
	v_min3_f32 v117, v117, v118, v197
	v_add_f64 v[118:119], v[34:35], v[106:107]
	v_add_f64 v[120:121], v[32:33], v[104:105]
	v_cvt_f32_f64_e32 v120, v[120:121]
	v_cvt_f32_f64_e32 v118, v[118:119]
	v_min_f32_e32 v118, v120, v118
	v_min3_f32 v116, v116, v118, v117
	v_cvt_f64_f32_e32 v[116:117], v116
	v_lshl_add_u64 v[118:119], v[136:137], 3, v[112:113]
	flat_store_dwordx2 v[118:119], v[116:117]
	s_or_b64 exec, exec, s[28:29]
	s_and_b64 s[30:31], s[12:13], s[18:19]
	s_and_saveexec_b64 s[28:29], s[30:31]
	s_cbranch_execz .LBB120_143
.LBB120_165:
	s_and_b64 vcc, exec, s[0:1]
	s_cbranch_vccnz .LBB120_167
; %bb.166:
	v_lshl_add_u64 v[116:117], v[138:139], 3, v[114:115]
	flat_load_dwordx2 v[116:117], v[116:117]
	s_waitcnt vmcnt(0) lgkmcnt(0)
	v_mul_f64 v[116:117], s[24:25], v[116:117]
	v_cvt_f32_f64_e32 v116, v[116:117]
	s_branch .LBB120_168
.LBB120_167:
	v_mov_b32_e32 v116, 0
.LBB120_168:
	v_add_f64 v[118:119], v[30:31], v[110:111]
	v_add_f64 v[120:121], v[28:29], v[108:109]
	v_cvt_f32_f64_e32 v117, v[120:121]
	v_cvt_f32_f64_e32 v118, v[118:119]
	v_min3_f32 v117, v117, v118, v196
	v_add_f64 v[118:119], v[26:27], v[106:107]
	v_add_f64 v[120:121], v[24:25], v[104:105]
	v_cvt_f32_f64_e32 v120, v[120:121]
	v_cvt_f32_f64_e32 v118, v[118:119]
	v_min_f32_e32 v118, v120, v118
	v_min3_f32 v116, v116, v118, v117
	v_cvt_f64_f32_e32 v[116:117], v116
	v_lshl_add_u64 v[118:119], v[138:139], 3, v[112:113]
	flat_store_dwordx2 v[118:119], v[116:117]
	s_or_b64 exec, exec, s[28:29]
	s_and_b64 s[30:31], s[14:15], s[18:19]
	s_and_saveexec_b64 s[28:29], s[30:31]
	s_cbranch_execz .LBB120_144
.LBB120_169:
	s_and_b64 vcc, exec, s[0:1]
	s_cbranch_vccnz .LBB120_171
; %bb.170:
	v_lshl_add_u64 v[116:117], v[140:141], 3, v[114:115]
	flat_load_dwordx2 v[116:117], v[116:117]
	s_waitcnt vmcnt(0) lgkmcnt(0)
	v_mul_f64 v[116:117], s[24:25], v[116:117]
	v_cvt_f32_f64_e32 v116, v[116:117]
	s_branch .LBB120_172
.LBB120_171:
	v_mov_b32_e32 v116, 0
.LBB120_172:
	v_add_f64 v[118:119], v[22:23], v[110:111]
	v_add_f64 v[120:121], v[20:21], v[108:109]
	v_cvt_f32_f64_e32 v117, v[120:121]
	v_cvt_f32_f64_e32 v118, v[118:119]
	v_min3_f32 v117, v117, v118, v195
	v_add_f64 v[118:119], v[18:19], v[106:107]
	v_add_f64 v[120:121], v[16:17], v[104:105]
	v_cvt_f32_f64_e32 v120, v[120:121]
	v_cvt_f32_f64_e32 v118, v[118:119]
	v_min_f32_e32 v118, v120, v118
	v_min3_f32 v116, v116, v118, v117
	v_cvt_f64_f32_e32 v[116:117], v116
	v_lshl_add_u64 v[118:119], v[140:141], 3, v[112:113]
	flat_store_dwordx2 v[118:119], v[116:117]
	s_or_b64 exec, exec, s[28:29]
	s_and_b64 s[28:29], s[16:17], s[18:19]
	s_and_saveexec_b64 s[18:19], s[28:29]
	s_cbranch_execz .LBB120_177
.LBB120_173:
	s_and_b64 vcc, exec, s[0:1]
	s_cbranch_vccnz .LBB120_175
; %bb.174:
	v_lshl_add_u64 v[114:115], v[142:143], 3, v[114:115]
	flat_load_dwordx2 v[114:115], v[114:115]
	s_waitcnt vmcnt(0) lgkmcnt(0)
	v_mul_f64 v[114:115], s[24:25], v[114:115]
	v_cvt_f32_f64_e32 v114, v[114:115]
	s_branch .LBB120_176
.LBB120_175:
	v_mov_b32_e32 v114, 0
.LBB120_176:
	v_add_f64 v[110:111], v[6:7], v[110:111]
	v_add_f64 v[108:109], v[4:5], v[108:109]
	;; [unrolled: 1-line block ×4, first 2 shown]
	v_cvt_f32_f64_e32 v108, v[108:109]
	v_cvt_f32_f64_e32 v109, v[110:111]
	;; [unrolled: 1-line block ×4, first 2 shown]
	v_min3_f32 v108, v108, v109, v194
	v_min_f32_e32 v104, v104, v105
	v_min3_f32 v104, v114, v104, v108
	v_cvt_f64_f32_e32 v[104:105], v104
	v_lshl_add_u64 v[106:107], v[142:143], 3, v[112:113]
	flat_store_dwordx2 v[106:107], v[104:105]
.LBB120_177:
	s_or_b64 exec, exec, s[18:19]
	v_add_u32_e32 v108, 0x60, v150
	v_mad_i64_i32 v[104:105], s[28:29], v108, s35, 0
	v_cmp_gt_i32_e64 s[18:19], s21, v108
	v_lshl_add_u64 v[106:107], v[104:105], 3, s[26:27]
	v_mad_i64_i32 v[104:105], s[28:29], v108, s34, 0
	v_lshl_add_u64 v[104:105], v[104:105], 3, s[22:23]
	s_and_b64 s[30:31], s[2:3], s[18:19]
	s_and_saveexec_b64 s[28:29], s[30:31]
	s_cbranch_execnz .LBB120_185
; %bb.178:
	s_or_b64 exec, exec, s[28:29]
	s_and_b64 s[30:31], s[4:5], s[18:19]
	s_and_saveexec_b64 s[28:29], s[30:31]
	s_cbranch_execnz .LBB120_189
.LBB120_179:
	s_or_b64 exec, exec, s[28:29]
	s_and_b64 s[30:31], s[6:7], s[18:19]
	s_and_saveexec_b64 s[28:29], s[30:31]
	s_cbranch_execnz .LBB120_193
.LBB120_180:
	s_or_b64 exec, exec, s[28:29]
	s_and_b64 s[30:31], s[8:9], s[18:19]
	s_and_saveexec_b64 s[28:29], s[30:31]
	s_cbranch_execnz .LBB120_197
.LBB120_181:
	s_or_b64 exec, exec, s[28:29]
	s_and_b64 s[30:31], s[10:11], s[18:19]
	s_and_saveexec_b64 s[28:29], s[30:31]
	s_cbranch_execnz .LBB120_201
.LBB120_182:
	s_or_b64 exec, exec, s[28:29]
	s_and_b64 s[30:31], s[12:13], s[18:19]
	s_and_saveexec_b64 s[28:29], s[30:31]
	s_cbranch_execnz .LBB120_205
.LBB120_183:
	s_or_b64 exec, exec, s[28:29]
	s_and_b64 s[30:31], s[14:15], s[18:19]
	s_and_saveexec_b64 s[28:29], s[30:31]
	s_cbranch_execnz .LBB120_209
.LBB120_184:
	s_or_b64 exec, exec, s[28:29]
	s_and_b64 s[28:29], s[16:17], s[18:19]
	s_and_saveexec_b64 s[18:19], s[28:29]
	s_cbranch_execnz .LBB120_213
	s_branch .LBB120_217
.LBB120_185:
	s_and_b64 vcc, exec, s[0:1]
	s_cbranch_vccnz .LBB120_187
; %bb.186:
	v_lshl_add_u64 v[108:109], v[128:129], 3, v[106:107]
	flat_load_dwordx2 v[108:109], v[108:109]
	s_waitcnt vmcnt(0) lgkmcnt(0)
	v_mul_f64 v[108:109], s[24:25], v[108:109]
	v_cvt_f32_f64_e32 v108, v[108:109]
	s_branch .LBB120_188
.LBB120_187:
	v_mov_b32_e32 v108, 0
.LBB120_188:
	v_add_f64 v[110:111], v[70:71], v[102:103]
	v_add_f64 v[112:113], v[68:69], v[100:101]
	v_cvt_f32_f64_e32 v109, v[112:113]
	v_cvt_f32_f64_e32 v110, v[110:111]
	v_min3_f32 v109, v109, v110, v193
	v_add_f64 v[110:111], v[66:67], v[98:99]
	v_add_f64 v[112:113], v[64:65], v[96:97]
	v_cvt_f32_f64_e32 v112, v[112:113]
	v_cvt_f32_f64_e32 v110, v[110:111]
	v_min_f32_e32 v110, v112, v110
	v_min3_f32 v108, v108, v110, v109
	v_cvt_f64_f32_e32 v[108:109], v108
	v_lshl_add_u64 v[110:111], v[128:129], 3, v[104:105]
	flat_store_dwordx2 v[110:111], v[108:109]
	s_or_b64 exec, exec, s[28:29]
	s_and_b64 s[30:31], s[4:5], s[18:19]
	s_and_saveexec_b64 s[28:29], s[30:31]
	s_cbranch_execz .LBB120_179
.LBB120_189:
	s_and_b64 vcc, exec, s[0:1]
	s_cbranch_vccnz .LBB120_191
; %bb.190:
	v_lshl_add_u64 v[108:109], v[130:131], 3, v[106:107]
	flat_load_dwordx2 v[108:109], v[108:109]
	s_waitcnt vmcnt(0) lgkmcnt(0)
	v_mul_f64 v[108:109], s[24:25], v[108:109]
	v_cvt_f32_f64_e32 v108, v[108:109]
	s_branch .LBB120_192
.LBB120_191:
	v_mov_b32_e32 v108, 0
.LBB120_192:
	v_add_f64 v[110:111], v[62:63], v[102:103]
	v_add_f64 v[112:113], v[60:61], v[100:101]
	v_cvt_f32_f64_e32 v109, v[112:113]
	v_cvt_f32_f64_e32 v110, v[110:111]
	v_min3_f32 v109, v109, v110, v192
	v_add_f64 v[110:111], v[58:59], v[98:99]
	v_add_f64 v[112:113], v[56:57], v[96:97]
	v_cvt_f32_f64_e32 v112, v[112:113]
	v_cvt_f32_f64_e32 v110, v[110:111]
	v_min_f32_e32 v110, v112, v110
	v_min3_f32 v108, v108, v110, v109
	v_cvt_f64_f32_e32 v[108:109], v108
	v_lshl_add_u64 v[110:111], v[130:131], 3, v[104:105]
	flat_store_dwordx2 v[110:111], v[108:109]
	s_or_b64 exec, exec, s[28:29]
	s_and_b64 s[30:31], s[6:7], s[18:19]
	s_and_saveexec_b64 s[28:29], s[30:31]
	s_cbranch_execz .LBB120_180
.LBB120_193:
	s_and_b64 vcc, exec, s[0:1]
	s_cbranch_vccnz .LBB120_195
; %bb.194:
	v_lshl_add_u64 v[108:109], v[132:133], 3, v[106:107]
	flat_load_dwordx2 v[108:109], v[108:109]
	s_waitcnt vmcnt(0) lgkmcnt(0)
	v_mul_f64 v[108:109], s[24:25], v[108:109]
	v_cvt_f32_f64_e32 v108, v[108:109]
	s_branch .LBB120_196
.LBB120_195:
	v_mov_b32_e32 v108, 0
.LBB120_196:
	v_add_f64 v[110:111], v[54:55], v[102:103]
	v_add_f64 v[112:113], v[52:53], v[100:101]
	v_cvt_f32_f64_e32 v109, v[112:113]
	v_cvt_f32_f64_e32 v110, v[110:111]
	v_min3_f32 v109, v109, v110, v191
	v_add_f64 v[110:111], v[50:51], v[98:99]
	v_add_f64 v[112:113], v[48:49], v[96:97]
	v_cvt_f32_f64_e32 v112, v[112:113]
	v_cvt_f32_f64_e32 v110, v[110:111]
	v_min_f32_e32 v110, v112, v110
	v_min3_f32 v108, v108, v110, v109
	v_cvt_f64_f32_e32 v[108:109], v108
	v_lshl_add_u64 v[110:111], v[132:133], 3, v[104:105]
	flat_store_dwordx2 v[110:111], v[108:109]
	s_or_b64 exec, exec, s[28:29]
	s_and_b64 s[30:31], s[8:9], s[18:19]
	s_and_saveexec_b64 s[28:29], s[30:31]
	s_cbranch_execz .LBB120_181
.LBB120_197:
	s_and_b64 vcc, exec, s[0:1]
	s_cbranch_vccnz .LBB120_199
; %bb.198:
	v_lshl_add_u64 v[108:109], v[134:135], 3, v[106:107]
	flat_load_dwordx2 v[108:109], v[108:109]
	s_waitcnt vmcnt(0) lgkmcnt(0)
	v_mul_f64 v[108:109], s[24:25], v[108:109]
	v_cvt_f32_f64_e32 v108, v[108:109]
	s_branch .LBB120_200
.LBB120_199:
	v_mov_b32_e32 v108, 0
.LBB120_200:
	v_add_f64 v[110:111], v[46:47], v[102:103]
	v_add_f64 v[112:113], v[44:45], v[100:101]
	v_cvt_f32_f64_e32 v109, v[112:113]
	v_cvt_f32_f64_e32 v110, v[110:111]
	v_min3_f32 v109, v109, v110, v190
	v_add_f64 v[110:111], v[42:43], v[98:99]
	v_add_f64 v[112:113], v[40:41], v[96:97]
	v_cvt_f32_f64_e32 v112, v[112:113]
	v_cvt_f32_f64_e32 v110, v[110:111]
	v_min_f32_e32 v110, v112, v110
	v_min3_f32 v108, v108, v110, v109
	v_cvt_f64_f32_e32 v[108:109], v108
	v_lshl_add_u64 v[110:111], v[134:135], 3, v[104:105]
	flat_store_dwordx2 v[110:111], v[108:109]
	s_or_b64 exec, exec, s[28:29]
	s_and_b64 s[30:31], s[10:11], s[18:19]
	s_and_saveexec_b64 s[28:29], s[30:31]
	s_cbranch_execz .LBB120_182
.LBB120_201:
	s_and_b64 vcc, exec, s[0:1]
	s_cbranch_vccnz .LBB120_203
; %bb.202:
	v_lshl_add_u64 v[108:109], v[136:137], 3, v[106:107]
	flat_load_dwordx2 v[108:109], v[108:109]
	s_waitcnt vmcnt(0) lgkmcnt(0)
	v_mul_f64 v[108:109], s[24:25], v[108:109]
	v_cvt_f32_f64_e32 v108, v[108:109]
	s_branch .LBB120_204
.LBB120_203:
	v_mov_b32_e32 v108, 0
.LBB120_204:
	v_add_f64 v[110:111], v[38:39], v[102:103]
	v_add_f64 v[112:113], v[36:37], v[100:101]
	v_cvt_f32_f64_e32 v109, v[112:113]
	v_cvt_f32_f64_e32 v110, v[110:111]
	v_min3_f32 v109, v109, v110, v189
	v_add_f64 v[110:111], v[34:35], v[98:99]
	v_add_f64 v[112:113], v[32:33], v[96:97]
	v_cvt_f32_f64_e32 v112, v[112:113]
	v_cvt_f32_f64_e32 v110, v[110:111]
	v_min_f32_e32 v110, v112, v110
	v_min3_f32 v108, v108, v110, v109
	v_cvt_f64_f32_e32 v[108:109], v108
	v_lshl_add_u64 v[110:111], v[136:137], 3, v[104:105]
	flat_store_dwordx2 v[110:111], v[108:109]
	s_or_b64 exec, exec, s[28:29]
	s_and_b64 s[30:31], s[12:13], s[18:19]
	s_and_saveexec_b64 s[28:29], s[30:31]
	s_cbranch_execz .LBB120_183
.LBB120_205:
	s_and_b64 vcc, exec, s[0:1]
	s_cbranch_vccnz .LBB120_207
; %bb.206:
	v_lshl_add_u64 v[108:109], v[138:139], 3, v[106:107]
	flat_load_dwordx2 v[108:109], v[108:109]
	s_waitcnt vmcnt(0) lgkmcnt(0)
	v_mul_f64 v[108:109], s[24:25], v[108:109]
	v_cvt_f32_f64_e32 v108, v[108:109]
	s_branch .LBB120_208
.LBB120_207:
	v_mov_b32_e32 v108, 0
.LBB120_208:
	v_add_f64 v[110:111], v[30:31], v[102:103]
	v_add_f64 v[112:113], v[28:29], v[100:101]
	v_cvt_f32_f64_e32 v109, v[112:113]
	v_cvt_f32_f64_e32 v110, v[110:111]
	v_min3_f32 v109, v109, v110, v188
	v_add_f64 v[110:111], v[26:27], v[98:99]
	v_add_f64 v[112:113], v[24:25], v[96:97]
	v_cvt_f32_f64_e32 v112, v[112:113]
	v_cvt_f32_f64_e32 v110, v[110:111]
	v_min_f32_e32 v110, v112, v110
	v_min3_f32 v108, v108, v110, v109
	v_cvt_f64_f32_e32 v[108:109], v108
	v_lshl_add_u64 v[110:111], v[138:139], 3, v[104:105]
	flat_store_dwordx2 v[110:111], v[108:109]
	s_or_b64 exec, exec, s[28:29]
	s_and_b64 s[30:31], s[14:15], s[18:19]
	s_and_saveexec_b64 s[28:29], s[30:31]
	s_cbranch_execz .LBB120_184
.LBB120_209:
	s_and_b64 vcc, exec, s[0:1]
	s_cbranch_vccnz .LBB120_211
; %bb.210:
	v_lshl_add_u64 v[108:109], v[140:141], 3, v[106:107]
	flat_load_dwordx2 v[108:109], v[108:109]
	s_waitcnt vmcnt(0) lgkmcnt(0)
	v_mul_f64 v[108:109], s[24:25], v[108:109]
	v_cvt_f32_f64_e32 v108, v[108:109]
	s_branch .LBB120_212
.LBB120_211:
	v_mov_b32_e32 v108, 0
.LBB120_212:
	v_add_f64 v[110:111], v[22:23], v[102:103]
	v_add_f64 v[112:113], v[20:21], v[100:101]
	v_cvt_f32_f64_e32 v109, v[112:113]
	v_cvt_f32_f64_e32 v110, v[110:111]
	v_min3_f32 v109, v109, v110, v187
	v_add_f64 v[110:111], v[18:19], v[98:99]
	v_add_f64 v[112:113], v[16:17], v[96:97]
	v_cvt_f32_f64_e32 v112, v[112:113]
	v_cvt_f32_f64_e32 v110, v[110:111]
	v_min_f32_e32 v110, v112, v110
	v_min3_f32 v108, v108, v110, v109
	v_cvt_f64_f32_e32 v[108:109], v108
	v_lshl_add_u64 v[110:111], v[140:141], 3, v[104:105]
	flat_store_dwordx2 v[110:111], v[108:109]
	s_or_b64 exec, exec, s[28:29]
	s_and_b64 s[28:29], s[16:17], s[18:19]
	s_and_saveexec_b64 s[18:19], s[28:29]
	s_cbranch_execz .LBB120_217
.LBB120_213:
	s_and_b64 vcc, exec, s[0:1]
	s_cbranch_vccnz .LBB120_215
; %bb.214:
	v_lshl_add_u64 v[106:107], v[142:143], 3, v[106:107]
	flat_load_dwordx2 v[106:107], v[106:107]
	s_waitcnt vmcnt(0) lgkmcnt(0)
	v_mul_f64 v[106:107], s[24:25], v[106:107]
	v_cvt_f32_f64_e32 v106, v[106:107]
	s_branch .LBB120_216
.LBB120_215:
	v_mov_b32_e32 v106, 0
.LBB120_216:
	v_add_f64 v[102:103], v[6:7], v[102:103]
	v_add_f64 v[100:101], v[4:5], v[100:101]
	v_add_f64 v[98:99], v[2:3], v[98:99]
	v_add_f64 v[96:97], v[0:1], v[96:97]
	v_cvt_f32_f64_e32 v100, v[100:101]
	v_cvt_f32_f64_e32 v101, v[102:103]
	;; [unrolled: 1-line block ×4, first 2 shown]
	v_min3_f32 v100, v100, v101, v186
	v_min_f32_e32 v96, v96, v97
	v_min3_f32 v96, v106, v96, v100
	v_cvt_f64_f32_e32 v[96:97], v96
	v_lshl_add_u64 v[98:99], v[142:143], 3, v[104:105]
	flat_store_dwordx2 v[98:99], v[96:97]
.LBB120_217:
	s_or_b64 exec, exec, s[18:19]
	v_add_u32_e32 v100, 0x80, v150
	v_mad_i64_i32 v[96:97], s[28:29], v100, s35, 0
	v_cmp_gt_i32_e64 s[18:19], s21, v100
	v_lshl_add_u64 v[98:99], v[96:97], 3, s[26:27]
	v_mad_i64_i32 v[96:97], s[28:29], v100, s34, 0
	v_lshl_add_u64 v[96:97], v[96:97], 3, s[22:23]
	s_and_b64 s[30:31], s[2:3], s[18:19]
	s_and_saveexec_b64 s[28:29], s[30:31]
	s_cbranch_execnz .LBB120_225
; %bb.218:
	s_or_b64 exec, exec, s[28:29]
	s_and_b64 s[30:31], s[4:5], s[18:19]
	s_and_saveexec_b64 s[28:29], s[30:31]
	s_cbranch_execnz .LBB120_229
.LBB120_219:
	s_or_b64 exec, exec, s[28:29]
	s_and_b64 s[30:31], s[6:7], s[18:19]
	s_and_saveexec_b64 s[28:29], s[30:31]
	s_cbranch_execnz .LBB120_233
.LBB120_220:
	s_or_b64 exec, exec, s[28:29]
	s_and_b64 s[30:31], s[8:9], s[18:19]
	s_and_saveexec_b64 s[28:29], s[30:31]
	s_cbranch_execnz .LBB120_237
.LBB120_221:
	s_or_b64 exec, exec, s[28:29]
	s_and_b64 s[30:31], s[10:11], s[18:19]
	s_and_saveexec_b64 s[28:29], s[30:31]
	s_cbranch_execnz .LBB120_241
.LBB120_222:
	s_or_b64 exec, exec, s[28:29]
	s_and_b64 s[30:31], s[12:13], s[18:19]
	s_and_saveexec_b64 s[28:29], s[30:31]
	s_cbranch_execnz .LBB120_245
.LBB120_223:
	s_or_b64 exec, exec, s[28:29]
	s_and_b64 s[30:31], s[14:15], s[18:19]
	s_and_saveexec_b64 s[28:29], s[30:31]
	s_cbranch_execnz .LBB120_249
.LBB120_224:
	s_or_b64 exec, exec, s[28:29]
	s_and_b64 s[28:29], s[16:17], s[18:19]
	s_and_saveexec_b64 s[18:19], s[28:29]
	s_cbranch_execnz .LBB120_253
	s_branch .LBB120_257
.LBB120_225:
	s_and_b64 vcc, exec, s[0:1]
	s_cbranch_vccnz .LBB120_227
; %bb.226:
	v_lshl_add_u64 v[100:101], v[128:129], 3, v[98:99]
	flat_load_dwordx2 v[100:101], v[100:101]
	s_waitcnt vmcnt(0) lgkmcnt(0)
	v_mul_f64 v[100:101], s[24:25], v[100:101]
	v_cvt_f32_f64_e32 v100, v[100:101]
	s_branch .LBB120_228
.LBB120_227:
	v_mov_b32_e32 v100, 0
.LBB120_228:
	v_add_f64 v[102:103], v[70:71], v[94:95]
	v_add_f64 v[104:105], v[68:69], v[92:93]
	v_cvt_f32_f64_e32 v101, v[104:105]
	v_cvt_f32_f64_e32 v102, v[102:103]
	v_min3_f32 v101, v101, v102, v185
	v_add_f64 v[102:103], v[66:67], v[90:91]
	v_add_f64 v[104:105], v[64:65], v[88:89]
	v_cvt_f32_f64_e32 v104, v[104:105]
	v_cvt_f32_f64_e32 v102, v[102:103]
	v_min_f32_e32 v102, v104, v102
	v_min3_f32 v100, v100, v102, v101
	v_cvt_f64_f32_e32 v[100:101], v100
	v_lshl_add_u64 v[102:103], v[128:129], 3, v[96:97]
	flat_store_dwordx2 v[102:103], v[100:101]
	s_or_b64 exec, exec, s[28:29]
	s_and_b64 s[30:31], s[4:5], s[18:19]
	s_and_saveexec_b64 s[28:29], s[30:31]
	s_cbranch_execz .LBB120_219
.LBB120_229:
	s_and_b64 vcc, exec, s[0:1]
	s_cbranch_vccnz .LBB120_231
; %bb.230:
	v_lshl_add_u64 v[100:101], v[130:131], 3, v[98:99]
	flat_load_dwordx2 v[100:101], v[100:101]
	s_waitcnt vmcnt(0) lgkmcnt(0)
	v_mul_f64 v[100:101], s[24:25], v[100:101]
	v_cvt_f32_f64_e32 v100, v[100:101]
	s_branch .LBB120_232
.LBB120_231:
	v_mov_b32_e32 v100, 0
.LBB120_232:
	v_add_f64 v[102:103], v[62:63], v[94:95]
	v_add_f64 v[104:105], v[60:61], v[92:93]
	v_cvt_f32_f64_e32 v101, v[104:105]
	v_cvt_f32_f64_e32 v102, v[102:103]
	v_min3_f32 v101, v101, v102, v184
	v_add_f64 v[102:103], v[58:59], v[90:91]
	v_add_f64 v[104:105], v[56:57], v[88:89]
	v_cvt_f32_f64_e32 v104, v[104:105]
	v_cvt_f32_f64_e32 v102, v[102:103]
	v_min_f32_e32 v102, v104, v102
	v_min3_f32 v100, v100, v102, v101
	v_cvt_f64_f32_e32 v[100:101], v100
	v_lshl_add_u64 v[102:103], v[130:131], 3, v[96:97]
	flat_store_dwordx2 v[102:103], v[100:101]
	s_or_b64 exec, exec, s[28:29]
	s_and_b64 s[30:31], s[6:7], s[18:19]
	s_and_saveexec_b64 s[28:29], s[30:31]
	s_cbranch_execz .LBB120_220
.LBB120_233:
	s_and_b64 vcc, exec, s[0:1]
	s_cbranch_vccnz .LBB120_235
; %bb.234:
	v_lshl_add_u64 v[100:101], v[132:133], 3, v[98:99]
	flat_load_dwordx2 v[100:101], v[100:101]
	s_waitcnt vmcnt(0) lgkmcnt(0)
	v_mul_f64 v[100:101], s[24:25], v[100:101]
	v_cvt_f32_f64_e32 v100, v[100:101]
	s_branch .LBB120_236
.LBB120_235:
	v_mov_b32_e32 v100, 0
.LBB120_236:
	v_add_f64 v[102:103], v[54:55], v[94:95]
	v_add_f64 v[104:105], v[52:53], v[92:93]
	v_cvt_f32_f64_e32 v101, v[104:105]
	v_cvt_f32_f64_e32 v102, v[102:103]
	v_min3_f32 v101, v101, v102, v183
	v_add_f64 v[102:103], v[50:51], v[90:91]
	v_add_f64 v[104:105], v[48:49], v[88:89]
	v_cvt_f32_f64_e32 v104, v[104:105]
	v_cvt_f32_f64_e32 v102, v[102:103]
	v_min_f32_e32 v102, v104, v102
	v_min3_f32 v100, v100, v102, v101
	v_cvt_f64_f32_e32 v[100:101], v100
	v_lshl_add_u64 v[102:103], v[132:133], 3, v[96:97]
	flat_store_dwordx2 v[102:103], v[100:101]
	s_or_b64 exec, exec, s[28:29]
	s_and_b64 s[30:31], s[8:9], s[18:19]
	s_and_saveexec_b64 s[28:29], s[30:31]
	s_cbranch_execz .LBB120_221
.LBB120_237:
	s_and_b64 vcc, exec, s[0:1]
	s_cbranch_vccnz .LBB120_239
; %bb.238:
	v_lshl_add_u64 v[100:101], v[134:135], 3, v[98:99]
	flat_load_dwordx2 v[100:101], v[100:101]
	s_waitcnt vmcnt(0) lgkmcnt(0)
	v_mul_f64 v[100:101], s[24:25], v[100:101]
	v_cvt_f32_f64_e32 v100, v[100:101]
	s_branch .LBB120_240
.LBB120_239:
	v_mov_b32_e32 v100, 0
.LBB120_240:
	v_add_f64 v[102:103], v[46:47], v[94:95]
	v_add_f64 v[104:105], v[44:45], v[92:93]
	v_cvt_f32_f64_e32 v101, v[104:105]
	v_cvt_f32_f64_e32 v102, v[102:103]
	v_min3_f32 v101, v101, v102, v182
	v_add_f64 v[102:103], v[42:43], v[90:91]
	v_add_f64 v[104:105], v[40:41], v[88:89]
	v_cvt_f32_f64_e32 v104, v[104:105]
	v_cvt_f32_f64_e32 v102, v[102:103]
	v_min_f32_e32 v102, v104, v102
	v_min3_f32 v100, v100, v102, v101
	v_cvt_f64_f32_e32 v[100:101], v100
	v_lshl_add_u64 v[102:103], v[134:135], 3, v[96:97]
	flat_store_dwordx2 v[102:103], v[100:101]
	s_or_b64 exec, exec, s[28:29]
	s_and_b64 s[30:31], s[10:11], s[18:19]
	s_and_saveexec_b64 s[28:29], s[30:31]
	s_cbranch_execz .LBB120_222
.LBB120_241:
	s_and_b64 vcc, exec, s[0:1]
	s_cbranch_vccnz .LBB120_243
; %bb.242:
	v_lshl_add_u64 v[100:101], v[136:137], 3, v[98:99]
	flat_load_dwordx2 v[100:101], v[100:101]
	s_waitcnt vmcnt(0) lgkmcnt(0)
	v_mul_f64 v[100:101], s[24:25], v[100:101]
	v_cvt_f32_f64_e32 v100, v[100:101]
	s_branch .LBB120_244
.LBB120_243:
	v_mov_b32_e32 v100, 0
.LBB120_244:
	v_add_f64 v[102:103], v[38:39], v[94:95]
	v_add_f64 v[104:105], v[36:37], v[92:93]
	v_cvt_f32_f64_e32 v101, v[104:105]
	v_cvt_f32_f64_e32 v102, v[102:103]
	v_min3_f32 v101, v101, v102, v181
	v_add_f64 v[102:103], v[34:35], v[90:91]
	v_add_f64 v[104:105], v[32:33], v[88:89]
	v_cvt_f32_f64_e32 v104, v[104:105]
	v_cvt_f32_f64_e32 v102, v[102:103]
	v_min_f32_e32 v102, v104, v102
	v_min3_f32 v100, v100, v102, v101
	v_cvt_f64_f32_e32 v[100:101], v100
	v_lshl_add_u64 v[102:103], v[136:137], 3, v[96:97]
	flat_store_dwordx2 v[102:103], v[100:101]
	s_or_b64 exec, exec, s[28:29]
	s_and_b64 s[30:31], s[12:13], s[18:19]
	s_and_saveexec_b64 s[28:29], s[30:31]
	s_cbranch_execz .LBB120_223
.LBB120_245:
	s_and_b64 vcc, exec, s[0:1]
	s_cbranch_vccnz .LBB120_247
; %bb.246:
	v_lshl_add_u64 v[100:101], v[138:139], 3, v[98:99]
	flat_load_dwordx2 v[100:101], v[100:101]
	s_waitcnt vmcnt(0) lgkmcnt(0)
	v_mul_f64 v[100:101], s[24:25], v[100:101]
	v_cvt_f32_f64_e32 v100, v[100:101]
	s_branch .LBB120_248
.LBB120_247:
	v_mov_b32_e32 v100, 0
.LBB120_248:
	v_add_f64 v[102:103], v[30:31], v[94:95]
	v_add_f64 v[104:105], v[28:29], v[92:93]
	v_cvt_f32_f64_e32 v101, v[104:105]
	v_cvt_f32_f64_e32 v102, v[102:103]
	v_min3_f32 v101, v101, v102, v180
	v_add_f64 v[102:103], v[26:27], v[90:91]
	v_add_f64 v[104:105], v[24:25], v[88:89]
	v_cvt_f32_f64_e32 v104, v[104:105]
	v_cvt_f32_f64_e32 v102, v[102:103]
	v_min_f32_e32 v102, v104, v102
	v_min3_f32 v100, v100, v102, v101
	v_cvt_f64_f32_e32 v[100:101], v100
	v_lshl_add_u64 v[102:103], v[138:139], 3, v[96:97]
	flat_store_dwordx2 v[102:103], v[100:101]
	s_or_b64 exec, exec, s[28:29]
	s_and_b64 s[30:31], s[14:15], s[18:19]
	s_and_saveexec_b64 s[28:29], s[30:31]
	s_cbranch_execz .LBB120_224
.LBB120_249:
	s_and_b64 vcc, exec, s[0:1]
	s_cbranch_vccnz .LBB120_251
; %bb.250:
	v_lshl_add_u64 v[100:101], v[140:141], 3, v[98:99]
	flat_load_dwordx2 v[100:101], v[100:101]
	s_waitcnt vmcnt(0) lgkmcnt(0)
	v_mul_f64 v[100:101], s[24:25], v[100:101]
	v_cvt_f32_f64_e32 v100, v[100:101]
	s_branch .LBB120_252
.LBB120_251:
	v_mov_b32_e32 v100, 0
.LBB120_252:
	v_add_f64 v[102:103], v[22:23], v[94:95]
	v_add_f64 v[104:105], v[20:21], v[92:93]
	v_cvt_f32_f64_e32 v101, v[104:105]
	v_cvt_f32_f64_e32 v102, v[102:103]
	v_min3_f32 v101, v101, v102, v179
	v_add_f64 v[102:103], v[18:19], v[90:91]
	v_add_f64 v[104:105], v[16:17], v[88:89]
	v_cvt_f32_f64_e32 v104, v[104:105]
	v_cvt_f32_f64_e32 v102, v[102:103]
	v_min_f32_e32 v102, v104, v102
	v_min3_f32 v100, v100, v102, v101
	v_cvt_f64_f32_e32 v[100:101], v100
	v_lshl_add_u64 v[102:103], v[140:141], 3, v[96:97]
	flat_store_dwordx2 v[102:103], v[100:101]
	s_or_b64 exec, exec, s[28:29]
	s_and_b64 s[28:29], s[16:17], s[18:19]
	s_and_saveexec_b64 s[18:19], s[28:29]
	s_cbranch_execz .LBB120_257
.LBB120_253:
	s_and_b64 vcc, exec, s[0:1]
	s_cbranch_vccnz .LBB120_255
; %bb.254:
	v_lshl_add_u64 v[98:99], v[142:143], 3, v[98:99]
	flat_load_dwordx2 v[98:99], v[98:99]
	s_waitcnt vmcnt(0) lgkmcnt(0)
	v_mul_f64 v[98:99], s[24:25], v[98:99]
	v_cvt_f32_f64_e32 v98, v[98:99]
	s_branch .LBB120_256
.LBB120_255:
	v_mov_b32_e32 v98, 0
.LBB120_256:
	v_add_f64 v[94:95], v[6:7], v[94:95]
	v_add_f64 v[92:93], v[4:5], v[92:93]
	;; [unrolled: 1-line block ×4, first 2 shown]
	v_cvt_f32_f64_e32 v92, v[92:93]
	v_cvt_f32_f64_e32 v93, v[94:95]
	v_cvt_f32_f64_e32 v88, v[88:89]
	v_cvt_f32_f64_e32 v89, v[90:91]
	v_min3_f32 v92, v92, v93, v178
	v_min_f32_e32 v88, v88, v89
	v_min3_f32 v88, v98, v88, v92
	v_cvt_f64_f32_e32 v[88:89], v88
	v_lshl_add_u64 v[90:91], v[142:143], 3, v[96:97]
	flat_store_dwordx2 v[90:91], v[88:89]
.LBB120_257:
	s_or_b64 exec, exec, s[18:19]
	v_add_u32_e32 v92, 0xa0, v150
	v_mad_i64_i32 v[88:89], s[28:29], v92, s35, 0
	v_cmp_gt_i32_e64 s[18:19], s21, v92
	v_lshl_add_u64 v[90:91], v[88:89], 3, s[26:27]
	v_mad_i64_i32 v[88:89], s[28:29], v92, s34, 0
	v_lshl_add_u64 v[88:89], v[88:89], 3, s[22:23]
	s_and_b64 s[30:31], s[2:3], s[18:19]
	s_and_saveexec_b64 s[28:29], s[30:31]
	s_cbranch_execnz .LBB120_265
; %bb.258:
	s_or_b64 exec, exec, s[28:29]
	s_and_b64 s[30:31], s[4:5], s[18:19]
	s_and_saveexec_b64 s[28:29], s[30:31]
	s_cbranch_execnz .LBB120_269
.LBB120_259:
	s_or_b64 exec, exec, s[28:29]
	s_and_b64 s[30:31], s[6:7], s[18:19]
	s_and_saveexec_b64 s[28:29], s[30:31]
	s_cbranch_execnz .LBB120_273
.LBB120_260:
	s_or_b64 exec, exec, s[28:29]
	s_and_b64 s[30:31], s[8:9], s[18:19]
	s_and_saveexec_b64 s[28:29], s[30:31]
	s_cbranch_execnz .LBB120_277
.LBB120_261:
	s_or_b64 exec, exec, s[28:29]
	s_and_b64 s[30:31], s[10:11], s[18:19]
	s_and_saveexec_b64 s[28:29], s[30:31]
	s_cbranch_execnz .LBB120_281
.LBB120_262:
	s_or_b64 exec, exec, s[28:29]
	s_and_b64 s[30:31], s[12:13], s[18:19]
	s_and_saveexec_b64 s[28:29], s[30:31]
	s_cbranch_execnz .LBB120_285
.LBB120_263:
	s_or_b64 exec, exec, s[28:29]
	s_and_b64 s[30:31], s[14:15], s[18:19]
	s_and_saveexec_b64 s[28:29], s[30:31]
	s_cbranch_execnz .LBB120_289
.LBB120_264:
	s_or_b64 exec, exec, s[28:29]
	s_and_b64 s[28:29], s[16:17], s[18:19]
	s_and_saveexec_b64 s[18:19], s[28:29]
	s_cbranch_execnz .LBB120_293
	s_branch .LBB120_297
.LBB120_265:
	s_and_b64 vcc, exec, s[0:1]
	s_cbranch_vccnz .LBB120_267
; %bb.266:
	v_lshl_add_u64 v[92:93], v[128:129], 3, v[90:91]
	flat_load_dwordx2 v[92:93], v[92:93]
	s_waitcnt vmcnt(0) lgkmcnt(0)
	v_mul_f64 v[92:93], s[24:25], v[92:93]
	v_cvt_f32_f64_e32 v92, v[92:93]
	s_branch .LBB120_268
.LBB120_267:
	v_mov_b32_e32 v92, 0
.LBB120_268:
	v_add_f64 v[94:95], v[70:71], v[86:87]
	v_add_f64 v[96:97], v[68:69], v[84:85]
	v_cvt_f32_f64_e32 v93, v[96:97]
	v_cvt_f32_f64_e32 v94, v[94:95]
	v_min3_f32 v93, v93, v94, v177
	v_add_f64 v[94:95], v[66:67], v[82:83]
	v_add_f64 v[96:97], v[64:65], v[80:81]
	v_cvt_f32_f64_e32 v96, v[96:97]
	v_cvt_f32_f64_e32 v94, v[94:95]
	v_min_f32_e32 v94, v96, v94
	v_min3_f32 v92, v92, v94, v93
	v_cvt_f64_f32_e32 v[92:93], v92
	v_lshl_add_u64 v[94:95], v[128:129], 3, v[88:89]
	flat_store_dwordx2 v[94:95], v[92:93]
	s_or_b64 exec, exec, s[28:29]
	s_and_b64 s[30:31], s[4:5], s[18:19]
	s_and_saveexec_b64 s[28:29], s[30:31]
	s_cbranch_execz .LBB120_259
.LBB120_269:
	s_and_b64 vcc, exec, s[0:1]
	s_cbranch_vccnz .LBB120_271
; %bb.270:
	v_lshl_add_u64 v[92:93], v[130:131], 3, v[90:91]
	flat_load_dwordx2 v[92:93], v[92:93]
	s_waitcnt vmcnt(0) lgkmcnt(0)
	v_mul_f64 v[92:93], s[24:25], v[92:93]
	v_cvt_f32_f64_e32 v92, v[92:93]
	s_branch .LBB120_272
.LBB120_271:
	v_mov_b32_e32 v92, 0
.LBB120_272:
	v_add_f64 v[94:95], v[62:63], v[86:87]
	v_add_f64 v[96:97], v[60:61], v[84:85]
	v_cvt_f32_f64_e32 v93, v[96:97]
	v_cvt_f32_f64_e32 v94, v[94:95]
	v_min3_f32 v93, v93, v94, v176
	v_add_f64 v[94:95], v[58:59], v[82:83]
	v_add_f64 v[96:97], v[56:57], v[80:81]
	v_cvt_f32_f64_e32 v96, v[96:97]
	v_cvt_f32_f64_e32 v94, v[94:95]
	v_min_f32_e32 v94, v96, v94
	v_min3_f32 v92, v92, v94, v93
	v_cvt_f64_f32_e32 v[92:93], v92
	v_lshl_add_u64 v[94:95], v[130:131], 3, v[88:89]
	flat_store_dwordx2 v[94:95], v[92:93]
	s_or_b64 exec, exec, s[28:29]
	s_and_b64 s[30:31], s[6:7], s[18:19]
	s_and_saveexec_b64 s[28:29], s[30:31]
	s_cbranch_execz .LBB120_260
.LBB120_273:
	s_and_b64 vcc, exec, s[0:1]
	s_cbranch_vccnz .LBB120_275
; %bb.274:
	v_lshl_add_u64 v[92:93], v[132:133], 3, v[90:91]
	flat_load_dwordx2 v[92:93], v[92:93]
	s_waitcnt vmcnt(0) lgkmcnt(0)
	v_mul_f64 v[92:93], s[24:25], v[92:93]
	v_cvt_f32_f64_e32 v92, v[92:93]
	s_branch .LBB120_276
.LBB120_275:
	v_mov_b32_e32 v92, 0
.LBB120_276:
	v_add_f64 v[94:95], v[54:55], v[86:87]
	v_add_f64 v[96:97], v[52:53], v[84:85]
	v_cvt_f32_f64_e32 v93, v[96:97]
	v_cvt_f32_f64_e32 v94, v[94:95]
	v_min3_f32 v93, v93, v94, v175
	v_add_f64 v[94:95], v[50:51], v[82:83]
	v_add_f64 v[96:97], v[48:49], v[80:81]
	v_cvt_f32_f64_e32 v96, v[96:97]
	v_cvt_f32_f64_e32 v94, v[94:95]
	v_min_f32_e32 v94, v96, v94
	v_min3_f32 v92, v92, v94, v93
	v_cvt_f64_f32_e32 v[92:93], v92
	v_lshl_add_u64 v[94:95], v[132:133], 3, v[88:89]
	flat_store_dwordx2 v[94:95], v[92:93]
	s_or_b64 exec, exec, s[28:29]
	s_and_b64 s[30:31], s[8:9], s[18:19]
	s_and_saveexec_b64 s[28:29], s[30:31]
	s_cbranch_execz .LBB120_261
.LBB120_277:
	s_and_b64 vcc, exec, s[0:1]
	s_cbranch_vccnz .LBB120_279
; %bb.278:
	v_lshl_add_u64 v[92:93], v[134:135], 3, v[90:91]
	flat_load_dwordx2 v[92:93], v[92:93]
	s_waitcnt vmcnt(0) lgkmcnt(0)
	v_mul_f64 v[92:93], s[24:25], v[92:93]
	v_cvt_f32_f64_e32 v92, v[92:93]
	s_branch .LBB120_280
.LBB120_279:
	v_mov_b32_e32 v92, 0
.LBB120_280:
	v_add_f64 v[94:95], v[46:47], v[86:87]
	v_add_f64 v[96:97], v[44:45], v[84:85]
	v_cvt_f32_f64_e32 v93, v[96:97]
	v_cvt_f32_f64_e32 v94, v[94:95]
	v_min3_f32 v93, v93, v94, v174
	v_add_f64 v[94:95], v[42:43], v[82:83]
	v_add_f64 v[96:97], v[40:41], v[80:81]
	v_cvt_f32_f64_e32 v96, v[96:97]
	v_cvt_f32_f64_e32 v94, v[94:95]
	v_min_f32_e32 v94, v96, v94
	v_min3_f32 v92, v92, v94, v93
	v_cvt_f64_f32_e32 v[92:93], v92
	v_lshl_add_u64 v[94:95], v[134:135], 3, v[88:89]
	flat_store_dwordx2 v[94:95], v[92:93]
	s_or_b64 exec, exec, s[28:29]
	s_and_b64 s[30:31], s[10:11], s[18:19]
	s_and_saveexec_b64 s[28:29], s[30:31]
	s_cbranch_execz .LBB120_262
.LBB120_281:
	s_and_b64 vcc, exec, s[0:1]
	s_cbranch_vccnz .LBB120_283
; %bb.282:
	v_lshl_add_u64 v[92:93], v[136:137], 3, v[90:91]
	flat_load_dwordx2 v[92:93], v[92:93]
	s_waitcnt vmcnt(0) lgkmcnt(0)
	v_mul_f64 v[92:93], s[24:25], v[92:93]
	v_cvt_f32_f64_e32 v92, v[92:93]
	s_branch .LBB120_284
.LBB120_283:
	v_mov_b32_e32 v92, 0
.LBB120_284:
	v_add_f64 v[94:95], v[38:39], v[86:87]
	v_add_f64 v[96:97], v[36:37], v[84:85]
	v_cvt_f32_f64_e32 v93, v[96:97]
	v_cvt_f32_f64_e32 v94, v[94:95]
	v_min3_f32 v93, v93, v94, v173
	v_add_f64 v[94:95], v[34:35], v[82:83]
	v_add_f64 v[96:97], v[32:33], v[80:81]
	v_cvt_f32_f64_e32 v96, v[96:97]
	v_cvt_f32_f64_e32 v94, v[94:95]
	v_min_f32_e32 v94, v96, v94
	v_min3_f32 v92, v92, v94, v93
	v_cvt_f64_f32_e32 v[92:93], v92
	v_lshl_add_u64 v[94:95], v[136:137], 3, v[88:89]
	flat_store_dwordx2 v[94:95], v[92:93]
	s_or_b64 exec, exec, s[28:29]
	s_and_b64 s[30:31], s[12:13], s[18:19]
	s_and_saveexec_b64 s[28:29], s[30:31]
	s_cbranch_execz .LBB120_263
.LBB120_285:
	s_and_b64 vcc, exec, s[0:1]
	s_cbranch_vccnz .LBB120_287
; %bb.286:
	v_lshl_add_u64 v[92:93], v[138:139], 3, v[90:91]
	flat_load_dwordx2 v[92:93], v[92:93]
	s_waitcnt vmcnt(0) lgkmcnt(0)
	v_mul_f64 v[92:93], s[24:25], v[92:93]
	v_cvt_f32_f64_e32 v92, v[92:93]
	s_branch .LBB120_288
.LBB120_287:
	v_mov_b32_e32 v92, 0
.LBB120_288:
	v_add_f64 v[94:95], v[30:31], v[86:87]
	v_add_f64 v[96:97], v[28:29], v[84:85]
	v_cvt_f32_f64_e32 v93, v[96:97]
	v_cvt_f32_f64_e32 v94, v[94:95]
	v_min3_f32 v93, v93, v94, v172
	v_add_f64 v[94:95], v[26:27], v[82:83]
	v_add_f64 v[96:97], v[24:25], v[80:81]
	v_cvt_f32_f64_e32 v96, v[96:97]
	v_cvt_f32_f64_e32 v94, v[94:95]
	v_min_f32_e32 v94, v96, v94
	v_min3_f32 v92, v92, v94, v93
	v_cvt_f64_f32_e32 v[92:93], v92
	v_lshl_add_u64 v[94:95], v[138:139], 3, v[88:89]
	flat_store_dwordx2 v[94:95], v[92:93]
	s_or_b64 exec, exec, s[28:29]
	s_and_b64 s[30:31], s[14:15], s[18:19]
	s_and_saveexec_b64 s[28:29], s[30:31]
	s_cbranch_execz .LBB120_264
.LBB120_289:
	s_and_b64 vcc, exec, s[0:1]
	s_cbranch_vccnz .LBB120_291
; %bb.290:
	v_lshl_add_u64 v[92:93], v[140:141], 3, v[90:91]
	flat_load_dwordx2 v[92:93], v[92:93]
	s_waitcnt vmcnt(0) lgkmcnt(0)
	v_mul_f64 v[92:93], s[24:25], v[92:93]
	v_cvt_f32_f64_e32 v92, v[92:93]
	s_branch .LBB120_292
.LBB120_291:
	v_mov_b32_e32 v92, 0
.LBB120_292:
	v_add_f64 v[94:95], v[22:23], v[86:87]
	v_add_f64 v[96:97], v[20:21], v[84:85]
	v_cvt_f32_f64_e32 v93, v[96:97]
	v_cvt_f32_f64_e32 v94, v[94:95]
	v_min3_f32 v93, v93, v94, v171
	v_add_f64 v[94:95], v[18:19], v[82:83]
	v_add_f64 v[96:97], v[16:17], v[80:81]
	v_cvt_f32_f64_e32 v96, v[96:97]
	v_cvt_f32_f64_e32 v94, v[94:95]
	v_min_f32_e32 v94, v96, v94
	v_min3_f32 v92, v92, v94, v93
	v_cvt_f64_f32_e32 v[92:93], v92
	v_lshl_add_u64 v[94:95], v[140:141], 3, v[88:89]
	flat_store_dwordx2 v[94:95], v[92:93]
	s_or_b64 exec, exec, s[28:29]
	s_and_b64 s[28:29], s[16:17], s[18:19]
	s_and_saveexec_b64 s[18:19], s[28:29]
	s_cbranch_execz .LBB120_297
.LBB120_293:
	s_and_b64 vcc, exec, s[0:1]
	s_cbranch_vccnz .LBB120_295
; %bb.294:
	v_lshl_add_u64 v[90:91], v[142:143], 3, v[90:91]
	flat_load_dwordx2 v[90:91], v[90:91]
	s_waitcnt vmcnt(0) lgkmcnt(0)
	v_mul_f64 v[90:91], s[24:25], v[90:91]
	v_cvt_f32_f64_e32 v90, v[90:91]
	s_branch .LBB120_296
.LBB120_295:
	v_mov_b32_e32 v90, 0
.LBB120_296:
	v_add_f64 v[86:87], v[6:7], v[86:87]
	v_add_f64 v[84:85], v[4:5], v[84:85]
	;; [unrolled: 1-line block ×4, first 2 shown]
	v_cvt_f32_f64_e32 v84, v[84:85]
	v_cvt_f32_f64_e32 v85, v[86:87]
	v_cvt_f32_f64_e32 v80, v[80:81]
	v_cvt_f32_f64_e32 v81, v[82:83]
	v_min3_f32 v84, v84, v85, v170
	v_min_f32_e32 v80, v80, v81
	v_min3_f32 v80, v90, v80, v84
	v_cvt_f64_f32_e32 v[80:81], v80
	v_lshl_add_u64 v[82:83], v[142:143], 3, v[88:89]
	flat_store_dwordx2 v[82:83], v[80:81]
.LBB120_297:
	s_or_b64 exec, exec, s[18:19]
	v_add_u32_e32 v84, 0xc0, v150
	v_mad_i64_i32 v[80:81], s[28:29], v84, s35, 0
	v_cmp_gt_i32_e64 s[18:19], s21, v84
	v_lshl_add_u64 v[82:83], v[80:81], 3, s[26:27]
	v_mad_i64_i32 v[80:81], s[28:29], v84, s34, 0
	v_lshl_add_u64 v[80:81], v[80:81], 3, s[22:23]
	s_and_b64 s[30:31], s[2:3], s[18:19]
	s_and_saveexec_b64 s[28:29], s[30:31]
	s_cbranch_execnz .LBB120_305
; %bb.298:
	s_or_b64 exec, exec, s[28:29]
	s_and_b64 s[30:31], s[4:5], s[18:19]
	s_and_saveexec_b64 s[28:29], s[30:31]
	s_cbranch_execnz .LBB120_309
.LBB120_299:
	s_or_b64 exec, exec, s[28:29]
	s_and_b64 s[30:31], s[6:7], s[18:19]
	s_and_saveexec_b64 s[28:29], s[30:31]
	s_cbranch_execnz .LBB120_313
.LBB120_300:
	s_or_b64 exec, exec, s[28:29]
	s_and_b64 s[30:31], s[8:9], s[18:19]
	s_and_saveexec_b64 s[28:29], s[30:31]
	s_cbranch_execnz .LBB120_317
.LBB120_301:
	s_or_b64 exec, exec, s[28:29]
	s_and_b64 s[30:31], s[10:11], s[18:19]
	s_and_saveexec_b64 s[28:29], s[30:31]
	s_cbranch_execnz .LBB120_321
.LBB120_302:
	s_or_b64 exec, exec, s[28:29]
	s_and_b64 s[30:31], s[12:13], s[18:19]
	s_and_saveexec_b64 s[28:29], s[30:31]
	s_cbranch_execnz .LBB120_325
.LBB120_303:
	s_or_b64 exec, exec, s[28:29]
	s_and_b64 s[30:31], s[14:15], s[18:19]
	s_and_saveexec_b64 s[28:29], s[30:31]
	s_cbranch_execnz .LBB120_329
.LBB120_304:
	s_or_b64 exec, exec, s[28:29]
	s_and_b64 s[28:29], s[16:17], s[18:19]
	s_and_saveexec_b64 s[18:19], s[28:29]
	s_cbranch_execnz .LBB120_333
	s_branch .LBB120_337
.LBB120_305:
	s_and_b64 vcc, exec, s[0:1]
	s_cbranch_vccnz .LBB120_307
; %bb.306:
	v_lshl_add_u64 v[84:85], v[128:129], 3, v[82:83]
	flat_load_dwordx2 v[84:85], v[84:85]
	s_waitcnt vmcnt(0) lgkmcnt(0)
	v_mul_f64 v[84:85], s[24:25], v[84:85]
	v_cvt_f32_f64_e32 v84, v[84:85]
	s_branch .LBB120_308
.LBB120_307:
	v_mov_b32_e32 v84, 0
.LBB120_308:
	v_add_f64 v[86:87], v[70:71], v[78:79]
	v_add_f64 v[88:89], v[68:69], v[76:77]
	v_cvt_f32_f64_e32 v85, v[88:89]
	v_cvt_f32_f64_e32 v86, v[86:87]
	v_min3_f32 v85, v85, v86, v169
	v_add_f64 v[86:87], v[66:67], v[74:75]
	v_add_f64 v[88:89], v[64:65], v[72:73]
	v_cvt_f32_f64_e32 v88, v[88:89]
	v_cvt_f32_f64_e32 v86, v[86:87]
	v_min_f32_e32 v86, v88, v86
	v_min3_f32 v84, v84, v86, v85
	v_cvt_f64_f32_e32 v[84:85], v84
	v_lshl_add_u64 v[86:87], v[128:129], 3, v[80:81]
	flat_store_dwordx2 v[86:87], v[84:85]
	s_or_b64 exec, exec, s[28:29]
	s_and_b64 s[30:31], s[4:5], s[18:19]
	s_and_saveexec_b64 s[28:29], s[30:31]
	s_cbranch_execz .LBB120_299
.LBB120_309:
	s_and_b64 vcc, exec, s[0:1]
	s_cbranch_vccnz .LBB120_311
; %bb.310:
	v_lshl_add_u64 v[84:85], v[130:131], 3, v[82:83]
	flat_load_dwordx2 v[84:85], v[84:85]
	s_waitcnt vmcnt(0) lgkmcnt(0)
	v_mul_f64 v[84:85], s[24:25], v[84:85]
	v_cvt_f32_f64_e32 v84, v[84:85]
	s_branch .LBB120_312
.LBB120_311:
	v_mov_b32_e32 v84, 0
.LBB120_312:
	v_add_f64 v[86:87], v[62:63], v[78:79]
	v_add_f64 v[88:89], v[60:61], v[76:77]
	v_cvt_f32_f64_e32 v85, v[88:89]
	v_cvt_f32_f64_e32 v86, v[86:87]
	v_min3_f32 v85, v85, v86, v167
	v_add_f64 v[86:87], v[58:59], v[74:75]
	v_add_f64 v[88:89], v[56:57], v[72:73]
	v_cvt_f32_f64_e32 v88, v[88:89]
	v_cvt_f32_f64_e32 v86, v[86:87]
	v_min_f32_e32 v86, v88, v86
	v_min3_f32 v84, v84, v86, v85
	v_cvt_f64_f32_e32 v[84:85], v84
	v_lshl_add_u64 v[86:87], v[130:131], 3, v[80:81]
	flat_store_dwordx2 v[86:87], v[84:85]
	s_or_b64 exec, exec, s[28:29]
	s_and_b64 s[30:31], s[6:7], s[18:19]
	s_and_saveexec_b64 s[28:29], s[30:31]
	s_cbranch_execz .LBB120_300
.LBB120_313:
	s_and_b64 vcc, exec, s[0:1]
	s_cbranch_vccnz .LBB120_315
; %bb.314:
	v_lshl_add_u64 v[84:85], v[132:133], 3, v[82:83]
	flat_load_dwordx2 v[84:85], v[84:85]
	s_waitcnt vmcnt(0) lgkmcnt(0)
	v_mul_f64 v[84:85], s[24:25], v[84:85]
	v_cvt_f32_f64_e32 v84, v[84:85]
	s_branch .LBB120_316
.LBB120_315:
	v_mov_b32_e32 v84, 0
.LBB120_316:
	v_add_f64 v[86:87], v[54:55], v[78:79]
	v_add_f64 v[88:89], v[52:53], v[76:77]
	v_cvt_f32_f64_e32 v85, v[88:89]
	v_cvt_f32_f64_e32 v86, v[86:87]
	v_min3_f32 v85, v85, v86, v166
	v_add_f64 v[86:87], v[50:51], v[74:75]
	v_add_f64 v[88:89], v[48:49], v[72:73]
	v_cvt_f32_f64_e32 v88, v[88:89]
	v_cvt_f32_f64_e32 v86, v[86:87]
	v_min_f32_e32 v86, v88, v86
	v_min3_f32 v84, v84, v86, v85
	v_cvt_f64_f32_e32 v[84:85], v84
	v_lshl_add_u64 v[86:87], v[132:133], 3, v[80:81]
	flat_store_dwordx2 v[86:87], v[84:85]
	s_or_b64 exec, exec, s[28:29]
	s_and_b64 s[30:31], s[8:9], s[18:19]
	s_and_saveexec_b64 s[28:29], s[30:31]
	s_cbranch_execz .LBB120_301
.LBB120_317:
	s_and_b64 vcc, exec, s[0:1]
	s_cbranch_vccnz .LBB120_319
; %bb.318:
	v_lshl_add_u64 v[84:85], v[134:135], 3, v[82:83]
	flat_load_dwordx2 v[84:85], v[84:85]
	s_waitcnt vmcnt(0) lgkmcnt(0)
	v_mul_f64 v[84:85], s[24:25], v[84:85]
	v_cvt_f32_f64_e32 v84, v[84:85]
	s_branch .LBB120_320
.LBB120_319:
	v_mov_b32_e32 v84, 0
.LBB120_320:
	v_add_f64 v[86:87], v[46:47], v[78:79]
	v_add_f64 v[88:89], v[44:45], v[76:77]
	v_cvt_f32_f64_e32 v85, v[88:89]
	v_cvt_f32_f64_e32 v86, v[86:87]
	v_min3_f32 v85, v85, v86, v165
	v_add_f64 v[86:87], v[42:43], v[74:75]
	v_add_f64 v[88:89], v[40:41], v[72:73]
	v_cvt_f32_f64_e32 v88, v[88:89]
	v_cvt_f32_f64_e32 v86, v[86:87]
	v_min_f32_e32 v86, v88, v86
	v_min3_f32 v84, v84, v86, v85
	v_cvt_f64_f32_e32 v[84:85], v84
	v_lshl_add_u64 v[86:87], v[134:135], 3, v[80:81]
	flat_store_dwordx2 v[86:87], v[84:85]
	s_or_b64 exec, exec, s[28:29]
	s_and_b64 s[30:31], s[10:11], s[18:19]
	s_and_saveexec_b64 s[28:29], s[30:31]
	s_cbranch_execz .LBB120_302
.LBB120_321:
	s_and_b64 vcc, exec, s[0:1]
	s_cbranch_vccnz .LBB120_323
; %bb.322:
	v_lshl_add_u64 v[84:85], v[136:137], 3, v[82:83]
	flat_load_dwordx2 v[84:85], v[84:85]
	s_waitcnt vmcnt(0) lgkmcnt(0)
	v_mul_f64 v[84:85], s[24:25], v[84:85]
	v_cvt_f32_f64_e32 v84, v[84:85]
	s_branch .LBB120_324
.LBB120_323:
	v_mov_b32_e32 v84, 0
.LBB120_324:
	v_add_f64 v[86:87], v[38:39], v[78:79]
	v_add_f64 v[88:89], v[36:37], v[76:77]
	v_cvt_f32_f64_e32 v85, v[88:89]
	v_cvt_f32_f64_e32 v86, v[86:87]
	v_min3_f32 v85, v85, v86, v164
	v_add_f64 v[86:87], v[34:35], v[74:75]
	v_add_f64 v[88:89], v[32:33], v[72:73]
	v_cvt_f32_f64_e32 v88, v[88:89]
	v_cvt_f32_f64_e32 v86, v[86:87]
	v_min_f32_e32 v86, v88, v86
	v_min3_f32 v84, v84, v86, v85
	v_cvt_f64_f32_e32 v[84:85], v84
	v_lshl_add_u64 v[86:87], v[136:137], 3, v[80:81]
	flat_store_dwordx2 v[86:87], v[84:85]
	s_or_b64 exec, exec, s[28:29]
	s_and_b64 s[30:31], s[12:13], s[18:19]
	s_and_saveexec_b64 s[28:29], s[30:31]
	s_cbranch_execz .LBB120_303
.LBB120_325:
	s_and_b64 vcc, exec, s[0:1]
	s_cbranch_vccnz .LBB120_327
; %bb.326:
	v_lshl_add_u64 v[84:85], v[138:139], 3, v[82:83]
	flat_load_dwordx2 v[84:85], v[84:85]
	s_waitcnt vmcnt(0) lgkmcnt(0)
	v_mul_f64 v[84:85], s[24:25], v[84:85]
	v_cvt_f32_f64_e32 v84, v[84:85]
	s_branch .LBB120_328
.LBB120_327:
	v_mov_b32_e32 v84, 0
.LBB120_328:
	v_add_f64 v[86:87], v[30:31], v[78:79]
	v_add_f64 v[88:89], v[28:29], v[76:77]
	v_cvt_f32_f64_e32 v85, v[88:89]
	v_cvt_f32_f64_e32 v86, v[86:87]
	v_min3_f32 v85, v85, v86, v163
	v_add_f64 v[86:87], v[26:27], v[74:75]
	v_add_f64 v[88:89], v[24:25], v[72:73]
	v_cvt_f32_f64_e32 v88, v[88:89]
	v_cvt_f32_f64_e32 v86, v[86:87]
	v_min_f32_e32 v86, v88, v86
	v_min3_f32 v84, v84, v86, v85
	v_cvt_f64_f32_e32 v[84:85], v84
	v_lshl_add_u64 v[86:87], v[138:139], 3, v[80:81]
	flat_store_dwordx2 v[86:87], v[84:85]
	s_or_b64 exec, exec, s[28:29]
	s_and_b64 s[30:31], s[14:15], s[18:19]
	s_and_saveexec_b64 s[28:29], s[30:31]
	s_cbranch_execz .LBB120_304
.LBB120_329:
	s_and_b64 vcc, exec, s[0:1]
	s_cbranch_vccnz .LBB120_331
; %bb.330:
	v_lshl_add_u64 v[84:85], v[140:141], 3, v[82:83]
	flat_load_dwordx2 v[84:85], v[84:85]
	s_waitcnt vmcnt(0) lgkmcnt(0)
	v_mul_f64 v[84:85], s[24:25], v[84:85]
	v_cvt_f32_f64_e32 v84, v[84:85]
	s_branch .LBB120_332
.LBB120_331:
	v_mov_b32_e32 v84, 0
.LBB120_332:
	v_add_f64 v[86:87], v[22:23], v[78:79]
	v_add_f64 v[88:89], v[20:21], v[76:77]
	v_cvt_f32_f64_e32 v85, v[88:89]
	v_cvt_f32_f64_e32 v86, v[86:87]
	v_min3_f32 v85, v85, v86, v160
	v_add_f64 v[86:87], v[18:19], v[74:75]
	v_add_f64 v[88:89], v[16:17], v[72:73]
	v_cvt_f32_f64_e32 v88, v[88:89]
	v_cvt_f32_f64_e32 v86, v[86:87]
	v_min_f32_e32 v86, v88, v86
	v_min3_f32 v84, v84, v86, v85
	v_cvt_f64_f32_e32 v[84:85], v84
	v_lshl_add_u64 v[86:87], v[140:141], 3, v[80:81]
	flat_store_dwordx2 v[86:87], v[84:85]
	s_or_b64 exec, exec, s[28:29]
	s_and_b64 s[28:29], s[16:17], s[18:19]
	s_and_saveexec_b64 s[18:19], s[28:29]
	s_cbranch_execz .LBB120_337
.LBB120_333:
	s_and_b64 vcc, exec, s[0:1]
	s_cbranch_vccnz .LBB120_335
; %bb.334:
	v_lshl_add_u64 v[82:83], v[142:143], 3, v[82:83]
	flat_load_dwordx2 v[82:83], v[82:83]
	s_waitcnt vmcnt(0) lgkmcnt(0)
	v_mul_f64 v[82:83], s[24:25], v[82:83]
	v_cvt_f32_f64_e32 v82, v[82:83]
	s_branch .LBB120_336
.LBB120_335:
	v_mov_b32_e32 v82, 0
.LBB120_336:
	v_add_f64 v[78:79], v[6:7], v[78:79]
	v_add_f64 v[76:77], v[4:5], v[76:77]
	;; [unrolled: 1-line block ×4, first 2 shown]
	v_cvt_f32_f64_e32 v76, v[76:77]
	v_cvt_f32_f64_e32 v77, v[78:79]
	v_cvt_f32_f64_e32 v72, v[72:73]
	v_cvt_f32_f64_e32 v73, v[74:75]
	v_min3_f32 v76, v76, v77, v159
	v_min_f32_e32 v72, v72, v73
	v_min3_f32 v72, v82, v72, v76
	v_cvt_f64_f32_e32 v[72:73], v72
	v_lshl_add_u64 v[74:75], v[142:143], 3, v[80:81]
	flat_store_dwordx2 v[74:75], v[72:73]
.LBB120_337:
	s_or_b64 exec, exec, s[18:19]
	v_add_u32_e32 v76, 0xe0, v150
	v_cmp_gt_i32_e64 s[18:19], s21, v76
	v_mad_i64_i32 v[72:73], s[20:21], v76, s35, 0
	v_lshl_add_u64 v[74:75], v[72:73], 3, s[26:27]
	v_mad_i64_i32 v[72:73], s[20:21], v76, s34, 0
	v_lshl_add_u64 v[72:73], v[72:73], 3, s[22:23]
	s_and_b64 s[20:21], s[2:3], s[18:19]
	s_and_saveexec_b64 s[2:3], s[20:21]
	s_cbranch_execnz .LBB120_346
; %bb.338:
	s_or_b64 exec, exec, s[2:3]
	s_and_b64 s[4:5], s[4:5], s[18:19]
	s_and_saveexec_b64 s[2:3], s[4:5]
	s_cbranch_execnz .LBB120_350
.LBB120_339:
	s_or_b64 exec, exec, s[2:3]
	s_and_b64 s[4:5], s[6:7], s[18:19]
	s_and_saveexec_b64 s[2:3], s[4:5]
	s_cbranch_execnz .LBB120_354
.LBB120_340:
	s_or_b64 exec, exec, s[2:3]
	s_and_b64 s[4:5], s[8:9], s[18:19]
	s_and_saveexec_b64 s[2:3], s[4:5]
	s_cbranch_execnz .LBB120_358
.LBB120_341:
	s_or_b64 exec, exec, s[2:3]
	s_and_b64 s[4:5], s[10:11], s[18:19]
	s_and_saveexec_b64 s[2:3], s[4:5]
	s_cbranch_execnz .LBB120_362
.LBB120_342:
	s_or_b64 exec, exec, s[2:3]
	s_and_b64 s[4:5], s[12:13], s[18:19]
	s_and_saveexec_b64 s[2:3], s[4:5]
	s_cbranch_execnz .LBB120_366
.LBB120_343:
	s_or_b64 exec, exec, s[2:3]
	s_and_b64 s[4:5], s[14:15], s[18:19]
	s_and_saveexec_b64 s[2:3], s[4:5]
	s_cbranch_execnz .LBB120_370
.LBB120_344:
	s_or_b64 exec, exec, s[2:3]
	s_and_b64 s[2:3], s[16:17], s[18:19]
	s_and_saveexec_b64 s[4:5], s[2:3]
	s_cbranch_execnz .LBB120_374
.LBB120_345:
	s_endpgm
.LBB120_346:
	s_and_b64 vcc, exec, s[0:1]
	s_cbranch_vccnz .LBB120_348
; %bb.347:
	v_lshl_add_u64 v[76:77], v[128:129], 3, v[74:75]
	flat_load_dwordx2 v[76:77], v[76:77]
	s_waitcnt vmcnt(0) lgkmcnt(0)
	v_mul_f64 v[76:77], s[24:25], v[76:77]
	v_cvt_f32_f64_e32 v76, v[76:77]
	s_branch .LBB120_349
.LBB120_348:
	v_mov_b32_e32 v76, 0
.LBB120_349:
	v_add_f64 v[70:71], v[70:71], v[14:15]
	v_add_f64 v[68:69], v[68:69], v[12:13]
	;; [unrolled: 1-line block ×4, first 2 shown]
	v_cvt_f32_f64_e32 v68, v[68:69]
	v_cvt_f32_f64_e32 v69, v[70:71]
	v_cvt_f32_f64_e32 v64, v[64:65]
	v_cvt_f32_f64_e32 v65, v[66:67]
	v_min3_f32 v68, v68, v69, v157
	v_min_f32_e32 v64, v64, v65
	v_min3_f32 v64, v76, v64, v68
	v_cvt_f64_f32_e32 v[64:65], v64
	v_lshl_add_u64 v[66:67], v[128:129], 3, v[72:73]
	flat_store_dwordx2 v[66:67], v[64:65]
	s_or_b64 exec, exec, s[2:3]
	s_and_b64 s[4:5], s[4:5], s[18:19]
	s_and_saveexec_b64 s[2:3], s[4:5]
	s_cbranch_execz .LBB120_339
.LBB120_350:
	s_and_b64 vcc, exec, s[0:1]
	s_cbranch_vccnz .LBB120_352
; %bb.351:
	v_lshl_add_u64 v[64:65], v[130:131], 3, v[74:75]
	flat_load_dwordx2 v[64:65], v[64:65]
	s_waitcnt vmcnt(0) lgkmcnt(0)
	v_mul_f64 v[64:65], s[24:25], v[64:65]
	v_cvt_f32_f64_e32 v64, v[64:65]
	s_branch .LBB120_353
.LBB120_352:
	v_mov_b32_e32 v64, 0
.LBB120_353:
	v_add_f64 v[62:63], v[62:63], v[14:15]
	v_add_f64 v[60:61], v[60:61], v[12:13]
	;; [unrolled: 1-line block ×4, first 2 shown]
	v_cvt_f32_f64_e32 v60, v[60:61]
	v_cvt_f32_f64_e32 v61, v[62:63]
	;; [unrolled: 1-line block ×4, first 2 shown]
	v_min3_f32 v60, v60, v61, v156
	v_min_f32_e32 v56, v56, v57
	v_min3_f32 v56, v64, v56, v60
	v_cvt_f64_f32_e32 v[56:57], v56
	v_lshl_add_u64 v[58:59], v[130:131], 3, v[72:73]
	flat_store_dwordx2 v[58:59], v[56:57]
	s_or_b64 exec, exec, s[2:3]
	s_and_b64 s[4:5], s[6:7], s[18:19]
	s_and_saveexec_b64 s[2:3], s[4:5]
	s_cbranch_execz .LBB120_340
.LBB120_354:
	s_and_b64 vcc, exec, s[0:1]
	s_cbranch_vccnz .LBB120_356
; %bb.355:
	v_lshl_add_u64 v[56:57], v[132:133], 3, v[74:75]
	flat_load_dwordx2 v[56:57], v[56:57]
	s_waitcnt vmcnt(0) lgkmcnt(0)
	v_mul_f64 v[56:57], s[24:25], v[56:57]
	v_cvt_f32_f64_e32 v56, v[56:57]
	s_branch .LBB120_357
.LBB120_356:
	v_mov_b32_e32 v56, 0
.LBB120_357:
	v_add_f64 v[54:55], v[54:55], v[14:15]
	v_add_f64 v[52:53], v[52:53], v[12:13]
	;; [unrolled: 1-line block ×4, first 2 shown]
	v_cvt_f32_f64_e32 v52, v[52:53]
	v_cvt_f32_f64_e32 v53, v[54:55]
	;; [unrolled: 1-line block ×4, first 2 shown]
	v_min3_f32 v52, v52, v53, v155
	v_min_f32_e32 v48, v48, v49
	v_min3_f32 v48, v56, v48, v52
	v_cvt_f64_f32_e32 v[48:49], v48
	v_lshl_add_u64 v[50:51], v[132:133], 3, v[72:73]
	flat_store_dwordx2 v[50:51], v[48:49]
	s_or_b64 exec, exec, s[2:3]
	s_and_b64 s[4:5], s[8:9], s[18:19]
	s_and_saveexec_b64 s[2:3], s[4:5]
	s_cbranch_execz .LBB120_341
.LBB120_358:
	s_and_b64 vcc, exec, s[0:1]
	s_cbranch_vccnz .LBB120_360
; %bb.359:
	v_lshl_add_u64 v[48:49], v[134:135], 3, v[74:75]
	flat_load_dwordx2 v[48:49], v[48:49]
	s_waitcnt vmcnt(0) lgkmcnt(0)
	v_mul_f64 v[48:49], s[24:25], v[48:49]
	v_cvt_f32_f64_e32 v48, v[48:49]
	s_branch .LBB120_361
.LBB120_360:
	v_mov_b32_e32 v48, 0
.LBB120_361:
	v_add_f64 v[46:47], v[46:47], v[14:15]
	v_add_f64 v[44:45], v[44:45], v[12:13]
	;; [unrolled: 1-line block ×4, first 2 shown]
	v_cvt_f32_f64_e32 v44, v[44:45]
	v_cvt_f32_f64_e32 v45, v[46:47]
	;; [unrolled: 1-line block ×4, first 2 shown]
	v_min3_f32 v44, v44, v45, v154
	v_min_f32_e32 v40, v40, v41
	v_min3_f32 v40, v48, v40, v44
	v_cvt_f64_f32_e32 v[40:41], v40
	v_lshl_add_u64 v[42:43], v[134:135], 3, v[72:73]
	flat_store_dwordx2 v[42:43], v[40:41]
	s_or_b64 exec, exec, s[2:3]
	s_and_b64 s[4:5], s[10:11], s[18:19]
	s_and_saveexec_b64 s[2:3], s[4:5]
	s_cbranch_execz .LBB120_342
.LBB120_362:
	s_and_b64 vcc, exec, s[0:1]
	s_cbranch_vccnz .LBB120_364
; %bb.363:
	v_lshl_add_u64 v[40:41], v[136:137], 3, v[74:75]
	flat_load_dwordx2 v[40:41], v[40:41]
	s_waitcnt vmcnt(0) lgkmcnt(0)
	v_mul_f64 v[40:41], s[24:25], v[40:41]
	v_cvt_f32_f64_e32 v40, v[40:41]
	s_branch .LBB120_365
.LBB120_364:
	v_mov_b32_e32 v40, 0
.LBB120_365:
	v_add_f64 v[38:39], v[38:39], v[14:15]
	v_add_f64 v[36:37], v[36:37], v[12:13]
	;; [unrolled: 1-line block ×4, first 2 shown]
	v_cvt_f32_f64_e32 v36, v[36:37]
	v_cvt_f32_f64_e32 v37, v[38:39]
	;; [unrolled: 1-line block ×4, first 2 shown]
	v_min3_f32 v36, v36, v37, v153
	v_min_f32_e32 v32, v32, v33
	v_min3_f32 v32, v40, v32, v36
	v_cvt_f64_f32_e32 v[32:33], v32
	v_lshl_add_u64 v[34:35], v[136:137], 3, v[72:73]
	flat_store_dwordx2 v[34:35], v[32:33]
	s_or_b64 exec, exec, s[2:3]
	s_and_b64 s[4:5], s[12:13], s[18:19]
	s_and_saveexec_b64 s[2:3], s[4:5]
	s_cbranch_execz .LBB120_343
.LBB120_366:
	s_and_b64 vcc, exec, s[0:1]
	s_cbranch_vccnz .LBB120_368
; %bb.367:
	v_lshl_add_u64 v[32:33], v[138:139], 3, v[74:75]
	flat_load_dwordx2 v[32:33], v[32:33]
	s_waitcnt vmcnt(0) lgkmcnt(0)
	v_mul_f64 v[32:33], s[24:25], v[32:33]
	v_cvt_f32_f64_e32 v32, v[32:33]
	s_branch .LBB120_369
.LBB120_368:
	v_mov_b32_e32 v32, 0
.LBB120_369:
	v_add_f64 v[30:31], v[30:31], v[14:15]
	v_add_f64 v[28:29], v[28:29], v[12:13]
	;; [unrolled: 1-line block ×4, first 2 shown]
	v_cvt_f32_f64_e32 v28, v[28:29]
	v_cvt_f32_f64_e32 v29, v[30:31]
	;; [unrolled: 1-line block ×4, first 2 shown]
	v_min3_f32 v28, v28, v29, v152
	v_min_f32_e32 v24, v24, v25
	v_min3_f32 v24, v32, v24, v28
	v_cvt_f64_f32_e32 v[24:25], v24
	v_lshl_add_u64 v[26:27], v[138:139], 3, v[72:73]
	flat_store_dwordx2 v[26:27], v[24:25]
	s_or_b64 exec, exec, s[2:3]
	s_and_b64 s[4:5], s[14:15], s[18:19]
	s_and_saveexec_b64 s[2:3], s[4:5]
	s_cbranch_execz .LBB120_344
.LBB120_370:
	s_and_b64 vcc, exec, s[0:1]
	s_cbranch_vccnz .LBB120_372
; %bb.371:
	v_lshl_add_u64 v[24:25], v[140:141], 3, v[74:75]
	flat_load_dwordx2 v[24:25], v[24:25]
	s_waitcnt vmcnt(0) lgkmcnt(0)
	v_mul_f64 v[24:25], s[24:25], v[24:25]
	v_cvt_f32_f64_e32 v24, v[24:25]
	s_branch .LBB120_373
.LBB120_372:
	v_mov_b32_e32 v24, 0
.LBB120_373:
	v_add_f64 v[22:23], v[22:23], v[14:15]
	v_add_f64 v[20:21], v[20:21], v[12:13]
	;; [unrolled: 1-line block ×4, first 2 shown]
	v_cvt_f32_f64_e32 v20, v[20:21]
	v_cvt_f32_f64_e32 v21, v[22:23]
	;; [unrolled: 1-line block ×4, first 2 shown]
	v_min3_f32 v20, v20, v21, v149
	v_min_f32_e32 v16, v16, v17
	v_min3_f32 v16, v24, v16, v20
	v_cvt_f64_f32_e32 v[16:17], v16
	v_lshl_add_u64 v[18:19], v[140:141], 3, v[72:73]
	flat_store_dwordx2 v[18:19], v[16:17]
	s_or_b64 exec, exec, s[2:3]
	s_and_b64 s[2:3], s[16:17], s[18:19]
	s_and_saveexec_b64 s[4:5], s[2:3]
	s_cbranch_execz .LBB120_345
.LBB120_374:
	s_and_b64 vcc, exec, s[0:1]
	s_cbranch_vccnz .LBB120_376
; %bb.375:
	v_lshl_add_u64 v[16:17], v[142:143], 3, v[74:75]
	flat_load_dwordx2 v[16:17], v[16:17]
	s_waitcnt vmcnt(0) lgkmcnt(0)
	v_mul_f64 v[16:17], s[24:25], v[16:17]
	v_cvt_f32_f64_e32 v16, v[16:17]
	s_branch .LBB120_377
.LBB120_376:
	v_mov_b32_e32 v16, 0
.LBB120_377:
	v_add_f64 v[6:7], v[6:7], v[14:15]
	v_add_f64 v[4:5], v[4:5], v[12:13]
	;; [unrolled: 1-line block ×4, first 2 shown]
	v_cvt_f32_f64_e32 v4, v[4:5]
	v_cvt_f32_f64_e32 v5, v[6:7]
	v_cvt_f32_f64_e32 v0, v[0:1]
	v_cvt_f32_f64_e32 v1, v[2:3]
	v_min3_f32 v4, v4, v5, v148
	v_min_f32_e32 v0, v0, v1
	v_min3_f32 v0, v16, v0, v4
	v_cvt_f64_f32_e32 v[0:1], v0
	v_lshl_add_u64 v[2:3], v[142:143], 3, v[72:73]
	flat_store_dwordx2 v[2:3], v[0:1]
	s_endpgm
	.section	.rodata,"a",@progbits
	.p2align	6, 0x0
	.amdhsa_kernel _ZN12_GLOBAL__N_120geam_min_plus_kernelId15HIP_vector_typeIdLj2EEdLi8ELi32ELi64ELi256ELi4ELi64ELi4ELi64ELi4ELc78ELc84ELb0ELb1ELb1EPKdKS4_KPdEEviiiT16_PT17_ilSA_ilS8_SA_ilPT18_ili26rocblas_geam_ex_operation_
		.amdhsa_group_segment_fixed_size 20480
		.amdhsa_private_segment_fixed_size 0
		.amdhsa_kernarg_size 136
		.amdhsa_user_sgpr_count 2
		.amdhsa_user_sgpr_dispatch_ptr 0
		.amdhsa_user_sgpr_queue_ptr 0
		.amdhsa_user_sgpr_kernarg_segment_ptr 1
		.amdhsa_user_sgpr_dispatch_id 0
		.amdhsa_user_sgpr_kernarg_preload_length 0
		.amdhsa_user_sgpr_kernarg_preload_offset 0
		.amdhsa_user_sgpr_private_segment_size 0
		.amdhsa_uses_dynamic_stack 0
		.amdhsa_enable_private_segment 0
		.amdhsa_system_sgpr_workgroup_id_x 1
		.amdhsa_system_sgpr_workgroup_id_y 0
		.amdhsa_system_sgpr_workgroup_id_z 1
		.amdhsa_system_sgpr_workgroup_info 0
		.amdhsa_system_vgpr_workitem_id 1
		.amdhsa_next_free_vgpr 228
		.amdhsa_next_free_sgpr 44
		.amdhsa_accum_offset 228
		.amdhsa_reserve_vcc 1
		.amdhsa_float_round_mode_32 0
		.amdhsa_float_round_mode_16_64 0
		.amdhsa_float_denorm_mode_32 3
		.amdhsa_float_denorm_mode_16_64 3
		.amdhsa_dx10_clamp 1
		.amdhsa_ieee_mode 1
		.amdhsa_fp16_overflow 0
		.amdhsa_tg_split 0
		.amdhsa_exception_fp_ieee_invalid_op 0
		.amdhsa_exception_fp_denorm_src 0
		.amdhsa_exception_fp_ieee_div_zero 0
		.amdhsa_exception_fp_ieee_overflow 0
		.amdhsa_exception_fp_ieee_underflow 0
		.amdhsa_exception_fp_ieee_inexact 0
		.amdhsa_exception_int_div_zero 0
	.end_amdhsa_kernel
	.section	.text._ZN12_GLOBAL__N_120geam_min_plus_kernelId15HIP_vector_typeIdLj2EEdLi8ELi32ELi64ELi256ELi4ELi64ELi4ELi64ELi4ELc78ELc84ELb0ELb1ELb1EPKdKS4_KPdEEviiiT16_PT17_ilSA_ilS8_SA_ilPT18_ili26rocblas_geam_ex_operation_,"axG",@progbits,_ZN12_GLOBAL__N_120geam_min_plus_kernelId15HIP_vector_typeIdLj2EEdLi8ELi32ELi64ELi256ELi4ELi64ELi4ELi64ELi4ELc78ELc84ELb0ELb1ELb1EPKdKS4_KPdEEviiiT16_PT17_ilSA_ilS8_SA_ilPT18_ili26rocblas_geam_ex_operation_,comdat
.Lfunc_end120:
	.size	_ZN12_GLOBAL__N_120geam_min_plus_kernelId15HIP_vector_typeIdLj2EEdLi8ELi32ELi64ELi256ELi4ELi64ELi4ELi64ELi4ELc78ELc84ELb0ELb1ELb1EPKdKS4_KPdEEviiiT16_PT17_ilSA_ilS8_SA_ilPT18_ili26rocblas_geam_ex_operation_, .Lfunc_end120-_ZN12_GLOBAL__N_120geam_min_plus_kernelId15HIP_vector_typeIdLj2EEdLi8ELi32ELi64ELi256ELi4ELi64ELi4ELi64ELi4ELc78ELc84ELb0ELb1ELb1EPKdKS4_KPdEEviiiT16_PT17_ilSA_ilS8_SA_ilPT18_ili26rocblas_geam_ex_operation_
                                        ; -- End function
	.set _ZN12_GLOBAL__N_120geam_min_plus_kernelId15HIP_vector_typeIdLj2EEdLi8ELi32ELi64ELi256ELi4ELi64ELi4ELi64ELi4ELc78ELc84ELb0ELb1ELb1EPKdKS4_KPdEEviiiT16_PT17_ilSA_ilS8_SA_ilPT18_ili26rocblas_geam_ex_operation_.num_vgpr, 228
	.set _ZN12_GLOBAL__N_120geam_min_plus_kernelId15HIP_vector_typeIdLj2EEdLi8ELi32ELi64ELi256ELi4ELi64ELi4ELi64ELi4ELc78ELc84ELb0ELb1ELb1EPKdKS4_KPdEEviiiT16_PT17_ilSA_ilS8_SA_ilPT18_ili26rocblas_geam_ex_operation_.num_agpr, 0
	.set _ZN12_GLOBAL__N_120geam_min_plus_kernelId15HIP_vector_typeIdLj2EEdLi8ELi32ELi64ELi256ELi4ELi64ELi4ELi64ELi4ELc78ELc84ELb0ELb1ELb1EPKdKS4_KPdEEviiiT16_PT17_ilSA_ilS8_SA_ilPT18_ili26rocblas_geam_ex_operation_.numbered_sgpr, 44
	.set _ZN12_GLOBAL__N_120geam_min_plus_kernelId15HIP_vector_typeIdLj2EEdLi8ELi32ELi64ELi256ELi4ELi64ELi4ELi64ELi4ELc78ELc84ELb0ELb1ELb1EPKdKS4_KPdEEviiiT16_PT17_ilSA_ilS8_SA_ilPT18_ili26rocblas_geam_ex_operation_.num_named_barrier, 0
	.set _ZN12_GLOBAL__N_120geam_min_plus_kernelId15HIP_vector_typeIdLj2EEdLi8ELi32ELi64ELi256ELi4ELi64ELi4ELi64ELi4ELc78ELc84ELb0ELb1ELb1EPKdKS4_KPdEEviiiT16_PT17_ilSA_ilS8_SA_ilPT18_ili26rocblas_geam_ex_operation_.private_seg_size, 0
	.set _ZN12_GLOBAL__N_120geam_min_plus_kernelId15HIP_vector_typeIdLj2EEdLi8ELi32ELi64ELi256ELi4ELi64ELi4ELi64ELi4ELc78ELc84ELb0ELb1ELb1EPKdKS4_KPdEEviiiT16_PT17_ilSA_ilS8_SA_ilPT18_ili26rocblas_geam_ex_operation_.uses_vcc, 1
	.set _ZN12_GLOBAL__N_120geam_min_plus_kernelId15HIP_vector_typeIdLj2EEdLi8ELi32ELi64ELi256ELi4ELi64ELi4ELi64ELi4ELc78ELc84ELb0ELb1ELb1EPKdKS4_KPdEEviiiT16_PT17_ilSA_ilS8_SA_ilPT18_ili26rocblas_geam_ex_operation_.uses_flat_scratch, 0
	.set _ZN12_GLOBAL__N_120geam_min_plus_kernelId15HIP_vector_typeIdLj2EEdLi8ELi32ELi64ELi256ELi4ELi64ELi4ELi64ELi4ELc78ELc84ELb0ELb1ELb1EPKdKS4_KPdEEviiiT16_PT17_ilSA_ilS8_SA_ilPT18_ili26rocblas_geam_ex_operation_.has_dyn_sized_stack, 0
	.set _ZN12_GLOBAL__N_120geam_min_plus_kernelId15HIP_vector_typeIdLj2EEdLi8ELi32ELi64ELi256ELi4ELi64ELi4ELi64ELi4ELc78ELc84ELb0ELb1ELb1EPKdKS4_KPdEEviiiT16_PT17_ilSA_ilS8_SA_ilPT18_ili26rocblas_geam_ex_operation_.has_recursion, 0
	.set _ZN12_GLOBAL__N_120geam_min_plus_kernelId15HIP_vector_typeIdLj2EEdLi8ELi32ELi64ELi256ELi4ELi64ELi4ELi64ELi4ELc78ELc84ELb0ELb1ELb1EPKdKS4_KPdEEviiiT16_PT17_ilSA_ilS8_SA_ilPT18_ili26rocblas_geam_ex_operation_.has_indirect_call, 0
	.section	.AMDGPU.csdata,"",@progbits
; Kernel info:
; codeLenInByte = 26960
; TotalNumSgprs: 50
; NumVgprs: 228
; NumAgprs: 0
; TotalNumVgprs: 228
; ScratchSize: 0
; MemoryBound: 0
; FloatMode: 240
; IeeeMode: 1
; LDSByteSize: 20480 bytes/workgroup (compile time only)
; SGPRBlocks: 6
; VGPRBlocks: 28
; NumSGPRsForWavesPerEU: 50
; NumVGPRsForWavesPerEU: 228
; AccumOffset: 228
; Occupancy: 2
; WaveLimiterHint : 1
; COMPUTE_PGM_RSRC2:SCRATCH_EN: 0
; COMPUTE_PGM_RSRC2:USER_SGPR: 2
; COMPUTE_PGM_RSRC2:TRAP_HANDLER: 0
; COMPUTE_PGM_RSRC2:TGID_X_EN: 1
; COMPUTE_PGM_RSRC2:TGID_Y_EN: 0
; COMPUTE_PGM_RSRC2:TGID_Z_EN: 1
; COMPUTE_PGM_RSRC2:TIDIG_COMP_CNT: 1
; COMPUTE_PGM_RSRC3_GFX90A:ACCUM_OFFSET: 56
; COMPUTE_PGM_RSRC3_GFX90A:TG_SPLIT: 0
	.section	.text._ZN12_GLOBAL__N_120geam_min_plus_kernelId15HIP_vector_typeIdLj2EEdLi8ELi32ELi64ELi256ELi4ELi64ELi4ELi64ELi4ELc78ELc84ELb1ELb1ELb1EdKPKdKPdEEviiiT16_PT17_ilSA_ilS8_SA_ilPT18_ili26rocblas_geam_ex_operation_,"axG",@progbits,_ZN12_GLOBAL__N_120geam_min_plus_kernelId15HIP_vector_typeIdLj2EEdLi8ELi32ELi64ELi256ELi4ELi64ELi4ELi64ELi4ELc78ELc84ELb1ELb1ELb1EdKPKdKPdEEviiiT16_PT17_ilSA_ilS8_SA_ilPT18_ili26rocblas_geam_ex_operation_,comdat
	.globl	_ZN12_GLOBAL__N_120geam_min_plus_kernelId15HIP_vector_typeIdLj2EEdLi8ELi32ELi64ELi256ELi4ELi64ELi4ELi64ELi4ELc78ELc84ELb1ELb1ELb1EdKPKdKPdEEviiiT16_PT17_ilSA_ilS8_SA_ilPT18_ili26rocblas_geam_ex_operation_ ; -- Begin function _ZN12_GLOBAL__N_120geam_min_plus_kernelId15HIP_vector_typeIdLj2EEdLi8ELi32ELi64ELi256ELi4ELi64ELi4ELi64ELi4ELc78ELc84ELb1ELb1ELb1EdKPKdKPdEEviiiT16_PT17_ilSA_ilS8_SA_ilPT18_ili26rocblas_geam_ex_operation_
	.p2align	8
	.type	_ZN12_GLOBAL__N_120geam_min_plus_kernelId15HIP_vector_typeIdLj2EEdLi8ELi32ELi64ELi256ELi4ELi64ELi4ELi64ELi4ELc78ELc84ELb1ELb1ELb1EdKPKdKPdEEviiiT16_PT17_ilSA_ilS8_SA_ilPT18_ili26rocblas_geam_ex_operation_,@function
_ZN12_GLOBAL__N_120geam_min_plus_kernelId15HIP_vector_typeIdLj2EEdLi8ELi32ELi64ELi256ELi4ELi64ELi4ELi64ELi4ELc78ELc84ELb1ELb1ELb1EdKPKdKPdEEviiiT16_PT17_ilSA_ilS8_SA_ilPT18_ili26rocblas_geam_ex_operation_: ; @_ZN12_GLOBAL__N_120geam_min_plus_kernelId15HIP_vector_typeIdLj2EEdLi8ELi32ELi64ELi256ELi4ELi64ELi4ELi64ELi4ELc78ELc84ELb1ELb1ELb1EdKPKdKPdEEviiiT16_PT17_ilSA_ilS8_SA_ilPT18_ili26rocblas_geam_ex_operation_
; %bb.0:
	s_load_dwordx4 s[8:11], s[0:1], 0x10
	s_load_dwordx4 s[4:7], s[0:1], 0x28
	s_mov_b32 s14, s3
	s_mov_b64 s[16:17], 0
	s_waitcnt lgkmcnt(0)
	v_cmp_eq_f64_e64 s[12:13], s[8:9], 0
	s_and_b64 vcc, exec, s[12:13]
	s_cbranch_vccnz .LBB121_2
; %bb.1:
	s_mov_b32 s15, 0
	s_lshl_b64 s[8:9], s[14:15], 3
	s_add_u32 s8, s10, s8
	s_addc_u32 s9, s11, s9
	s_load_dwordx2 s[8:9], s[8:9], 0x0
	s_lshl_b64 s[4:5], s[4:5], 3
	s_waitcnt lgkmcnt(0)
	s_add_u32 s16, s8, s4
	s_addc_u32 s17, s9, s5
.LBB121_2:
	s_load_dwordx4 s[20:23], s[0:1], 0x40
	s_load_dwordx2 s[8:9], s[0:1], 0x50
	s_andn2_b64 vcc, exec, s[12:13]
	s_mov_b32 s15, 0
	s_cbranch_vccnz .LBB121_4
; %bb.3:
	s_mov_b64 s[28:29], 0
	s_mov_b64 s[18:19], 0
	s_cbranch_execz .LBB121_5
	s_branch .LBB121_6
.LBB121_4:
	s_mov_b64 s[28:29], 0
	s_mov_b64 s[18:19], 0
.LBB121_5:
	s_lshl_b64 s[4:5], s[14:15], 3
	s_add_u32 s4, s6, s4
	s_addc_u32 s5, s7, s5
	s_load_dwordx2 s[4:5], s[4:5], 0x0
	s_waitcnt lgkmcnt(0)
	s_lshl_b64 s[6:7], s[20:21], 3
	s_add_u32 s18, s4, s6
	s_addc_u32 s19, s5, s7
.LBB121_6:
	s_load_dwordx4 s[4:7], s[0:1], 0x60
	s_waitcnt lgkmcnt(0)
	v_cmp_eq_f64_e64 s[10:11], s[22:23], 0
	v_cmp_neq_f64_e64 s[12:13], s[22:23], 0
	s_and_b64 vcc, exec, s[10:11]
	s_cbranch_vccnz .LBB121_8
; %bb.7:
	s_lshl_b64 s[10:11], s[14:15], 3
	s_add_u32 s8, s8, s10
	s_addc_u32 s9, s9, s11
	s_load_dwordx2 s[8:9], s[8:9], 0x0
	s_lshl_b64 s[4:5], s[4:5], 3
	s_waitcnt lgkmcnt(0)
	s_add_u32 s28, s8, s4
	s_addc_u32 s29, s9, s5
.LBB121_8:
	s_load_dword s20, s[0:1], 0x20
	s_load_dwordx4 s[24:27], s[0:1], 0x0
	s_lshl_b64 s[4:5], s[14:15], 3
	v_and_b32_e32 v129, 0x3ff, v0
	v_bfe_u32 v158, v0, 10, 10
	s_waitcnt lgkmcnt(0)
	s_ashr_i32 s21, s20, 31
	s_add_u32 s14, s6, s4
	s_addc_u32 s15, s7, s5
	s_add_i32 s3, s24, -1
	s_ashr_i32 s4, s3, 31
	s_lshr_b32 s4, s4, 26
	s_add_i32 s3, s3, s4
	s_ashr_i32 s3, s3, 6
	s_add_i32 s5, s3, 1
	v_cvt_f32_u32_e32 v1, s5
	s_not_b32 s3, s3
	v_lshl_add_u32 v2, v158, 3, v129
	v_and_b32_e32 v10, 63, v2
	v_rcp_iflag_f32_e32 v1, v1
	v_lshrrev_b32_e32 v128, 6, v2
	v_mov_b32_e32 v0, -1
	v_cmp_le_i32_e64 s[10:11], s26, v128
	v_mul_f32_e32 v1, 0x4f7ffffe, v1
	v_cvt_u32_f32_e32 v1, v1
	s_nop 0
	v_readfirstlane_b32 s4, v1
	s_mul_i32 s3, s3, s4
	s_mul_hi_u32 s3, s4, s3
	s_add_i32 s4, s4, s3
	s_mul_hi_u32 s3, s2, s4
	s_mul_i32 s4, s3, s5
	s_sub_i32 s4, s2, s4
	s_add_i32 s6, s3, 1
	s_sub_i32 s7, s4, s5
	s_cmp_ge_u32 s4, s5
	s_cselect_b32 s3, s6, s3
	s_cselect_b32 s4, s7, s4
	s_add_i32 s6, s3, 1
	s_cmp_ge_u32 s4, s5
	s_cselect_b32 s4, s6, s3
	s_mul_i32 s3, s4, s5
	s_sub_i32 s2, s2, s3
	s_lshl_b32 s27, s2, 6
	v_or_b32_e32 v100, s27, v10
	v_cmp_le_i32_e32 vcc, s24, v100
	v_mov_b32_e32 v1, 0x7fefffff
	s_nor_b64 s[6:7], vcc, s[10:11]
	v_ashrrev_i32_e32 v101, 31, v100
	v_mov_b64_e32 v[12:13], v[0:1]
	s_and_saveexec_b64 s[2:3], s[6:7]
	s_cbranch_execz .LBB121_10
; %bb.9:
	v_mad_i64_i32 v[2:3], s[6:7], s20, v128, 0
	v_lshl_add_u64 v[2:3], v[2:3], 3, s[16:17]
	v_lshl_add_u64 v[2:3], v[100:101], 3, v[2:3]
	flat_load_dwordx2 v[12:13], v[2:3]
.LBB121_10:
	s_or_b64 exec, exec, s[2:3]
	s_load_dword s30, s[0:1], 0x38
	s_lshl_b32 s33, s4, 8
	v_or_b32_e32 v102, s33, v10
	v_cmp_le_i32_e64 s[2:3], s25, v102
	s_nor_b64 s[6:7], s[2:3], s[10:11]
	s_waitcnt lgkmcnt(0)
	v_mad_i64_i32 v[2:3], s[4:5], v128, s30, 0
	v_lshl_add_u64 v[8:9], v[2:3], 3, s[18:19]
	v_ashrrev_i32_e32 v103, 31, v102
	s_and_saveexec_b64 s[4:5], s[6:7]
	s_cbranch_execz .LBB121_12
; %bb.11:
	v_lshl_add_u64 v[0:1], v[102:103], 3, v[8:9]
	flat_load_dwordx2 v[0:1], v[0:1]
.LBB121_12:
	s_or_b64 exec, exec, s[4:5]
	v_or_b32_e32 v2, 64, v102
	v_cmp_le_i32_e64 s[4:5], s25, v2
	v_mov_b32_e32 v2, -1
	v_mov_b32_e32 v3, 0x7fefffff
	s_nor_b64 s[8:9], s[4:5], s[10:11]
	v_mov_b64_e32 v[4:5], v[2:3]
	s_and_saveexec_b64 s[6:7], s[8:9]
	s_cbranch_execz .LBB121_14
; %bb.13:
	v_lshl_add_u64 v[4:5], v[102:103], 3, v[8:9]
	flat_load_dwordx2 v[4:5], v[4:5] offset:512
.LBB121_14:
	s_or_b64 exec, exec, s[6:7]
	v_or_b32_e32 v6, 0x80, v102
	v_cmp_le_i32_e64 s[6:7], s25, v6
	s_ashr_i32 s31, s30, 31
	s_nor_b64 s[34:35], s[6:7], s[10:11]
	s_and_saveexec_b64 s[8:9], s[34:35]
	s_cbranch_execz .LBB121_16
; %bb.15:
	v_lshl_add_u64 v[2:3], v[102:103], 3, v[8:9]
	flat_load_dwordx2 v[2:3], v[2:3] offset:1024
.LBB121_16:
	s_or_b64 exec, exec, s[8:9]
	v_or_b32_e32 v6, 0xc0, v102
	v_cmp_le_i32_e64 s[8:9], s25, v6
	v_mov_b32_e32 v104, -1
	v_mov_b32_e32 v105, 0x7fefffff
	s_nor_b64 s[34:35], s[8:9], s[10:11]
	v_mov_b64_e32 v[6:7], v[104:105]
	s_and_saveexec_b64 s[10:11], s[34:35]
	s_cbranch_execz .LBB121_18
; %bb.17:
	v_lshl_add_u64 v[6:7], v[102:103], 3, v[8:9]
	flat_load_dwordx2 v[6:7], v[6:7] offset:1536
.LBB121_18:
	s_or_b64 exec, exec, s[10:11]
	v_add_u32_e32 v8, 4, v128
	v_cmp_le_i32_e64 s[10:11], s26, v8
	s_nor_b64 s[36:37], vcc, s[10:11]
	s_and_saveexec_b64 s[34:35], s[36:37]
	s_cbranch_execz .LBB121_20
; %bb.19:
	v_mad_u64_u32 v[14:15], s[36:37], s20, v8, 0
	v_mov_b32_e32 v16, v15
	v_mad_u64_u32 v[16:17], s[36:37], s21, v8, v[16:17]
	v_mov_b32_e32 v15, v16
	v_lshl_add_u64 v[14:15], v[14:15], 3, s[16:17]
	v_lshl_add_u64 v[14:15], v[100:101], 3, v[14:15]
	flat_load_dwordx2 v[104:105], v[14:15]
.LBB121_20:
	s_or_b64 exec, exec, s[34:35]
	v_mad_u64_u32 v[14:15], s[34:35], v8, s30, 0
	v_mov_b32_e32 v16, v15
	v_mad_u64_u32 v[8:9], s[34:35], v8, s31, v[16:17]
	v_mov_b32_e32 v15, v8
	v_mov_b32_e32 v106, -1
	v_mov_b32_e32 v107, 0x7fefffff
	v_lshl_add_u64 v[8:9], v[14:15], 3, s[18:19]
	s_nor_b64 s[36:37], s[2:3], s[10:11]
	v_mov_b64_e32 v[108:109], v[106:107]
	s_and_saveexec_b64 s[34:35], s[36:37]
	s_cbranch_execz .LBB121_22
; %bb.21:
	v_lshl_add_u64 v[14:15], v[102:103], 3, v[8:9]
	flat_load_dwordx2 v[108:109], v[14:15]
.LBB121_22:
	s_or_b64 exec, exec, s[34:35]
	s_nor_b64 s[36:37], s[4:5], s[10:11]
	s_and_saveexec_b64 s[34:35], s[36:37]
	s_cbranch_execz .LBB121_24
; %bb.23:
	v_lshl_add_u64 v[14:15], v[102:103], 3, v[8:9]
	flat_load_dwordx2 v[106:107], v[14:15] offset:512
.LBB121_24:
	s_or_b64 exec, exec, s[34:35]
	v_mov_b32_e32 v110, -1
	v_mov_b32_e32 v111, 0x7fefffff
	s_nor_b64 s[36:37], s[6:7], s[10:11]
	v_mov_b64_e32 v[112:113], v[110:111]
	s_and_saveexec_b64 s[34:35], s[36:37]
	s_cbranch_execz .LBB121_26
; %bb.25:
	v_lshl_add_u64 v[14:15], v[102:103], 3, v[8:9]
	flat_load_dwordx2 v[112:113], v[14:15] offset:1024
.LBB121_26:
	s_or_b64 exec, exec, s[34:35]
	s_nor_b64 s[34:35], s[8:9], s[10:11]
	s_and_saveexec_b64 s[10:11], s[34:35]
	s_cbranch_execz .LBB121_28
; %bb.27:
	v_lshl_add_u64 v[8:9], v[102:103], 3, v[8:9]
	flat_load_dwordx2 v[110:111], v[8:9] offset:1536
.LBB121_28:
	s_or_b64 exec, exec, s[10:11]
	v_lshlrev_b32_e32 v8, 5, v10
	v_lshl_add_u32 v172, v128, 3, v8
	v_lshlrev_b32_e32 v166, 5, v129
	s_load_dwordx2 s[14:15], s[14:15], 0x0
	s_waitcnt vmcnt(0)
	ds_write_b64 v172, v[12:13] offset:16384
	s_waitcnt lgkmcnt(0)
	ds_write2st64_b64 v172, v[0:1], v[4:5] offset1:4
	ds_write2st64_b64 v172, v[2:3], v[6:7] offset0:8 offset1:12
	s_waitcnt lgkmcnt(0)
	s_barrier
	v_lshlrev_b32_e32 v165, 5, v158
	ds_read_b128 v[32:35], v166 offset:16640
	ds_read_b128 v[28:31], v166 offset:16896
	;; [unrolled: 1-line block ×13, first 2 shown]
	ds_read_b128 v[96:99], v165
	ds_read_b128 v[44:47], v165 offset:6144
	ds_read_b128 v[36:39], v165 offset:7168
	;; [unrolled: 1-line block ×4, first 2 shown]
	s_waitcnt lgkmcnt(5)
	v_add_f64 v[116:117], v[42:43], v[94:95]
	v_add_f64 v[118:119], v[40:41], v[92:93]
	s_mov_b32 s10, 0x7f800000
	v_cvt_f32_f64_e32 v115, v[118:119]
	v_cvt_f32_f64_e32 v116, v[116:117]
	v_min3_f32 v178, v115, v116, s10
	v_add_f64 v[116:117], v[34:35], v[94:95]
	v_add_f64 v[118:119], v[32:33], v[92:93]
	v_cvt_f32_f64_e32 v115, v[118:119]
	v_cvt_f32_f64_e32 v116, v[116:117]
	v_min3_f32 v179, v115, v116, s10
	v_add_f64 v[116:117], v[30:31], v[94:95]
	v_add_f64 v[118:119], v[28:29], v[92:93]
	;; [unrolled: 5-line block ×34, first 2 shown]
	v_cvt_f32_f64_e32 v115, v[118:119]
	v_cvt_f32_f64_e32 v116, v[116:117]
	v_min3_f32 v121, v115, v116, s10
	s_waitcnt lgkmcnt(3)
	v_add_f64 v[116:117], v[42:43], v[46:47]
	v_add_f64 v[168:169], v[40:41], v[44:45]
	v_cvt_f32_f64_e32 v115, v[168:169]
	v_cvt_f32_f64_e32 v116, v[116:117]
	v_min3_f32 v127, v115, v116, s10
	v_add_f64 v[116:117], v[34:35], v[46:47]
	v_add_f64 v[168:169], v[32:33], v[44:45]
	v_cvt_f32_f64_e32 v115, v[168:169]
	v_cvt_f32_f64_e32 v116, v[116:117]
	v_min3_f32 v124, v115, v116, s10
	v_add_f64 v[116:117], v[30:31], v[46:47]
	v_add_f64 v[168:169], v[28:29], v[44:45]
	v_cvt_f32_f64_e32 v115, v[168:169]
	v_cvt_f32_f64_e32 v116, v[116:117]
	v_add_f64 v[56:57], v[42:43], v[98:99]
	v_add_f64 v[58:59], v[40:41], v[96:97]
	v_min3_f32 v122, v115, v116, s10
	v_add_f64 v[116:117], v[26:27], v[46:47]
	v_add_f64 v[168:169], v[24:25], v[44:45]
	v_cvt_f32_f64_e32 v58, v[58:59]
	v_cvt_f32_f64_e32 v56, v[56:57]
	;; [unrolled: 1-line block ×4, first 2 shown]
	v_min3_f32 v114, v58, v56, s10
	ds_read_b128 v[56:59], v166 offset:16656
	v_add_f64 v[60:61], v[34:35], v[98:99]
	v_add_f64 v[62:63], v[32:33], v[96:97]
	v_min3_f32 v120, v115, v116, s10
	v_add_f64 v[116:117], v[22:23], v[46:47]
	v_add_f64 v[168:169], v[20:21], v[44:45]
	v_cvt_f32_f64_e32 v62, v[62:63]
	v_cvt_f32_f64_e32 v60, v[60:61]
	;; [unrolled: 1-line block ×4, first 2 shown]
	v_add_f64 v[168:169], v[16:17], v[44:45]
	v_min3_f32 v164, v62, v60, s10
	ds_read_b128 v[60:63], v166 offset:16912
	v_add_f64 v[64:65], v[30:31], v[98:99]
	v_add_f64 v[66:67], v[28:29], v[96:97]
	;; [unrolled: 1-line block ×22, first 2 shown]
	v_min3_f32 v118, v115, v116, s10
	v_add_f64 v[116:117], v[18:19], v[46:47]
	v_cvt_f32_f64_e32 v115, v[168:169]
	v_add_f64 v[168:169], v[14:15], v[46:47]
	v_add_f64 v[170:171], v[12:13], v[44:45]
	;; [unrolled: 1-line block ×4, first 2 shown]
	s_waitcnt lgkmcnt(4)
	v_add_f64 v[14:15], v[14:15], v[38:39]
	v_add_f64 v[12:13], v[12:13], v[36:37]
	;; [unrolled: 1-line block ×4, first 2 shown]
	v_cvt_f32_f64_e32 v66, v[66:67]
	v_cvt_f32_f64_e32 v64, v[64:65]
	;; [unrolled: 1-line block ×7, first 2 shown]
	s_waitcnt lgkmcnt(2)
	v_add_f64 v[10:11], v[2:3], v[6:7]
	v_add_f64 v[14:15], v[0:1], v[4:5]
	v_min3_f32 v167, v66, v64, s10
	ds_read_b128 v[64:67], v166 offset:17168
	v_min3_f32 v117, v115, v116, s10
	v_cvt_f32_f64_e32 v115, v[170:171]
	v_cvt_f32_f64_e32 v116, v[168:169]
	;; [unrolled: 1-line block ×4, first 2 shown]
	v_min3_f32 v8, v8, v9, s10
	v_cvt_f32_f64_e32 v9, v[14:15]
	v_cvt_f32_f64_e32 v10, v[10:11]
	;; [unrolled: 1-line block ×4, first 2 shown]
	v_min3_f32 v116, v115, v116, s10
	v_min3_f32 v115, v44, v45, s10
	ds_read_b128 v[44:47], v165 offset:7184
	v_min3_f32 v227, v9, v10, v114
	s_waitcnt lgkmcnt(3)
	v_add_f64 v[10:11], v[58:59], v[6:7]
	v_add_f64 v[14:15], v[56:57], v[4:5]
	v_min3_f32 v173, v70, v68, s10
	ds_read_b128 v[68:71], v166 offset:17424
	v_cvt_f32_f64_e32 v9, v[14:15]
	v_cvt_f32_f64_e32 v10, v[10:11]
	;; [unrolled: 1-line block ×4, first 2 shown]
	v_min3_f32 v226, v9, v10, v164
	s_waitcnt lgkmcnt(3)
	v_add_f64 v[10:11], v[62:63], v[6:7]
	v_add_f64 v[14:15], v[60:61], v[4:5]
	v_min3_f32 v174, v74, v72, s10
	ds_read_b128 v[72:75], v166 offset:17680
	v_cvt_f32_f64_e32 v9, v[14:15]
	v_cvt_f32_f64_e32 v10, v[10:11]
	;; [unrolled: 1-line block ×6, first 2 shown]
	v_min3_f32 v225, v9, v10, v167
	s_waitcnt lgkmcnt(3)
	v_add_f64 v[10:11], v[66:67], v[6:7]
	v_add_f64 v[14:15], v[64:65], v[4:5]
	v_min3_f32 v175, v78, v76, s10
	ds_read_b128 v[76:79], v166 offset:17936
	v_min3_f32 v176, v82, v80, s10
	ds_read_b128 v[80:83], v166 offset:18192
	v_cvt_f32_f64_e32 v9, v[14:15]
	v_cvt_f32_f64_e32 v10, v[10:11]
	;; [unrolled: 1-line block ×4, first 2 shown]
	v_min3_f32 v224, v9, v10, v173
	s_waitcnt lgkmcnt(3)
	v_add_f64 v[10:11], v[70:71], v[6:7]
	v_add_f64 v[14:15], v[68:69], v[4:5]
	v_min3_f32 v177, v96, v97, s10
	ds_read_b128 v[96:99], v165 offset:1040
	v_cvt_f32_f64_e32 v9, v[14:15]
	v_cvt_f32_f64_e32 v10, v[10:11]
	v_min3_f32 v223, v9, v10, v174
	s_waitcnt lgkmcnt(3)
	v_add_f64 v[10:11], v[74:75], v[6:7]
	v_add_f64 v[14:15], v[72:73], v[4:5]
	v_cvt_f32_f64_e32 v9, v[14:15]
	v_cvt_f32_f64_e32 v10, v[10:11]
	v_min3_f32 v216, v9, v10, v175
	s_waitcnt lgkmcnt(2)
	v_add_f64 v[10:11], v[78:79], v[6:7]
	v_add_f64 v[14:15], v[76:77], v[4:5]
	s_waitcnt lgkmcnt(1)
	v_add_f64 v[6:7], v[82:83], v[6:7]
	v_add_f64 v[4:5], v[80:81], v[4:5]
	v_cvt_f32_f64_e32 v92, v[92:93]
	v_cvt_f32_f64_e32 v93, v[94:95]
	;; [unrolled: 1-line block ×4, first 2 shown]
	v_min3_f32 v152, v92, v93, s10
	ds_read_b128 v[92:95], v165 offset:2064
	v_min3_f32 v214, v4, v5, v177
	s_waitcnt lgkmcnt(1)
	v_add_f64 v[4:5], v[2:3], v[98:99]
	v_add_f64 v[6:7], v[0:1], v[96:97]
	v_cvt_f32_f64_e32 v6, v[6:7]
	v_cvt_f32_f64_e32 v4, v[4:5]
	v_min3_f32 v213, v6, v4, v178
	v_add_f64 v[4:5], v[58:59], v[98:99]
	v_add_f64 v[6:7], v[56:57], v[96:97]
	v_cvt_f32_f64_e32 v6, v[6:7]
	v_cvt_f32_f64_e32 v4, v[4:5]
	v_min3_f32 v212, v6, v4, v179
	v_add_f64 v[4:5], v[62:63], v[98:99]
	v_add_f64 v[6:7], v[60:61], v[96:97]
	v_cvt_f32_f64_e32 v6, v[6:7]
	v_cvt_f32_f64_e32 v4, v[4:5]
	v_min3_f32 v211, v6, v4, v163
	v_add_f64 v[4:5], v[66:67], v[98:99]
	v_add_f64 v[6:7], v[64:65], v[96:97]
	v_cvt_f32_f64_e32 v6, v[6:7]
	v_cvt_f32_f64_e32 v4, v[4:5]
	v_min3_f32 v210, v6, v4, v162
	v_add_f64 v[4:5], v[70:71], v[98:99]
	v_add_f64 v[6:7], v[68:69], v[96:97]
	v_cvt_f32_f64_e32 v6, v[6:7]
	v_cvt_f32_f64_e32 v4, v[4:5]
	v_min3_f32 v209, v6, v4, v160
	v_add_f64 v[4:5], v[74:75], v[98:99]
	v_add_f64 v[6:7], v[72:73], v[96:97]
	v_cvt_f32_f64_e32 v6, v[6:7]
	v_cvt_f32_f64_e32 v4, v[4:5]
	v_min3_f32 v208, v6, v4, v157
	v_add_f64 v[4:5], v[78:79], v[98:99]
	v_add_f64 v[6:7], v[76:77], v[96:97]
	v_cvt_f32_f64_e32 v6, v[6:7]
	v_cvt_f32_f64_e32 v4, v[4:5]
	v_min3_f32 v207, v6, v4, v155
	v_add_f64 v[4:5], v[82:83], v[98:99]
	v_add_f64 v[6:7], v[80:81], v[96:97]
	v_cvt_f32_f64_e32 v6, v[6:7]
	v_cvt_f32_f64_e32 v4, v[4:5]
	v_min3_f32 v206, v6, v4, v152
	s_waitcnt lgkmcnt(0)
	v_add_f64 v[4:5], v[2:3], v[94:95]
	v_add_f64 v[6:7], v[0:1], v[92:93]
	v_cvt_f32_f64_e32 v6, v[6:7]
	v_cvt_f32_f64_e32 v4, v[4:5]
	v_min3_f32 v205, v6, v4, v161
	v_add_f64 v[4:5], v[58:59], v[94:95]
	v_add_f64 v[6:7], v[56:57], v[92:93]
	v_cvt_f32_f64_e32 v6, v[6:7]
	v_cvt_f32_f64_e32 v4, v[4:5]
	v_min3_f32 v204, v6, v4, v159
	;; [unrolled: 5-line block ×4, first 2 shown]
	v_add_f64 v[4:5], v[70:71], v[94:95]
	v_add_f64 v[6:7], v[68:69], v[92:93]
	v_cvt_f32_f64_e32 v6, v[6:7]
	v_cvt_f32_f64_e32 v4, v[4:5]
	;; [unrolled: 1-line block ×4, first 2 shown]
	v_min3_f32 v201, v6, v4, v151
	v_add_f64 v[4:5], v[74:75], v[94:95]
	v_add_f64 v[6:7], v[72:73], v[92:93]
	v_min3_f32 v144, v88, v89, s10
	ds_read_b128 v[88:91], v165 offset:3088
	v_cvt_f32_f64_e32 v6, v[6:7]
	v_cvt_f32_f64_e32 v4, v[4:5]
	v_min3_f32 v200, v6, v4, v149
	v_add_f64 v[4:5], v[78:79], v[94:95]
	v_add_f64 v[6:7], v[76:77], v[92:93]
	v_cvt_f32_f64_e32 v6, v[6:7]
	v_cvt_f32_f64_e32 v4, v[4:5]
	v_min3_f32 v199, v6, v4, v147
	v_add_f64 v[4:5], v[82:83], v[94:95]
	v_add_f64 v[6:7], v[80:81], v[92:93]
	v_cvt_f32_f64_e32 v84, v[84:85]
	v_cvt_f32_f64_e32 v85, v[86:87]
	;; [unrolled: 1-line block ×4, first 2 shown]
	v_min3_f32 v136, v84, v85, s10
	ds_read_b128 v[84:87], v165 offset:4112
	v_min3_f32 v198, v6, v4, v144
	s_waitcnt lgkmcnt(1)
	v_add_f64 v[4:5], v[2:3], v[90:91]
	v_add_f64 v[6:7], v[0:1], v[88:89]
	v_cvt_f32_f64_e32 v6, v[6:7]
	v_cvt_f32_f64_e32 v4, v[4:5]
	v_min3_f32 v197, v6, v4, v153
	v_add_f64 v[4:5], v[58:59], v[90:91]
	v_add_f64 v[6:7], v[56:57], v[88:89]
	v_cvt_f32_f64_e32 v6, v[6:7]
	v_cvt_f32_f64_e32 v4, v[4:5]
	v_min3_f32 v196, v6, v4, v150
	;; [unrolled: 5-line block ×8, first 2 shown]
	s_waitcnt lgkmcnt(0)
	v_add_f64 v[4:5], v[2:3], v[86:87]
	v_add_f64 v[6:7], v[0:1], v[84:85]
	v_cvt_f32_f64_e32 v6, v[6:7]
	v_cvt_f32_f64_e32 v4, v[4:5]
	v_min3_f32 v189, v6, v4, v145
	v_add_f64 v[4:5], v[58:59], v[86:87]
	v_add_f64 v[6:7], v[56:57], v[84:85]
	v_cvt_f32_f64_e32 v6, v[6:7]
	v_cvt_f32_f64_e32 v4, v[4:5]
	v_min3_f32 v188, v6, v4, v142
	;; [unrolled: 5-line block ×4, first 2 shown]
	v_add_f64 v[4:5], v[70:71], v[86:87]
	v_add_f64 v[6:7], v[68:69], v[84:85]
	v_cvt_f32_f64_e32 v6, v[6:7]
	v_cvt_f32_f64_e32 v4, v[4:5]
	;; [unrolled: 1-line block ×4, first 2 shown]
	v_min3_f32 v185, v6, v4, v135
	v_add_f64 v[4:5], v[74:75], v[86:87]
	v_add_f64 v[6:7], v[72:73], v[84:85]
	v_min3_f32 v126, v52, v53, s10
	ds_read_b128 v[52:55], v165 offset:5136
	v_cvt_f32_f64_e32 v6, v[6:7]
	v_cvt_f32_f64_e32 v4, v[4:5]
	v_min3_f32 v184, v6, v4, v133
	v_add_f64 v[4:5], v[78:79], v[86:87]
	v_add_f64 v[6:7], v[76:77], v[84:85]
	v_cvt_f32_f64_e32 v6, v[6:7]
	v_cvt_f32_f64_e32 v4, v[4:5]
	v_min3_f32 v183, v6, v4, v131
	v_add_f64 v[4:5], v[82:83], v[86:87]
	v_add_f64 v[6:7], v[80:81], v[84:85]
	v_cvt_f32_f64_e32 v48, v[48:49]
	v_cvt_f32_f64_e32 v49, v[50:51]
	;; [unrolled: 1-line block ×4, first 2 shown]
	v_min3_f32 v119, v48, v49, s10
	ds_read_b128 v[48:51], v165 offset:6160
	v_min3_f32 v182, v6, v4, v126
	s_waitcnt lgkmcnt(1)
	v_add_f64 v[4:5], v[2:3], v[54:55]
	v_add_f64 v[6:7], v[0:1], v[52:53]
	v_cvt_f32_f64_e32 v6, v[6:7]
	v_cvt_f32_f64_e32 v4, v[4:5]
	v_min3_f32 v181, v6, v4, v137
	v_add_f64 v[4:5], v[58:59], v[54:55]
	v_add_f64 v[6:7], v[56:57], v[52:53]
	v_cvt_f32_f64_e32 v6, v[6:7]
	v_cvt_f32_f64_e32 v4, v[4:5]
	v_min3_f32 v180, v6, v4, v134
	v_add_f64 v[4:5], v[62:63], v[54:55]
	v_add_f64 v[6:7], v[60:61], v[52:53]
	v_cvt_f32_f64_e32 v6, v[6:7]
	v_cvt_f32_f64_e32 v4, v[4:5]
	v_min3_f32 v179, v6, v4, v132
	v_add_f64 v[4:5], v[66:67], v[54:55]
	v_add_f64 v[6:7], v[64:65], v[52:53]
	v_cvt_f32_f64_e32 v6, v[6:7]
	v_cvt_f32_f64_e32 v4, v[4:5]
	v_min3_f32 v178, v6, v4, v130
	v_add_f64 v[4:5], v[70:71], v[54:55]
	v_add_f64 v[6:7], v[68:69], v[52:53]
	v_cvt_f32_f64_e32 v6, v[6:7]
	v_cvt_f32_f64_e32 v4, v[4:5]
	v_min3_f32 v177, v6, v4, v125
	v_add_f64 v[4:5], v[74:75], v[54:55]
	v_add_f64 v[6:7], v[72:73], v[52:53]
	v_cvt_f32_f64_e32 v9, v[14:15]
	v_cvt_f32_f64_e32 v10, v[10:11]
	;; [unrolled: 1-line block ×4, first 2 shown]
	v_min3_f32 v215, v9, v10, v176
	v_min3_f32 v176, v6, v4, v123
	v_add_f64 v[4:5], v[78:79], v[54:55]
	v_add_f64 v[6:7], v[76:77], v[52:53]
	v_cvt_f32_f64_e32 v6, v[6:7]
	v_cvt_f32_f64_e32 v4, v[4:5]
	v_min3_f32 v175, v6, v4, v121
	v_add_f64 v[4:5], v[82:83], v[54:55]
	v_add_f64 v[6:7], v[80:81], v[52:53]
	;; [unrolled: 1-line block ×4, first 2 shown]
	v_cvt_f32_f64_e32 v6, v[6:7]
	v_cvt_f32_f64_e32 v4, v[4:5]
	;; [unrolled: 1-line block ×4, first 2 shown]
	v_min3_f32 v174, v6, v4, v119
	s_waitcnt lgkmcnt(0)
	v_add_f64 v[4:5], v[2:3], v[50:51]
	v_add_f64 v[6:7], v[0:1], v[48:49]
	;; [unrolled: 1-line block ×4, first 2 shown]
	v_min3_f32 v40, v40, v41, s10
	v_add_f64 v[34:35], v[34:35], v[38:39]
	v_add_f64 v[32:33], v[32:33], v[36:37]
	v_cvt_f32_f64_e32 v6, v[6:7]
	v_cvt_f32_f64_e32 v4, v[4:5]
	v_cvt_f32_f64_e32 v0, v[0:1]
	v_cvt_f32_f64_e32 v1, v[2:3]
	v_cvt_f32_f64_e32 v32, v[32:33]
	v_cvt_f32_f64_e32 v33, v[34:35]
	v_min3_f32 v173, v6, v4, v127
	v_add_f64 v[4:5], v[58:59], v[50:51]
	v_add_f64 v[6:7], v[56:57], v[48:49]
	v_min3_f32 v162, v0, v1, v40
	v_add_f64 v[0:1], v[58:59], v[46:47]
	v_add_f64 v[2:3], v[56:57], v[44:45]
	v_min3_f32 v32, v32, v33, s10
	v_add_f64 v[30:31], v[30:31], v[38:39]
	v_add_f64 v[28:29], v[28:29], v[36:37]
	v_cvt_f32_f64_e32 v6, v[6:7]
	v_cvt_f32_f64_e32 v4, v[4:5]
	v_cvt_f32_f64_e32 v2, v[2:3]
	v_cvt_f32_f64_e32 v0, v[0:1]
	v_cvt_f32_f64_e32 v28, v[28:29]
	v_cvt_f32_f64_e32 v29, v[30:31]
	v_min3_f32 v171, v6, v4, v124
	v_add_f64 v[4:5], v[62:63], v[50:51]
	v_add_f64 v[6:7], v[60:61], v[48:49]
	v_min3_f32 v161, v2, v0, v32
	v_add_f64 v[0:1], v[62:63], v[46:47]
	v_add_f64 v[2:3], v[60:61], v[44:45]
	;; [unrolled: 15-line block ×5, first 2 shown]
	v_min3_f32 v16, v16, v17, s10
	v_cvt_f32_f64_e32 v6, v[6:7]
	v_cvt_f32_f64_e32 v4, v[4:5]
	v_cvt_f32_f64_e32 v2, v[2:3]
	v_cvt_f32_f64_e32 v0, v[0:1]
	v_min3_f32 v167, v6, v4, v117
	v_add_f64 v[4:5], v[78:79], v[50:51]
	v_add_f64 v[6:7], v[76:77], v[48:49]
	v_min3_f32 v156, v2, v0, v16
	v_add_f64 v[0:1], v[78:79], v[46:47]
	v_add_f64 v[2:3], v[76:77], v[44:45]
	v_min3_f32 v12, v12, v13, s10
	v_cvt_f32_f64_e32 v6, v[6:7]
	v_cvt_f32_f64_e32 v4, v[4:5]
	;; [unrolled: 1-line block ×4, first 2 shown]
	v_min3_f32 v164, v6, v4, v116
	v_add_f64 v[4:5], v[82:83], v[50:51]
	v_add_f64 v[6:7], v[80:81], v[48:49]
	v_min3_f32 v155, v2, v0, v12
	v_add_f64 v[0:1], v[82:83], v[46:47]
	v_add_f64 v[2:3], v[80:81], v[44:45]
	v_cvt_f32_f64_e32 v6, v[6:7]
	v_cvt_f32_f64_e32 v4, v[4:5]
	v_cvt_f32_f64_e32 v2, v[2:3]
	v_cvt_f32_f64_e32 v0, v[0:1]
	v_min3_f32 v163, v6, v4, v115
	v_min3_f32 v154, v2, v0, v8
	s_cmp_lt_i32 s26, 9
	ds_write_b64 v172, v[104:105] offset:18432
	ds_write2st64_b64 v172, v[108:109], v[106:107] offset0:16 offset1:20
	ds_write2st64_b64 v172, v[112:113], v[110:111] offset0:24 offset1:28
	s_waitcnt lgkmcnt(0)
	s_barrier
	s_cbranch_scc1 .LBB121_51
; %bb.29:
	v_mov_b32_e32 v0, 0x4800
	v_lshl_add_u32 v221, v129, 5, v0
	v_mov_b32_e32 v0, 0x2000
	v_add_u32_e32 v2, 8, v128
	v_lshl_add_u32 v222, v158, 5, v0
	v_mad_i64_i32 v[0:1], s[10:11], v2, s20, 0
	v_lshlrev_b64 v[132:133], 3, v[0:1]
	v_mad_i64_i32 v[0:1], s[10:11], v2, s30, 0
	v_add_u32_e32 v2, 12, v128
	v_lshlrev_b64 v[134:135], 3, v[0:1]
	v_mad_i64_i32 v[0:1], s[10:11], v2, s30, 0
	v_lshlrev_b64 v[138:139], 3, v[0:1]
	v_mad_i64_i32 v[0:1], s[10:11], v2, s20, 0
	v_or_b32_e32 v217, 0x4000, v172
	v_add_u32_e32 v218, 0x4000, v166
	v_add_u32_e32 v219, 0x4800, v172
	v_or_b32_e32 v220, 0x2000, v172
	s_add_i32 s34, s26, -8
	v_lshl_add_u64 v[130:131], v[100:101], 3, s[16:17]
	s_lshl_b64 s[16:17], s[20:21], 6
	v_lshl_add_u64 v[136:137], v[102:103], 3, s[18:19]
	s_lshl_b64 s[18:19], s[30:31], 6
	v_lshlrev_b64 v[140:141], 3, v[0:1]
	s_mov_b32 s30, 0
	v_mov_b32_e32 v142, -1
	v_mov_b32_e32 v143, 0x7fefffff
	s_branch .LBB121_31
.LBB121_30:                             ;   in Loop: Header=BB121_31 Depth=1
	s_or_b64 exec, exec, s[10:11]
	v_add_f64 v[152:153], v[98:99], v[126:127]
	v_add_f64 v[230:231], v[96:97], v[124:125]
	v_cvt_f32_f64_e32 v230, v[230:231]
	v_cvt_f32_f64_e32 v152, v[152:153]
	v_min3_f32 v232, v230, v152, v227
	v_add_f64 v[152:153], v[94:95], v[126:127]
	v_add_f64 v[230:231], v[92:93], v[124:125]
	v_cvt_f32_f64_e32 v227, v[230:231]
	v_cvt_f32_f64_e32 v152, v[152:153]
	v_min3_f32 v230, v227, v152, v226
	;; [unrolled: 5-line block ×6, first 2 shown]
	v_add_f64 v[152:153], v[70:71], v[126:127]
	v_add_f64 v[224:225], v[68:69], v[124:125]
	;; [unrolled: 1-line block ×4, first 2 shown]
	v_cvt_f32_f64_e32 v124, v[124:125]
	v_cvt_f32_f64_e32 v125, v[126:127]
	;; [unrolled: 1-line block ×3, first 2 shown]
	v_min3_f32 v153, v124, v125, v214
	v_add_f64 v[124:125], v[98:99], v[122:123]
	v_add_f64 v[126:127], v[96:97], v[120:121]
	v_cvt_f32_f64_e32 v126, v[126:127]
	v_cvt_f32_f64_e32 v124, v[124:125]
	v_min3_f32 v213, v126, v124, v213
	v_add_f64 v[124:125], v[94:95], v[122:123]
	v_add_f64 v[126:127], v[92:93], v[120:121]
	v_cvt_f32_f64_e32 v126, v[126:127]
	v_cvt_f32_f64_e32 v124, v[124:125]
	;; [unrolled: 5-line block ×6, first 2 shown]
	v_min3_f32 v208, v126, v124, v208
	v_add_f64 v[124:125], v[70:71], v[122:123]
	v_add_f64 v[126:127], v[68:69], v[120:121]
	;; [unrolled: 1-line block ×4, first 2 shown]
	v_cvt_f32_f64_e32 v120, v[120:121]
	v_cvt_f32_f64_e32 v121, v[122:123]
	;; [unrolled: 1-line block ×3, first 2 shown]
	v_min3_f32 v125, v120, v121, v206
	v_add_f64 v[120:121], v[98:99], v[118:119]
	v_add_f64 v[122:123], v[96:97], v[116:117]
	v_cvt_f32_f64_e32 v126, v[126:127]
	v_cvt_f32_f64_e32 v122, v[122:123]
	;; [unrolled: 1-line block ×3, first 2 shown]
	v_min3_f32 v124, v126, v124, v207
	v_min3_f32 v126, v122, v120, v205
	v_add_f64 v[120:121], v[94:95], v[118:119]
	v_add_f64 v[122:123], v[92:93], v[116:117]
	v_cvt_f32_f64_e32 v122, v[122:123]
	v_cvt_f32_f64_e32 v120, v[120:121]
	v_min3_f32 v127, v122, v120, v204
	v_add_f64 v[120:121], v[90:91], v[118:119]
	v_add_f64 v[122:123], v[88:89], v[116:117]
	v_cvt_f32_f64_e32 v122, v[122:123]
	v_cvt_f32_f64_e32 v120, v[120:121]
	;; [unrolled: 5-line block ×5, first 2 shown]
	v_min3_f32 v200, v122, v120, v200
	v_add_f64 v[120:121], v[70:71], v[118:119]
	v_add_f64 v[122:123], v[68:69], v[116:117]
	;; [unrolled: 1-line block ×4, first 2 shown]
	v_cvt_f32_f64_e32 v116, v[116:117]
	v_cvt_f32_f64_e32 v117, v[118:119]
	;; [unrolled: 1-line block ×3, first 2 shown]
	v_min3_f32 v121, v116, v117, v198
	v_add_f64 v[116:117], v[98:99], v[114:115]
	v_add_f64 v[118:119], v[96:97], v[112:113]
	v_cvt_f32_f64_e32 v122, v[122:123]
	v_cvt_f32_f64_e32 v118, v[118:119]
	;; [unrolled: 1-line block ×3, first 2 shown]
	v_min3_f32 v120, v122, v120, v199
	v_min3_f32 v122, v118, v116, v197
	v_add_f64 v[116:117], v[94:95], v[114:115]
	v_add_f64 v[118:119], v[92:93], v[112:113]
	v_cvt_f32_f64_e32 v118, v[118:119]
	v_cvt_f32_f64_e32 v116, v[116:117]
	v_min3_f32 v123, v118, v116, v196
	v_add_f64 v[116:117], v[90:91], v[114:115]
	v_add_f64 v[118:119], v[88:89], v[112:113]
	v_cvt_f32_f64_e32 v118, v[118:119]
	v_cvt_f32_f64_e32 v116, v[116:117]
	v_min3_f32 v195, v118, v116, v195
	v_add_f64 v[116:117], v[82:83], v[114:115]
	v_add_f64 v[118:119], v[80:81], v[112:113]
	v_cvt_f32_f64_e32 v118, v[118:119]
	v_cvt_f32_f64_e32 v116, v[116:117]
	v_min3_f32 v194, v118, v116, v194
	v_add_f64 v[116:117], v[78:79], v[114:115]
	v_add_f64 v[118:119], v[76:77], v[112:113]
	v_cvt_f32_f64_e32 v118, v[118:119]
	v_cvt_f32_f64_e32 v116, v[116:117]
	v_min3_f32 v193, v118, v116, v193
	v_add_f64 v[116:117], v[74:75], v[114:115]
	v_add_f64 v[118:119], v[72:73], v[112:113]
	v_cvt_f32_f64_e32 v118, v[118:119]
	v_cvt_f32_f64_e32 v116, v[116:117]
	v_min3_f32 v192, v118, v116, v192
	v_add_f64 v[116:117], v[70:71], v[114:115]
	v_add_f64 v[118:119], v[68:69], v[112:113]
	v_add_f64 v[114:115], v[66:67], v[114:115]
	v_add_f64 v[112:113], v[64:65], v[112:113]
	v_cvt_f32_f64_e32 v112, v[112:113]
	v_cvt_f32_f64_e32 v113, v[114:115]
	v_min3_f32 v190, v112, v113, v190
	v_add_f64 v[112:113], v[98:99], v[110:111]
	v_add_f64 v[114:115], v[96:97], v[108:109]
	v_cvt_f32_f64_e32 v114, v[114:115]
	v_cvt_f32_f64_e32 v112, v[112:113]
	v_min3_f32 v189, v114, v112, v189
	v_add_f64 v[112:113], v[94:95], v[110:111]
	v_add_f64 v[114:115], v[92:93], v[108:109]
	v_cvt_f32_f64_e32 v114, v[114:115]
	v_cvt_f32_f64_e32 v112, v[112:113]
	v_min3_f32 v188, v114, v112, v188
	v_add_f64 v[112:113], v[90:91], v[110:111]
	v_add_f64 v[114:115], v[88:89], v[108:109]
	v_cvt_f32_f64_e32 v114, v[114:115]
	v_cvt_f32_f64_e32 v112, v[112:113]
	v_min3_f32 v187, v114, v112, v187
	v_add_f64 v[112:113], v[82:83], v[110:111]
	v_add_f64 v[114:115], v[80:81], v[108:109]
	v_cvt_f32_f64_e32 v114, v[114:115]
	v_cvt_f32_f64_e32 v112, v[112:113]
	v_min3_f32 v186, v114, v112, v186
	v_add_f64 v[112:113], v[78:79], v[110:111]
	v_add_f64 v[114:115], v[76:77], v[108:109]
	v_cvt_f32_f64_e32 v114, v[114:115]
	v_cvt_f32_f64_e32 v112, v[112:113]
	v_min3_f32 v185, v114, v112, v185
	v_add_f64 v[112:113], v[74:75], v[110:111]
	v_add_f64 v[114:115], v[72:73], v[108:109]
	v_cvt_f32_f64_e32 v114, v[114:115]
	v_cvt_f32_f64_e32 v112, v[112:113]
	v_min3_f32 v184, v114, v112, v184
	v_add_f64 v[112:113], v[70:71], v[110:111]
	v_add_f64 v[114:115], v[68:69], v[108:109]
	v_add_f64 v[110:111], v[66:67], v[110:111]
	v_add_f64 v[108:109], v[64:65], v[108:109]
	v_cvt_f32_f64_e32 v108, v[108:109]
	v_cvt_f32_f64_e32 v109, v[110:111]
	v_min3_f32 v182, v108, v109, v182
	v_add_f64 v[108:109], v[98:99], v[106:107]
	v_add_f64 v[110:111], v[96:97], v[104:105]
	v_cvt_f32_f64_e32 v110, v[110:111]
	v_cvt_f32_f64_e32 v108, v[108:109]
	;; [unrolled: 37-line block ×3, first 2 shown]
	v_min3_f32 v173, v106, v104, v173
	v_add_f64 v[104:105], v[94:95], v[102:103]
	v_add_f64 v[106:107], v[92:93], v[100:101]
	v_cvt_f32_f64_e32 v106, v[106:107]
	v_cvt_f32_f64_e32 v104, v[104:105]
	v_min3_f32 v171, v106, v104, v171
	v_add_f64 v[104:105], v[90:91], v[102:103]
	v_add_f64 v[106:107], v[88:89], v[100:101]
	v_cvt_f32_f64_e32 v106, v[106:107]
	v_cvt_f32_f64_e32 v104, v[104:105]
	;; [unrolled: 5-line block ×5, first 2 shown]
	v_min3_f32 v198, v106, v104, v167
	v_add_f64 v[104:105], v[70:71], v[102:103]
	v_add_f64 v[106:107], v[68:69], v[100:101]
	;; [unrolled: 1-line block ×8, first 2 shown]
	v_cvt_f32_f64_e32 v76, v[76:77]
	v_cvt_f32_f64_e32 v77, v[78:79]
	;; [unrolled: 1-line block ×4, first 2 shown]
	v_min3_f32 v76, v76, v77, v157
	v_min3_f32 v77, v64, v65, v154
	v_add_f64 v[64:65], v[34:35], v[62:63]
	v_add_f64 v[66:67], v[32:33], v[60:61]
	v_cvt_f32_f64_e32 v66, v[66:67]
	v_cvt_f32_f64_e32 v64, v[64:65]
	v_add_f64 v[70:71], v[70:71], v[86:87]
	v_add_f64 v[68:69], v[68:69], v[84:85]
	v_min3_f32 v205, v66, v64, v232
	v_add_f64 v[64:65], v[30:31], v[62:63]
	v_add_f64 v[66:67], v[28:29], v[60:61]
	;; [unrolled: 1-line block ×4, first 2 shown]
	v_cvt_f32_f64_e32 v68, v[68:69]
	v_cvt_f32_f64_e32 v69, v[70:71]
	;; [unrolled: 1-line block ×6, first 2 shown]
	v_min3_f32 v75, v68, v69, v155
	v_min3_f32 v64, v66, v64, v230
	v_add_f64 v[66:67], v[26:27], v[62:63]
	v_add_f64 v[68:69], v[24:25], v[60:61]
	v_cvt_f32_f64_e32 v65, v[68:69]
	v_cvt_f32_f64_e32 v66, v[66:67]
	v_min3_f32 v65, v65, v66, v231
	v_add_f64 v[66:67], v[18:19], v[62:63]
	v_add_f64 v[68:69], v[16:17], v[60:61]
	v_cvt_f32_f64_e32 v68, v[68:69]
	v_cvt_f32_f64_e32 v66, v[66:67]
	;; [unrolled: 5-line block ×4, first 2 shown]
	v_min3_f32 v74, v72, v73, v156
	v_min3_f32 v68, v70, v68, v216
	v_add_f64 v[70:71], v[6:7], v[62:63]
	v_add_f64 v[72:73], v[4:5], v[60:61]
	v_add_f64 v[62:63], v[2:3], v[62:63]
	v_add_f64 v[60:61], v[0:1], v[60:61]
	v_cvt_f32_f64_e32 v100, v[100:101]
	v_cvt_f32_f64_e32 v101, v[102:103]
	v_cvt_f32_f64_e32 v60, v[60:61]
	v_cvt_f32_f64_e32 v61, v[62:63]
	v_min3_f32 v204, v100, v101, v163
	v_min3_f32 v100, v60, v61, v153
	v_add_f64 v[60:61], v[34:35], v[58:59]
	v_add_f64 v[62:63], v[32:33], v[56:57]
	v_cvt_f32_f64_e32 v62, v[62:63]
	v_cvt_f32_f64_e32 v60, v[60:61]
	v_min3_f32 v101, v62, v60, v213
	v_add_f64 v[60:61], v[30:31], v[58:59]
	v_add_f64 v[62:63], v[28:29], v[56:57]
	v_cvt_f32_f64_e32 v62, v[62:63]
	v_cvt_f32_f64_e32 v60, v[60:61]
	v_min3_f32 v102, v62, v60, v212
	v_add_f64 v[60:61], v[26:27], v[58:59]
	v_add_f64 v[62:63], v[24:25], v[56:57]
	v_cvt_f32_f64_e32 v62, v[62:63]
	v_cvt_f32_f64_e32 v60, v[60:61]
	v_min3_f32 v103, v62, v60, v211
	v_add_f64 v[60:61], v[18:19], v[58:59]
	v_add_f64 v[62:63], v[16:17], v[56:57]
	v_cvt_f32_f64_e32 v106, v[106:107]
	v_cvt_f32_f64_e32 v104, v[104:105]
	v_cvt_f32_f64_e32 v62, v[62:63]
	v_cvt_f32_f64_e32 v60, v[60:61]
	v_min3_f32 v199, v106, v104, v164
	v_min3_f32 v104, v62, v60, v210
	v_add_f64 v[60:61], v[14:15], v[58:59]
	v_add_f64 v[62:63], v[12:13], v[56:57]
	v_cvt_f32_f64_e32 v62, v[62:63]
	v_cvt_f32_f64_e32 v60, v[60:61]
	v_min3_f32 v105, v62, v60, v209
	v_add_f64 v[60:61], v[10:11], v[58:59]
	v_add_f64 v[62:63], v[8:9], v[56:57]
	v_cvt_f32_f64_e32 v62, v[62:63]
	v_cvt_f32_f64_e32 v60, v[60:61]
	v_min3_f32 v106, v62, v60, v208
	v_add_f64 v[60:61], v[6:7], v[58:59]
	v_add_f64 v[62:63], v[4:5], v[56:57]
	v_add_f64 v[58:59], v[2:3], v[58:59]
	v_add_f64 v[56:57], v[0:1], v[56:57]
	v_cvt_f32_f64_e32 v110, v[110:111]
	v_cvt_f32_f64_e32 v108, v[108:109]
	v_cvt_f32_f64_e32 v56, v[56:57]
	v_cvt_f32_f64_e32 v57, v[58:59]
	v_min3_f32 v175, v110, v108, v175
	v_min3_f32 v108, v56, v57, v125
	v_add_f64 v[56:57], v[34:35], v[54:55]
	v_add_f64 v[58:59], v[32:33], v[52:53]
	v_cvt_f32_f64_e32 v58, v[58:59]
	v_cvt_f32_f64_e32 v56, v[56:57]
	v_min3_f32 v109, v58, v56, v126
	v_add_f64 v[56:57], v[30:31], v[54:55]
	v_add_f64 v[58:59], v[28:29], v[52:53]
	v_cvt_f32_f64_e32 v58, v[58:59]
	v_cvt_f32_f64_e32 v56, v[56:57]
	v_min3_f32 v110, v58, v56, v127
	v_add_f64 v[56:57], v[26:27], v[54:55]
	v_add_f64 v[58:59], v[24:25], v[52:53]
	v_cvt_f32_f64_e32 v58, v[58:59]
	v_cvt_f32_f64_e32 v56, v[56:57]
	v_min3_f32 v111, v58, v56, v203
	v_add_f64 v[56:57], v[18:19], v[54:55]
	v_add_f64 v[58:59], v[16:17], v[52:53]
	v_cvt_f32_f64_e32 v114, v[114:115]
	v_cvt_f32_f64_e32 v112, v[112:113]
	v_cvt_f32_f64_e32 v58, v[58:59]
	v_cvt_f32_f64_e32 v56, v[56:57]
	v_min3_f32 v183, v114, v112, v183
	v_min3_f32 v112, v58, v56, v202
	v_add_f64 v[56:57], v[14:15], v[54:55]
	v_add_f64 v[58:59], v[12:13], v[52:53]
	v_cvt_f32_f64_e32 v58, v[58:59]
	v_cvt_f32_f64_e32 v56, v[56:57]
	v_min3_f32 v113, v58, v56, v201
	v_add_f64 v[56:57], v[10:11], v[54:55]
	v_add_f64 v[58:59], v[8:9], v[52:53]
	v_cvt_f32_f64_e32 v58, v[58:59]
	v_cvt_f32_f64_e32 v56, v[56:57]
	;; [unrolled: 43-line block ×3, first 2 shown]
	v_min3_f32 v122, v54, v52, v192
	v_add_f64 v[52:53], v[6:7], v[50:51]
	v_add_f64 v[54:55], v[4:5], v[48:49]
	;; [unrolled: 1-line block ×4, first 2 shown]
	v_cvt_f32_f64_e32 v62, v[62:63]
	v_cvt_f32_f64_e32 v60, v[60:61]
	;; [unrolled: 1-line block ×4, first 2 shown]
	v_min3_f32 v107, v62, v60, v124
	v_min3_f32 v124, v48, v49, v190
	v_add_f64 v[48:49], v[34:35], v[46:47]
	v_add_f64 v[50:51], v[32:33], v[44:45]
	v_cvt_f32_f64_e32 v50, v[50:51]
	v_cvt_f32_f64_e32 v48, v[48:49]
	v_min3_f32 v125, v50, v48, v189
	v_add_f64 v[48:49], v[30:31], v[46:47]
	v_add_f64 v[50:51], v[28:29], v[44:45]
	v_cvt_f32_f64_e32 v50, v[50:51]
	v_cvt_f32_f64_e32 v48, v[48:49]
	;; [unrolled: 5-line block ×3, first 2 shown]
	v_cvt_f32_f64_e32 v224, v[224:225]
	v_min3_f32 v127, v50, v48, v187
	v_add_f64 v[48:49], v[18:19], v[46:47]
	v_add_f64 v[50:51], v[16:17], v[44:45]
	v_min3_f32 v152, v224, v152, v215
	v_cvt_f32_f64_e32 v69, v[72:73]
	v_cvt_f32_f64_e32 v70, v[70:71]
	;; [unrolled: 1-line block ×4, first 2 shown]
	v_min3_f32 v69, v69, v70, v152
	v_min3_f32 v152, v50, v48, v186
	v_add_f64 v[48:49], v[14:15], v[46:47]
	v_add_f64 v[50:51], v[12:13], v[44:45]
	v_cvt_f32_f64_e32 v50, v[50:51]
	v_cvt_f32_f64_e32 v48, v[48:49]
	v_min3_f32 v153, v50, v48, v185
	v_add_f64 v[48:49], v[10:11], v[46:47]
	v_add_f64 v[50:51], v[8:9], v[44:45]
	v_cvt_f32_f64_e32 v50, v[50:51]
	v_cvt_f32_f64_e32 v48, v[48:49]
	v_min3_f32 v154, v50, v48, v184
	v_add_f64 v[48:49], v[6:7], v[46:47]
	v_add_f64 v[50:51], v[4:5], v[44:45]
	v_add_f64 v[46:47], v[2:3], v[46:47]
	v_add_f64 v[44:45], v[0:1], v[44:45]
	v_cvt_f32_f64_e32 v44, v[44:45]
	v_cvt_f32_f64_e32 v45, v[46:47]
	v_min3_f32 v156, v44, v45, v182
	v_add_f64 v[44:45], v[34:35], v[42:43]
	v_add_f64 v[46:47], v[32:33], v[40:41]
	v_cvt_f32_f64_e32 v46, v[46:47]
	v_cvt_f32_f64_e32 v44, v[44:45]
	v_add_f64 v[82:83], v[82:83], v[86:87]
	v_add_f64 v[80:81], v[80:81], v[84:85]
	v_min3_f32 v157, v46, v44, v181
	v_add_f64 v[44:45], v[30:31], v[42:43]
	v_add_f64 v[46:47], v[28:29], v[40:41]
	v_cvt_f32_f64_e32 v80, v[80:81]
	v_cvt_f32_f64_e32 v81, v[82:83]
	v_cvt_f32_f64_e32 v46, v[46:47]
	v_cvt_f32_f64_e32 v44, v[44:45]
	v_add_f64 v[90:91], v[90:91], v[86:87]
	v_add_f64 v[88:89], v[88:89], v[84:85]
	v_min3_f32 v80, v80, v81, v159
	v_min3_f32 v159, v46, v44, v180
	v_add_f64 v[44:45], v[26:27], v[42:43]
	v_add_f64 v[46:47], v[24:25], v[40:41]
	v_cvt_f32_f64_e32 v88, v[88:89]
	v_cvt_f32_f64_e32 v89, v[90:91]
	v_cvt_f32_f64_e32 v46, v[46:47]
	v_cvt_f32_f64_e32 v44, v[44:45]
	v_add_f64 v[94:95], v[94:95], v[86:87]
	v_add_f64 v[92:93], v[92:93], v[84:85]
	v_min3_f32 v88, v88, v89, v160
	;; [unrolled: 10-line block ×3, first 2 shown]
	v_min3_f32 v161, v46, v44, v178
	v_add_f64 v[44:45], v[14:15], v[42:43]
	v_add_f64 v[46:47], v[12:13], v[40:41]
	v_cvt_f32_f64_e32 v96, v[96:97]
	v_cvt_f32_f64_e32 v97, v[98:99]
	;; [unrolled: 1-line block ×4, first 2 shown]
	v_min3_f32 v96, v96, v97, v162
	v_min3_f32 v162, v46, v44, v177
	v_add_f64 v[44:45], v[10:11], v[42:43]
	v_add_f64 v[46:47], v[8:9], v[40:41]
	v_cvt_f32_f64_e32 v46, v[46:47]
	v_cvt_f32_f64_e32 v44, v[44:45]
	v_min3_f32 v163, v46, v44, v176
	v_add_f64 v[44:45], v[6:7], v[42:43]
	v_add_f64 v[46:47], v[4:5], v[40:41]
	;; [unrolled: 1-line block ×4, first 2 shown]
	v_cvt_f32_f64_e32 v40, v[40:41]
	v_cvt_f32_f64_e32 v41, v[42:43]
	v_min3_f32 v167, v40, v41, v174
	v_add_f64 v[40:41], v[34:35], v[38:39]
	v_add_f64 v[42:43], v[32:33], v[36:37]
	v_cvt_f32_f64_e32 v42, v[42:43]
	v_cvt_f32_f64_e32 v40, v[40:41]
	v_min3_f32 v168, v42, v40, v173
	v_add_f64 v[40:41], v[30:31], v[38:39]
	v_add_f64 v[42:43], v[28:29], v[36:37]
	;; [unrolled: 5-line block ×7, first 2 shown]
	v_add_f64 v[38:39], v[2:3], v[38:39]
	v_add_f64 v[36:37], v[0:1], v[36:37]
	;; [unrolled: 1-line block ×18, first 2 shown]
	v_cvt_f32_f64_e32 v54, v[54:55]
	v_cvt_f32_f64_e32 v52, v[52:53]
	;; [unrolled: 1-line block ×24, first 2 shown]
	v_min3_f32 v123, v54, v52, v191
	v_min3_f32 v155, v50, v48, v183
	;; [unrolled: 1-line block ×12, first 2 shown]
	ds_read_b128 v[36:39], v218 offset:256
	ds_read_b128 v[32:35], v218 offset:512
	;; [unrolled: 1-line block ×12, first 2 shown]
	ds_read_b128 v[96:99], v165
	ds_read_b128 v[48:51], v218
	ds_read_b128 v[72:75], v165 offset:6144
	ds_read_b128 v[24:27], v165 offset:7168
	;; [unrolled: 1-line block ×4, first 2 shown]
	s_waitcnt lgkmcnt(0)
	v_add_f64 v[44:45], v[38:39], v[98:99]
	v_add_f64 v[46:47], v[36:37], v[96:97]
	;; [unrolled: 1-line block ×8, first 2 shown]
	v_cvt_f32_f64_e32 v46, v[46:47]
	v_cvt_f32_f64_e32 v44, v[44:45]
	;; [unrolled: 1-line block ×10, first 2 shown]
	v_min3_f32 v190, v46, v44, v64
	v_min3_f32 v191, v54, v52, v65
	;; [unrolled: 1-line block ×4, first 2 shown]
	v_add_f64 v[64:65], v[18:19], v[98:99]
	v_add_f64 v[66:67], v[16:17], v[96:97]
	v_min3_f32 v175, v42, v40, v199
	v_add_f64 v[40:41], v[50:51], v[98:99]
	v_add_f64 v[42:43], v[48:49], v[96:97]
	v_cvt_f32_f64_e32 v66, v[66:67]
	v_cvt_f32_f64_e32 v64, v[64:65]
	v_add_f64 v[70:71], v[14:15], v[98:99]
	v_add_f64 v[186:187], v[12:13], v[96:97]
	;; [unrolled: 1-line block ×4, first 2 shown]
	v_min3_f32 v194, v66, v64, v68
	v_cvt_f32_f64_e32 v68, v[186:187]
	v_cvt_f32_f64_e32 v96, v[96:97]
	;; [unrolled: 1-line block ×3, first 2 shown]
	v_add_f64 v[186:187], v[50:51], v[94:95]
	v_add_f64 v[188:189], v[48:49], v[92:93]
	v_min3_f32 v196, v96, v97, v100
	v_cvt_f32_f64_e32 v100, v[188:189]
	v_cvt_f32_f64_e32 v186, v[186:187]
	v_min3_f32 v188, v100, v186, v101
	v_add_f64 v[100:101], v[38:39], v[94:95]
	v_add_f64 v[186:187], v[36:37], v[92:93]
	v_cvt_f32_f64_e32 v186, v[186:187]
	v_cvt_f32_f64_e32 v100, v[100:101]
	v_min3_f32 v189, v186, v100, v102
	v_add_f64 v[100:101], v[34:35], v[94:95]
	v_add_f64 v[186:187], v[32:33], v[92:93]
	;; [unrolled: 5-line block ×39, first 2 shown]
	v_cvt_f32_f64_e32 v102, v[102:103]
	v_cvt_f32_f64_e32 v100, v[100:101]
	;; [unrolled: 1-line block ×4, first 2 shown]
	v_min3_f32 v231, v102, v100, v173
	v_add_f64 v[100:101], v[18:19], v[74:75]
	v_add_f64 v[102:103], v[16:17], v[72:73]
	v_min3_f32 v185, v42, v40, v205
	ds_read_b128 v[40:43], v218 offset:272
	v_cvt_f32_f64_e32 v102, v[102:103]
	v_cvt_f32_f64_e32 v100, v[100:101]
	v_add_f64 v[94:95], v[10:11], v[94:95]
	v_add_f64 v[92:93], v[8:9], v[92:93]
	;; [unrolled: 1-line block ×10, first 2 shown]
	v_min3_f32 v232, v102, v100, v174
	v_add_f64 v[100:101], v[14:15], v[74:75]
	v_add_f64 v[102:103], v[12:13], v[72:73]
	;; [unrolled: 1-line block ×8, first 2 shown]
	ds_read_b128 v[44:47], v218 offset:528
	ds_read_b128 v[52:55], v218 offset:784
	v_cvt_f32_f64_e32 v12, v[12:13]
	v_cvt_f32_f64_e32 v13, v[14:15]
	;; [unrolled: 1-line block ×4, first 2 shown]
	v_min3_f32 v12, v12, v13, v183
	v_min3_f32 v13, v8, v9, v184
	v_add_f64 v[8:9], v[2:3], v[6:7]
	v_add_f64 v[10:11], v[0:1], v[4:5]
	v_cvt_f32_f64_e32 v72, v[72:73]
	v_cvt_f32_f64_e32 v73, v[74:75]
	;; [unrolled: 1-line block ×5, first 2 shown]
	v_min3_f32 v101, v72, v73, v176
	ds_read_b128 v[72:75], v165 offset:7184
	v_min3_f32 v227, v10, v8, v185
	s_waitcnt lgkmcnt(0)
	v_add_f64 v[8:9], v[42:43], v[6:7]
	v_add_f64 v[10:11], v[40:41], v[4:5]
	ds_read_b128 v[56:59], v218 offset:1040
	ds_read_b128 v[60:63], v218 offset:1296
	v_cvt_f32_f64_e32 v10, v[10:11]
	v_cvt_f32_f64_e32 v8, v[8:9]
	v_min3_f32 v226, v10, v8, v190
	v_add_f64 v[8:9], v[46:47], v[6:7]
	v_add_f64 v[10:11], v[44:45], v[4:5]
	v_cvt_f32_f64_e32 v10, v[10:11]
	v_cvt_f32_f64_e32 v8, v[8:9]
	;; [unrolled: 1-line block ×3, first 2 shown]
	v_min3_f32 v225, v10, v8, v191
	v_add_f64 v[8:9], v[54:55], v[6:7]
	v_add_f64 v[10:11], v[52:53], v[4:5]
	ds_read_b128 v[64:67], v218 offset:1552
	v_min3_f32 v195, v68, v70, v69
	ds_read_b128 v[68:71], v218 offset:1808
	v_cvt_f32_f64_e32 v10, v[10:11]
	v_cvt_f32_f64_e32 v8, v[8:9]
	v_min3_f32 v224, v10, v8, v192
	s_waitcnt lgkmcnt(0)
	v_add_f64 v[8:9], v[58:59], v[6:7]
	v_add_f64 v[10:11], v[56:57], v[4:5]
	ds_read_b128 v[96:99], v165 offset:1040
	v_cvt_f32_f64_e32 v10, v[10:11]
	v_cvt_f32_f64_e32 v8, v[8:9]
	v_min3_f32 v223, v10, v8, v193
	v_add_f64 v[8:9], v[62:63], v[6:7]
	v_add_f64 v[10:11], v[60:61], v[4:5]
	v_cvt_f32_f64_e32 v10, v[10:11]
	v_cvt_f32_f64_e32 v8, v[8:9]
	v_min3_f32 v216, v10, v8, v194
	v_add_f64 v[8:9], v[66:67], v[6:7]
	v_add_f64 v[10:11], v[64:65], v[4:5]
	;; [unrolled: 1-line block ×4, first 2 shown]
	v_cvt_f32_f64_e32 v92, v[92:93]
	v_cvt_f32_f64_e32 v93, v[94:95]
	;; [unrolled: 1-line block ×4, first 2 shown]
	v_min3_f32 v108, v92, v93, v108
	ds_read_b128 v[92:95], v165 offset:2064
	v_min3_f32 v214, v4, v5, v196
	s_waitcnt lgkmcnt(0)
	v_add_f64 v[4:5], v[2:3], v[98:99]
	v_add_f64 v[6:7], v[0:1], v[96:97]
	v_cvt_f32_f64_e32 v6, v[6:7]
	v_cvt_f32_f64_e32 v4, v[4:5]
	v_min3_f32 v213, v6, v4, v188
	v_add_f64 v[4:5], v[42:43], v[98:99]
	v_add_f64 v[6:7], v[40:41], v[96:97]
	v_cvt_f32_f64_e32 v6, v[6:7]
	v_cvt_f32_f64_e32 v4, v[4:5]
	v_min3_f32 v212, v6, v4, v189
	;; [unrolled: 5-line block ×12, first 2 shown]
	v_add_f64 v[4:5], v[58:59], v[94:95]
	v_add_f64 v[6:7], v[56:57], v[92:93]
	v_cvt_f32_f64_e32 v6, v[6:7]
	v_cvt_f32_f64_e32 v4, v[4:5]
	;; [unrolled: 1-line block ×4, first 2 shown]
	v_min3_f32 v201, v6, v4, v113
	v_add_f64 v[4:5], v[62:63], v[94:95]
	v_add_f64 v[6:7], v[60:61], v[92:93]
	v_min3_f32 v116, v88, v89, v116
	ds_read_b128 v[88:91], v165 offset:3088
	v_cvt_f32_f64_e32 v6, v[6:7]
	v_cvt_f32_f64_e32 v4, v[4:5]
	v_min3_f32 v200, v6, v4, v114
	v_add_f64 v[4:5], v[66:67], v[94:95]
	v_add_f64 v[6:7], v[64:65], v[92:93]
	v_cvt_f32_f64_e32 v6, v[6:7]
	v_cvt_f32_f64_e32 v4, v[4:5]
	v_min3_f32 v199, v6, v4, v115
	v_add_f64 v[4:5], v[70:71], v[94:95]
	v_add_f64 v[6:7], v[68:69], v[92:93]
	v_cvt_f32_f64_e32 v84, v[84:85]
	v_cvt_f32_f64_e32 v85, v[86:87]
	;; [unrolled: 1-line block ×4, first 2 shown]
	v_min3_f32 v124, v84, v85, v124
	ds_read_b128 v[84:87], v165 offset:4112
	v_min3_f32 v198, v6, v4, v116
	s_waitcnt lgkmcnt(0)
	v_add_f64 v[4:5], v[2:3], v[90:91]
	v_add_f64 v[6:7], v[0:1], v[88:89]
	v_cvt_f32_f64_e32 v6, v[6:7]
	v_cvt_f32_f64_e32 v4, v[4:5]
	v_min3_f32 v197, v6, v4, v117
	v_add_f64 v[4:5], v[42:43], v[90:91]
	v_add_f64 v[6:7], v[40:41], v[88:89]
	v_cvt_f32_f64_e32 v6, v[6:7]
	v_cvt_f32_f64_e32 v4, v[4:5]
	v_min3_f32 v196, v6, v4, v118
	v_add_f64 v[4:5], v[46:47], v[90:91]
	v_add_f64 v[6:7], v[44:45], v[88:89]
	v_cvt_f32_f64_e32 v10, v[10:11]
	v_cvt_f32_f64_e32 v8, v[8:9]
	;; [unrolled: 1-line block ×4, first 2 shown]
	v_min3_f32 v215, v10, v8, v195
	v_min3_f32 v195, v6, v4, v119
	v_add_f64 v[4:5], v[54:55], v[90:91]
	v_add_f64 v[6:7], v[52:53], v[88:89]
	v_cvt_f32_f64_e32 v6, v[6:7]
	v_cvt_f32_f64_e32 v4, v[4:5]
	v_min3_f32 v194, v6, v4, v120
	v_add_f64 v[4:5], v[58:59], v[90:91]
	v_add_f64 v[6:7], v[56:57], v[88:89]
	v_cvt_f32_f64_e32 v6, v[6:7]
	v_cvt_f32_f64_e32 v4, v[4:5]
	v_min3_f32 v193, v6, v4, v121
	v_add_f64 v[4:5], v[62:63], v[90:91]
	v_add_f64 v[6:7], v[60:61], v[88:89]
	v_cvt_f32_f64_e32 v6, v[6:7]
	v_cvt_f32_f64_e32 v4, v[4:5]
	v_min3_f32 v192, v6, v4, v122
	v_add_f64 v[4:5], v[66:67], v[90:91]
	v_add_f64 v[6:7], v[64:65], v[88:89]
	v_cvt_f32_f64_e32 v6, v[6:7]
	v_cvt_f32_f64_e32 v4, v[4:5]
	v_min3_f32 v191, v6, v4, v123
	v_add_f64 v[4:5], v[70:71], v[90:91]
	v_add_f64 v[6:7], v[68:69], v[88:89]
	v_cvt_f32_f64_e32 v6, v[6:7]
	v_cvt_f32_f64_e32 v4, v[4:5]
	v_min3_f32 v190, v6, v4, v124
	v_add_f64 v[4:5], v[2:3], v[86:87]
	v_add_f64 v[6:7], v[0:1], v[84:85]
	v_cvt_f32_f64_e32 v6, v[6:7]
	v_cvt_f32_f64_e32 v4, v[4:5]
	v_min3_f32 v189, v6, v4, v125
	v_add_f64 v[4:5], v[42:43], v[86:87]
	v_add_f64 v[6:7], v[40:41], v[84:85]
	v_cvt_f32_f64_e32 v6, v[6:7]
	v_cvt_f32_f64_e32 v4, v[4:5]
	v_min3_f32 v188, v6, v4, v126
	v_add_f64 v[4:5], v[46:47], v[86:87]
	v_add_f64 v[6:7], v[44:45], v[84:85]
	v_cvt_f32_f64_e32 v6, v[6:7]
	v_cvt_f32_f64_e32 v4, v[4:5]
	v_min3_f32 v187, v6, v4, v127
	v_add_f64 v[4:5], v[54:55], v[86:87]
	v_add_f64 v[6:7], v[52:53], v[84:85]
	v_cvt_f32_f64_e32 v6, v[6:7]
	v_cvt_f32_f64_e32 v4, v[4:5]
	v_min3_f32 v186, v6, v4, v152
	v_add_f64 v[4:5], v[58:59], v[86:87]
	v_add_f64 v[6:7], v[56:57], v[84:85]
	v_cvt_f32_f64_e32 v6, v[6:7]
	v_cvt_f32_f64_e32 v4, v[4:5]
	v_cvt_f32_f64_e32 v80, v[80:81]
	v_cvt_f32_f64_e32 v81, v[82:83]
	v_min3_f32 v185, v6, v4, v153
	v_add_f64 v[4:5], v[62:63], v[86:87]
	v_add_f64 v[6:7], v[60:61], v[84:85]
	v_min3_f32 v156, v80, v81, v156
	ds_read_b128 v[80:83], v165 offset:5136
	v_cvt_f32_f64_e32 v6, v[6:7]
	v_cvt_f32_f64_e32 v4, v[4:5]
	v_min3_f32 v184, v6, v4, v154
	v_add_f64 v[4:5], v[66:67], v[86:87]
	v_add_f64 v[6:7], v[64:65], v[84:85]
	v_cvt_f32_f64_e32 v6, v[6:7]
	v_cvt_f32_f64_e32 v4, v[4:5]
	v_add_f64 v[18:19], v[18:19], v[26:27]
	v_add_f64 v[16:17], v[16:17], v[24:25]
	v_min3_f32 v183, v6, v4, v155
	v_add_f64 v[4:5], v[70:71], v[86:87]
	v_add_f64 v[6:7], v[68:69], v[84:85]
	v_cvt_f32_f64_e32 v76, v[76:77]
	v_cvt_f32_f64_e32 v77, v[78:79]
	;; [unrolled: 1-line block ×6, first 2 shown]
	v_min3_f32 v167, v76, v77, v167
	ds_read_b128 v[76:79], v165 offset:6160
	v_add_f64 v[22:23], v[22:23], v[26:27]
	v_add_f64 v[20:21], v[20:21], v[24:25]
	v_min3_f32 v16, v16, v17, v182
	v_min3_f32 v182, v6, v4, v156
	s_waitcnt lgkmcnt(0)
	v_add_f64 v[4:5], v[2:3], v[82:83]
	v_add_f64 v[6:7], v[0:1], v[80:81]
	v_cvt_f32_f64_e32 v20, v[20:21]
	v_cvt_f32_f64_e32 v21, v[22:23]
	v_cvt_f32_f64_e32 v6, v[6:7]
	v_cvt_f32_f64_e32 v4, v[4:5]
	v_add_f64 v[30:31], v[30:31], v[26:27]
	v_add_f64 v[28:29], v[28:29], v[24:25]
	v_min3_f32 v20, v20, v21, v181
	v_min3_f32 v181, v6, v4, v157
	v_add_f64 v[4:5], v[42:43], v[82:83]
	v_add_f64 v[6:7], v[40:41], v[80:81]
	v_cvt_f32_f64_e32 v28, v[28:29]
	v_cvt_f32_f64_e32 v29, v[30:31]
	v_cvt_f32_f64_e32 v6, v[6:7]
	v_cvt_f32_f64_e32 v4, v[4:5]
	v_add_f64 v[34:35], v[34:35], v[26:27]
	v_add_f64 v[32:33], v[32:33], v[24:25]
	v_min3_f32 v28, v28, v29, v180
	v_min3_f32 v180, v6, v4, v159
	;; [unrolled: 10-line block ×4, first 2 shown]
	v_add_f64 v[4:5], v[58:59], v[82:83]
	v_add_f64 v[6:7], v[56:57], v[80:81]
	v_cvt_f32_f64_e32 v48, v[48:49]
	v_cvt_f32_f64_e32 v49, v[50:51]
	;; [unrolled: 1-line block ×4, first 2 shown]
	v_min3_f32 v48, v48, v49, v177
	v_min3_f32 v177, v6, v4, v162
	v_add_f64 v[4:5], v[62:63], v[82:83]
	v_add_f64 v[6:7], v[60:61], v[80:81]
	v_cvt_f32_f64_e32 v6, v[6:7]
	v_cvt_f32_f64_e32 v4, v[4:5]
	v_min3_f32 v176, v6, v4, v163
	v_add_f64 v[4:5], v[66:67], v[82:83]
	v_add_f64 v[6:7], v[64:65], v[80:81]
	v_cvt_f32_f64_e32 v102, v[102:103]
	v_cvt_f32_f64_e32 v6, v[6:7]
	;; [unrolled: 1-line block ×3, first 2 shown]
	v_min3_f32 v100, v102, v100, v175
	v_min3_f32 v175, v6, v4, v164
	v_add_f64 v[4:5], v[70:71], v[82:83]
	v_add_f64 v[6:7], v[68:69], v[80:81]
	v_cvt_f32_f64_e32 v6, v[6:7]
	v_cvt_f32_f64_e32 v4, v[4:5]
	v_min3_f32 v174, v6, v4, v167
	v_add_f64 v[4:5], v[2:3], v[78:79]
	v_add_f64 v[6:7], v[0:1], v[76:77]
	;; [unrolled: 1-line block ×4, first 2 shown]
	v_cvt_f32_f64_e32 v6, v[6:7]
	v_cvt_f32_f64_e32 v4, v[4:5]
	v_cvt_f32_f64_e32 v0, v[0:1]
	v_cvt_f32_f64_e32 v1, v[2:3]
	v_min3_f32 v173, v6, v4, v168
	v_add_f64 v[4:5], v[42:43], v[78:79]
	v_add_f64 v[6:7], v[40:41], v[76:77]
	v_min3_f32 v162, v0, v1, v48
	v_add_f64 v[0:1], v[42:43], v[74:75]
	v_add_f64 v[2:3], v[40:41], v[72:73]
	v_cvt_f32_f64_e32 v6, v[6:7]
	v_cvt_f32_f64_e32 v4, v[4:5]
	v_cvt_f32_f64_e32 v2, v[2:3]
	v_cvt_f32_f64_e32 v0, v[0:1]
	v_min3_f32 v171, v6, v4, v169
	v_add_f64 v[4:5], v[46:47], v[78:79]
	v_add_f64 v[6:7], v[44:45], v[76:77]
	v_min3_f32 v161, v2, v0, v36
	v_add_f64 v[0:1], v[46:47], v[74:75]
	v_add_f64 v[2:3], v[44:45], v[72:73]
	;; [unrolled: 10-line block ×7, first 2 shown]
	v_cvt_f32_f64_e32 v6, v[6:7]
	v_cvt_f32_f64_e32 v4, v[4:5]
	;; [unrolled: 1-line block ×4, first 2 shown]
	s_add_i32 s30, s30, 8
	v_min3_f32 v163, v6, v4, v101
	v_min3_f32 v154, v2, v0, v13
	v_lshl_add_u64 v[130:131], v[130:131], 0, s[16:17]
	s_cmp_ge_i32 s30, s34
	v_lshl_add_u64 v[136:137], v[136:137], 0, s[18:19]
	s_waitcnt vmcnt(0)
	ds_write_b64 v219, v[228:229]
	ds_write2st64_b64 v220, v[144:145], v[146:147] offset1:4
	ds_write2st64_b64 v220, v[148:149], v[150:151] offset0:8 offset1:12
	s_waitcnt lgkmcnt(0)
	s_barrier
	s_cbranch_scc1 .LBB121_51
.LBB121_31:                             ; =>This Inner Loop Header: Depth=1
	v_add_u32_e32 v152, s30, v128
	v_add_u32_e32 v0, 8, v152
	v_cmp_le_i32_e64 s[10:11], s26, v0
	s_nor_b64 s[36:37], vcc, s[10:11]
	v_mov_b64_e32 v[228:229], v[142:143]
	s_and_saveexec_b64 s[20:21], s[36:37]
	s_cbranch_execz .LBB121_33
; %bb.32:                               ;   in Loop: Header=BB121_31 Depth=1
	v_lshl_add_u64 v[0:1], v[130:131], 0, v[132:133]
	flat_load_dwordx2 v[228:229], v[0:1]
.LBB121_33:                             ;   in Loop: Header=BB121_31 Depth=1
	s_or_b64 exec, exec, s[20:21]
	s_nor_b64 s[36:37], s[2:3], s[10:11]
	v_lshl_add_u64 v[0:1], v[136:137], 0, v[134:135]
	v_mov_b64_e32 v[144:145], v[142:143]
	s_and_saveexec_b64 s[20:21], s[36:37]
	s_cbranch_execz .LBB121_35
; %bb.34:                               ;   in Loop: Header=BB121_31 Depth=1
	flat_load_dwordx2 v[144:145], v[0:1]
.LBB121_35:                             ;   in Loop: Header=BB121_31 Depth=1
	s_or_b64 exec, exec, s[20:21]
	s_nor_b64 s[36:37], s[4:5], s[10:11]
	v_mov_b64_e32 v[146:147], v[142:143]
	s_and_saveexec_b64 s[20:21], s[36:37]
	s_cbranch_execz .LBB121_37
; %bb.36:                               ;   in Loop: Header=BB121_31 Depth=1
	flat_load_dwordx2 v[146:147], v[0:1] offset:512
.LBB121_37:                             ;   in Loop: Header=BB121_31 Depth=1
	s_or_b64 exec, exec, s[20:21]
	s_nor_b64 s[36:37], s[6:7], s[10:11]
	v_mov_b64_e32 v[148:149], v[142:143]
	s_and_saveexec_b64 s[20:21], s[36:37]
	s_cbranch_execz .LBB121_39
; %bb.38:                               ;   in Loop: Header=BB121_31 Depth=1
	flat_load_dwordx2 v[148:149], v[0:1] offset:1024
.LBB121_39:                             ;   in Loop: Header=BB121_31 Depth=1
	;; [unrolled: 8-line block ×3, first 2 shown]
	s_or_b64 exec, exec, s[10:11]
	ds_read_b128 v[124:127], v222
	ds_read_b128 v[60:63], v222 offset:16
	ds_read_b128 v[96:99], v221
	ds_read_b128 v[32:35], v221 offset:16
	ds_read_b128 v[92:95], v221 offset:256
	;; [unrolled: 1-line block ×29, first 2 shown]
	s_waitcnt vmcnt(0) lgkmcnt(0)
	ds_write_b64 v217, v[228:229]
	ds_write2st64_b64 v172, v[144:145], v[146:147] offset1:4
	ds_write2st64_b64 v172, v[148:149], v[150:151] offset0:8 offset1:12
	v_add_u32_e32 v144, 12, v152
	v_cmp_le_i32_e64 s[10:11], s26, v144
	s_nor_b64 s[36:37], vcc, s[10:11]
	v_mov_b64_e32 v[228:229], v[142:143]
	s_waitcnt lgkmcnt(0)
	s_barrier
	s_and_saveexec_b64 s[20:21], s[36:37]
	s_cbranch_execz .LBB121_43
; %bb.42:                               ;   in Loop: Header=BB121_31 Depth=1
	v_lshl_add_u64 v[144:145], v[130:131], 0, v[140:141]
	flat_load_dwordx2 v[228:229], v[144:145]
.LBB121_43:                             ;   in Loop: Header=BB121_31 Depth=1
	s_or_b64 exec, exec, s[20:21]
	s_nor_b64 s[36:37], s[2:3], s[10:11]
	v_lshl_add_u64 v[152:153], v[136:137], 0, v[138:139]
	v_mov_b64_e32 v[144:145], v[142:143]
	s_and_saveexec_b64 s[20:21], s[36:37]
	s_cbranch_execz .LBB121_45
; %bb.44:                               ;   in Loop: Header=BB121_31 Depth=1
	flat_load_dwordx2 v[144:145], v[152:153]
.LBB121_45:                             ;   in Loop: Header=BB121_31 Depth=1
	s_or_b64 exec, exec, s[20:21]
	s_nor_b64 s[36:37], s[4:5], s[10:11]
	v_mov_b64_e32 v[146:147], v[142:143]
	s_and_saveexec_b64 s[20:21], s[36:37]
	s_cbranch_execz .LBB121_47
; %bb.46:                               ;   in Loop: Header=BB121_31 Depth=1
	flat_load_dwordx2 v[146:147], v[152:153] offset:512
.LBB121_47:                             ;   in Loop: Header=BB121_31 Depth=1
	s_or_b64 exec, exec, s[20:21]
	s_nor_b64 s[36:37], s[6:7], s[10:11]
	v_mov_b64_e32 v[148:149], v[142:143]
	s_and_saveexec_b64 s[20:21], s[36:37]
	s_cbranch_execz .LBB121_49
; %bb.48:                               ;   in Loop: Header=BB121_31 Depth=1
	flat_load_dwordx2 v[148:149], v[152:153] offset:1024
.LBB121_49:                             ;   in Loop: Header=BB121_31 Depth=1
	s_or_b64 exec, exec, s[20:21]
	s_nor_b64 s[20:21], s[8:9], s[10:11]
	v_mov_b64_e32 v[150:151], v[142:143]
	s_and_saveexec_b64 s[10:11], s[20:21]
	s_cbranch_execz .LBB121_30
; %bb.50:                               ;   in Loop: Header=BB121_31 Depth=1
	flat_load_dwordx2 v[150:151], v[152:153] offset:1536
	s_branch .LBB121_30
.LBB121_51:
	s_load_dwordx2 s[2:3], s[0:1], 0x78
	s_load_dword s31, s[0:1], 0x58
	s_load_dword s30, s[0:1], 0x70
	ds_read_b128 v[68:71], v166 offset:18432
	ds_read_b128 v[64:67], v166 offset:18448
	;; [unrolled: 1-line block ×32, first 2 shown]
	s_waitcnt lgkmcnt(0)
	s_lshl_b64 s[0:1], s[2:3], 3
	s_add_u32 s20, s14, s0
	v_add_u32_e32 v148, s33, v158
	s_addc_u32 s21, s15, s1
	v_mad_i64_i32 v[130:131], s[0:1], v148, s31, 0
	v_add_u32_e32 v128, s27, v129
	v_lshl_add_u64 v[146:147], v[130:131], 3, s[28:29]
	v_mad_i64_i32 v[130:131], s[0:1], v148, s30, 0
	v_cmp_gt_i32_e64 s[2:3], s24, v128
	v_cmp_gt_i32_e64 s[18:19], s25, v148
	v_lshl_add_u64 v[144:145], v[130:131], 3, s[20:21]
	v_cndmask_b32_e64 v130, 0, 1, s[12:13]
	v_ashrrev_i32_e32 v129, 31, v128
	s_and_b64 s[6:7], s[2:3], s[18:19]
	v_cmp_ne_u32_e64 s[0:1], 1, v130
	s_and_saveexec_b64 s[4:5], s[6:7]
	s_cbranch_execz .LBB121_56
; %bb.52:
	s_and_b64 vcc, exec, s[0:1]
	s_cbranch_vccnz .LBB121_54
; %bb.53:
	v_lshl_add_u64 v[130:131], v[128:129], 3, v[146:147]
	flat_load_dwordx2 v[130:131], v[130:131]
	s_waitcnt vmcnt(0) lgkmcnt(0)
	v_mul_f64 v[130:131], s[22:23], v[130:131]
	v_cvt_f32_f64_e32 v130, v[130:131]
	s_branch .LBB121_55
.LBB121_54:
	v_mov_b32_e32 v130, 0
.LBB121_55:
	v_add_f64 v[132:133], v[70:71], v[126:127]
	v_add_f64 v[134:135], v[68:69], v[124:125]
	v_cvt_f32_f64_e32 v131, v[134:135]
	v_cvt_f32_f64_e32 v132, v[132:133]
	v_min3_f32 v131, v131, v132, v227
	v_add_f64 v[132:133], v[66:67], v[122:123]
	v_add_f64 v[134:135], v[64:65], v[120:121]
	v_cvt_f32_f64_e32 v134, v[134:135]
	v_cvt_f32_f64_e32 v132, v[132:133]
	v_min_f32_e32 v132, v134, v132
	v_min3_f32 v130, v130, v132, v131
	v_cvt_f64_f32_e32 v[130:131], v130
	v_lshl_add_u64 v[132:133], v[128:129], 3, v[144:145]
	flat_store_dwordx2 v[132:133], v[130:131]
.LBB121_56:
	s_or_b64 exec, exec, s[4:5]
	v_add_u32_e32 v130, 8, v128
	v_cmp_gt_i32_e64 s[4:5], s24, v130
	v_ashrrev_i32_e32 v131, 31, v130
	s_and_b64 s[8:9], s[4:5], s[18:19]
	s_and_saveexec_b64 s[6:7], s[8:9]
	s_cbranch_execz .LBB121_61
; %bb.57:
	s_and_b64 vcc, exec, s[0:1]
	s_cbranch_vccnz .LBB121_59
; %bb.58:
	v_lshl_add_u64 v[132:133], v[130:131], 3, v[146:147]
	flat_load_dwordx2 v[132:133], v[132:133]
	s_waitcnt vmcnt(0) lgkmcnt(0)
	v_mul_f64 v[132:133], s[22:23], v[132:133]
	v_cvt_f32_f64_e32 v132, v[132:133]
	s_branch .LBB121_60
.LBB121_59:
	v_mov_b32_e32 v132, 0
.LBB121_60:
	v_add_f64 v[134:135], v[62:63], v[126:127]
	v_add_f64 v[136:137], v[60:61], v[124:125]
	v_cvt_f32_f64_e32 v133, v[136:137]
	v_cvt_f32_f64_e32 v134, v[134:135]
	v_min3_f32 v133, v133, v134, v226
	v_add_f64 v[134:135], v[58:59], v[122:123]
	v_add_f64 v[136:137], v[56:57], v[120:121]
	v_cvt_f32_f64_e32 v136, v[136:137]
	v_cvt_f32_f64_e32 v134, v[134:135]
	v_min_f32_e32 v134, v136, v134
	v_min3_f32 v132, v132, v134, v133
	v_cvt_f64_f32_e32 v[132:133], v132
	v_lshl_add_u64 v[134:135], v[130:131], 3, v[144:145]
	flat_store_dwordx2 v[134:135], v[132:133]
.LBB121_61:
	s_or_b64 exec, exec, s[6:7]
	v_add_u32_e32 v132, 16, v128
	v_cmp_gt_i32_e64 s[6:7], s24, v132
	v_ashrrev_i32_e32 v133, 31, v132
	s_and_b64 s[10:11], s[6:7], s[18:19]
	;; [unrolled: 35-line block ×6, first 2 shown]
	s_and_saveexec_b64 s[16:17], s[26:27]
	s_cbranch_execz .LBB121_86
; %bb.82:
	s_and_b64 vcc, exec, s[0:1]
	s_cbranch_vccnz .LBB121_84
; %bb.83:
	v_lshl_add_u64 v[142:143], v[140:141], 3, v[146:147]
	flat_load_dwordx2 v[142:143], v[142:143]
	s_waitcnt vmcnt(0) lgkmcnt(0)
	v_mul_f64 v[142:143], s[22:23], v[142:143]
	v_cvt_f32_f64_e32 v142, v[142:143]
	s_branch .LBB121_85
.LBB121_84:
	v_mov_b32_e32 v142, 0
.LBB121_85:
	v_add_f64 v[150:151], v[22:23], v[126:127]
	v_add_f64 v[152:153], v[20:21], v[124:125]
	v_cvt_f32_f64_e32 v143, v[152:153]
	v_cvt_f32_f64_e32 v149, v[150:151]
	v_add_f64 v[150:151], v[18:19], v[122:123]
	v_add_f64 v[152:153], v[16:17], v[120:121]
	v_min3_f32 v143, v143, v149, v215
	v_cvt_f32_f64_e32 v149, v[152:153]
	v_cvt_f32_f64_e32 v150, v[150:151]
	v_min_f32_e32 v149, v149, v150
	v_min3_f32 v142, v142, v149, v143
	v_cvt_f64_f32_e32 v[142:143], v142
	v_lshl_add_u64 v[150:151], v[140:141], 3, v[144:145]
	flat_store_dwordx2 v[150:151], v[142:143]
.LBB121_86:
	s_or_b64 exec, exec, s[16:17]
	v_add_u32_e32 v142, 56, v128
	v_cmp_gt_i32_e64 s[16:17], s24, v142
	v_ashrrev_i32_e32 v143, 31, v142
	s_and_b64 s[26:27], s[16:17], s[18:19]
	s_and_saveexec_b64 s[18:19], s[26:27]
	s_cbranch_execz .LBB121_91
; %bb.87:
	s_and_b64 vcc, exec, s[0:1]
	s_cbranch_vccnz .LBB121_89
; %bb.88:
	v_lshl_add_u64 v[146:147], v[142:143], 3, v[146:147]
	flat_load_dwordx2 v[146:147], v[146:147]
	s_waitcnt vmcnt(0) lgkmcnt(0)
	v_mul_f64 v[146:147], s[22:23], v[146:147]
	v_cvt_f32_f64_e32 v146, v[146:147]
	s_branch .LBB121_90
.LBB121_89:
	v_mov_b32_e32 v146, 0
.LBB121_90:
	v_add_f64 v[126:127], v[6:7], v[126:127]
	v_add_f64 v[124:125], v[4:5], v[124:125]
	;; [unrolled: 1-line block ×4, first 2 shown]
	v_cvt_f32_f64_e32 v124, v[124:125]
	v_cvt_f32_f64_e32 v125, v[126:127]
	;; [unrolled: 1-line block ×4, first 2 shown]
	v_min3_f32 v124, v124, v125, v214
	v_min_f32_e32 v120, v120, v121
	v_min3_f32 v120, v146, v120, v124
	v_cvt_f64_f32_e32 v[120:121], v120
	v_lshl_add_u64 v[122:123], v[142:143], 3, v[144:145]
	flat_store_dwordx2 v[122:123], v[120:121]
.LBB121_91:
	s_or_b64 exec, exec, s[18:19]
	v_add_u32_e32 v124, 32, v148
	v_mad_i64_i32 v[120:121], s[26:27], v124, s31, 0
	v_cmp_gt_i32_e64 s[18:19], s25, v124
	v_lshl_add_u64 v[122:123], v[120:121], 3, s[28:29]
	v_mad_i64_i32 v[120:121], s[26:27], v124, s30, 0
	v_lshl_add_u64 v[120:121], v[120:121], 3, s[20:21]
	s_and_b64 s[34:35], s[2:3], s[18:19]
	s_and_saveexec_b64 s[26:27], s[34:35]
	s_cbranch_execnz .LBB121_99
; %bb.92:
	s_or_b64 exec, exec, s[26:27]
	s_and_b64 s[34:35], s[4:5], s[18:19]
	s_and_saveexec_b64 s[26:27], s[34:35]
	s_cbranch_execnz .LBB121_103
.LBB121_93:
	s_or_b64 exec, exec, s[26:27]
	s_and_b64 s[34:35], s[6:7], s[18:19]
	s_and_saveexec_b64 s[26:27], s[34:35]
	s_cbranch_execnz .LBB121_107
.LBB121_94:
	s_or_b64 exec, exec, s[26:27]
	s_and_b64 s[34:35], s[8:9], s[18:19]
	s_and_saveexec_b64 s[26:27], s[34:35]
	s_cbranch_execnz .LBB121_111
.LBB121_95:
	s_or_b64 exec, exec, s[26:27]
	s_and_b64 s[34:35], s[10:11], s[18:19]
	s_and_saveexec_b64 s[26:27], s[34:35]
	s_cbranch_execnz .LBB121_115
.LBB121_96:
	s_or_b64 exec, exec, s[26:27]
	s_and_b64 s[34:35], s[12:13], s[18:19]
	s_and_saveexec_b64 s[26:27], s[34:35]
	s_cbranch_execnz .LBB121_119
.LBB121_97:
	s_or_b64 exec, exec, s[26:27]
	s_and_b64 s[34:35], s[14:15], s[18:19]
	s_and_saveexec_b64 s[26:27], s[34:35]
	s_cbranch_execnz .LBB121_123
.LBB121_98:
	s_or_b64 exec, exec, s[26:27]
	s_and_b64 s[26:27], s[16:17], s[18:19]
	s_and_saveexec_b64 s[18:19], s[26:27]
	s_cbranch_execnz .LBB121_127
	s_branch .LBB121_131
.LBB121_99:
	s_and_b64 vcc, exec, s[0:1]
	s_cbranch_vccnz .LBB121_101
; %bb.100:
	v_lshl_add_u64 v[124:125], v[128:129], 3, v[122:123]
	flat_load_dwordx2 v[124:125], v[124:125]
	s_waitcnt vmcnt(0) lgkmcnt(0)
	v_mul_f64 v[124:125], s[22:23], v[124:125]
	v_cvt_f32_f64_e32 v124, v[124:125]
	s_branch .LBB121_102
.LBB121_101:
	v_mov_b32_e32 v124, 0
.LBB121_102:
	v_add_f64 v[126:127], v[70:71], v[118:119]
	v_add_f64 v[144:145], v[68:69], v[116:117]
	v_cvt_f32_f64_e32 v125, v[144:145]
	v_cvt_f32_f64_e32 v126, v[126:127]
	v_min3_f32 v125, v125, v126, v213
	v_add_f64 v[126:127], v[66:67], v[114:115]
	v_add_f64 v[144:145], v[64:65], v[112:113]
	v_cvt_f32_f64_e32 v144, v[144:145]
	v_cvt_f32_f64_e32 v126, v[126:127]
	v_min_f32_e32 v126, v144, v126
	v_min3_f32 v124, v124, v126, v125
	v_cvt_f64_f32_e32 v[124:125], v124
	v_lshl_add_u64 v[126:127], v[128:129], 3, v[120:121]
	flat_store_dwordx2 v[126:127], v[124:125]
	s_or_b64 exec, exec, s[26:27]
	s_and_b64 s[34:35], s[4:5], s[18:19]
	s_and_saveexec_b64 s[26:27], s[34:35]
	s_cbranch_execz .LBB121_93
.LBB121_103:
	s_and_b64 vcc, exec, s[0:1]
	s_cbranch_vccnz .LBB121_105
; %bb.104:
	v_lshl_add_u64 v[124:125], v[130:131], 3, v[122:123]
	flat_load_dwordx2 v[124:125], v[124:125]
	s_waitcnt vmcnt(0) lgkmcnt(0)
	v_mul_f64 v[124:125], s[22:23], v[124:125]
	v_cvt_f32_f64_e32 v124, v[124:125]
	s_branch .LBB121_106
.LBB121_105:
	v_mov_b32_e32 v124, 0
.LBB121_106:
	v_add_f64 v[126:127], v[62:63], v[118:119]
	v_add_f64 v[144:145], v[60:61], v[116:117]
	v_cvt_f32_f64_e32 v125, v[144:145]
	v_cvt_f32_f64_e32 v126, v[126:127]
	v_min3_f32 v125, v125, v126, v212
	v_add_f64 v[126:127], v[58:59], v[114:115]
	v_add_f64 v[144:145], v[56:57], v[112:113]
	v_cvt_f32_f64_e32 v144, v[144:145]
	v_cvt_f32_f64_e32 v126, v[126:127]
	v_min_f32_e32 v126, v144, v126
	v_min3_f32 v124, v124, v126, v125
	v_cvt_f64_f32_e32 v[124:125], v124
	v_lshl_add_u64 v[126:127], v[130:131], 3, v[120:121]
	flat_store_dwordx2 v[126:127], v[124:125]
	s_or_b64 exec, exec, s[26:27]
	s_and_b64 s[34:35], s[6:7], s[18:19]
	s_and_saveexec_b64 s[26:27], s[34:35]
	s_cbranch_execz .LBB121_94
.LBB121_107:
	s_and_b64 vcc, exec, s[0:1]
	s_cbranch_vccnz .LBB121_109
; %bb.108:
	v_lshl_add_u64 v[124:125], v[132:133], 3, v[122:123]
	flat_load_dwordx2 v[124:125], v[124:125]
	s_waitcnt vmcnt(0) lgkmcnt(0)
	v_mul_f64 v[124:125], s[22:23], v[124:125]
	v_cvt_f32_f64_e32 v124, v[124:125]
	s_branch .LBB121_110
.LBB121_109:
	v_mov_b32_e32 v124, 0
.LBB121_110:
	v_add_f64 v[126:127], v[54:55], v[118:119]
	v_add_f64 v[144:145], v[52:53], v[116:117]
	v_cvt_f32_f64_e32 v125, v[144:145]
	v_cvt_f32_f64_e32 v126, v[126:127]
	v_min3_f32 v125, v125, v126, v211
	v_add_f64 v[126:127], v[50:51], v[114:115]
	v_add_f64 v[144:145], v[48:49], v[112:113]
	v_cvt_f32_f64_e32 v144, v[144:145]
	v_cvt_f32_f64_e32 v126, v[126:127]
	v_min_f32_e32 v126, v144, v126
	v_min3_f32 v124, v124, v126, v125
	v_cvt_f64_f32_e32 v[124:125], v124
	v_lshl_add_u64 v[126:127], v[132:133], 3, v[120:121]
	flat_store_dwordx2 v[126:127], v[124:125]
	s_or_b64 exec, exec, s[26:27]
	s_and_b64 s[34:35], s[8:9], s[18:19]
	s_and_saveexec_b64 s[26:27], s[34:35]
	s_cbranch_execz .LBB121_95
.LBB121_111:
	s_and_b64 vcc, exec, s[0:1]
	s_cbranch_vccnz .LBB121_113
; %bb.112:
	v_lshl_add_u64 v[124:125], v[134:135], 3, v[122:123]
	flat_load_dwordx2 v[124:125], v[124:125]
	s_waitcnt vmcnt(0) lgkmcnt(0)
	v_mul_f64 v[124:125], s[22:23], v[124:125]
	v_cvt_f32_f64_e32 v124, v[124:125]
	s_branch .LBB121_114
.LBB121_113:
	v_mov_b32_e32 v124, 0
.LBB121_114:
	v_add_f64 v[126:127], v[46:47], v[118:119]
	v_add_f64 v[144:145], v[44:45], v[116:117]
	v_cvt_f32_f64_e32 v125, v[144:145]
	v_cvt_f32_f64_e32 v126, v[126:127]
	v_min3_f32 v125, v125, v126, v210
	v_add_f64 v[126:127], v[42:43], v[114:115]
	v_add_f64 v[144:145], v[40:41], v[112:113]
	v_cvt_f32_f64_e32 v144, v[144:145]
	v_cvt_f32_f64_e32 v126, v[126:127]
	v_min_f32_e32 v126, v144, v126
	v_min3_f32 v124, v124, v126, v125
	v_cvt_f64_f32_e32 v[124:125], v124
	v_lshl_add_u64 v[126:127], v[134:135], 3, v[120:121]
	flat_store_dwordx2 v[126:127], v[124:125]
	s_or_b64 exec, exec, s[26:27]
	s_and_b64 s[34:35], s[10:11], s[18:19]
	s_and_saveexec_b64 s[26:27], s[34:35]
	s_cbranch_execz .LBB121_96
.LBB121_115:
	s_and_b64 vcc, exec, s[0:1]
	s_cbranch_vccnz .LBB121_117
; %bb.116:
	v_lshl_add_u64 v[124:125], v[136:137], 3, v[122:123]
	flat_load_dwordx2 v[124:125], v[124:125]
	s_waitcnt vmcnt(0) lgkmcnt(0)
	v_mul_f64 v[124:125], s[22:23], v[124:125]
	v_cvt_f32_f64_e32 v124, v[124:125]
	s_branch .LBB121_118
.LBB121_117:
	v_mov_b32_e32 v124, 0
.LBB121_118:
	v_add_f64 v[126:127], v[38:39], v[118:119]
	v_add_f64 v[144:145], v[36:37], v[116:117]
	v_cvt_f32_f64_e32 v125, v[144:145]
	v_cvt_f32_f64_e32 v126, v[126:127]
	v_min3_f32 v125, v125, v126, v209
	v_add_f64 v[126:127], v[34:35], v[114:115]
	v_add_f64 v[144:145], v[32:33], v[112:113]
	v_cvt_f32_f64_e32 v144, v[144:145]
	v_cvt_f32_f64_e32 v126, v[126:127]
	v_min_f32_e32 v126, v144, v126
	v_min3_f32 v124, v124, v126, v125
	v_cvt_f64_f32_e32 v[124:125], v124
	v_lshl_add_u64 v[126:127], v[136:137], 3, v[120:121]
	flat_store_dwordx2 v[126:127], v[124:125]
	s_or_b64 exec, exec, s[26:27]
	s_and_b64 s[34:35], s[12:13], s[18:19]
	s_and_saveexec_b64 s[26:27], s[34:35]
	s_cbranch_execz .LBB121_97
.LBB121_119:
	s_and_b64 vcc, exec, s[0:1]
	s_cbranch_vccnz .LBB121_121
; %bb.120:
	v_lshl_add_u64 v[124:125], v[138:139], 3, v[122:123]
	flat_load_dwordx2 v[124:125], v[124:125]
	s_waitcnt vmcnt(0) lgkmcnt(0)
	v_mul_f64 v[124:125], s[22:23], v[124:125]
	v_cvt_f32_f64_e32 v124, v[124:125]
	s_branch .LBB121_122
.LBB121_121:
	v_mov_b32_e32 v124, 0
.LBB121_122:
	v_add_f64 v[126:127], v[30:31], v[118:119]
	v_add_f64 v[144:145], v[28:29], v[116:117]
	v_cvt_f32_f64_e32 v125, v[144:145]
	v_cvt_f32_f64_e32 v126, v[126:127]
	v_min3_f32 v125, v125, v126, v208
	v_add_f64 v[126:127], v[26:27], v[114:115]
	v_add_f64 v[144:145], v[24:25], v[112:113]
	v_cvt_f32_f64_e32 v144, v[144:145]
	v_cvt_f32_f64_e32 v126, v[126:127]
	v_min_f32_e32 v126, v144, v126
	v_min3_f32 v124, v124, v126, v125
	v_cvt_f64_f32_e32 v[124:125], v124
	v_lshl_add_u64 v[126:127], v[138:139], 3, v[120:121]
	flat_store_dwordx2 v[126:127], v[124:125]
	s_or_b64 exec, exec, s[26:27]
	s_and_b64 s[34:35], s[14:15], s[18:19]
	s_and_saveexec_b64 s[26:27], s[34:35]
	s_cbranch_execz .LBB121_98
.LBB121_123:
	s_and_b64 vcc, exec, s[0:1]
	s_cbranch_vccnz .LBB121_125
; %bb.124:
	v_lshl_add_u64 v[124:125], v[140:141], 3, v[122:123]
	flat_load_dwordx2 v[124:125], v[124:125]
	s_waitcnt vmcnt(0) lgkmcnt(0)
	v_mul_f64 v[124:125], s[22:23], v[124:125]
	v_cvt_f32_f64_e32 v124, v[124:125]
	s_branch .LBB121_126
.LBB121_125:
	v_mov_b32_e32 v124, 0
.LBB121_126:
	v_add_f64 v[126:127], v[22:23], v[118:119]
	v_add_f64 v[144:145], v[20:21], v[116:117]
	v_cvt_f32_f64_e32 v125, v[144:145]
	v_cvt_f32_f64_e32 v126, v[126:127]
	v_min3_f32 v125, v125, v126, v207
	v_add_f64 v[126:127], v[18:19], v[114:115]
	v_add_f64 v[144:145], v[16:17], v[112:113]
	v_cvt_f32_f64_e32 v144, v[144:145]
	v_cvt_f32_f64_e32 v126, v[126:127]
	v_min_f32_e32 v126, v144, v126
	v_min3_f32 v124, v124, v126, v125
	v_cvt_f64_f32_e32 v[124:125], v124
	v_lshl_add_u64 v[126:127], v[140:141], 3, v[120:121]
	flat_store_dwordx2 v[126:127], v[124:125]
	s_or_b64 exec, exec, s[26:27]
	s_and_b64 s[26:27], s[16:17], s[18:19]
	s_and_saveexec_b64 s[18:19], s[26:27]
	s_cbranch_execz .LBB121_131
.LBB121_127:
	s_and_b64 vcc, exec, s[0:1]
	s_cbranch_vccnz .LBB121_129
; %bb.128:
	v_lshl_add_u64 v[122:123], v[142:143], 3, v[122:123]
	flat_load_dwordx2 v[122:123], v[122:123]
	s_waitcnt vmcnt(0) lgkmcnt(0)
	v_mul_f64 v[122:123], s[22:23], v[122:123]
	v_cvt_f32_f64_e32 v122, v[122:123]
	s_branch .LBB121_130
.LBB121_129:
	v_mov_b32_e32 v122, 0
.LBB121_130:
	v_add_f64 v[118:119], v[6:7], v[118:119]
	v_add_f64 v[116:117], v[4:5], v[116:117]
	;; [unrolled: 1-line block ×4, first 2 shown]
	v_cvt_f32_f64_e32 v116, v[116:117]
	v_cvt_f32_f64_e32 v117, v[118:119]
	;; [unrolled: 1-line block ×4, first 2 shown]
	v_min3_f32 v116, v116, v117, v206
	v_min_f32_e32 v112, v112, v113
	v_min3_f32 v112, v122, v112, v116
	v_cvt_f64_f32_e32 v[112:113], v112
	v_lshl_add_u64 v[114:115], v[142:143], 3, v[120:121]
	flat_store_dwordx2 v[114:115], v[112:113]
.LBB121_131:
	s_or_b64 exec, exec, s[18:19]
	v_add_u32_e32 v116, 64, v148
	v_mad_i64_i32 v[112:113], s[26:27], v116, s31, 0
	v_cmp_gt_i32_e64 s[18:19], s25, v116
	v_lshl_add_u64 v[114:115], v[112:113], 3, s[28:29]
	v_mad_i64_i32 v[112:113], s[26:27], v116, s30, 0
	v_lshl_add_u64 v[112:113], v[112:113], 3, s[20:21]
	s_and_b64 s[34:35], s[2:3], s[18:19]
	s_and_saveexec_b64 s[26:27], s[34:35]
	s_cbranch_execnz .LBB121_139
; %bb.132:
	s_or_b64 exec, exec, s[26:27]
	s_and_b64 s[34:35], s[4:5], s[18:19]
	s_and_saveexec_b64 s[26:27], s[34:35]
	s_cbranch_execnz .LBB121_143
.LBB121_133:
	s_or_b64 exec, exec, s[26:27]
	s_and_b64 s[34:35], s[6:7], s[18:19]
	s_and_saveexec_b64 s[26:27], s[34:35]
	s_cbranch_execnz .LBB121_147
.LBB121_134:
	s_or_b64 exec, exec, s[26:27]
	s_and_b64 s[34:35], s[8:9], s[18:19]
	s_and_saveexec_b64 s[26:27], s[34:35]
	s_cbranch_execnz .LBB121_151
.LBB121_135:
	s_or_b64 exec, exec, s[26:27]
	s_and_b64 s[34:35], s[10:11], s[18:19]
	s_and_saveexec_b64 s[26:27], s[34:35]
	s_cbranch_execnz .LBB121_155
.LBB121_136:
	s_or_b64 exec, exec, s[26:27]
	s_and_b64 s[34:35], s[12:13], s[18:19]
	s_and_saveexec_b64 s[26:27], s[34:35]
	s_cbranch_execnz .LBB121_159
.LBB121_137:
	s_or_b64 exec, exec, s[26:27]
	s_and_b64 s[34:35], s[14:15], s[18:19]
	s_and_saveexec_b64 s[26:27], s[34:35]
	s_cbranch_execnz .LBB121_163
.LBB121_138:
	s_or_b64 exec, exec, s[26:27]
	s_and_b64 s[26:27], s[16:17], s[18:19]
	s_and_saveexec_b64 s[18:19], s[26:27]
	s_cbranch_execnz .LBB121_167
	s_branch .LBB121_171
.LBB121_139:
	s_and_b64 vcc, exec, s[0:1]
	s_cbranch_vccnz .LBB121_141
; %bb.140:
	v_lshl_add_u64 v[116:117], v[128:129], 3, v[114:115]
	flat_load_dwordx2 v[116:117], v[116:117]
	s_waitcnt vmcnt(0) lgkmcnt(0)
	v_mul_f64 v[116:117], s[22:23], v[116:117]
	v_cvt_f32_f64_e32 v116, v[116:117]
	s_branch .LBB121_142
.LBB121_141:
	v_mov_b32_e32 v116, 0
.LBB121_142:
	v_add_f64 v[118:119], v[70:71], v[110:111]
	v_add_f64 v[120:121], v[68:69], v[108:109]
	v_cvt_f32_f64_e32 v117, v[120:121]
	v_cvt_f32_f64_e32 v118, v[118:119]
	v_min3_f32 v117, v117, v118, v205
	v_add_f64 v[118:119], v[66:67], v[106:107]
	v_add_f64 v[120:121], v[64:65], v[104:105]
	v_cvt_f32_f64_e32 v120, v[120:121]
	v_cvt_f32_f64_e32 v118, v[118:119]
	v_min_f32_e32 v118, v120, v118
	v_min3_f32 v116, v116, v118, v117
	v_cvt_f64_f32_e32 v[116:117], v116
	v_lshl_add_u64 v[118:119], v[128:129], 3, v[112:113]
	flat_store_dwordx2 v[118:119], v[116:117]
	s_or_b64 exec, exec, s[26:27]
	s_and_b64 s[34:35], s[4:5], s[18:19]
	s_and_saveexec_b64 s[26:27], s[34:35]
	s_cbranch_execz .LBB121_133
.LBB121_143:
	s_and_b64 vcc, exec, s[0:1]
	s_cbranch_vccnz .LBB121_145
; %bb.144:
	v_lshl_add_u64 v[116:117], v[130:131], 3, v[114:115]
	flat_load_dwordx2 v[116:117], v[116:117]
	s_waitcnt vmcnt(0) lgkmcnt(0)
	v_mul_f64 v[116:117], s[22:23], v[116:117]
	v_cvt_f32_f64_e32 v116, v[116:117]
	s_branch .LBB121_146
.LBB121_145:
	v_mov_b32_e32 v116, 0
.LBB121_146:
	v_add_f64 v[118:119], v[62:63], v[110:111]
	v_add_f64 v[120:121], v[60:61], v[108:109]
	v_cvt_f32_f64_e32 v117, v[120:121]
	v_cvt_f32_f64_e32 v118, v[118:119]
	v_min3_f32 v117, v117, v118, v204
	v_add_f64 v[118:119], v[58:59], v[106:107]
	v_add_f64 v[120:121], v[56:57], v[104:105]
	v_cvt_f32_f64_e32 v120, v[120:121]
	v_cvt_f32_f64_e32 v118, v[118:119]
	v_min_f32_e32 v118, v120, v118
	v_min3_f32 v116, v116, v118, v117
	v_cvt_f64_f32_e32 v[116:117], v116
	v_lshl_add_u64 v[118:119], v[130:131], 3, v[112:113]
	flat_store_dwordx2 v[118:119], v[116:117]
	s_or_b64 exec, exec, s[26:27]
	s_and_b64 s[34:35], s[6:7], s[18:19]
	s_and_saveexec_b64 s[26:27], s[34:35]
	s_cbranch_execz .LBB121_134
.LBB121_147:
	s_and_b64 vcc, exec, s[0:1]
	s_cbranch_vccnz .LBB121_149
; %bb.148:
	v_lshl_add_u64 v[116:117], v[132:133], 3, v[114:115]
	flat_load_dwordx2 v[116:117], v[116:117]
	s_waitcnt vmcnt(0) lgkmcnt(0)
	v_mul_f64 v[116:117], s[22:23], v[116:117]
	v_cvt_f32_f64_e32 v116, v[116:117]
	s_branch .LBB121_150
.LBB121_149:
	v_mov_b32_e32 v116, 0
.LBB121_150:
	v_add_f64 v[118:119], v[54:55], v[110:111]
	v_add_f64 v[120:121], v[52:53], v[108:109]
	v_cvt_f32_f64_e32 v117, v[120:121]
	v_cvt_f32_f64_e32 v118, v[118:119]
	v_min3_f32 v117, v117, v118, v203
	v_add_f64 v[118:119], v[50:51], v[106:107]
	v_add_f64 v[120:121], v[48:49], v[104:105]
	v_cvt_f32_f64_e32 v120, v[120:121]
	v_cvt_f32_f64_e32 v118, v[118:119]
	v_min_f32_e32 v118, v120, v118
	v_min3_f32 v116, v116, v118, v117
	v_cvt_f64_f32_e32 v[116:117], v116
	v_lshl_add_u64 v[118:119], v[132:133], 3, v[112:113]
	flat_store_dwordx2 v[118:119], v[116:117]
	s_or_b64 exec, exec, s[26:27]
	s_and_b64 s[34:35], s[8:9], s[18:19]
	s_and_saveexec_b64 s[26:27], s[34:35]
	s_cbranch_execz .LBB121_135
.LBB121_151:
	s_and_b64 vcc, exec, s[0:1]
	s_cbranch_vccnz .LBB121_153
; %bb.152:
	v_lshl_add_u64 v[116:117], v[134:135], 3, v[114:115]
	flat_load_dwordx2 v[116:117], v[116:117]
	s_waitcnt vmcnt(0) lgkmcnt(0)
	v_mul_f64 v[116:117], s[22:23], v[116:117]
	v_cvt_f32_f64_e32 v116, v[116:117]
	s_branch .LBB121_154
.LBB121_153:
	v_mov_b32_e32 v116, 0
.LBB121_154:
	v_add_f64 v[118:119], v[46:47], v[110:111]
	v_add_f64 v[120:121], v[44:45], v[108:109]
	v_cvt_f32_f64_e32 v117, v[120:121]
	v_cvt_f32_f64_e32 v118, v[118:119]
	v_min3_f32 v117, v117, v118, v202
	v_add_f64 v[118:119], v[42:43], v[106:107]
	v_add_f64 v[120:121], v[40:41], v[104:105]
	v_cvt_f32_f64_e32 v120, v[120:121]
	v_cvt_f32_f64_e32 v118, v[118:119]
	v_min_f32_e32 v118, v120, v118
	v_min3_f32 v116, v116, v118, v117
	v_cvt_f64_f32_e32 v[116:117], v116
	v_lshl_add_u64 v[118:119], v[134:135], 3, v[112:113]
	flat_store_dwordx2 v[118:119], v[116:117]
	s_or_b64 exec, exec, s[26:27]
	s_and_b64 s[34:35], s[10:11], s[18:19]
	s_and_saveexec_b64 s[26:27], s[34:35]
	s_cbranch_execz .LBB121_136
.LBB121_155:
	s_and_b64 vcc, exec, s[0:1]
	s_cbranch_vccnz .LBB121_157
; %bb.156:
	v_lshl_add_u64 v[116:117], v[136:137], 3, v[114:115]
	flat_load_dwordx2 v[116:117], v[116:117]
	s_waitcnt vmcnt(0) lgkmcnt(0)
	v_mul_f64 v[116:117], s[22:23], v[116:117]
	v_cvt_f32_f64_e32 v116, v[116:117]
	s_branch .LBB121_158
.LBB121_157:
	v_mov_b32_e32 v116, 0
.LBB121_158:
	v_add_f64 v[118:119], v[38:39], v[110:111]
	v_add_f64 v[120:121], v[36:37], v[108:109]
	v_cvt_f32_f64_e32 v117, v[120:121]
	v_cvt_f32_f64_e32 v118, v[118:119]
	v_min3_f32 v117, v117, v118, v201
	v_add_f64 v[118:119], v[34:35], v[106:107]
	v_add_f64 v[120:121], v[32:33], v[104:105]
	v_cvt_f32_f64_e32 v120, v[120:121]
	v_cvt_f32_f64_e32 v118, v[118:119]
	v_min_f32_e32 v118, v120, v118
	v_min3_f32 v116, v116, v118, v117
	v_cvt_f64_f32_e32 v[116:117], v116
	v_lshl_add_u64 v[118:119], v[136:137], 3, v[112:113]
	flat_store_dwordx2 v[118:119], v[116:117]
	s_or_b64 exec, exec, s[26:27]
	s_and_b64 s[34:35], s[12:13], s[18:19]
	s_and_saveexec_b64 s[26:27], s[34:35]
	s_cbranch_execz .LBB121_137
.LBB121_159:
	s_and_b64 vcc, exec, s[0:1]
	s_cbranch_vccnz .LBB121_161
; %bb.160:
	v_lshl_add_u64 v[116:117], v[138:139], 3, v[114:115]
	flat_load_dwordx2 v[116:117], v[116:117]
	s_waitcnt vmcnt(0) lgkmcnt(0)
	v_mul_f64 v[116:117], s[22:23], v[116:117]
	v_cvt_f32_f64_e32 v116, v[116:117]
	s_branch .LBB121_162
.LBB121_161:
	v_mov_b32_e32 v116, 0
.LBB121_162:
	v_add_f64 v[118:119], v[30:31], v[110:111]
	v_add_f64 v[120:121], v[28:29], v[108:109]
	v_cvt_f32_f64_e32 v117, v[120:121]
	v_cvt_f32_f64_e32 v118, v[118:119]
	v_min3_f32 v117, v117, v118, v200
	v_add_f64 v[118:119], v[26:27], v[106:107]
	v_add_f64 v[120:121], v[24:25], v[104:105]
	v_cvt_f32_f64_e32 v120, v[120:121]
	v_cvt_f32_f64_e32 v118, v[118:119]
	v_min_f32_e32 v118, v120, v118
	v_min3_f32 v116, v116, v118, v117
	v_cvt_f64_f32_e32 v[116:117], v116
	v_lshl_add_u64 v[118:119], v[138:139], 3, v[112:113]
	flat_store_dwordx2 v[118:119], v[116:117]
	s_or_b64 exec, exec, s[26:27]
	s_and_b64 s[34:35], s[14:15], s[18:19]
	s_and_saveexec_b64 s[26:27], s[34:35]
	s_cbranch_execz .LBB121_138
.LBB121_163:
	s_and_b64 vcc, exec, s[0:1]
	s_cbranch_vccnz .LBB121_165
; %bb.164:
	v_lshl_add_u64 v[116:117], v[140:141], 3, v[114:115]
	flat_load_dwordx2 v[116:117], v[116:117]
	s_waitcnt vmcnt(0) lgkmcnt(0)
	v_mul_f64 v[116:117], s[22:23], v[116:117]
	v_cvt_f32_f64_e32 v116, v[116:117]
	s_branch .LBB121_166
.LBB121_165:
	v_mov_b32_e32 v116, 0
.LBB121_166:
	v_add_f64 v[118:119], v[22:23], v[110:111]
	v_add_f64 v[120:121], v[20:21], v[108:109]
	v_cvt_f32_f64_e32 v117, v[120:121]
	v_cvt_f32_f64_e32 v118, v[118:119]
	v_min3_f32 v117, v117, v118, v199
	v_add_f64 v[118:119], v[18:19], v[106:107]
	v_add_f64 v[120:121], v[16:17], v[104:105]
	v_cvt_f32_f64_e32 v120, v[120:121]
	v_cvt_f32_f64_e32 v118, v[118:119]
	v_min_f32_e32 v118, v120, v118
	v_min3_f32 v116, v116, v118, v117
	v_cvt_f64_f32_e32 v[116:117], v116
	v_lshl_add_u64 v[118:119], v[140:141], 3, v[112:113]
	flat_store_dwordx2 v[118:119], v[116:117]
	s_or_b64 exec, exec, s[26:27]
	s_and_b64 s[26:27], s[16:17], s[18:19]
	s_and_saveexec_b64 s[18:19], s[26:27]
	s_cbranch_execz .LBB121_171
.LBB121_167:
	s_and_b64 vcc, exec, s[0:1]
	s_cbranch_vccnz .LBB121_169
; %bb.168:
	v_lshl_add_u64 v[114:115], v[142:143], 3, v[114:115]
	flat_load_dwordx2 v[114:115], v[114:115]
	s_waitcnt vmcnt(0) lgkmcnt(0)
	v_mul_f64 v[114:115], s[22:23], v[114:115]
	v_cvt_f32_f64_e32 v114, v[114:115]
	s_branch .LBB121_170
.LBB121_169:
	v_mov_b32_e32 v114, 0
.LBB121_170:
	v_add_f64 v[110:111], v[6:7], v[110:111]
	v_add_f64 v[108:109], v[4:5], v[108:109]
	;; [unrolled: 1-line block ×4, first 2 shown]
	v_cvt_f32_f64_e32 v108, v[108:109]
	v_cvt_f32_f64_e32 v109, v[110:111]
	;; [unrolled: 1-line block ×4, first 2 shown]
	v_min3_f32 v108, v108, v109, v198
	v_min_f32_e32 v104, v104, v105
	v_min3_f32 v104, v114, v104, v108
	v_cvt_f64_f32_e32 v[104:105], v104
	v_lshl_add_u64 v[106:107], v[142:143], 3, v[112:113]
	flat_store_dwordx2 v[106:107], v[104:105]
.LBB121_171:
	s_or_b64 exec, exec, s[18:19]
	v_add_u32_e32 v108, 0x60, v148
	v_mad_i64_i32 v[104:105], s[26:27], v108, s31, 0
	v_cmp_gt_i32_e64 s[18:19], s25, v108
	v_lshl_add_u64 v[106:107], v[104:105], 3, s[28:29]
	v_mad_i64_i32 v[104:105], s[26:27], v108, s30, 0
	v_lshl_add_u64 v[104:105], v[104:105], 3, s[20:21]
	s_and_b64 s[34:35], s[2:3], s[18:19]
	s_and_saveexec_b64 s[26:27], s[34:35]
	s_cbranch_execnz .LBB121_179
; %bb.172:
	s_or_b64 exec, exec, s[26:27]
	s_and_b64 s[34:35], s[4:5], s[18:19]
	s_and_saveexec_b64 s[26:27], s[34:35]
	s_cbranch_execnz .LBB121_183
.LBB121_173:
	s_or_b64 exec, exec, s[26:27]
	s_and_b64 s[34:35], s[6:7], s[18:19]
	s_and_saveexec_b64 s[26:27], s[34:35]
	s_cbranch_execnz .LBB121_187
.LBB121_174:
	s_or_b64 exec, exec, s[26:27]
	s_and_b64 s[34:35], s[8:9], s[18:19]
	s_and_saveexec_b64 s[26:27], s[34:35]
	s_cbranch_execnz .LBB121_191
.LBB121_175:
	s_or_b64 exec, exec, s[26:27]
	s_and_b64 s[34:35], s[10:11], s[18:19]
	s_and_saveexec_b64 s[26:27], s[34:35]
	s_cbranch_execnz .LBB121_195
.LBB121_176:
	s_or_b64 exec, exec, s[26:27]
	s_and_b64 s[34:35], s[12:13], s[18:19]
	s_and_saveexec_b64 s[26:27], s[34:35]
	s_cbranch_execnz .LBB121_199
.LBB121_177:
	s_or_b64 exec, exec, s[26:27]
	s_and_b64 s[34:35], s[14:15], s[18:19]
	s_and_saveexec_b64 s[26:27], s[34:35]
	s_cbranch_execnz .LBB121_203
.LBB121_178:
	s_or_b64 exec, exec, s[26:27]
	s_and_b64 s[26:27], s[16:17], s[18:19]
	s_and_saveexec_b64 s[18:19], s[26:27]
	s_cbranch_execnz .LBB121_207
	s_branch .LBB121_211
.LBB121_179:
	s_and_b64 vcc, exec, s[0:1]
	s_cbranch_vccnz .LBB121_181
; %bb.180:
	v_lshl_add_u64 v[108:109], v[128:129], 3, v[106:107]
	flat_load_dwordx2 v[108:109], v[108:109]
	s_waitcnt vmcnt(0) lgkmcnt(0)
	v_mul_f64 v[108:109], s[22:23], v[108:109]
	v_cvt_f32_f64_e32 v108, v[108:109]
	s_branch .LBB121_182
.LBB121_181:
	v_mov_b32_e32 v108, 0
.LBB121_182:
	v_add_f64 v[110:111], v[70:71], v[102:103]
	v_add_f64 v[112:113], v[68:69], v[100:101]
	v_cvt_f32_f64_e32 v109, v[112:113]
	v_cvt_f32_f64_e32 v110, v[110:111]
	v_min3_f32 v109, v109, v110, v197
	v_add_f64 v[110:111], v[66:67], v[98:99]
	v_add_f64 v[112:113], v[64:65], v[96:97]
	v_cvt_f32_f64_e32 v112, v[112:113]
	v_cvt_f32_f64_e32 v110, v[110:111]
	v_min_f32_e32 v110, v112, v110
	v_min3_f32 v108, v108, v110, v109
	v_cvt_f64_f32_e32 v[108:109], v108
	v_lshl_add_u64 v[110:111], v[128:129], 3, v[104:105]
	flat_store_dwordx2 v[110:111], v[108:109]
	s_or_b64 exec, exec, s[26:27]
	s_and_b64 s[34:35], s[4:5], s[18:19]
	s_and_saveexec_b64 s[26:27], s[34:35]
	s_cbranch_execz .LBB121_173
.LBB121_183:
	s_and_b64 vcc, exec, s[0:1]
	s_cbranch_vccnz .LBB121_185
; %bb.184:
	v_lshl_add_u64 v[108:109], v[130:131], 3, v[106:107]
	flat_load_dwordx2 v[108:109], v[108:109]
	s_waitcnt vmcnt(0) lgkmcnt(0)
	v_mul_f64 v[108:109], s[22:23], v[108:109]
	v_cvt_f32_f64_e32 v108, v[108:109]
	s_branch .LBB121_186
.LBB121_185:
	v_mov_b32_e32 v108, 0
.LBB121_186:
	v_add_f64 v[110:111], v[62:63], v[102:103]
	v_add_f64 v[112:113], v[60:61], v[100:101]
	v_cvt_f32_f64_e32 v109, v[112:113]
	v_cvt_f32_f64_e32 v110, v[110:111]
	v_min3_f32 v109, v109, v110, v196
	v_add_f64 v[110:111], v[58:59], v[98:99]
	v_add_f64 v[112:113], v[56:57], v[96:97]
	v_cvt_f32_f64_e32 v112, v[112:113]
	v_cvt_f32_f64_e32 v110, v[110:111]
	v_min_f32_e32 v110, v112, v110
	v_min3_f32 v108, v108, v110, v109
	v_cvt_f64_f32_e32 v[108:109], v108
	v_lshl_add_u64 v[110:111], v[130:131], 3, v[104:105]
	flat_store_dwordx2 v[110:111], v[108:109]
	s_or_b64 exec, exec, s[26:27]
	s_and_b64 s[34:35], s[6:7], s[18:19]
	s_and_saveexec_b64 s[26:27], s[34:35]
	s_cbranch_execz .LBB121_174
.LBB121_187:
	s_and_b64 vcc, exec, s[0:1]
	s_cbranch_vccnz .LBB121_189
; %bb.188:
	v_lshl_add_u64 v[108:109], v[132:133], 3, v[106:107]
	flat_load_dwordx2 v[108:109], v[108:109]
	s_waitcnt vmcnt(0) lgkmcnt(0)
	v_mul_f64 v[108:109], s[22:23], v[108:109]
	v_cvt_f32_f64_e32 v108, v[108:109]
	s_branch .LBB121_190
.LBB121_189:
	v_mov_b32_e32 v108, 0
.LBB121_190:
	v_add_f64 v[110:111], v[54:55], v[102:103]
	v_add_f64 v[112:113], v[52:53], v[100:101]
	v_cvt_f32_f64_e32 v109, v[112:113]
	v_cvt_f32_f64_e32 v110, v[110:111]
	v_min3_f32 v109, v109, v110, v195
	v_add_f64 v[110:111], v[50:51], v[98:99]
	v_add_f64 v[112:113], v[48:49], v[96:97]
	v_cvt_f32_f64_e32 v112, v[112:113]
	v_cvt_f32_f64_e32 v110, v[110:111]
	v_min_f32_e32 v110, v112, v110
	v_min3_f32 v108, v108, v110, v109
	v_cvt_f64_f32_e32 v[108:109], v108
	v_lshl_add_u64 v[110:111], v[132:133], 3, v[104:105]
	flat_store_dwordx2 v[110:111], v[108:109]
	s_or_b64 exec, exec, s[26:27]
	s_and_b64 s[34:35], s[8:9], s[18:19]
	s_and_saveexec_b64 s[26:27], s[34:35]
	s_cbranch_execz .LBB121_175
.LBB121_191:
	s_and_b64 vcc, exec, s[0:1]
	s_cbranch_vccnz .LBB121_193
; %bb.192:
	v_lshl_add_u64 v[108:109], v[134:135], 3, v[106:107]
	flat_load_dwordx2 v[108:109], v[108:109]
	s_waitcnt vmcnt(0) lgkmcnt(0)
	v_mul_f64 v[108:109], s[22:23], v[108:109]
	v_cvt_f32_f64_e32 v108, v[108:109]
	s_branch .LBB121_194
.LBB121_193:
	v_mov_b32_e32 v108, 0
.LBB121_194:
	v_add_f64 v[110:111], v[46:47], v[102:103]
	v_add_f64 v[112:113], v[44:45], v[100:101]
	v_cvt_f32_f64_e32 v109, v[112:113]
	v_cvt_f32_f64_e32 v110, v[110:111]
	v_min3_f32 v109, v109, v110, v194
	v_add_f64 v[110:111], v[42:43], v[98:99]
	v_add_f64 v[112:113], v[40:41], v[96:97]
	v_cvt_f32_f64_e32 v112, v[112:113]
	v_cvt_f32_f64_e32 v110, v[110:111]
	v_min_f32_e32 v110, v112, v110
	v_min3_f32 v108, v108, v110, v109
	v_cvt_f64_f32_e32 v[108:109], v108
	v_lshl_add_u64 v[110:111], v[134:135], 3, v[104:105]
	flat_store_dwordx2 v[110:111], v[108:109]
	s_or_b64 exec, exec, s[26:27]
	s_and_b64 s[34:35], s[10:11], s[18:19]
	s_and_saveexec_b64 s[26:27], s[34:35]
	s_cbranch_execz .LBB121_176
.LBB121_195:
	s_and_b64 vcc, exec, s[0:1]
	s_cbranch_vccnz .LBB121_197
; %bb.196:
	v_lshl_add_u64 v[108:109], v[136:137], 3, v[106:107]
	flat_load_dwordx2 v[108:109], v[108:109]
	s_waitcnt vmcnt(0) lgkmcnt(0)
	v_mul_f64 v[108:109], s[22:23], v[108:109]
	v_cvt_f32_f64_e32 v108, v[108:109]
	s_branch .LBB121_198
.LBB121_197:
	v_mov_b32_e32 v108, 0
.LBB121_198:
	v_add_f64 v[110:111], v[38:39], v[102:103]
	v_add_f64 v[112:113], v[36:37], v[100:101]
	v_cvt_f32_f64_e32 v109, v[112:113]
	v_cvt_f32_f64_e32 v110, v[110:111]
	v_min3_f32 v109, v109, v110, v193
	v_add_f64 v[110:111], v[34:35], v[98:99]
	v_add_f64 v[112:113], v[32:33], v[96:97]
	v_cvt_f32_f64_e32 v112, v[112:113]
	v_cvt_f32_f64_e32 v110, v[110:111]
	v_min_f32_e32 v110, v112, v110
	v_min3_f32 v108, v108, v110, v109
	v_cvt_f64_f32_e32 v[108:109], v108
	v_lshl_add_u64 v[110:111], v[136:137], 3, v[104:105]
	flat_store_dwordx2 v[110:111], v[108:109]
	s_or_b64 exec, exec, s[26:27]
	s_and_b64 s[34:35], s[12:13], s[18:19]
	s_and_saveexec_b64 s[26:27], s[34:35]
	s_cbranch_execz .LBB121_177
.LBB121_199:
	s_and_b64 vcc, exec, s[0:1]
	s_cbranch_vccnz .LBB121_201
; %bb.200:
	v_lshl_add_u64 v[108:109], v[138:139], 3, v[106:107]
	flat_load_dwordx2 v[108:109], v[108:109]
	s_waitcnt vmcnt(0) lgkmcnt(0)
	v_mul_f64 v[108:109], s[22:23], v[108:109]
	v_cvt_f32_f64_e32 v108, v[108:109]
	s_branch .LBB121_202
.LBB121_201:
	v_mov_b32_e32 v108, 0
.LBB121_202:
	v_add_f64 v[110:111], v[30:31], v[102:103]
	v_add_f64 v[112:113], v[28:29], v[100:101]
	v_cvt_f32_f64_e32 v109, v[112:113]
	v_cvt_f32_f64_e32 v110, v[110:111]
	v_min3_f32 v109, v109, v110, v192
	v_add_f64 v[110:111], v[26:27], v[98:99]
	v_add_f64 v[112:113], v[24:25], v[96:97]
	v_cvt_f32_f64_e32 v112, v[112:113]
	v_cvt_f32_f64_e32 v110, v[110:111]
	v_min_f32_e32 v110, v112, v110
	v_min3_f32 v108, v108, v110, v109
	v_cvt_f64_f32_e32 v[108:109], v108
	v_lshl_add_u64 v[110:111], v[138:139], 3, v[104:105]
	flat_store_dwordx2 v[110:111], v[108:109]
	s_or_b64 exec, exec, s[26:27]
	s_and_b64 s[34:35], s[14:15], s[18:19]
	s_and_saveexec_b64 s[26:27], s[34:35]
	s_cbranch_execz .LBB121_178
.LBB121_203:
	s_and_b64 vcc, exec, s[0:1]
	s_cbranch_vccnz .LBB121_205
; %bb.204:
	v_lshl_add_u64 v[108:109], v[140:141], 3, v[106:107]
	flat_load_dwordx2 v[108:109], v[108:109]
	s_waitcnt vmcnt(0) lgkmcnt(0)
	v_mul_f64 v[108:109], s[22:23], v[108:109]
	v_cvt_f32_f64_e32 v108, v[108:109]
	s_branch .LBB121_206
.LBB121_205:
	v_mov_b32_e32 v108, 0
.LBB121_206:
	v_add_f64 v[110:111], v[22:23], v[102:103]
	v_add_f64 v[112:113], v[20:21], v[100:101]
	v_cvt_f32_f64_e32 v109, v[112:113]
	v_cvt_f32_f64_e32 v110, v[110:111]
	v_min3_f32 v109, v109, v110, v191
	v_add_f64 v[110:111], v[18:19], v[98:99]
	v_add_f64 v[112:113], v[16:17], v[96:97]
	v_cvt_f32_f64_e32 v112, v[112:113]
	v_cvt_f32_f64_e32 v110, v[110:111]
	v_min_f32_e32 v110, v112, v110
	v_min3_f32 v108, v108, v110, v109
	v_cvt_f64_f32_e32 v[108:109], v108
	v_lshl_add_u64 v[110:111], v[140:141], 3, v[104:105]
	flat_store_dwordx2 v[110:111], v[108:109]
	s_or_b64 exec, exec, s[26:27]
	s_and_b64 s[26:27], s[16:17], s[18:19]
	s_and_saveexec_b64 s[18:19], s[26:27]
	s_cbranch_execz .LBB121_211
.LBB121_207:
	s_and_b64 vcc, exec, s[0:1]
	s_cbranch_vccnz .LBB121_209
; %bb.208:
	v_lshl_add_u64 v[106:107], v[142:143], 3, v[106:107]
	flat_load_dwordx2 v[106:107], v[106:107]
	s_waitcnt vmcnt(0) lgkmcnt(0)
	v_mul_f64 v[106:107], s[22:23], v[106:107]
	v_cvt_f32_f64_e32 v106, v[106:107]
	s_branch .LBB121_210
.LBB121_209:
	v_mov_b32_e32 v106, 0
.LBB121_210:
	v_add_f64 v[102:103], v[6:7], v[102:103]
	v_add_f64 v[100:101], v[4:5], v[100:101]
	;; [unrolled: 1-line block ×4, first 2 shown]
	v_cvt_f32_f64_e32 v100, v[100:101]
	v_cvt_f32_f64_e32 v101, v[102:103]
	;; [unrolled: 1-line block ×4, first 2 shown]
	v_min3_f32 v100, v100, v101, v190
	v_min_f32_e32 v96, v96, v97
	v_min3_f32 v96, v106, v96, v100
	v_cvt_f64_f32_e32 v[96:97], v96
	v_lshl_add_u64 v[98:99], v[142:143], 3, v[104:105]
	flat_store_dwordx2 v[98:99], v[96:97]
.LBB121_211:
	s_or_b64 exec, exec, s[18:19]
	v_add_u32_e32 v100, 0x80, v148
	v_mad_i64_i32 v[96:97], s[26:27], v100, s31, 0
	v_cmp_gt_i32_e64 s[18:19], s25, v100
	v_lshl_add_u64 v[98:99], v[96:97], 3, s[28:29]
	v_mad_i64_i32 v[96:97], s[26:27], v100, s30, 0
	v_lshl_add_u64 v[96:97], v[96:97], 3, s[20:21]
	s_and_b64 s[34:35], s[2:3], s[18:19]
	s_and_saveexec_b64 s[26:27], s[34:35]
	s_cbranch_execnz .LBB121_219
; %bb.212:
	s_or_b64 exec, exec, s[26:27]
	s_and_b64 s[34:35], s[4:5], s[18:19]
	s_and_saveexec_b64 s[26:27], s[34:35]
	s_cbranch_execnz .LBB121_223
.LBB121_213:
	s_or_b64 exec, exec, s[26:27]
	s_and_b64 s[34:35], s[6:7], s[18:19]
	s_and_saveexec_b64 s[26:27], s[34:35]
	s_cbranch_execnz .LBB121_227
.LBB121_214:
	s_or_b64 exec, exec, s[26:27]
	s_and_b64 s[34:35], s[8:9], s[18:19]
	s_and_saveexec_b64 s[26:27], s[34:35]
	s_cbranch_execnz .LBB121_231
.LBB121_215:
	s_or_b64 exec, exec, s[26:27]
	s_and_b64 s[34:35], s[10:11], s[18:19]
	s_and_saveexec_b64 s[26:27], s[34:35]
	s_cbranch_execnz .LBB121_235
.LBB121_216:
	s_or_b64 exec, exec, s[26:27]
	s_and_b64 s[34:35], s[12:13], s[18:19]
	s_and_saveexec_b64 s[26:27], s[34:35]
	s_cbranch_execnz .LBB121_239
.LBB121_217:
	s_or_b64 exec, exec, s[26:27]
	s_and_b64 s[34:35], s[14:15], s[18:19]
	s_and_saveexec_b64 s[26:27], s[34:35]
	s_cbranch_execnz .LBB121_243
.LBB121_218:
	s_or_b64 exec, exec, s[26:27]
	s_and_b64 s[26:27], s[16:17], s[18:19]
	s_and_saveexec_b64 s[18:19], s[26:27]
	s_cbranch_execnz .LBB121_247
	s_branch .LBB121_251
.LBB121_219:
	s_and_b64 vcc, exec, s[0:1]
	s_cbranch_vccnz .LBB121_221
; %bb.220:
	v_lshl_add_u64 v[100:101], v[128:129], 3, v[98:99]
	flat_load_dwordx2 v[100:101], v[100:101]
	s_waitcnt vmcnt(0) lgkmcnt(0)
	v_mul_f64 v[100:101], s[22:23], v[100:101]
	v_cvt_f32_f64_e32 v100, v[100:101]
	s_branch .LBB121_222
.LBB121_221:
	v_mov_b32_e32 v100, 0
.LBB121_222:
	v_add_f64 v[102:103], v[70:71], v[94:95]
	v_add_f64 v[104:105], v[68:69], v[92:93]
	v_cvt_f32_f64_e32 v101, v[104:105]
	v_cvt_f32_f64_e32 v102, v[102:103]
	v_min3_f32 v101, v101, v102, v189
	v_add_f64 v[102:103], v[66:67], v[90:91]
	v_add_f64 v[104:105], v[64:65], v[88:89]
	v_cvt_f32_f64_e32 v104, v[104:105]
	v_cvt_f32_f64_e32 v102, v[102:103]
	v_min_f32_e32 v102, v104, v102
	v_min3_f32 v100, v100, v102, v101
	v_cvt_f64_f32_e32 v[100:101], v100
	v_lshl_add_u64 v[102:103], v[128:129], 3, v[96:97]
	flat_store_dwordx2 v[102:103], v[100:101]
	s_or_b64 exec, exec, s[26:27]
	s_and_b64 s[34:35], s[4:5], s[18:19]
	s_and_saveexec_b64 s[26:27], s[34:35]
	s_cbranch_execz .LBB121_213
.LBB121_223:
	s_and_b64 vcc, exec, s[0:1]
	s_cbranch_vccnz .LBB121_225
; %bb.224:
	v_lshl_add_u64 v[100:101], v[130:131], 3, v[98:99]
	flat_load_dwordx2 v[100:101], v[100:101]
	s_waitcnt vmcnt(0) lgkmcnt(0)
	v_mul_f64 v[100:101], s[22:23], v[100:101]
	v_cvt_f32_f64_e32 v100, v[100:101]
	s_branch .LBB121_226
.LBB121_225:
	v_mov_b32_e32 v100, 0
.LBB121_226:
	v_add_f64 v[102:103], v[62:63], v[94:95]
	v_add_f64 v[104:105], v[60:61], v[92:93]
	v_cvt_f32_f64_e32 v101, v[104:105]
	v_cvt_f32_f64_e32 v102, v[102:103]
	v_min3_f32 v101, v101, v102, v188
	v_add_f64 v[102:103], v[58:59], v[90:91]
	v_add_f64 v[104:105], v[56:57], v[88:89]
	v_cvt_f32_f64_e32 v104, v[104:105]
	v_cvt_f32_f64_e32 v102, v[102:103]
	v_min_f32_e32 v102, v104, v102
	v_min3_f32 v100, v100, v102, v101
	v_cvt_f64_f32_e32 v[100:101], v100
	v_lshl_add_u64 v[102:103], v[130:131], 3, v[96:97]
	flat_store_dwordx2 v[102:103], v[100:101]
	s_or_b64 exec, exec, s[26:27]
	s_and_b64 s[34:35], s[6:7], s[18:19]
	s_and_saveexec_b64 s[26:27], s[34:35]
	s_cbranch_execz .LBB121_214
.LBB121_227:
	s_and_b64 vcc, exec, s[0:1]
	s_cbranch_vccnz .LBB121_229
; %bb.228:
	v_lshl_add_u64 v[100:101], v[132:133], 3, v[98:99]
	flat_load_dwordx2 v[100:101], v[100:101]
	s_waitcnt vmcnt(0) lgkmcnt(0)
	v_mul_f64 v[100:101], s[22:23], v[100:101]
	v_cvt_f32_f64_e32 v100, v[100:101]
	s_branch .LBB121_230
.LBB121_229:
	v_mov_b32_e32 v100, 0
.LBB121_230:
	v_add_f64 v[102:103], v[54:55], v[94:95]
	v_add_f64 v[104:105], v[52:53], v[92:93]
	v_cvt_f32_f64_e32 v101, v[104:105]
	v_cvt_f32_f64_e32 v102, v[102:103]
	v_min3_f32 v101, v101, v102, v187
	v_add_f64 v[102:103], v[50:51], v[90:91]
	v_add_f64 v[104:105], v[48:49], v[88:89]
	v_cvt_f32_f64_e32 v104, v[104:105]
	v_cvt_f32_f64_e32 v102, v[102:103]
	v_min_f32_e32 v102, v104, v102
	v_min3_f32 v100, v100, v102, v101
	v_cvt_f64_f32_e32 v[100:101], v100
	v_lshl_add_u64 v[102:103], v[132:133], 3, v[96:97]
	flat_store_dwordx2 v[102:103], v[100:101]
	s_or_b64 exec, exec, s[26:27]
	s_and_b64 s[34:35], s[8:9], s[18:19]
	s_and_saveexec_b64 s[26:27], s[34:35]
	s_cbranch_execz .LBB121_215
.LBB121_231:
	s_and_b64 vcc, exec, s[0:1]
	s_cbranch_vccnz .LBB121_233
; %bb.232:
	v_lshl_add_u64 v[100:101], v[134:135], 3, v[98:99]
	flat_load_dwordx2 v[100:101], v[100:101]
	s_waitcnt vmcnt(0) lgkmcnt(0)
	v_mul_f64 v[100:101], s[22:23], v[100:101]
	v_cvt_f32_f64_e32 v100, v[100:101]
	s_branch .LBB121_234
.LBB121_233:
	v_mov_b32_e32 v100, 0
.LBB121_234:
	v_add_f64 v[102:103], v[46:47], v[94:95]
	v_add_f64 v[104:105], v[44:45], v[92:93]
	v_cvt_f32_f64_e32 v101, v[104:105]
	v_cvt_f32_f64_e32 v102, v[102:103]
	v_min3_f32 v101, v101, v102, v186
	v_add_f64 v[102:103], v[42:43], v[90:91]
	v_add_f64 v[104:105], v[40:41], v[88:89]
	v_cvt_f32_f64_e32 v104, v[104:105]
	v_cvt_f32_f64_e32 v102, v[102:103]
	v_min_f32_e32 v102, v104, v102
	v_min3_f32 v100, v100, v102, v101
	v_cvt_f64_f32_e32 v[100:101], v100
	v_lshl_add_u64 v[102:103], v[134:135], 3, v[96:97]
	flat_store_dwordx2 v[102:103], v[100:101]
	s_or_b64 exec, exec, s[26:27]
	s_and_b64 s[34:35], s[10:11], s[18:19]
	s_and_saveexec_b64 s[26:27], s[34:35]
	s_cbranch_execz .LBB121_216
.LBB121_235:
	s_and_b64 vcc, exec, s[0:1]
	s_cbranch_vccnz .LBB121_237
; %bb.236:
	v_lshl_add_u64 v[100:101], v[136:137], 3, v[98:99]
	flat_load_dwordx2 v[100:101], v[100:101]
	s_waitcnt vmcnt(0) lgkmcnt(0)
	v_mul_f64 v[100:101], s[22:23], v[100:101]
	v_cvt_f32_f64_e32 v100, v[100:101]
	s_branch .LBB121_238
.LBB121_237:
	v_mov_b32_e32 v100, 0
.LBB121_238:
	v_add_f64 v[102:103], v[38:39], v[94:95]
	v_add_f64 v[104:105], v[36:37], v[92:93]
	v_cvt_f32_f64_e32 v101, v[104:105]
	v_cvt_f32_f64_e32 v102, v[102:103]
	v_min3_f32 v101, v101, v102, v185
	v_add_f64 v[102:103], v[34:35], v[90:91]
	v_add_f64 v[104:105], v[32:33], v[88:89]
	v_cvt_f32_f64_e32 v104, v[104:105]
	v_cvt_f32_f64_e32 v102, v[102:103]
	v_min_f32_e32 v102, v104, v102
	v_min3_f32 v100, v100, v102, v101
	v_cvt_f64_f32_e32 v[100:101], v100
	v_lshl_add_u64 v[102:103], v[136:137], 3, v[96:97]
	flat_store_dwordx2 v[102:103], v[100:101]
	s_or_b64 exec, exec, s[26:27]
	s_and_b64 s[34:35], s[12:13], s[18:19]
	s_and_saveexec_b64 s[26:27], s[34:35]
	s_cbranch_execz .LBB121_217
.LBB121_239:
	s_and_b64 vcc, exec, s[0:1]
	s_cbranch_vccnz .LBB121_241
; %bb.240:
	v_lshl_add_u64 v[100:101], v[138:139], 3, v[98:99]
	flat_load_dwordx2 v[100:101], v[100:101]
	s_waitcnt vmcnt(0) lgkmcnt(0)
	v_mul_f64 v[100:101], s[22:23], v[100:101]
	v_cvt_f32_f64_e32 v100, v[100:101]
	s_branch .LBB121_242
.LBB121_241:
	v_mov_b32_e32 v100, 0
.LBB121_242:
	v_add_f64 v[102:103], v[30:31], v[94:95]
	v_add_f64 v[104:105], v[28:29], v[92:93]
	v_cvt_f32_f64_e32 v101, v[104:105]
	v_cvt_f32_f64_e32 v102, v[102:103]
	v_min3_f32 v101, v101, v102, v184
	v_add_f64 v[102:103], v[26:27], v[90:91]
	v_add_f64 v[104:105], v[24:25], v[88:89]
	v_cvt_f32_f64_e32 v104, v[104:105]
	v_cvt_f32_f64_e32 v102, v[102:103]
	v_min_f32_e32 v102, v104, v102
	v_min3_f32 v100, v100, v102, v101
	v_cvt_f64_f32_e32 v[100:101], v100
	v_lshl_add_u64 v[102:103], v[138:139], 3, v[96:97]
	flat_store_dwordx2 v[102:103], v[100:101]
	s_or_b64 exec, exec, s[26:27]
	s_and_b64 s[34:35], s[14:15], s[18:19]
	s_and_saveexec_b64 s[26:27], s[34:35]
	s_cbranch_execz .LBB121_218
.LBB121_243:
	s_and_b64 vcc, exec, s[0:1]
	s_cbranch_vccnz .LBB121_245
; %bb.244:
	v_lshl_add_u64 v[100:101], v[140:141], 3, v[98:99]
	flat_load_dwordx2 v[100:101], v[100:101]
	s_waitcnt vmcnt(0) lgkmcnt(0)
	v_mul_f64 v[100:101], s[22:23], v[100:101]
	v_cvt_f32_f64_e32 v100, v[100:101]
	s_branch .LBB121_246
.LBB121_245:
	v_mov_b32_e32 v100, 0
.LBB121_246:
	v_add_f64 v[102:103], v[22:23], v[94:95]
	v_add_f64 v[104:105], v[20:21], v[92:93]
	v_cvt_f32_f64_e32 v101, v[104:105]
	v_cvt_f32_f64_e32 v102, v[102:103]
	v_min3_f32 v101, v101, v102, v183
	v_add_f64 v[102:103], v[18:19], v[90:91]
	v_add_f64 v[104:105], v[16:17], v[88:89]
	v_cvt_f32_f64_e32 v104, v[104:105]
	v_cvt_f32_f64_e32 v102, v[102:103]
	v_min_f32_e32 v102, v104, v102
	v_min3_f32 v100, v100, v102, v101
	v_cvt_f64_f32_e32 v[100:101], v100
	v_lshl_add_u64 v[102:103], v[140:141], 3, v[96:97]
	flat_store_dwordx2 v[102:103], v[100:101]
	s_or_b64 exec, exec, s[26:27]
	s_and_b64 s[26:27], s[16:17], s[18:19]
	s_and_saveexec_b64 s[18:19], s[26:27]
	s_cbranch_execz .LBB121_251
.LBB121_247:
	s_and_b64 vcc, exec, s[0:1]
	s_cbranch_vccnz .LBB121_249
; %bb.248:
	v_lshl_add_u64 v[98:99], v[142:143], 3, v[98:99]
	flat_load_dwordx2 v[98:99], v[98:99]
	s_waitcnt vmcnt(0) lgkmcnt(0)
	v_mul_f64 v[98:99], s[22:23], v[98:99]
	v_cvt_f32_f64_e32 v98, v[98:99]
	s_branch .LBB121_250
.LBB121_249:
	v_mov_b32_e32 v98, 0
.LBB121_250:
	v_add_f64 v[94:95], v[6:7], v[94:95]
	v_add_f64 v[92:93], v[4:5], v[92:93]
	;; [unrolled: 1-line block ×4, first 2 shown]
	v_cvt_f32_f64_e32 v92, v[92:93]
	v_cvt_f32_f64_e32 v93, v[94:95]
	v_cvt_f32_f64_e32 v88, v[88:89]
	v_cvt_f32_f64_e32 v89, v[90:91]
	v_min3_f32 v92, v92, v93, v182
	v_min_f32_e32 v88, v88, v89
	v_min3_f32 v88, v98, v88, v92
	v_cvt_f64_f32_e32 v[88:89], v88
	v_lshl_add_u64 v[90:91], v[142:143], 3, v[96:97]
	flat_store_dwordx2 v[90:91], v[88:89]
.LBB121_251:
	s_or_b64 exec, exec, s[18:19]
	v_add_u32_e32 v92, 0xa0, v148
	v_mad_i64_i32 v[88:89], s[26:27], v92, s31, 0
	v_cmp_gt_i32_e64 s[18:19], s25, v92
	v_lshl_add_u64 v[90:91], v[88:89], 3, s[28:29]
	v_mad_i64_i32 v[88:89], s[26:27], v92, s30, 0
	v_lshl_add_u64 v[88:89], v[88:89], 3, s[20:21]
	s_and_b64 s[34:35], s[2:3], s[18:19]
	s_and_saveexec_b64 s[26:27], s[34:35]
	s_cbranch_execnz .LBB121_259
; %bb.252:
	s_or_b64 exec, exec, s[26:27]
	s_and_b64 s[34:35], s[4:5], s[18:19]
	s_and_saveexec_b64 s[26:27], s[34:35]
	s_cbranch_execnz .LBB121_263
.LBB121_253:
	s_or_b64 exec, exec, s[26:27]
	s_and_b64 s[34:35], s[6:7], s[18:19]
	s_and_saveexec_b64 s[26:27], s[34:35]
	s_cbranch_execnz .LBB121_267
.LBB121_254:
	s_or_b64 exec, exec, s[26:27]
	s_and_b64 s[34:35], s[8:9], s[18:19]
	s_and_saveexec_b64 s[26:27], s[34:35]
	s_cbranch_execnz .LBB121_271
.LBB121_255:
	s_or_b64 exec, exec, s[26:27]
	s_and_b64 s[34:35], s[10:11], s[18:19]
	s_and_saveexec_b64 s[26:27], s[34:35]
	s_cbranch_execnz .LBB121_275
.LBB121_256:
	s_or_b64 exec, exec, s[26:27]
	s_and_b64 s[34:35], s[12:13], s[18:19]
	s_and_saveexec_b64 s[26:27], s[34:35]
	s_cbranch_execnz .LBB121_279
.LBB121_257:
	s_or_b64 exec, exec, s[26:27]
	s_and_b64 s[34:35], s[14:15], s[18:19]
	s_and_saveexec_b64 s[26:27], s[34:35]
	s_cbranch_execnz .LBB121_283
.LBB121_258:
	s_or_b64 exec, exec, s[26:27]
	s_and_b64 s[26:27], s[16:17], s[18:19]
	s_and_saveexec_b64 s[18:19], s[26:27]
	s_cbranch_execnz .LBB121_287
	s_branch .LBB121_291
.LBB121_259:
	s_and_b64 vcc, exec, s[0:1]
	s_cbranch_vccnz .LBB121_261
; %bb.260:
	v_lshl_add_u64 v[92:93], v[128:129], 3, v[90:91]
	flat_load_dwordx2 v[92:93], v[92:93]
	s_waitcnt vmcnt(0) lgkmcnt(0)
	v_mul_f64 v[92:93], s[22:23], v[92:93]
	v_cvt_f32_f64_e32 v92, v[92:93]
	s_branch .LBB121_262
.LBB121_261:
	v_mov_b32_e32 v92, 0
.LBB121_262:
	v_add_f64 v[94:95], v[70:71], v[86:87]
	v_add_f64 v[96:97], v[68:69], v[84:85]
	v_cvt_f32_f64_e32 v93, v[96:97]
	v_cvt_f32_f64_e32 v94, v[94:95]
	v_min3_f32 v93, v93, v94, v181
	v_add_f64 v[94:95], v[66:67], v[82:83]
	v_add_f64 v[96:97], v[64:65], v[80:81]
	v_cvt_f32_f64_e32 v96, v[96:97]
	v_cvt_f32_f64_e32 v94, v[94:95]
	v_min_f32_e32 v94, v96, v94
	v_min3_f32 v92, v92, v94, v93
	v_cvt_f64_f32_e32 v[92:93], v92
	v_lshl_add_u64 v[94:95], v[128:129], 3, v[88:89]
	flat_store_dwordx2 v[94:95], v[92:93]
	s_or_b64 exec, exec, s[26:27]
	s_and_b64 s[34:35], s[4:5], s[18:19]
	s_and_saveexec_b64 s[26:27], s[34:35]
	s_cbranch_execz .LBB121_253
.LBB121_263:
	s_and_b64 vcc, exec, s[0:1]
	s_cbranch_vccnz .LBB121_265
; %bb.264:
	v_lshl_add_u64 v[92:93], v[130:131], 3, v[90:91]
	flat_load_dwordx2 v[92:93], v[92:93]
	s_waitcnt vmcnt(0) lgkmcnt(0)
	v_mul_f64 v[92:93], s[22:23], v[92:93]
	v_cvt_f32_f64_e32 v92, v[92:93]
	s_branch .LBB121_266
.LBB121_265:
	v_mov_b32_e32 v92, 0
.LBB121_266:
	v_add_f64 v[94:95], v[62:63], v[86:87]
	v_add_f64 v[96:97], v[60:61], v[84:85]
	v_cvt_f32_f64_e32 v93, v[96:97]
	v_cvt_f32_f64_e32 v94, v[94:95]
	v_min3_f32 v93, v93, v94, v180
	v_add_f64 v[94:95], v[58:59], v[82:83]
	v_add_f64 v[96:97], v[56:57], v[80:81]
	v_cvt_f32_f64_e32 v96, v[96:97]
	v_cvt_f32_f64_e32 v94, v[94:95]
	v_min_f32_e32 v94, v96, v94
	v_min3_f32 v92, v92, v94, v93
	v_cvt_f64_f32_e32 v[92:93], v92
	v_lshl_add_u64 v[94:95], v[130:131], 3, v[88:89]
	flat_store_dwordx2 v[94:95], v[92:93]
	s_or_b64 exec, exec, s[26:27]
	s_and_b64 s[34:35], s[6:7], s[18:19]
	s_and_saveexec_b64 s[26:27], s[34:35]
	s_cbranch_execz .LBB121_254
.LBB121_267:
	s_and_b64 vcc, exec, s[0:1]
	s_cbranch_vccnz .LBB121_269
; %bb.268:
	v_lshl_add_u64 v[92:93], v[132:133], 3, v[90:91]
	flat_load_dwordx2 v[92:93], v[92:93]
	s_waitcnt vmcnt(0) lgkmcnt(0)
	v_mul_f64 v[92:93], s[22:23], v[92:93]
	v_cvt_f32_f64_e32 v92, v[92:93]
	s_branch .LBB121_270
.LBB121_269:
	v_mov_b32_e32 v92, 0
.LBB121_270:
	v_add_f64 v[94:95], v[54:55], v[86:87]
	v_add_f64 v[96:97], v[52:53], v[84:85]
	v_cvt_f32_f64_e32 v93, v[96:97]
	v_cvt_f32_f64_e32 v94, v[94:95]
	v_min3_f32 v93, v93, v94, v179
	v_add_f64 v[94:95], v[50:51], v[82:83]
	v_add_f64 v[96:97], v[48:49], v[80:81]
	v_cvt_f32_f64_e32 v96, v[96:97]
	v_cvt_f32_f64_e32 v94, v[94:95]
	v_min_f32_e32 v94, v96, v94
	v_min3_f32 v92, v92, v94, v93
	v_cvt_f64_f32_e32 v[92:93], v92
	v_lshl_add_u64 v[94:95], v[132:133], 3, v[88:89]
	flat_store_dwordx2 v[94:95], v[92:93]
	s_or_b64 exec, exec, s[26:27]
	s_and_b64 s[34:35], s[8:9], s[18:19]
	s_and_saveexec_b64 s[26:27], s[34:35]
	s_cbranch_execz .LBB121_255
.LBB121_271:
	s_and_b64 vcc, exec, s[0:1]
	s_cbranch_vccnz .LBB121_273
; %bb.272:
	v_lshl_add_u64 v[92:93], v[134:135], 3, v[90:91]
	flat_load_dwordx2 v[92:93], v[92:93]
	s_waitcnt vmcnt(0) lgkmcnt(0)
	v_mul_f64 v[92:93], s[22:23], v[92:93]
	v_cvt_f32_f64_e32 v92, v[92:93]
	s_branch .LBB121_274
.LBB121_273:
	v_mov_b32_e32 v92, 0
.LBB121_274:
	v_add_f64 v[94:95], v[46:47], v[86:87]
	v_add_f64 v[96:97], v[44:45], v[84:85]
	v_cvt_f32_f64_e32 v93, v[96:97]
	v_cvt_f32_f64_e32 v94, v[94:95]
	v_min3_f32 v93, v93, v94, v178
	v_add_f64 v[94:95], v[42:43], v[82:83]
	v_add_f64 v[96:97], v[40:41], v[80:81]
	v_cvt_f32_f64_e32 v96, v[96:97]
	v_cvt_f32_f64_e32 v94, v[94:95]
	v_min_f32_e32 v94, v96, v94
	v_min3_f32 v92, v92, v94, v93
	v_cvt_f64_f32_e32 v[92:93], v92
	v_lshl_add_u64 v[94:95], v[134:135], 3, v[88:89]
	flat_store_dwordx2 v[94:95], v[92:93]
	s_or_b64 exec, exec, s[26:27]
	s_and_b64 s[34:35], s[10:11], s[18:19]
	s_and_saveexec_b64 s[26:27], s[34:35]
	s_cbranch_execz .LBB121_256
.LBB121_275:
	s_and_b64 vcc, exec, s[0:1]
	s_cbranch_vccnz .LBB121_277
; %bb.276:
	v_lshl_add_u64 v[92:93], v[136:137], 3, v[90:91]
	flat_load_dwordx2 v[92:93], v[92:93]
	s_waitcnt vmcnt(0) lgkmcnt(0)
	v_mul_f64 v[92:93], s[22:23], v[92:93]
	v_cvt_f32_f64_e32 v92, v[92:93]
	s_branch .LBB121_278
.LBB121_277:
	v_mov_b32_e32 v92, 0
.LBB121_278:
	v_add_f64 v[94:95], v[38:39], v[86:87]
	v_add_f64 v[96:97], v[36:37], v[84:85]
	v_cvt_f32_f64_e32 v93, v[96:97]
	v_cvt_f32_f64_e32 v94, v[94:95]
	v_min3_f32 v93, v93, v94, v177
	v_add_f64 v[94:95], v[34:35], v[82:83]
	v_add_f64 v[96:97], v[32:33], v[80:81]
	v_cvt_f32_f64_e32 v96, v[96:97]
	v_cvt_f32_f64_e32 v94, v[94:95]
	v_min_f32_e32 v94, v96, v94
	v_min3_f32 v92, v92, v94, v93
	v_cvt_f64_f32_e32 v[92:93], v92
	v_lshl_add_u64 v[94:95], v[136:137], 3, v[88:89]
	flat_store_dwordx2 v[94:95], v[92:93]
	s_or_b64 exec, exec, s[26:27]
	s_and_b64 s[34:35], s[12:13], s[18:19]
	s_and_saveexec_b64 s[26:27], s[34:35]
	s_cbranch_execz .LBB121_257
.LBB121_279:
	s_and_b64 vcc, exec, s[0:1]
	s_cbranch_vccnz .LBB121_281
; %bb.280:
	v_lshl_add_u64 v[92:93], v[138:139], 3, v[90:91]
	flat_load_dwordx2 v[92:93], v[92:93]
	s_waitcnt vmcnt(0) lgkmcnt(0)
	v_mul_f64 v[92:93], s[22:23], v[92:93]
	v_cvt_f32_f64_e32 v92, v[92:93]
	s_branch .LBB121_282
.LBB121_281:
	v_mov_b32_e32 v92, 0
.LBB121_282:
	v_add_f64 v[94:95], v[30:31], v[86:87]
	v_add_f64 v[96:97], v[28:29], v[84:85]
	v_cvt_f32_f64_e32 v93, v[96:97]
	v_cvt_f32_f64_e32 v94, v[94:95]
	v_min3_f32 v93, v93, v94, v176
	v_add_f64 v[94:95], v[26:27], v[82:83]
	v_add_f64 v[96:97], v[24:25], v[80:81]
	v_cvt_f32_f64_e32 v96, v[96:97]
	v_cvt_f32_f64_e32 v94, v[94:95]
	v_min_f32_e32 v94, v96, v94
	v_min3_f32 v92, v92, v94, v93
	v_cvt_f64_f32_e32 v[92:93], v92
	v_lshl_add_u64 v[94:95], v[138:139], 3, v[88:89]
	flat_store_dwordx2 v[94:95], v[92:93]
	s_or_b64 exec, exec, s[26:27]
	s_and_b64 s[34:35], s[14:15], s[18:19]
	s_and_saveexec_b64 s[26:27], s[34:35]
	s_cbranch_execz .LBB121_258
.LBB121_283:
	s_and_b64 vcc, exec, s[0:1]
	s_cbranch_vccnz .LBB121_285
; %bb.284:
	v_lshl_add_u64 v[92:93], v[140:141], 3, v[90:91]
	flat_load_dwordx2 v[92:93], v[92:93]
	s_waitcnt vmcnt(0) lgkmcnt(0)
	v_mul_f64 v[92:93], s[22:23], v[92:93]
	v_cvt_f32_f64_e32 v92, v[92:93]
	s_branch .LBB121_286
.LBB121_285:
	v_mov_b32_e32 v92, 0
.LBB121_286:
	v_add_f64 v[94:95], v[22:23], v[86:87]
	v_add_f64 v[96:97], v[20:21], v[84:85]
	v_cvt_f32_f64_e32 v93, v[96:97]
	v_cvt_f32_f64_e32 v94, v[94:95]
	v_min3_f32 v93, v93, v94, v175
	v_add_f64 v[94:95], v[18:19], v[82:83]
	v_add_f64 v[96:97], v[16:17], v[80:81]
	v_cvt_f32_f64_e32 v96, v[96:97]
	v_cvt_f32_f64_e32 v94, v[94:95]
	v_min_f32_e32 v94, v96, v94
	v_min3_f32 v92, v92, v94, v93
	v_cvt_f64_f32_e32 v[92:93], v92
	v_lshl_add_u64 v[94:95], v[140:141], 3, v[88:89]
	flat_store_dwordx2 v[94:95], v[92:93]
	s_or_b64 exec, exec, s[26:27]
	s_and_b64 s[26:27], s[16:17], s[18:19]
	s_and_saveexec_b64 s[18:19], s[26:27]
	s_cbranch_execz .LBB121_291
.LBB121_287:
	s_and_b64 vcc, exec, s[0:1]
	s_cbranch_vccnz .LBB121_289
; %bb.288:
	v_lshl_add_u64 v[90:91], v[142:143], 3, v[90:91]
	flat_load_dwordx2 v[90:91], v[90:91]
	s_waitcnt vmcnt(0) lgkmcnt(0)
	v_mul_f64 v[90:91], s[22:23], v[90:91]
	v_cvt_f32_f64_e32 v90, v[90:91]
	s_branch .LBB121_290
.LBB121_289:
	v_mov_b32_e32 v90, 0
.LBB121_290:
	v_add_f64 v[86:87], v[6:7], v[86:87]
	v_add_f64 v[84:85], v[4:5], v[84:85]
	;; [unrolled: 1-line block ×4, first 2 shown]
	v_cvt_f32_f64_e32 v84, v[84:85]
	v_cvt_f32_f64_e32 v85, v[86:87]
	;; [unrolled: 1-line block ×4, first 2 shown]
	v_min3_f32 v84, v84, v85, v174
	v_min_f32_e32 v80, v80, v81
	v_min3_f32 v80, v90, v80, v84
	v_cvt_f64_f32_e32 v[80:81], v80
	v_lshl_add_u64 v[82:83], v[142:143], 3, v[88:89]
	flat_store_dwordx2 v[82:83], v[80:81]
.LBB121_291:
	s_or_b64 exec, exec, s[18:19]
	v_add_u32_e32 v84, 0xc0, v148
	v_mad_i64_i32 v[80:81], s[26:27], v84, s31, 0
	v_cmp_gt_i32_e64 s[18:19], s25, v84
	v_lshl_add_u64 v[82:83], v[80:81], 3, s[28:29]
	v_mad_i64_i32 v[80:81], s[26:27], v84, s30, 0
	v_lshl_add_u64 v[80:81], v[80:81], 3, s[20:21]
	s_and_b64 s[34:35], s[2:3], s[18:19]
	s_and_saveexec_b64 s[26:27], s[34:35]
	s_cbranch_execnz .LBB121_299
; %bb.292:
	s_or_b64 exec, exec, s[26:27]
	s_and_b64 s[34:35], s[4:5], s[18:19]
	s_and_saveexec_b64 s[26:27], s[34:35]
	s_cbranch_execnz .LBB121_303
.LBB121_293:
	s_or_b64 exec, exec, s[26:27]
	s_and_b64 s[34:35], s[6:7], s[18:19]
	s_and_saveexec_b64 s[26:27], s[34:35]
	s_cbranch_execnz .LBB121_307
.LBB121_294:
	s_or_b64 exec, exec, s[26:27]
	s_and_b64 s[34:35], s[8:9], s[18:19]
	s_and_saveexec_b64 s[26:27], s[34:35]
	s_cbranch_execnz .LBB121_311
.LBB121_295:
	s_or_b64 exec, exec, s[26:27]
	s_and_b64 s[34:35], s[10:11], s[18:19]
	s_and_saveexec_b64 s[26:27], s[34:35]
	s_cbranch_execnz .LBB121_315
.LBB121_296:
	s_or_b64 exec, exec, s[26:27]
	s_and_b64 s[34:35], s[12:13], s[18:19]
	s_and_saveexec_b64 s[26:27], s[34:35]
	s_cbranch_execnz .LBB121_319
.LBB121_297:
	s_or_b64 exec, exec, s[26:27]
	s_and_b64 s[34:35], s[14:15], s[18:19]
	s_and_saveexec_b64 s[26:27], s[34:35]
	s_cbranch_execnz .LBB121_323
.LBB121_298:
	s_or_b64 exec, exec, s[26:27]
	s_and_b64 s[26:27], s[16:17], s[18:19]
	s_and_saveexec_b64 s[18:19], s[26:27]
	s_cbranch_execnz .LBB121_327
	s_branch .LBB121_331
.LBB121_299:
	s_and_b64 vcc, exec, s[0:1]
	s_cbranch_vccnz .LBB121_301
; %bb.300:
	v_lshl_add_u64 v[84:85], v[128:129], 3, v[82:83]
	flat_load_dwordx2 v[84:85], v[84:85]
	s_waitcnt vmcnt(0) lgkmcnt(0)
	v_mul_f64 v[84:85], s[22:23], v[84:85]
	v_cvt_f32_f64_e32 v84, v[84:85]
	s_branch .LBB121_302
.LBB121_301:
	v_mov_b32_e32 v84, 0
.LBB121_302:
	v_add_f64 v[86:87], v[70:71], v[78:79]
	v_add_f64 v[88:89], v[68:69], v[76:77]
	v_cvt_f32_f64_e32 v85, v[88:89]
	v_cvt_f32_f64_e32 v86, v[86:87]
	v_min3_f32 v85, v85, v86, v173
	v_add_f64 v[86:87], v[66:67], v[74:75]
	v_add_f64 v[88:89], v[64:65], v[72:73]
	v_cvt_f32_f64_e32 v88, v[88:89]
	v_cvt_f32_f64_e32 v86, v[86:87]
	v_min_f32_e32 v86, v88, v86
	v_min3_f32 v84, v84, v86, v85
	v_cvt_f64_f32_e32 v[84:85], v84
	v_lshl_add_u64 v[86:87], v[128:129], 3, v[80:81]
	flat_store_dwordx2 v[86:87], v[84:85]
	s_or_b64 exec, exec, s[26:27]
	s_and_b64 s[34:35], s[4:5], s[18:19]
	s_and_saveexec_b64 s[26:27], s[34:35]
	s_cbranch_execz .LBB121_293
.LBB121_303:
	s_and_b64 vcc, exec, s[0:1]
	s_cbranch_vccnz .LBB121_305
; %bb.304:
	v_lshl_add_u64 v[84:85], v[130:131], 3, v[82:83]
	flat_load_dwordx2 v[84:85], v[84:85]
	s_waitcnt vmcnt(0) lgkmcnt(0)
	v_mul_f64 v[84:85], s[22:23], v[84:85]
	v_cvt_f32_f64_e32 v84, v[84:85]
	s_branch .LBB121_306
.LBB121_305:
	v_mov_b32_e32 v84, 0
.LBB121_306:
	v_add_f64 v[86:87], v[62:63], v[78:79]
	v_add_f64 v[88:89], v[60:61], v[76:77]
	v_cvt_f32_f64_e32 v85, v[88:89]
	v_cvt_f32_f64_e32 v86, v[86:87]
	v_min3_f32 v85, v85, v86, v171
	v_add_f64 v[86:87], v[58:59], v[74:75]
	v_add_f64 v[88:89], v[56:57], v[72:73]
	v_cvt_f32_f64_e32 v88, v[88:89]
	v_cvt_f32_f64_e32 v86, v[86:87]
	v_min_f32_e32 v86, v88, v86
	v_min3_f32 v84, v84, v86, v85
	v_cvt_f64_f32_e32 v[84:85], v84
	v_lshl_add_u64 v[86:87], v[130:131], 3, v[80:81]
	flat_store_dwordx2 v[86:87], v[84:85]
	s_or_b64 exec, exec, s[26:27]
	s_and_b64 s[34:35], s[6:7], s[18:19]
	s_and_saveexec_b64 s[26:27], s[34:35]
	s_cbranch_execz .LBB121_294
.LBB121_307:
	s_and_b64 vcc, exec, s[0:1]
	s_cbranch_vccnz .LBB121_309
; %bb.308:
	v_lshl_add_u64 v[84:85], v[132:133], 3, v[82:83]
	flat_load_dwordx2 v[84:85], v[84:85]
	s_waitcnt vmcnt(0) lgkmcnt(0)
	v_mul_f64 v[84:85], s[22:23], v[84:85]
	v_cvt_f32_f64_e32 v84, v[84:85]
	s_branch .LBB121_310
.LBB121_309:
	v_mov_b32_e32 v84, 0
.LBB121_310:
	v_add_f64 v[86:87], v[54:55], v[78:79]
	v_add_f64 v[88:89], v[52:53], v[76:77]
	v_cvt_f32_f64_e32 v85, v[88:89]
	v_cvt_f32_f64_e32 v86, v[86:87]
	v_min3_f32 v85, v85, v86, v170
	v_add_f64 v[86:87], v[50:51], v[74:75]
	v_add_f64 v[88:89], v[48:49], v[72:73]
	v_cvt_f32_f64_e32 v88, v[88:89]
	v_cvt_f32_f64_e32 v86, v[86:87]
	v_min_f32_e32 v86, v88, v86
	v_min3_f32 v84, v84, v86, v85
	v_cvt_f64_f32_e32 v[84:85], v84
	v_lshl_add_u64 v[86:87], v[132:133], 3, v[80:81]
	flat_store_dwordx2 v[86:87], v[84:85]
	s_or_b64 exec, exec, s[26:27]
	s_and_b64 s[34:35], s[8:9], s[18:19]
	s_and_saveexec_b64 s[26:27], s[34:35]
	s_cbranch_execz .LBB121_295
.LBB121_311:
	s_and_b64 vcc, exec, s[0:1]
	s_cbranch_vccnz .LBB121_313
; %bb.312:
	v_lshl_add_u64 v[84:85], v[134:135], 3, v[82:83]
	flat_load_dwordx2 v[84:85], v[84:85]
	s_waitcnt vmcnt(0) lgkmcnt(0)
	v_mul_f64 v[84:85], s[22:23], v[84:85]
	v_cvt_f32_f64_e32 v84, v[84:85]
	s_branch .LBB121_314
.LBB121_313:
	v_mov_b32_e32 v84, 0
.LBB121_314:
	v_add_f64 v[86:87], v[46:47], v[78:79]
	v_add_f64 v[88:89], v[44:45], v[76:77]
	v_cvt_f32_f64_e32 v85, v[88:89]
	v_cvt_f32_f64_e32 v86, v[86:87]
	v_min3_f32 v85, v85, v86, v169
	v_add_f64 v[86:87], v[42:43], v[74:75]
	v_add_f64 v[88:89], v[40:41], v[72:73]
	v_cvt_f32_f64_e32 v88, v[88:89]
	v_cvt_f32_f64_e32 v86, v[86:87]
	v_min_f32_e32 v86, v88, v86
	v_min3_f32 v84, v84, v86, v85
	v_cvt_f64_f32_e32 v[84:85], v84
	v_lshl_add_u64 v[86:87], v[134:135], 3, v[80:81]
	flat_store_dwordx2 v[86:87], v[84:85]
	s_or_b64 exec, exec, s[26:27]
	s_and_b64 s[34:35], s[10:11], s[18:19]
	s_and_saveexec_b64 s[26:27], s[34:35]
	s_cbranch_execz .LBB121_296
.LBB121_315:
	s_and_b64 vcc, exec, s[0:1]
	s_cbranch_vccnz .LBB121_317
; %bb.316:
	v_lshl_add_u64 v[84:85], v[136:137], 3, v[82:83]
	flat_load_dwordx2 v[84:85], v[84:85]
	s_waitcnt vmcnt(0) lgkmcnt(0)
	v_mul_f64 v[84:85], s[22:23], v[84:85]
	v_cvt_f32_f64_e32 v84, v[84:85]
	s_branch .LBB121_318
.LBB121_317:
	v_mov_b32_e32 v84, 0
.LBB121_318:
	v_add_f64 v[86:87], v[38:39], v[78:79]
	v_add_f64 v[88:89], v[36:37], v[76:77]
	v_cvt_f32_f64_e32 v85, v[88:89]
	v_cvt_f32_f64_e32 v86, v[86:87]
	v_min3_f32 v85, v85, v86, v168
	v_add_f64 v[86:87], v[34:35], v[74:75]
	v_add_f64 v[88:89], v[32:33], v[72:73]
	v_cvt_f32_f64_e32 v88, v[88:89]
	v_cvt_f32_f64_e32 v86, v[86:87]
	v_min_f32_e32 v86, v88, v86
	v_min3_f32 v84, v84, v86, v85
	v_cvt_f64_f32_e32 v[84:85], v84
	v_lshl_add_u64 v[86:87], v[136:137], 3, v[80:81]
	flat_store_dwordx2 v[86:87], v[84:85]
	s_or_b64 exec, exec, s[26:27]
	s_and_b64 s[34:35], s[12:13], s[18:19]
	s_and_saveexec_b64 s[26:27], s[34:35]
	s_cbranch_execz .LBB121_297
.LBB121_319:
	s_and_b64 vcc, exec, s[0:1]
	s_cbranch_vccnz .LBB121_321
; %bb.320:
	v_lshl_add_u64 v[84:85], v[138:139], 3, v[82:83]
	flat_load_dwordx2 v[84:85], v[84:85]
	s_waitcnt vmcnt(0) lgkmcnt(0)
	v_mul_f64 v[84:85], s[22:23], v[84:85]
	v_cvt_f32_f64_e32 v84, v[84:85]
	s_branch .LBB121_322
.LBB121_321:
	v_mov_b32_e32 v84, 0
.LBB121_322:
	v_add_f64 v[86:87], v[30:31], v[78:79]
	v_add_f64 v[88:89], v[28:29], v[76:77]
	v_cvt_f32_f64_e32 v85, v[88:89]
	v_cvt_f32_f64_e32 v86, v[86:87]
	v_min3_f32 v85, v85, v86, v167
	v_add_f64 v[86:87], v[26:27], v[74:75]
	v_add_f64 v[88:89], v[24:25], v[72:73]
	v_cvt_f32_f64_e32 v88, v[88:89]
	v_cvt_f32_f64_e32 v86, v[86:87]
	v_min_f32_e32 v86, v88, v86
	v_min3_f32 v84, v84, v86, v85
	v_cvt_f64_f32_e32 v[84:85], v84
	v_lshl_add_u64 v[86:87], v[138:139], 3, v[80:81]
	flat_store_dwordx2 v[86:87], v[84:85]
	s_or_b64 exec, exec, s[26:27]
	s_and_b64 s[34:35], s[14:15], s[18:19]
	s_and_saveexec_b64 s[26:27], s[34:35]
	s_cbranch_execz .LBB121_298
.LBB121_323:
	s_and_b64 vcc, exec, s[0:1]
	s_cbranch_vccnz .LBB121_325
; %bb.324:
	v_lshl_add_u64 v[84:85], v[140:141], 3, v[82:83]
	flat_load_dwordx2 v[84:85], v[84:85]
	s_waitcnt vmcnt(0) lgkmcnt(0)
	v_mul_f64 v[84:85], s[22:23], v[84:85]
	v_cvt_f32_f64_e32 v84, v[84:85]
	s_branch .LBB121_326
.LBB121_325:
	v_mov_b32_e32 v84, 0
.LBB121_326:
	v_add_f64 v[86:87], v[22:23], v[78:79]
	v_add_f64 v[88:89], v[20:21], v[76:77]
	v_cvt_f32_f64_e32 v85, v[88:89]
	v_cvt_f32_f64_e32 v86, v[86:87]
	v_min3_f32 v85, v85, v86, v164
	v_add_f64 v[86:87], v[18:19], v[74:75]
	v_add_f64 v[88:89], v[16:17], v[72:73]
	v_cvt_f32_f64_e32 v88, v[88:89]
	v_cvt_f32_f64_e32 v86, v[86:87]
	v_min_f32_e32 v86, v88, v86
	v_min3_f32 v84, v84, v86, v85
	v_cvt_f64_f32_e32 v[84:85], v84
	v_lshl_add_u64 v[86:87], v[140:141], 3, v[80:81]
	flat_store_dwordx2 v[86:87], v[84:85]
	s_or_b64 exec, exec, s[26:27]
	s_and_b64 s[26:27], s[16:17], s[18:19]
	s_and_saveexec_b64 s[18:19], s[26:27]
	s_cbranch_execz .LBB121_331
.LBB121_327:
	s_and_b64 vcc, exec, s[0:1]
	s_cbranch_vccnz .LBB121_329
; %bb.328:
	v_lshl_add_u64 v[82:83], v[142:143], 3, v[82:83]
	flat_load_dwordx2 v[82:83], v[82:83]
	s_waitcnt vmcnt(0) lgkmcnt(0)
	v_mul_f64 v[82:83], s[22:23], v[82:83]
	v_cvt_f32_f64_e32 v82, v[82:83]
	s_branch .LBB121_330
.LBB121_329:
	v_mov_b32_e32 v82, 0
.LBB121_330:
	v_add_f64 v[78:79], v[6:7], v[78:79]
	v_add_f64 v[76:77], v[4:5], v[76:77]
	;; [unrolled: 1-line block ×4, first 2 shown]
	v_cvt_f32_f64_e32 v76, v[76:77]
	v_cvt_f32_f64_e32 v77, v[78:79]
	;; [unrolled: 1-line block ×4, first 2 shown]
	v_min3_f32 v76, v76, v77, v163
	v_min_f32_e32 v72, v72, v73
	v_min3_f32 v72, v82, v72, v76
	v_cvt_f64_f32_e32 v[72:73], v72
	v_lshl_add_u64 v[74:75], v[142:143], 3, v[80:81]
	flat_store_dwordx2 v[74:75], v[72:73]
.LBB121_331:
	s_or_b64 exec, exec, s[18:19]
	v_add_u32_e32 v76, 0xe0, v148
	v_cmp_gt_i32_e64 s[18:19], s25, v76
	v_mad_i64_i32 v[72:73], s[24:25], v76, s31, 0
	v_lshl_add_u64 v[74:75], v[72:73], 3, s[28:29]
	v_mad_i64_i32 v[72:73], s[24:25], v76, s30, 0
	v_lshl_add_u64 v[72:73], v[72:73], 3, s[20:21]
	s_and_b64 s[20:21], s[2:3], s[18:19]
	s_and_saveexec_b64 s[2:3], s[20:21]
	s_cbranch_execnz .LBB121_340
; %bb.332:
	s_or_b64 exec, exec, s[2:3]
	s_and_b64 s[4:5], s[4:5], s[18:19]
	s_and_saveexec_b64 s[2:3], s[4:5]
	s_cbranch_execnz .LBB121_344
.LBB121_333:
	s_or_b64 exec, exec, s[2:3]
	s_and_b64 s[4:5], s[6:7], s[18:19]
	s_and_saveexec_b64 s[2:3], s[4:5]
	s_cbranch_execnz .LBB121_348
.LBB121_334:
	s_or_b64 exec, exec, s[2:3]
	s_and_b64 s[4:5], s[8:9], s[18:19]
	s_and_saveexec_b64 s[2:3], s[4:5]
	s_cbranch_execnz .LBB121_352
.LBB121_335:
	s_or_b64 exec, exec, s[2:3]
	s_and_b64 s[4:5], s[10:11], s[18:19]
	s_and_saveexec_b64 s[2:3], s[4:5]
	s_cbranch_execnz .LBB121_356
.LBB121_336:
	s_or_b64 exec, exec, s[2:3]
	s_and_b64 s[4:5], s[12:13], s[18:19]
	s_and_saveexec_b64 s[2:3], s[4:5]
	s_cbranch_execnz .LBB121_360
.LBB121_337:
	s_or_b64 exec, exec, s[2:3]
	s_and_b64 s[4:5], s[14:15], s[18:19]
	s_and_saveexec_b64 s[2:3], s[4:5]
	s_cbranch_execnz .LBB121_364
.LBB121_338:
	s_or_b64 exec, exec, s[2:3]
	s_and_b64 s[2:3], s[16:17], s[18:19]
	s_and_saveexec_b64 s[4:5], s[2:3]
	s_cbranch_execnz .LBB121_368
.LBB121_339:
	s_endpgm
.LBB121_340:
	s_and_b64 vcc, exec, s[0:1]
	s_cbranch_vccnz .LBB121_342
; %bb.341:
	v_lshl_add_u64 v[76:77], v[128:129], 3, v[74:75]
	flat_load_dwordx2 v[76:77], v[76:77]
	s_waitcnt vmcnt(0) lgkmcnt(0)
	v_mul_f64 v[76:77], s[22:23], v[76:77]
	v_cvt_f32_f64_e32 v76, v[76:77]
	s_branch .LBB121_343
.LBB121_342:
	v_mov_b32_e32 v76, 0
.LBB121_343:
	v_add_f64 v[70:71], v[70:71], v[14:15]
	v_add_f64 v[68:69], v[68:69], v[12:13]
	;; [unrolled: 1-line block ×4, first 2 shown]
	v_cvt_f32_f64_e32 v68, v[68:69]
	v_cvt_f32_f64_e32 v69, v[70:71]
	;; [unrolled: 1-line block ×4, first 2 shown]
	v_min3_f32 v68, v68, v69, v162
	v_min_f32_e32 v64, v64, v65
	v_min3_f32 v64, v76, v64, v68
	v_cvt_f64_f32_e32 v[64:65], v64
	v_lshl_add_u64 v[66:67], v[128:129], 3, v[72:73]
	flat_store_dwordx2 v[66:67], v[64:65]
	s_or_b64 exec, exec, s[2:3]
	s_and_b64 s[4:5], s[4:5], s[18:19]
	s_and_saveexec_b64 s[2:3], s[4:5]
	s_cbranch_execz .LBB121_333
.LBB121_344:
	s_and_b64 vcc, exec, s[0:1]
	s_cbranch_vccnz .LBB121_346
; %bb.345:
	v_lshl_add_u64 v[64:65], v[130:131], 3, v[74:75]
	flat_load_dwordx2 v[64:65], v[64:65]
	s_waitcnt vmcnt(0) lgkmcnt(0)
	v_mul_f64 v[64:65], s[22:23], v[64:65]
	v_cvt_f32_f64_e32 v64, v[64:65]
	s_branch .LBB121_347
.LBB121_346:
	v_mov_b32_e32 v64, 0
.LBB121_347:
	v_add_f64 v[62:63], v[62:63], v[14:15]
	v_add_f64 v[60:61], v[60:61], v[12:13]
	;; [unrolled: 1-line block ×4, first 2 shown]
	v_cvt_f32_f64_e32 v60, v[60:61]
	v_cvt_f32_f64_e32 v61, v[62:63]
	;; [unrolled: 1-line block ×4, first 2 shown]
	v_min3_f32 v60, v60, v61, v161
	v_min_f32_e32 v56, v56, v57
	v_min3_f32 v56, v64, v56, v60
	v_cvt_f64_f32_e32 v[56:57], v56
	v_lshl_add_u64 v[58:59], v[130:131], 3, v[72:73]
	flat_store_dwordx2 v[58:59], v[56:57]
	s_or_b64 exec, exec, s[2:3]
	s_and_b64 s[4:5], s[6:7], s[18:19]
	s_and_saveexec_b64 s[2:3], s[4:5]
	s_cbranch_execz .LBB121_334
.LBB121_348:
	s_and_b64 vcc, exec, s[0:1]
	s_cbranch_vccnz .LBB121_350
; %bb.349:
	v_lshl_add_u64 v[56:57], v[132:133], 3, v[74:75]
	flat_load_dwordx2 v[56:57], v[56:57]
	s_waitcnt vmcnt(0) lgkmcnt(0)
	v_mul_f64 v[56:57], s[22:23], v[56:57]
	v_cvt_f32_f64_e32 v56, v[56:57]
	s_branch .LBB121_351
.LBB121_350:
	v_mov_b32_e32 v56, 0
.LBB121_351:
	v_add_f64 v[54:55], v[54:55], v[14:15]
	v_add_f64 v[52:53], v[52:53], v[12:13]
	;; [unrolled: 1-line block ×4, first 2 shown]
	v_cvt_f32_f64_e32 v52, v[52:53]
	v_cvt_f32_f64_e32 v53, v[54:55]
	;; [unrolled: 1-line block ×4, first 2 shown]
	v_min3_f32 v52, v52, v53, v160
	v_min_f32_e32 v48, v48, v49
	v_min3_f32 v48, v56, v48, v52
	v_cvt_f64_f32_e32 v[48:49], v48
	v_lshl_add_u64 v[50:51], v[132:133], 3, v[72:73]
	flat_store_dwordx2 v[50:51], v[48:49]
	s_or_b64 exec, exec, s[2:3]
	s_and_b64 s[4:5], s[8:9], s[18:19]
	s_and_saveexec_b64 s[2:3], s[4:5]
	s_cbranch_execz .LBB121_335
.LBB121_352:
	s_and_b64 vcc, exec, s[0:1]
	s_cbranch_vccnz .LBB121_354
; %bb.353:
	v_lshl_add_u64 v[48:49], v[134:135], 3, v[74:75]
	flat_load_dwordx2 v[48:49], v[48:49]
	s_waitcnt vmcnt(0) lgkmcnt(0)
	v_mul_f64 v[48:49], s[22:23], v[48:49]
	v_cvt_f32_f64_e32 v48, v[48:49]
	s_branch .LBB121_355
.LBB121_354:
	v_mov_b32_e32 v48, 0
.LBB121_355:
	v_add_f64 v[46:47], v[46:47], v[14:15]
	v_add_f64 v[44:45], v[44:45], v[12:13]
	;; [unrolled: 1-line block ×4, first 2 shown]
	v_cvt_f32_f64_e32 v44, v[44:45]
	v_cvt_f32_f64_e32 v45, v[46:47]
	;; [unrolled: 1-line block ×4, first 2 shown]
	v_min3_f32 v44, v44, v45, v159
	v_min_f32_e32 v40, v40, v41
	v_min3_f32 v40, v48, v40, v44
	v_cvt_f64_f32_e32 v[40:41], v40
	v_lshl_add_u64 v[42:43], v[134:135], 3, v[72:73]
	flat_store_dwordx2 v[42:43], v[40:41]
	s_or_b64 exec, exec, s[2:3]
	s_and_b64 s[4:5], s[10:11], s[18:19]
	s_and_saveexec_b64 s[2:3], s[4:5]
	s_cbranch_execz .LBB121_336
.LBB121_356:
	s_and_b64 vcc, exec, s[0:1]
	s_cbranch_vccnz .LBB121_358
; %bb.357:
	v_lshl_add_u64 v[40:41], v[136:137], 3, v[74:75]
	flat_load_dwordx2 v[40:41], v[40:41]
	s_waitcnt vmcnt(0) lgkmcnt(0)
	v_mul_f64 v[40:41], s[22:23], v[40:41]
	v_cvt_f32_f64_e32 v40, v[40:41]
	s_branch .LBB121_359
.LBB121_358:
	v_mov_b32_e32 v40, 0
.LBB121_359:
	v_add_f64 v[38:39], v[38:39], v[14:15]
	v_add_f64 v[36:37], v[36:37], v[12:13]
	;; [unrolled: 1-line block ×4, first 2 shown]
	v_cvt_f32_f64_e32 v36, v[36:37]
	v_cvt_f32_f64_e32 v37, v[38:39]
	v_cvt_f32_f64_e32 v32, v[32:33]
	v_cvt_f32_f64_e32 v33, v[34:35]
	v_min3_f32 v36, v36, v37, v157
	v_min_f32_e32 v32, v32, v33
	v_min3_f32 v32, v40, v32, v36
	v_cvt_f64_f32_e32 v[32:33], v32
	v_lshl_add_u64 v[34:35], v[136:137], 3, v[72:73]
	flat_store_dwordx2 v[34:35], v[32:33]
	s_or_b64 exec, exec, s[2:3]
	s_and_b64 s[4:5], s[12:13], s[18:19]
	s_and_saveexec_b64 s[2:3], s[4:5]
	s_cbranch_execz .LBB121_337
.LBB121_360:
	s_and_b64 vcc, exec, s[0:1]
	s_cbranch_vccnz .LBB121_362
; %bb.361:
	v_lshl_add_u64 v[32:33], v[138:139], 3, v[74:75]
	flat_load_dwordx2 v[32:33], v[32:33]
	s_waitcnt vmcnt(0) lgkmcnt(0)
	v_mul_f64 v[32:33], s[22:23], v[32:33]
	v_cvt_f32_f64_e32 v32, v[32:33]
	s_branch .LBB121_363
.LBB121_362:
	v_mov_b32_e32 v32, 0
.LBB121_363:
	v_add_f64 v[30:31], v[30:31], v[14:15]
	v_add_f64 v[28:29], v[28:29], v[12:13]
	;; [unrolled: 1-line block ×4, first 2 shown]
	v_cvt_f32_f64_e32 v28, v[28:29]
	v_cvt_f32_f64_e32 v29, v[30:31]
	;; [unrolled: 1-line block ×4, first 2 shown]
	v_min3_f32 v28, v28, v29, v156
	v_min_f32_e32 v24, v24, v25
	v_min3_f32 v24, v32, v24, v28
	v_cvt_f64_f32_e32 v[24:25], v24
	v_lshl_add_u64 v[26:27], v[138:139], 3, v[72:73]
	flat_store_dwordx2 v[26:27], v[24:25]
	s_or_b64 exec, exec, s[2:3]
	s_and_b64 s[4:5], s[14:15], s[18:19]
	s_and_saveexec_b64 s[2:3], s[4:5]
	s_cbranch_execz .LBB121_338
.LBB121_364:
	s_and_b64 vcc, exec, s[0:1]
	s_cbranch_vccnz .LBB121_366
; %bb.365:
	v_lshl_add_u64 v[24:25], v[140:141], 3, v[74:75]
	flat_load_dwordx2 v[24:25], v[24:25]
	s_waitcnt vmcnt(0) lgkmcnt(0)
	v_mul_f64 v[24:25], s[22:23], v[24:25]
	v_cvt_f32_f64_e32 v24, v[24:25]
	s_branch .LBB121_367
.LBB121_366:
	v_mov_b32_e32 v24, 0
.LBB121_367:
	v_add_f64 v[22:23], v[22:23], v[14:15]
	v_add_f64 v[20:21], v[20:21], v[12:13]
	;; [unrolled: 1-line block ×4, first 2 shown]
	v_cvt_f32_f64_e32 v20, v[20:21]
	v_cvt_f32_f64_e32 v21, v[22:23]
	;; [unrolled: 1-line block ×4, first 2 shown]
	v_min3_f32 v20, v20, v21, v155
	v_min_f32_e32 v16, v16, v17
	v_min3_f32 v16, v24, v16, v20
	v_cvt_f64_f32_e32 v[16:17], v16
	v_lshl_add_u64 v[18:19], v[140:141], 3, v[72:73]
	flat_store_dwordx2 v[18:19], v[16:17]
	s_or_b64 exec, exec, s[2:3]
	s_and_b64 s[2:3], s[16:17], s[18:19]
	s_and_saveexec_b64 s[4:5], s[2:3]
	s_cbranch_execz .LBB121_339
.LBB121_368:
	s_and_b64 vcc, exec, s[0:1]
	s_cbranch_vccnz .LBB121_370
; %bb.369:
	v_lshl_add_u64 v[16:17], v[142:143], 3, v[74:75]
	flat_load_dwordx2 v[16:17], v[16:17]
	s_waitcnt vmcnt(0) lgkmcnt(0)
	v_mul_f64 v[16:17], s[22:23], v[16:17]
	v_cvt_f32_f64_e32 v16, v[16:17]
	s_branch .LBB121_371
.LBB121_370:
	v_mov_b32_e32 v16, 0
.LBB121_371:
	v_add_f64 v[6:7], v[6:7], v[14:15]
	v_add_f64 v[4:5], v[4:5], v[12:13]
	;; [unrolled: 1-line block ×4, first 2 shown]
	v_cvt_f32_f64_e32 v4, v[4:5]
	v_cvt_f32_f64_e32 v5, v[6:7]
	;; [unrolled: 1-line block ×4, first 2 shown]
	v_min3_f32 v4, v4, v5, v154
	v_min_f32_e32 v0, v0, v1
	v_min3_f32 v0, v16, v0, v4
	v_cvt_f64_f32_e32 v[0:1], v0
	v_lshl_add_u64 v[2:3], v[142:143], 3, v[72:73]
	flat_store_dwordx2 v[2:3], v[0:1]
	s_endpgm
	.section	.rodata,"a",@progbits
	.p2align	6, 0x0
	.amdhsa_kernel _ZN12_GLOBAL__N_120geam_min_plus_kernelId15HIP_vector_typeIdLj2EEdLi8ELi32ELi64ELi256ELi4ELi64ELi4ELi64ELi4ELc78ELc84ELb1ELb1ELb1EdKPKdKPdEEviiiT16_PT17_ilSA_ilS8_SA_ilPT18_ili26rocblas_geam_ex_operation_
		.amdhsa_group_segment_fixed_size 20480
		.amdhsa_private_segment_fixed_size 0
		.amdhsa_kernarg_size 136
		.amdhsa_user_sgpr_count 2
		.amdhsa_user_sgpr_dispatch_ptr 0
		.amdhsa_user_sgpr_queue_ptr 0
		.amdhsa_user_sgpr_kernarg_segment_ptr 1
		.amdhsa_user_sgpr_dispatch_id 0
		.amdhsa_user_sgpr_kernarg_preload_length 0
		.amdhsa_user_sgpr_kernarg_preload_offset 0
		.amdhsa_user_sgpr_private_segment_size 0
		.amdhsa_uses_dynamic_stack 0
		.amdhsa_enable_private_segment 0
		.amdhsa_system_sgpr_workgroup_id_x 1
		.amdhsa_system_sgpr_workgroup_id_y 0
		.amdhsa_system_sgpr_workgroup_id_z 1
		.amdhsa_system_sgpr_workgroup_info 0
		.amdhsa_system_vgpr_workitem_id 1
		.amdhsa_next_free_vgpr 233
		.amdhsa_next_free_sgpr 38
		.amdhsa_accum_offset 236
		.amdhsa_reserve_vcc 1
		.amdhsa_float_round_mode_32 0
		.amdhsa_float_round_mode_16_64 0
		.amdhsa_float_denorm_mode_32 3
		.amdhsa_float_denorm_mode_16_64 3
		.amdhsa_dx10_clamp 1
		.amdhsa_ieee_mode 1
		.amdhsa_fp16_overflow 0
		.amdhsa_tg_split 0
		.amdhsa_exception_fp_ieee_invalid_op 0
		.amdhsa_exception_fp_denorm_src 0
		.amdhsa_exception_fp_ieee_div_zero 0
		.amdhsa_exception_fp_ieee_overflow 0
		.amdhsa_exception_fp_ieee_underflow 0
		.amdhsa_exception_fp_ieee_inexact 0
		.amdhsa_exception_int_div_zero 0
	.end_amdhsa_kernel
	.section	.text._ZN12_GLOBAL__N_120geam_min_plus_kernelId15HIP_vector_typeIdLj2EEdLi8ELi32ELi64ELi256ELi4ELi64ELi4ELi64ELi4ELc78ELc84ELb1ELb1ELb1EdKPKdKPdEEviiiT16_PT17_ilSA_ilS8_SA_ilPT18_ili26rocblas_geam_ex_operation_,"axG",@progbits,_ZN12_GLOBAL__N_120geam_min_plus_kernelId15HIP_vector_typeIdLj2EEdLi8ELi32ELi64ELi256ELi4ELi64ELi4ELi64ELi4ELc78ELc84ELb1ELb1ELb1EdKPKdKPdEEviiiT16_PT17_ilSA_ilS8_SA_ilPT18_ili26rocblas_geam_ex_operation_,comdat
.Lfunc_end121:
	.size	_ZN12_GLOBAL__N_120geam_min_plus_kernelId15HIP_vector_typeIdLj2EEdLi8ELi32ELi64ELi256ELi4ELi64ELi4ELi64ELi4ELc78ELc84ELb1ELb1ELb1EdKPKdKPdEEviiiT16_PT17_ilSA_ilS8_SA_ilPT18_ili26rocblas_geam_ex_operation_, .Lfunc_end121-_ZN12_GLOBAL__N_120geam_min_plus_kernelId15HIP_vector_typeIdLj2EEdLi8ELi32ELi64ELi256ELi4ELi64ELi4ELi64ELi4ELc78ELc84ELb1ELb1ELb1EdKPKdKPdEEviiiT16_PT17_ilSA_ilS8_SA_ilPT18_ili26rocblas_geam_ex_operation_
                                        ; -- End function
	.set _ZN12_GLOBAL__N_120geam_min_plus_kernelId15HIP_vector_typeIdLj2EEdLi8ELi32ELi64ELi256ELi4ELi64ELi4ELi64ELi4ELc78ELc84ELb1ELb1ELb1EdKPKdKPdEEviiiT16_PT17_ilSA_ilS8_SA_ilPT18_ili26rocblas_geam_ex_operation_.num_vgpr, 233
	.set _ZN12_GLOBAL__N_120geam_min_plus_kernelId15HIP_vector_typeIdLj2EEdLi8ELi32ELi64ELi256ELi4ELi64ELi4ELi64ELi4ELc78ELc84ELb1ELb1ELb1EdKPKdKPdEEviiiT16_PT17_ilSA_ilS8_SA_ilPT18_ili26rocblas_geam_ex_operation_.num_agpr, 0
	.set _ZN12_GLOBAL__N_120geam_min_plus_kernelId15HIP_vector_typeIdLj2EEdLi8ELi32ELi64ELi256ELi4ELi64ELi4ELi64ELi4ELc78ELc84ELb1ELb1ELb1EdKPKdKPdEEviiiT16_PT17_ilSA_ilS8_SA_ilPT18_ili26rocblas_geam_ex_operation_.numbered_sgpr, 38
	.set _ZN12_GLOBAL__N_120geam_min_plus_kernelId15HIP_vector_typeIdLj2EEdLi8ELi32ELi64ELi256ELi4ELi64ELi4ELi64ELi4ELc78ELc84ELb1ELb1ELb1EdKPKdKPdEEviiiT16_PT17_ilSA_ilS8_SA_ilPT18_ili26rocblas_geam_ex_operation_.num_named_barrier, 0
	.set _ZN12_GLOBAL__N_120geam_min_plus_kernelId15HIP_vector_typeIdLj2EEdLi8ELi32ELi64ELi256ELi4ELi64ELi4ELi64ELi4ELc78ELc84ELb1ELb1ELb1EdKPKdKPdEEviiiT16_PT17_ilSA_ilS8_SA_ilPT18_ili26rocblas_geam_ex_operation_.private_seg_size, 0
	.set _ZN12_GLOBAL__N_120geam_min_plus_kernelId15HIP_vector_typeIdLj2EEdLi8ELi32ELi64ELi256ELi4ELi64ELi4ELi64ELi4ELc78ELc84ELb1ELb1ELb1EdKPKdKPdEEviiiT16_PT17_ilSA_ilS8_SA_ilPT18_ili26rocblas_geam_ex_operation_.uses_vcc, 1
	.set _ZN12_GLOBAL__N_120geam_min_plus_kernelId15HIP_vector_typeIdLj2EEdLi8ELi32ELi64ELi256ELi4ELi64ELi4ELi64ELi4ELc78ELc84ELb1ELb1ELb1EdKPKdKPdEEviiiT16_PT17_ilSA_ilS8_SA_ilPT18_ili26rocblas_geam_ex_operation_.uses_flat_scratch, 0
	.set _ZN12_GLOBAL__N_120geam_min_plus_kernelId15HIP_vector_typeIdLj2EEdLi8ELi32ELi64ELi256ELi4ELi64ELi4ELi64ELi4ELc78ELc84ELb1ELb1ELb1EdKPKdKPdEEviiiT16_PT17_ilSA_ilS8_SA_ilPT18_ili26rocblas_geam_ex_operation_.has_dyn_sized_stack, 0
	.set _ZN12_GLOBAL__N_120geam_min_plus_kernelId15HIP_vector_typeIdLj2EEdLi8ELi32ELi64ELi256ELi4ELi64ELi4ELi64ELi4ELc78ELc84ELb1ELb1ELb1EdKPKdKPdEEviiiT16_PT17_ilSA_ilS8_SA_ilPT18_ili26rocblas_geam_ex_operation_.has_recursion, 0
	.set _ZN12_GLOBAL__N_120geam_min_plus_kernelId15HIP_vector_typeIdLj2EEdLi8ELi32ELi64ELi256ELi4ELi64ELi4ELi64ELi4ELc78ELc84ELb1ELb1ELb1EdKPKdKPdEEviiiT16_PT17_ilSA_ilS8_SA_ilPT18_ili26rocblas_geam_ex_operation_.has_indirect_call, 0
	.section	.AMDGPU.csdata,"",@progbits
; Kernel info:
; codeLenInByte = 26288
; TotalNumSgprs: 44
; NumVgprs: 233
; NumAgprs: 0
; TotalNumVgprs: 233
; ScratchSize: 0
; MemoryBound: 0
; FloatMode: 240
; IeeeMode: 1
; LDSByteSize: 20480 bytes/workgroup (compile time only)
; SGPRBlocks: 5
; VGPRBlocks: 29
; NumSGPRsForWavesPerEU: 44
; NumVGPRsForWavesPerEU: 233
; AccumOffset: 236
; Occupancy: 2
; WaveLimiterHint : 1
; COMPUTE_PGM_RSRC2:SCRATCH_EN: 0
; COMPUTE_PGM_RSRC2:USER_SGPR: 2
; COMPUTE_PGM_RSRC2:TRAP_HANDLER: 0
; COMPUTE_PGM_RSRC2:TGID_X_EN: 1
; COMPUTE_PGM_RSRC2:TGID_Y_EN: 0
; COMPUTE_PGM_RSRC2:TGID_Z_EN: 1
; COMPUTE_PGM_RSRC2:TIDIG_COMP_CNT: 1
; COMPUTE_PGM_RSRC3_GFX90A:ACCUM_OFFSET: 58
; COMPUTE_PGM_RSRC3_GFX90A:TG_SPLIT: 0
	.section	.text._ZN12_GLOBAL__N_120geam_min_plus_kernelId15HIP_vector_typeIdLj2EEdLi8ELi32ELi64ELi256ELi4ELi64ELi4ELi64ELi4ELc78ELc84ELb0ELb1ELb1EdKPKdKPdEEviiiT16_PT17_ilSA_ilS8_SA_ilPT18_ili26rocblas_geam_ex_operation_,"axG",@progbits,_ZN12_GLOBAL__N_120geam_min_plus_kernelId15HIP_vector_typeIdLj2EEdLi8ELi32ELi64ELi256ELi4ELi64ELi4ELi64ELi4ELc78ELc84ELb0ELb1ELb1EdKPKdKPdEEviiiT16_PT17_ilSA_ilS8_SA_ilPT18_ili26rocblas_geam_ex_operation_,comdat
	.globl	_ZN12_GLOBAL__N_120geam_min_plus_kernelId15HIP_vector_typeIdLj2EEdLi8ELi32ELi64ELi256ELi4ELi64ELi4ELi64ELi4ELc78ELc84ELb0ELb1ELb1EdKPKdKPdEEviiiT16_PT17_ilSA_ilS8_SA_ilPT18_ili26rocblas_geam_ex_operation_ ; -- Begin function _ZN12_GLOBAL__N_120geam_min_plus_kernelId15HIP_vector_typeIdLj2EEdLi8ELi32ELi64ELi256ELi4ELi64ELi4ELi64ELi4ELc78ELc84ELb0ELb1ELb1EdKPKdKPdEEviiiT16_PT17_ilSA_ilS8_SA_ilPT18_ili26rocblas_geam_ex_operation_
	.p2align	8
	.type	_ZN12_GLOBAL__N_120geam_min_plus_kernelId15HIP_vector_typeIdLj2EEdLi8ELi32ELi64ELi256ELi4ELi64ELi4ELi64ELi4ELc78ELc84ELb0ELb1ELb1EdKPKdKPdEEviiiT16_PT17_ilSA_ilS8_SA_ilPT18_ili26rocblas_geam_ex_operation_,@function
_ZN12_GLOBAL__N_120geam_min_plus_kernelId15HIP_vector_typeIdLj2EEdLi8ELi32ELi64ELi256ELi4ELi64ELi4ELi64ELi4ELc78ELc84ELb0ELb1ELb1EdKPKdKPdEEviiiT16_PT17_ilSA_ilS8_SA_ilPT18_ili26rocblas_geam_ex_operation_: ; @_ZN12_GLOBAL__N_120geam_min_plus_kernelId15HIP_vector_typeIdLj2EEdLi8ELi32ELi64ELi256ELi4ELi64ELi4ELi64ELi4ELc78ELc84ELb0ELb1ELb1EdKPKdKPdEEviiiT16_PT17_ilSA_ilS8_SA_ilPT18_ili26rocblas_geam_ex_operation_
; %bb.0:
	s_load_dwordx4 s[16:19], s[0:1], 0x10
	s_load_dwordx4 s[4:7], s[0:1], 0x28
	s_mov_b32 s8, s3
	s_mov_b64 s[34:35], 0
	s_waitcnt lgkmcnt(0)
	v_cmp_eq_f64_e64 s[12:13], s[16:17], 0
	s_and_b64 vcc, exec, s[12:13]
	s_cbranch_vccnz .LBB122_2
; %bb.1:
	s_mov_b32 s9, 0
	s_lshl_b64 s[10:11], s[8:9], 3
	s_add_u32 s10, s18, s10
	s_addc_u32 s11, s19, s11
	s_load_dwordx2 s[10:11], s[10:11], 0x0
	s_lshl_b64 s[4:5], s[4:5], 3
	s_waitcnt lgkmcnt(0)
	s_add_u32 s34, s10, s4
	s_addc_u32 s35, s11, s5
.LBB122_2:
	s_load_dwordx4 s[20:23], s[0:1], 0x40
	s_load_dwordx2 s[10:11], s[0:1], 0x50
	s_andn2_b64 vcc, exec, s[12:13]
	s_mov_b32 s9, 0
	s_cbranch_vccnz .LBB122_4
; %bb.3:
	s_mov_b64 s[28:29], 0
	s_mov_b64 s[18:19], 0
	s_cbranch_execz .LBB122_5
	s_branch .LBB122_6
.LBB122_4:
	s_mov_b64 s[28:29], 0
	s_mov_b64 s[18:19], 0
.LBB122_5:
	s_lshl_b64 s[4:5], s[8:9], 3
	s_add_u32 s4, s6, s4
	s_addc_u32 s5, s7, s5
	s_load_dwordx2 s[4:5], s[4:5], 0x0
	s_waitcnt lgkmcnt(0)
	s_lshl_b64 s[6:7], s[20:21], 3
	s_add_u32 s18, s4, s6
	s_addc_u32 s19, s5, s7
.LBB122_6:
	s_load_dwordx4 s[4:7], s[0:1], 0x60
	s_waitcnt lgkmcnt(0)
	v_cmp_eq_f64_e64 s[12:13], s[22:23], 0
	v_cmp_neq_f64_e64 s[14:15], s[22:23], 0
	s_and_b64 vcc, exec, s[12:13]
	s_cbranch_vccnz .LBB122_8
; %bb.7:
	s_lshl_b64 s[12:13], s[8:9], 3
	s_add_u32 s10, s10, s12
	s_addc_u32 s11, s11, s13
	s_load_dwordx2 s[10:11], s[10:11], 0x0
	s_lshl_b64 s[4:5], s[4:5], 3
	s_waitcnt lgkmcnt(0)
	s_add_u32 s28, s10, s4
	s_addc_u32 s29, s11, s5
.LBB122_8:
	s_load_dword s36, s[0:1], 0x20
	s_load_dwordx4 s[24:27], s[0:1], 0x0
	s_lshl_b64 s[4:5], s[8:9], 3
	v_and_b32_e32 v150, 0x3ff, v0
	v_bfe_u32 v151, v0, 10, 10
	s_waitcnt lgkmcnt(0)
	s_ashr_i32 s37, s36, 31
	s_add_u32 s30, s6, s4
	s_addc_u32 s31, s7, s5
	s_add_i32 s3, s24, -1
	s_ashr_i32 s4, s3, 31
	s_lshr_b32 s4, s4, 26
	s_add_i32 s3, s3, s4
	s_ashr_i32 s3, s3, 6
	s_add_i32 s4, s3, 1
	v_cvt_f32_u32_e32 v1, s4
	s_not_b32 s3, s3
	v_cmp_eq_f64_e64 s[20:21], s[16:17], 0
	v_rcp_iflag_f32_e32 v0, v1
	v_lshl_add_u32 v1, v151, 3, v150
	v_and_b32_e32 v12, 63, v1
	v_lshrrev_b32_e32 v158, 6, v1
	v_mul_f32_e32 v0, 0x4f7ffffe, v0
	v_cvt_u32_f32_e32 v0, v0
	v_cmp_le_i32_e64 s[10:11], s26, v158
	v_readfirstlane_b32 s5, v0
	s_mul_i32 s3, s3, s5
	s_mul_hi_u32 s3, s5, s3
	s_add_i32 s5, s5, s3
	s_mul_hi_u32 s3, s2, s5
	s_mul_i32 s5, s3, s4
	s_sub_i32 s5, s2, s5
	s_add_i32 s6, s3, 1
	s_sub_i32 s7, s5, s4
	s_cmp_ge_u32 s5, s4
	s_cselect_b32 s3, s6, s3
	s_cselect_b32 s5, s7, s5
	s_add_i32 s6, s3, 1
	s_cmp_ge_u32 s5, s4
	s_cselect_b32 s6, s6, s3
	s_mul_i32 s3, s6, s4
	s_sub_i32 s2, s2, s3
	s_lshl_b32 s27, s2, 6
	v_or_b32_e32 v100, s27, v12
	v_cmp_le_i32_e32 vcc, s24, v100
	s_or_b64 s[2:3], vcc, s[10:11]
	s_nor_b64 s[4:5], s[20:21], s[2:3]
	v_ashrrev_i32_e32 v101, 31, v100
                                        ; implicit-def: $vgpr0_vgpr1
                                        ; implicit-def: $sgpr7
	s_and_saveexec_b64 s[8:9], s[4:5]
	s_xor_b64 s[4:5], exec, s[8:9]
	s_cbranch_execz .LBB122_10
; %bb.9:
	s_add_i32 s7, s26, -1
	v_min_u32_e32 v0, s7, v158
	v_mad_i64_i32 v[0:1], s[8:9], s36, v0, 0
	v_lshl_add_u64 v[0:1], v[0:1], 3, s[34:35]
	v_lshl_add_u64 v[0:1], v[100:101], 3, v[0:1]
	flat_load_dwordx2 v[0:1], v[0:1]
	s_waitcnt vmcnt(0) lgkmcnt(0)
	v_mul_f64 v[0:1], s[16:17], v[0:1]
.LBB122_10:
	s_or_saveexec_b64 s[4:5], s[4:5]
	v_mov_b32_e32 v2, s7
	s_xor_b64 exec, exec, s[4:5]
; %bb.11:
	v_mov_b32_e32 v0, 0x7fefffff
	v_cndmask_b32_e64 v1, 0, v0, s[2:3]
	v_cndmask_b32_e64 v0, 0, -1, s[2:3]
	s_add_i32 s2, s26, -1
	v_mov_b32_e32 v2, s2
; %bb.12:
	s_or_b64 exec, exec, s[4:5]
	s_load_dword s40, s[0:1], 0x38
	s_lshl_b32 s33, s6, 8
	v_min_i32_e32 v2, v158, v2
	v_or_b32_e32 v128, s33, v12
	v_mov_b32_e32 v4, 0x7fefffff
	s_waitcnt lgkmcnt(0)
	v_mad_i64_i32 v[2:3], s[2:3], v2, s40, 0
	v_cmp_le_i32_e64 s[2:3], s25, v128
	s_or_b64 s[4:5], s[2:3], s[10:11]
	v_lshl_add_u64 v[10:11], v[2:3], 3, s[18:19]
	v_cndmask_b32_e64 v3, 0, v4, s[4:5]
	s_nor_b64 s[6:7], s[20:21], s[4:5]
	v_cndmask_b32_e64 v2, 0, -1, s[4:5]
	v_ashrrev_i32_e32 v129, 31, v128
	s_and_saveexec_b64 s[4:5], s[6:7]
	s_cbranch_execz .LBB122_14
; %bb.13:
	v_lshl_add_u64 v[2:3], v[128:129], 3, v[10:11]
	flat_load_dwordx2 v[2:3], v[2:3]
	s_waitcnt vmcnt(0) lgkmcnt(0)
	v_mul_f64 v[2:3], s[16:17], v[2:3]
.LBB122_14:
	s_or_b64 exec, exec, s[4:5]
	v_or_b32_e32 v5, 64, v128
	v_cmp_le_i32_e64 s[4:5], s25, v5
	s_or_b64 s[6:7], s[4:5], s[10:11]
	v_cndmask_b32_e64 v5, 0, v4, s[6:7]
	s_nor_b64 s[8:9], s[20:21], s[6:7]
	v_cndmask_b32_e64 v4, 0, -1, s[6:7]
	s_and_saveexec_b64 s[6:7], s[8:9]
	s_cbranch_execz .LBB122_16
; %bb.15:
	v_lshl_add_u64 v[4:5], v[128:129], 3, v[10:11]
	flat_load_dwordx2 v[4:5], v[4:5] offset:512
	s_waitcnt vmcnt(0) lgkmcnt(0)
	v_mul_f64 v[4:5], s[16:17], v[4:5]
.LBB122_16:
	s_or_b64 exec, exec, s[6:7]
	v_or_b32_e32 v6, 0x80, v128
	v_cmp_le_i32_e64 s[6:7], s25, v6
	v_mov_b32_e32 v8, 0x7fefffff
	s_or_b64 s[8:9], s[6:7], s[10:11]
	v_cndmask_b32_e64 v7, 0, v8, s[8:9]
	s_nor_b64 s[12:13], s[20:21], s[8:9]
	v_cndmask_b32_e64 v6, 0, -1, s[8:9]
	s_and_saveexec_b64 s[8:9], s[12:13]
	s_cbranch_execz .LBB122_18
; %bb.17:
	v_lshl_add_u64 v[6:7], v[128:129], 3, v[10:11]
	flat_load_dwordx2 v[6:7], v[6:7] offset:1024
	s_waitcnt vmcnt(0) lgkmcnt(0)
	v_mul_f64 v[6:7], s[16:17], v[6:7]
.LBB122_18:
	s_or_b64 exec, exec, s[8:9]
	v_or_b32_e32 v9, 0xc0, v128
	v_cmp_le_i32_e64 s[8:9], s25, v9
	s_or_b64 s[10:11], s[8:9], s[10:11]
	v_cndmask_b32_e64 v9, 0, v8, s[10:11]
	s_nor_b64 s[12:13], s[20:21], s[10:11]
	v_cndmask_b32_e64 v8, 0, -1, s[10:11]
	s_and_saveexec_b64 s[10:11], s[12:13]
	s_cbranch_execz .LBB122_20
; %bb.19:
	v_lshl_add_u64 v[8:9], v[128:129], 3, v[10:11]
	flat_load_dwordx2 v[8:9], v[8:9] offset:1536
	s_waitcnt vmcnt(0) lgkmcnt(0)
	v_mul_f64 v[8:9], s[16:17], v[8:9]
.LBB122_20:
	s_or_b64 exec, exec, s[10:11]
	v_add_u32_e32 v10, 4, v158
	v_cmp_le_i32_e64 s[10:11], s26, v10
	s_or_b64 s[12:13], vcc, s[10:11]
	s_nor_b64 s[38:39], s[20:21], s[12:13]
                                        ; implicit-def: $vgpr102_vgpr103
                                        ; implicit-def: $sgpr41
	s_and_saveexec_b64 s[42:43], s[38:39]
	s_xor_b64 s[38:39], exec, s[42:43]
	s_cbranch_execz .LBB122_22
; %bb.21:
	s_add_i32 s41, s26, -1
	v_min_u32_e32 v11, s41, v10
	v_mad_u64_u32 v[14:15], s[42:43], s36, v11, 0
	v_mov_b32_e32 v16, v15
	v_mad_u64_u32 v[16:17], s[42:43], s37, v11, v[16:17]
	v_mov_b32_e32 v15, v16
	v_lshl_add_u64 v[14:15], v[14:15], 3, s[34:35]
	v_lshl_add_u64 v[14:15], v[100:101], 3, v[14:15]
	flat_load_dwordx2 v[14:15], v[14:15]
	s_waitcnt vmcnt(0) lgkmcnt(0)
	v_mul_f64 v[102:103], s[16:17], v[14:15]
.LBB122_22:
	s_or_saveexec_b64 s[38:39], s[38:39]
	v_mov_b32_e32 v11, s41
	s_xor_b64 exec, exec, s[38:39]
; %bb.23:
	v_mov_b32_e32 v11, 0x7fefffff
	v_cndmask_b32_e64 v103, 0, v11, s[12:13]
	v_cndmask_b32_e64 v102, 0, -1, s[12:13]
	s_add_i32 s12, s26, -1
	v_mov_b32_e32 v11, s12
; %bb.24:
	s_or_b64 exec, exec, s[38:39]
	v_min_i32_e32 v10, v10, v11
	v_mad_i64_i32 v[10:11], s[12:13], v10, s40, 0
	v_mov_b32_e32 v13, 0x7fefffff
	s_or_b64 s[12:13], s[2:3], s[10:11]
	v_lshl_add_u64 v[10:11], v[10:11], 3, s[18:19]
	v_cndmask_b32_e64 v105, 0, v13, s[12:13]
	s_nor_b64 s[38:39], s[20:21], s[12:13]
	v_cndmask_b32_e64 v104, 0, -1, s[12:13]
	s_and_saveexec_b64 s[12:13], s[38:39]
	s_cbranch_execz .LBB122_26
; %bb.25:
	v_lshl_add_u64 v[14:15], v[128:129], 3, v[10:11]
	flat_load_dwordx2 v[14:15], v[14:15]
	s_waitcnt vmcnt(0) lgkmcnt(0)
	v_mul_f64 v[104:105], s[16:17], v[14:15]
.LBB122_26:
	s_or_b64 exec, exec, s[12:13]
	s_or_b64 s[12:13], s[4:5], s[10:11]
	v_cndmask_b32_e64 v107, 0, v13, s[12:13]
	s_nor_b64 s[38:39], s[20:21], s[12:13]
	v_cndmask_b32_e64 v106, 0, -1, s[12:13]
	s_and_saveexec_b64 s[12:13], s[38:39]
	s_cbranch_execz .LBB122_28
; %bb.27:
	v_lshl_add_u64 v[14:15], v[128:129], 3, v[10:11]
	flat_load_dwordx2 v[14:15], v[14:15] offset:512
	s_waitcnt vmcnt(0) lgkmcnt(0)
	v_mul_f64 v[106:107], s[16:17], v[14:15]
.LBB122_28:
	s_or_b64 exec, exec, s[12:13]
	v_mov_b32_e32 v13, 0x7fefffff
	s_or_b64 s[12:13], s[6:7], s[10:11]
	v_cndmask_b32_e64 v109, 0, v13, s[12:13]
	s_nor_b64 s[38:39], s[20:21], s[12:13]
	v_cndmask_b32_e64 v108, 0, -1, s[12:13]
	s_and_saveexec_b64 s[12:13], s[38:39]
	s_cbranch_execz .LBB122_30
; %bb.29:
	v_lshl_add_u64 v[14:15], v[128:129], 3, v[10:11]
	flat_load_dwordx2 v[14:15], v[14:15] offset:1024
	s_waitcnt vmcnt(0) lgkmcnt(0)
	v_mul_f64 v[108:109], s[16:17], v[14:15]
.LBB122_30:
	s_or_b64 exec, exec, s[12:13]
	s_or_b64 s[10:11], s[8:9], s[10:11]
	v_cndmask_b32_e64 v111, 0, v13, s[10:11]
	s_nor_b64 s[12:13], s[20:21], s[10:11]
	v_cndmask_b32_e64 v110, 0, -1, s[10:11]
	s_and_saveexec_b64 s[10:11], s[12:13]
	s_cbranch_execz .LBB122_32
; %bb.31:
	v_lshl_add_u64 v[10:11], v[128:129], 3, v[10:11]
	flat_load_dwordx2 v[10:11], v[10:11] offset:1536
	s_waitcnt vmcnt(0) lgkmcnt(0)
	v_mul_f64 v[110:111], s[16:17], v[10:11]
.LBB122_32:
	s_or_b64 exec, exec, s[10:11]
	v_lshlrev_b32_e32 v10, 5, v12
	v_lshl_add_u32 v168, v158, 3, v10
	v_lshlrev_b32_e32 v162, 5, v150
	s_load_dwordx2 s[30:31], s[30:31], 0x0
	ds_write_b64 v168, v[0:1] offset:16384
	ds_write2st64_b64 v168, v[2:3], v[4:5] offset1:4
	ds_write2st64_b64 v168, v[6:7], v[8:9] offset0:8 offset1:12
	s_waitcnt lgkmcnt(0)
	s_barrier
	v_lshlrev_b32_e32 v161, 5, v151
	ds_read_b128 v[32:35], v162 offset:16640
	ds_read_b128 v[28:31], v162 offset:16896
	;; [unrolled: 1-line block ×13, first 2 shown]
	ds_read_b128 v[96:99], v161
	ds_read_b128 v[44:47], v161 offset:6144
	ds_read_b128 v[36:39], v161 offset:7168
	;; [unrolled: 1-line block ×4, first 2 shown]
	s_waitcnt lgkmcnt(5)
	v_add_f64 v[114:115], v[42:43], v[94:95]
	v_add_f64 v[116:117], v[40:41], v[92:93]
	s_mov_b32 s10, 0x7f800000
	v_cvt_f32_f64_e32 v113, v[116:117]
	v_cvt_f32_f64_e32 v114, v[114:115]
	v_min3_f32 v178, v113, v114, s10
	v_add_f64 v[114:115], v[34:35], v[94:95]
	v_add_f64 v[116:117], v[32:33], v[92:93]
	v_cvt_f32_f64_e32 v113, v[116:117]
	v_cvt_f32_f64_e32 v114, v[114:115]
	v_min3_f32 v179, v113, v114, s10
	v_add_f64 v[114:115], v[30:31], v[94:95]
	v_add_f64 v[116:117], v[28:29], v[92:93]
	;; [unrolled: 5-line block ×34, first 2 shown]
	v_cvt_f32_f64_e32 v113, v[116:117]
	v_cvt_f32_f64_e32 v114, v[114:115]
	v_min3_f32 v119, v113, v114, s10
	s_waitcnt lgkmcnt(3)
	v_add_f64 v[114:115], v[42:43], v[46:47]
	v_add_f64 v[166:167], v[40:41], v[44:45]
	v_cvt_f32_f64_e32 v113, v[166:167]
	v_cvt_f32_f64_e32 v114, v[114:115]
	v_min3_f32 v125, v113, v114, s10
	v_add_f64 v[114:115], v[34:35], v[46:47]
	v_add_f64 v[166:167], v[32:33], v[44:45]
	v_cvt_f32_f64_e32 v113, v[166:167]
	v_cvt_f32_f64_e32 v114, v[114:115]
	v_min3_f32 v122, v113, v114, s10
	v_add_f64 v[114:115], v[30:31], v[46:47]
	v_add_f64 v[166:167], v[28:29], v[44:45]
	v_cvt_f32_f64_e32 v113, v[166:167]
	v_cvt_f32_f64_e32 v114, v[114:115]
	v_add_f64 v[56:57], v[42:43], v[98:99]
	v_add_f64 v[58:59], v[40:41], v[96:97]
	v_min3_f32 v120, v113, v114, s10
	v_add_f64 v[114:115], v[26:27], v[46:47]
	v_add_f64 v[166:167], v[24:25], v[44:45]
	v_cvt_f32_f64_e32 v58, v[58:59]
	v_cvt_f32_f64_e32 v56, v[56:57]
	;; [unrolled: 1-line block ×4, first 2 shown]
	v_min3_f32 v112, v58, v56, s10
	ds_read_b128 v[56:59], v162 offset:16656
	v_add_f64 v[60:61], v[34:35], v[98:99]
	v_add_f64 v[62:63], v[32:33], v[96:97]
	v_min3_f32 v118, v113, v114, s10
	v_add_f64 v[114:115], v[22:23], v[46:47]
	v_add_f64 v[166:167], v[20:21], v[44:45]
	v_cvt_f32_f64_e32 v62, v[62:63]
	v_cvt_f32_f64_e32 v60, v[60:61]
	v_cvt_f32_f64_e32 v113, v[166:167]
	v_cvt_f32_f64_e32 v114, v[114:115]
	v_add_f64 v[166:167], v[16:17], v[44:45]
	v_min3_f32 v169, v62, v60, s10
	ds_read_b128 v[60:63], v162 offset:16912
	v_add_f64 v[64:65], v[30:31], v[98:99]
	v_add_f64 v[66:67], v[28:29], v[96:97]
	;; [unrolled: 1-line block ×22, first 2 shown]
	v_min3_f32 v116, v113, v114, s10
	v_add_f64 v[114:115], v[18:19], v[46:47]
	v_cvt_f32_f64_e32 v113, v[166:167]
	v_add_f64 v[166:167], v[14:15], v[46:47]
	v_add_f64 v[170:171], v[12:13], v[44:45]
	;; [unrolled: 1-line block ×4, first 2 shown]
	s_waitcnt lgkmcnt(4)
	v_add_f64 v[14:15], v[14:15], v[38:39]
	v_add_f64 v[12:13], v[12:13], v[36:37]
	;; [unrolled: 1-line block ×4, first 2 shown]
	v_cvt_f32_f64_e32 v66, v[66:67]
	v_cvt_f32_f64_e32 v64, v[64:65]
	;; [unrolled: 1-line block ×7, first 2 shown]
	s_waitcnt lgkmcnt(2)
	v_add_f64 v[10:11], v[2:3], v[6:7]
	v_add_f64 v[14:15], v[0:1], v[4:5]
	v_min3_f32 v172, v66, v64, s10
	ds_read_b128 v[64:67], v162 offset:17168
	v_min3_f32 v115, v113, v114, s10
	v_cvt_f32_f64_e32 v113, v[170:171]
	v_cvt_f32_f64_e32 v114, v[166:167]
	;; [unrolled: 1-line block ×4, first 2 shown]
	v_min3_f32 v8, v8, v9, s10
	v_cvt_f32_f64_e32 v9, v[14:15]
	v_cvt_f32_f64_e32 v10, v[10:11]
	;; [unrolled: 1-line block ×4, first 2 shown]
	v_min3_f32 v114, v113, v114, s10
	v_min3_f32 v113, v44, v45, s10
	ds_read_b128 v[44:47], v161 offset:7184
	v_min3_f32 v224, v9, v10, v112
	s_waitcnt lgkmcnt(3)
	v_add_f64 v[10:11], v[58:59], v[6:7]
	v_add_f64 v[14:15], v[56:57], v[4:5]
	v_min3_f32 v173, v70, v68, s10
	ds_read_b128 v[68:71], v162 offset:17424
	v_cvt_f32_f64_e32 v9, v[14:15]
	v_cvt_f32_f64_e32 v10, v[10:11]
	;; [unrolled: 1-line block ×4, first 2 shown]
	v_min3_f32 v223, v9, v10, v169
	s_waitcnt lgkmcnt(3)
	v_add_f64 v[10:11], v[62:63], v[6:7]
	v_add_f64 v[14:15], v[60:61], v[4:5]
	v_min3_f32 v174, v74, v72, s10
	ds_read_b128 v[72:75], v162 offset:17680
	v_cvt_f32_f64_e32 v9, v[14:15]
	v_cvt_f32_f64_e32 v10, v[10:11]
	;; [unrolled: 1-line block ×6, first 2 shown]
	v_min3_f32 v222, v9, v10, v172
	s_waitcnt lgkmcnt(3)
	v_add_f64 v[10:11], v[66:67], v[6:7]
	v_add_f64 v[14:15], v[64:65], v[4:5]
	v_min3_f32 v175, v78, v76, s10
	ds_read_b128 v[76:79], v162 offset:17936
	v_min3_f32 v176, v82, v80, s10
	ds_read_b128 v[80:83], v162 offset:18192
	v_cvt_f32_f64_e32 v9, v[14:15]
	v_cvt_f32_f64_e32 v10, v[10:11]
	;; [unrolled: 1-line block ×4, first 2 shown]
	v_min3_f32 v221, v9, v10, v173
	s_waitcnt lgkmcnt(3)
	v_add_f64 v[10:11], v[70:71], v[6:7]
	v_add_f64 v[14:15], v[68:69], v[4:5]
	v_min3_f32 v177, v96, v97, s10
	ds_read_b128 v[96:99], v161 offset:1040
	v_cvt_f32_f64_e32 v9, v[14:15]
	v_cvt_f32_f64_e32 v10, v[10:11]
	v_min3_f32 v220, v9, v10, v174
	s_waitcnt lgkmcnt(3)
	v_add_f64 v[10:11], v[74:75], v[6:7]
	v_add_f64 v[14:15], v[72:73], v[4:5]
	v_cvt_f32_f64_e32 v9, v[14:15]
	v_cvt_f32_f64_e32 v10, v[10:11]
	v_min3_f32 v212, v9, v10, v175
	s_waitcnt lgkmcnt(2)
	v_add_f64 v[10:11], v[78:79], v[6:7]
	v_add_f64 v[14:15], v[76:77], v[4:5]
	s_waitcnt lgkmcnt(1)
	v_add_f64 v[6:7], v[82:83], v[6:7]
	v_add_f64 v[4:5], v[80:81], v[4:5]
	v_cvt_f32_f64_e32 v92, v[92:93]
	v_cvt_f32_f64_e32 v93, v[94:95]
	;; [unrolled: 1-line block ×4, first 2 shown]
	v_min3_f32 v152, v92, v93, s10
	ds_read_b128 v[92:95], v161 offset:2064
	v_min3_f32 v210, v4, v5, v177
	s_waitcnt lgkmcnt(1)
	v_add_f64 v[4:5], v[2:3], v[98:99]
	v_add_f64 v[6:7], v[0:1], v[96:97]
	v_cvt_f32_f64_e32 v6, v[6:7]
	v_cvt_f32_f64_e32 v4, v[4:5]
	v_min3_f32 v209, v6, v4, v178
	v_add_f64 v[4:5], v[58:59], v[98:99]
	v_add_f64 v[6:7], v[56:57], v[96:97]
	v_cvt_f32_f64_e32 v6, v[6:7]
	v_cvt_f32_f64_e32 v4, v[4:5]
	v_min3_f32 v208, v6, v4, v179
	;; [unrolled: 5-line block ×8, first 2 shown]
	s_waitcnt lgkmcnt(0)
	v_add_f64 v[4:5], v[2:3], v[94:95]
	v_add_f64 v[6:7], v[0:1], v[92:93]
	v_cvt_f32_f64_e32 v6, v[6:7]
	v_cvt_f32_f64_e32 v4, v[4:5]
	v_min3_f32 v201, v6, v4, v163
	v_add_f64 v[4:5], v[58:59], v[94:95]
	v_add_f64 v[6:7], v[56:57], v[92:93]
	v_cvt_f32_f64_e32 v6, v[6:7]
	v_cvt_f32_f64_e32 v4, v[4:5]
	v_min3_f32 v200, v6, v4, v159
	;; [unrolled: 5-line block ×4, first 2 shown]
	v_add_f64 v[4:5], v[70:71], v[94:95]
	v_add_f64 v[6:7], v[68:69], v[92:93]
	v_cvt_f32_f64_e32 v6, v[6:7]
	v_cvt_f32_f64_e32 v4, v[4:5]
	;; [unrolled: 1-line block ×4, first 2 shown]
	v_min3_f32 v197, v6, v4, v149
	v_add_f64 v[4:5], v[74:75], v[94:95]
	v_add_f64 v[6:7], v[72:73], v[92:93]
	v_min3_f32 v142, v88, v89, s10
	ds_read_b128 v[88:91], v161 offset:3088
	v_cvt_f32_f64_e32 v6, v[6:7]
	v_cvt_f32_f64_e32 v4, v[4:5]
	v_min3_f32 v196, v6, v4, v147
	v_add_f64 v[4:5], v[78:79], v[94:95]
	v_add_f64 v[6:7], v[76:77], v[92:93]
	v_cvt_f32_f64_e32 v6, v[6:7]
	v_cvt_f32_f64_e32 v4, v[4:5]
	v_min3_f32 v195, v6, v4, v145
	v_add_f64 v[4:5], v[82:83], v[94:95]
	v_add_f64 v[6:7], v[80:81], v[92:93]
	v_cvt_f32_f64_e32 v84, v[84:85]
	v_cvt_f32_f64_e32 v85, v[86:87]
	;; [unrolled: 1-line block ×4, first 2 shown]
	v_min3_f32 v134, v84, v85, s10
	ds_read_b128 v[84:87], v161 offset:4112
	v_min3_f32 v194, v6, v4, v142
	s_waitcnt lgkmcnt(1)
	v_add_f64 v[4:5], v[2:3], v[90:91]
	v_add_f64 v[6:7], v[0:1], v[88:89]
	v_cvt_f32_f64_e32 v6, v[6:7]
	v_cvt_f32_f64_e32 v4, v[4:5]
	v_min3_f32 v193, v6, v4, v153
	v_add_f64 v[4:5], v[58:59], v[90:91]
	v_add_f64 v[6:7], v[56:57], v[88:89]
	v_cvt_f32_f64_e32 v6, v[6:7]
	v_cvt_f32_f64_e32 v4, v[4:5]
	v_min3_f32 v192, v6, v4, v148
	;; [unrolled: 5-line block ×8, first 2 shown]
	s_waitcnt lgkmcnt(0)
	v_add_f64 v[4:5], v[2:3], v[86:87]
	v_add_f64 v[6:7], v[0:1], v[84:85]
	v_cvt_f32_f64_e32 v6, v[6:7]
	v_cvt_f32_f64_e32 v4, v[4:5]
	v_min3_f32 v185, v6, v4, v143
	v_add_f64 v[4:5], v[58:59], v[86:87]
	v_add_f64 v[6:7], v[56:57], v[84:85]
	v_cvt_f32_f64_e32 v6, v[6:7]
	v_cvt_f32_f64_e32 v4, v[4:5]
	v_min3_f32 v184, v6, v4, v140
	;; [unrolled: 5-line block ×4, first 2 shown]
	v_add_f64 v[4:5], v[70:71], v[86:87]
	v_add_f64 v[6:7], v[68:69], v[84:85]
	v_cvt_f32_f64_e32 v6, v[6:7]
	v_cvt_f32_f64_e32 v4, v[4:5]
	;; [unrolled: 1-line block ×4, first 2 shown]
	v_min3_f32 v181, v6, v4, v133
	v_add_f64 v[4:5], v[74:75], v[86:87]
	v_add_f64 v[6:7], v[72:73], v[84:85]
	v_min3_f32 v124, v52, v53, s10
	ds_read_b128 v[52:55], v161 offset:5136
	v_cvt_f32_f64_e32 v6, v[6:7]
	v_cvt_f32_f64_e32 v4, v[4:5]
	v_min3_f32 v180, v6, v4, v131
	v_add_f64 v[4:5], v[78:79], v[86:87]
	v_add_f64 v[6:7], v[76:77], v[84:85]
	v_cvt_f32_f64_e32 v6, v[6:7]
	v_cvt_f32_f64_e32 v4, v[4:5]
	v_min3_f32 v179, v6, v4, v127
	v_add_f64 v[4:5], v[82:83], v[86:87]
	v_add_f64 v[6:7], v[80:81], v[84:85]
	v_cvt_f32_f64_e32 v48, v[48:49]
	v_cvt_f32_f64_e32 v49, v[50:51]
	;; [unrolled: 1-line block ×4, first 2 shown]
	v_min3_f32 v117, v48, v49, s10
	ds_read_b128 v[48:51], v161 offset:6160
	v_min3_f32 v178, v6, v4, v124
	s_waitcnt lgkmcnt(1)
	v_add_f64 v[4:5], v[2:3], v[54:55]
	v_add_f64 v[6:7], v[0:1], v[52:53]
	v_cvt_f32_f64_e32 v6, v[6:7]
	v_cvt_f32_f64_e32 v4, v[4:5]
	v_min3_f32 v177, v6, v4, v135
	v_add_f64 v[4:5], v[58:59], v[54:55]
	v_add_f64 v[6:7], v[56:57], v[52:53]
	v_cvt_f32_f64_e32 v9, v[14:15]
	v_cvt_f32_f64_e32 v10, v[10:11]
	;; [unrolled: 1-line block ×4, first 2 shown]
	v_min3_f32 v211, v9, v10, v176
	v_min3_f32 v176, v6, v4, v132
	v_add_f64 v[4:5], v[62:63], v[54:55]
	v_add_f64 v[6:7], v[60:61], v[52:53]
	v_cvt_f32_f64_e32 v6, v[6:7]
	v_cvt_f32_f64_e32 v4, v[4:5]
	v_min3_f32 v175, v6, v4, v130
	v_add_f64 v[4:5], v[66:67], v[54:55]
	v_add_f64 v[6:7], v[64:65], v[52:53]
	v_cvt_f32_f64_e32 v6, v[6:7]
	v_cvt_f32_f64_e32 v4, v[4:5]
	;; [unrolled: 5-line block ×5, first 2 shown]
	v_min3_f32 v171, v6, v4, v119
	v_add_f64 v[4:5], v[82:83], v[54:55]
	v_add_f64 v[6:7], v[80:81], v[52:53]
	;; [unrolled: 1-line block ×4, first 2 shown]
	v_cvt_f32_f64_e32 v6, v[6:7]
	v_cvt_f32_f64_e32 v4, v[4:5]
	;; [unrolled: 1-line block ×4, first 2 shown]
	v_min3_f32 v170, v6, v4, v117
	s_waitcnt lgkmcnt(0)
	v_add_f64 v[4:5], v[2:3], v[50:51]
	v_add_f64 v[6:7], v[0:1], v[48:49]
	;; [unrolled: 1-line block ×4, first 2 shown]
	v_min3_f32 v40, v40, v41, s10
	v_add_f64 v[34:35], v[34:35], v[38:39]
	v_add_f64 v[32:33], v[32:33], v[36:37]
	v_cvt_f32_f64_e32 v6, v[6:7]
	v_cvt_f32_f64_e32 v4, v[4:5]
	v_cvt_f32_f64_e32 v0, v[0:1]
	v_cvt_f32_f64_e32 v1, v[2:3]
	v_cvt_f32_f64_e32 v32, v[32:33]
	v_cvt_f32_f64_e32 v33, v[34:35]
	v_min3_f32 v169, v6, v4, v125
	v_add_f64 v[4:5], v[58:59], v[50:51]
	v_add_f64 v[6:7], v[56:57], v[48:49]
	v_min3_f32 v157, v0, v1, v40
	v_add_f64 v[0:1], v[58:59], v[46:47]
	v_add_f64 v[2:3], v[56:57], v[44:45]
	v_min3_f32 v32, v32, v33, s10
	v_add_f64 v[30:31], v[30:31], v[38:39]
	v_add_f64 v[28:29], v[28:29], v[36:37]
	v_cvt_f32_f64_e32 v6, v[6:7]
	v_cvt_f32_f64_e32 v4, v[4:5]
	v_cvt_f32_f64_e32 v2, v[2:3]
	v_cvt_f32_f64_e32 v0, v[0:1]
	v_cvt_f32_f64_e32 v28, v[28:29]
	v_cvt_f32_f64_e32 v29, v[30:31]
	v_min3_f32 v167, v6, v4, v122
	v_add_f64 v[4:5], v[62:63], v[50:51]
	v_add_f64 v[6:7], v[60:61], v[48:49]
	v_min3_f32 v156, v2, v0, v32
	v_add_f64 v[0:1], v[62:63], v[46:47]
	v_add_f64 v[2:3], v[60:61], v[44:45]
	v_min3_f32 v28, v28, v29, s10
	v_add_f64 v[26:27], v[26:27], v[38:39]
	v_add_f64 v[24:25], v[24:25], v[36:37]
	v_cvt_f32_f64_e32 v6, v[6:7]
	v_cvt_f32_f64_e32 v4, v[4:5]
	v_cvt_f32_f64_e32 v2, v[2:3]
	v_cvt_f32_f64_e32 v0, v[0:1]
	v_cvt_f32_f64_e32 v24, v[24:25]
	v_cvt_f32_f64_e32 v25, v[26:27]
	v_min3_f32 v166, v6, v4, v120
	v_add_f64 v[4:5], v[66:67], v[50:51]
	v_add_f64 v[6:7], v[64:65], v[48:49]
	v_min3_f32 v155, v2, v0, v28
	v_add_f64 v[0:1], v[66:67], v[46:47]
	v_add_f64 v[2:3], v[64:65], v[44:45]
	v_min3_f32 v24, v24, v25, s10
	v_add_f64 v[22:23], v[22:23], v[38:39]
	v_add_f64 v[20:21], v[20:21], v[36:37]
	v_cvt_f32_f64_e32 v6, v[6:7]
	v_cvt_f32_f64_e32 v4, v[4:5]
	v_cvt_f32_f64_e32 v2, v[2:3]
	v_cvt_f32_f64_e32 v0, v[0:1]
	v_cvt_f32_f64_e32 v20, v[20:21]
	v_cvt_f32_f64_e32 v21, v[22:23]
	v_min3_f32 v165, v6, v4, v118
	v_add_f64 v[4:5], v[70:71], v[50:51]
	v_add_f64 v[6:7], v[68:69], v[48:49]
	v_min3_f32 v154, v2, v0, v24
	v_add_f64 v[0:1], v[70:71], v[46:47]
	v_add_f64 v[2:3], v[68:69], v[44:45]
	v_min3_f32 v20, v20, v21, s10
	v_add_f64 v[18:19], v[18:19], v[38:39]
	v_add_f64 v[16:17], v[16:17], v[36:37]
	v_cvt_f32_f64_e32 v6, v[6:7]
	v_cvt_f32_f64_e32 v4, v[4:5]
	v_cvt_f32_f64_e32 v2, v[2:3]
	v_cvt_f32_f64_e32 v0, v[0:1]
	v_cvt_f32_f64_e32 v16, v[16:17]
	v_cvt_f32_f64_e32 v17, v[18:19]
	v_min3_f32 v164, v6, v4, v116
	v_add_f64 v[4:5], v[74:75], v[50:51]
	v_add_f64 v[6:7], v[72:73], v[48:49]
	v_min3_f32 v153, v2, v0, v20
	v_add_f64 v[0:1], v[74:75], v[46:47]
	v_add_f64 v[2:3], v[72:73], v[44:45]
	v_min3_f32 v16, v16, v17, s10
	v_cvt_f32_f64_e32 v6, v[6:7]
	v_cvt_f32_f64_e32 v4, v[4:5]
	;; [unrolled: 1-line block ×4, first 2 shown]
	v_min3_f32 v163, v6, v4, v115
	v_add_f64 v[4:5], v[78:79], v[50:51]
	v_add_f64 v[6:7], v[76:77], v[48:49]
	v_min3_f32 v152, v2, v0, v16
	v_add_f64 v[0:1], v[78:79], v[46:47]
	v_add_f64 v[2:3], v[76:77], v[44:45]
	v_min3_f32 v12, v12, v13, s10
	v_cvt_f32_f64_e32 v6, v[6:7]
	v_cvt_f32_f64_e32 v4, v[4:5]
	;; [unrolled: 1-line block ×4, first 2 shown]
	v_min3_f32 v160, v6, v4, v114
	v_add_f64 v[4:5], v[82:83], v[50:51]
	v_add_f64 v[6:7], v[80:81], v[48:49]
	v_min3_f32 v149, v2, v0, v12
	v_add_f64 v[0:1], v[82:83], v[46:47]
	v_add_f64 v[2:3], v[80:81], v[44:45]
	v_cvt_f32_f64_e32 v6, v[6:7]
	v_cvt_f32_f64_e32 v4, v[4:5]
	;; [unrolled: 1-line block ×4, first 2 shown]
	v_min3_f32 v159, v6, v4, v113
	v_min3_f32 v148, v2, v0, v8
	s_cmp_lt_i32 s26, 9
	ds_write_b64 v168, v[102:103] offset:18432
	ds_write2st64_b64 v168, v[104:105], v[106:107] offset0:16 offset1:20
	ds_write2st64_b64 v168, v[108:109], v[110:111] offset0:24 offset1:28
	s_waitcnt lgkmcnt(0)
	s_barrier
	s_cbranch_scc1 .LBB122_59
; %bb.33:
	v_mov_b32_e32 v0, 0x4800
	v_lshl_add_u32 v217, v150, 5, v0
	v_mov_b32_e32 v0, 0x2000
	v_lshl_add_u32 v218, v151, 5, v0
	v_add_u32_e32 v0, 12, v158
	v_mad_i64_i32 v[0:1], s[10:11], v0, s36, 0
	v_lshlrev_b64 v[132:133], 3, v[0:1]
	v_add_u32_e32 v0, 8, v158
	v_mad_i64_i32 v[0:1], s[10:11], v0, s36, 0
	v_or_b32_e32 v213, 0x4000, v168
	v_add_u32_e32 v214, 0x4000, v162
	v_add_u32_e32 v215, 0x4800, v168
	v_or_b32_e32 v216, 0x2000, v168
	s_add_i32 s38, s26, -8
	v_lshl_add_u64 v[130:131], v[100:101], 3, s[34:35]
	s_add_i32 s39, s26, -1
	s_lshl_b64 s[34:35], s[36:37], 6
	v_lshlrev_b64 v[134:135], 3, v[0:1]
	s_mov_b32 s41, 0
	v_mov_b32_e32 v219, 0x7fefffff
	s_branch .LBB122_35
.LBB122_34:                             ;   in Loop: Header=BB122_35 Depth=1
	s_or_b64 exec, exec, s[10:11]
	v_add_f64 v[146:147], v[98:99], v[126:127]
	v_add_f64 v[226:227], v[96:97], v[124:125]
	v_cvt_f32_f64_e32 v225, v[226:227]
	v_cvt_f32_f64_e32 v146, v[146:147]
	v_min3_f32 v226, v225, v146, v224
	v_add_f64 v[146:147], v[94:95], v[126:127]
	v_add_f64 v[224:225], v[92:93], v[124:125]
	v_cvt_f32_f64_e32 v224, v[224:225]
	v_cvt_f32_f64_e32 v146, v[146:147]
	v_min3_f32 v227, v224, v146, v223
	;; [unrolled: 5-line block ×6, first 2 shown]
	v_add_f64 v[146:147], v[70:71], v[126:127]
	v_add_f64 v[220:221], v[68:69], v[124:125]
	;; [unrolled: 1-line block ×4, first 2 shown]
	v_cvt_f32_f64_e32 v124, v[124:125]
	v_cvt_f32_f64_e32 v125, v[126:127]
	;; [unrolled: 1-line block ×3, first 2 shown]
	v_min3_f32 v147, v124, v125, v210
	v_add_f64 v[124:125], v[98:99], v[122:123]
	v_add_f64 v[126:127], v[96:97], v[120:121]
	v_cvt_f32_f64_e32 v126, v[126:127]
	v_cvt_f32_f64_e32 v124, v[124:125]
	v_min3_f32 v209, v126, v124, v209
	v_add_f64 v[124:125], v[94:95], v[122:123]
	v_add_f64 v[126:127], v[92:93], v[120:121]
	v_cvt_f32_f64_e32 v126, v[126:127]
	v_cvt_f32_f64_e32 v124, v[124:125]
	;; [unrolled: 5-line block ×6, first 2 shown]
	v_min3_f32 v204, v126, v124, v204
	v_add_f64 v[124:125], v[70:71], v[122:123]
	v_add_f64 v[126:127], v[68:69], v[120:121]
	;; [unrolled: 1-line block ×4, first 2 shown]
	v_cvt_f32_f64_e32 v120, v[120:121]
	v_cvt_f32_f64_e32 v121, v[122:123]
	;; [unrolled: 1-line block ×3, first 2 shown]
	v_min3_f32 v125, v120, v121, v202
	v_add_f64 v[120:121], v[98:99], v[118:119]
	v_add_f64 v[122:123], v[96:97], v[116:117]
	v_cvt_f32_f64_e32 v126, v[126:127]
	v_cvt_f32_f64_e32 v122, v[122:123]
	;; [unrolled: 1-line block ×3, first 2 shown]
	v_min3_f32 v124, v126, v124, v203
	v_min3_f32 v126, v122, v120, v201
	v_add_f64 v[120:121], v[94:95], v[118:119]
	v_add_f64 v[122:123], v[92:93], v[116:117]
	v_cvt_f32_f64_e32 v122, v[122:123]
	v_cvt_f32_f64_e32 v120, v[120:121]
	v_min3_f32 v127, v122, v120, v200
	v_add_f64 v[120:121], v[90:91], v[118:119]
	v_add_f64 v[122:123], v[88:89], v[116:117]
	v_cvt_f32_f64_e32 v122, v[122:123]
	v_cvt_f32_f64_e32 v120, v[120:121]
	;; [unrolled: 5-line block ×5, first 2 shown]
	v_min3_f32 v196, v122, v120, v196
	v_add_f64 v[120:121], v[70:71], v[118:119]
	v_add_f64 v[122:123], v[68:69], v[116:117]
	;; [unrolled: 1-line block ×4, first 2 shown]
	v_cvt_f32_f64_e32 v116, v[116:117]
	v_cvt_f32_f64_e32 v117, v[118:119]
	;; [unrolled: 1-line block ×3, first 2 shown]
	v_min3_f32 v121, v116, v117, v194
	v_add_f64 v[116:117], v[98:99], v[114:115]
	v_add_f64 v[118:119], v[96:97], v[112:113]
	v_cvt_f32_f64_e32 v122, v[122:123]
	v_cvt_f32_f64_e32 v118, v[118:119]
	;; [unrolled: 1-line block ×3, first 2 shown]
	v_min3_f32 v120, v122, v120, v195
	v_min3_f32 v122, v118, v116, v193
	v_add_f64 v[116:117], v[94:95], v[114:115]
	v_add_f64 v[118:119], v[92:93], v[112:113]
	v_cvt_f32_f64_e32 v118, v[118:119]
	v_cvt_f32_f64_e32 v116, v[116:117]
	v_min3_f32 v123, v118, v116, v192
	v_add_f64 v[116:117], v[90:91], v[114:115]
	v_add_f64 v[118:119], v[88:89], v[112:113]
	v_cvt_f32_f64_e32 v118, v[118:119]
	v_cvt_f32_f64_e32 v116, v[116:117]
	v_min3_f32 v191, v118, v116, v191
	v_add_f64 v[116:117], v[82:83], v[114:115]
	v_add_f64 v[118:119], v[80:81], v[112:113]
	v_cvt_f32_f64_e32 v118, v[118:119]
	v_cvt_f32_f64_e32 v116, v[116:117]
	v_min3_f32 v190, v118, v116, v190
	v_add_f64 v[116:117], v[78:79], v[114:115]
	v_add_f64 v[118:119], v[76:77], v[112:113]
	v_cvt_f32_f64_e32 v118, v[118:119]
	v_cvt_f32_f64_e32 v116, v[116:117]
	v_min3_f32 v189, v118, v116, v189
	v_add_f64 v[116:117], v[74:75], v[114:115]
	v_add_f64 v[118:119], v[72:73], v[112:113]
	v_cvt_f32_f64_e32 v118, v[118:119]
	v_cvt_f32_f64_e32 v116, v[116:117]
	v_min3_f32 v188, v118, v116, v188
	v_add_f64 v[116:117], v[70:71], v[114:115]
	v_add_f64 v[118:119], v[68:69], v[112:113]
	v_add_f64 v[114:115], v[66:67], v[114:115]
	v_add_f64 v[112:113], v[64:65], v[112:113]
	v_cvt_f32_f64_e32 v112, v[112:113]
	v_cvt_f32_f64_e32 v113, v[114:115]
	v_min3_f32 v186, v112, v113, v186
	v_add_f64 v[112:113], v[98:99], v[110:111]
	v_add_f64 v[114:115], v[96:97], v[108:109]
	v_cvt_f32_f64_e32 v114, v[114:115]
	v_cvt_f32_f64_e32 v112, v[112:113]
	v_min3_f32 v185, v114, v112, v185
	v_add_f64 v[112:113], v[94:95], v[110:111]
	v_add_f64 v[114:115], v[92:93], v[108:109]
	v_cvt_f32_f64_e32 v114, v[114:115]
	v_cvt_f32_f64_e32 v112, v[112:113]
	v_min3_f32 v184, v114, v112, v184
	v_add_f64 v[112:113], v[90:91], v[110:111]
	v_add_f64 v[114:115], v[88:89], v[108:109]
	v_cvt_f32_f64_e32 v114, v[114:115]
	v_cvt_f32_f64_e32 v112, v[112:113]
	v_min3_f32 v183, v114, v112, v183
	v_add_f64 v[112:113], v[82:83], v[110:111]
	v_add_f64 v[114:115], v[80:81], v[108:109]
	v_cvt_f32_f64_e32 v114, v[114:115]
	v_cvt_f32_f64_e32 v112, v[112:113]
	v_min3_f32 v182, v114, v112, v182
	v_add_f64 v[112:113], v[78:79], v[110:111]
	v_add_f64 v[114:115], v[76:77], v[108:109]
	v_cvt_f32_f64_e32 v114, v[114:115]
	v_cvt_f32_f64_e32 v112, v[112:113]
	v_min3_f32 v181, v114, v112, v181
	v_add_f64 v[112:113], v[74:75], v[110:111]
	v_add_f64 v[114:115], v[72:73], v[108:109]
	v_cvt_f32_f64_e32 v114, v[114:115]
	v_cvt_f32_f64_e32 v112, v[112:113]
	v_min3_f32 v180, v114, v112, v180
	v_add_f64 v[112:113], v[70:71], v[110:111]
	v_add_f64 v[114:115], v[68:69], v[108:109]
	v_add_f64 v[110:111], v[66:67], v[110:111]
	v_add_f64 v[108:109], v[64:65], v[108:109]
	v_cvt_f32_f64_e32 v108, v[108:109]
	v_cvt_f32_f64_e32 v109, v[110:111]
	v_min3_f32 v178, v108, v109, v178
	v_add_f64 v[108:109], v[98:99], v[106:107]
	v_add_f64 v[110:111], v[96:97], v[104:105]
	v_cvt_f32_f64_e32 v110, v[110:111]
	v_cvt_f32_f64_e32 v108, v[108:109]
	;; [unrolled: 37-line block ×3, first 2 shown]
	v_min3_f32 v169, v106, v104, v169
	v_add_f64 v[104:105], v[94:95], v[102:103]
	v_add_f64 v[106:107], v[92:93], v[100:101]
	v_cvt_f32_f64_e32 v106, v[106:107]
	v_cvt_f32_f64_e32 v104, v[104:105]
	v_min3_f32 v167, v106, v104, v167
	v_add_f64 v[104:105], v[90:91], v[102:103]
	v_add_f64 v[106:107], v[88:89], v[100:101]
	v_cvt_f32_f64_e32 v106, v[106:107]
	v_cvt_f32_f64_e32 v104, v[104:105]
	;; [unrolled: 5-line block ×5, first 2 shown]
	v_min3_f32 v194, v106, v104, v163
	v_add_f64 v[104:105], v[70:71], v[102:103]
	v_add_f64 v[106:107], v[68:69], v[100:101]
	;; [unrolled: 1-line block ×8, first 2 shown]
	v_cvt_f32_f64_e32 v76, v[76:77]
	v_cvt_f32_f64_e32 v77, v[78:79]
	;; [unrolled: 1-line block ×4, first 2 shown]
	v_min3_f32 v76, v76, v77, v153
	v_min3_f32 v77, v64, v65, v148
	v_add_f64 v[64:65], v[34:35], v[62:63]
	v_add_f64 v[66:67], v[32:33], v[60:61]
	v_cvt_f32_f64_e32 v66, v[66:67]
	v_cvt_f32_f64_e32 v64, v[64:65]
	v_add_f64 v[70:71], v[70:71], v[86:87]
	v_add_f64 v[68:69], v[68:69], v[84:85]
	v_min3_f32 v201, v66, v64, v226
	v_add_f64 v[64:65], v[30:31], v[62:63]
	v_add_f64 v[66:67], v[28:29], v[60:61]
	;; [unrolled: 1-line block ×4, first 2 shown]
	v_cvt_f32_f64_e32 v68, v[68:69]
	v_cvt_f32_f64_e32 v69, v[70:71]
	;; [unrolled: 1-line block ×6, first 2 shown]
	v_min3_f32 v75, v68, v69, v149
	v_min3_f32 v64, v66, v64, v227
	v_add_f64 v[66:67], v[26:27], v[62:63]
	v_add_f64 v[68:69], v[24:25], v[60:61]
	v_cvt_f32_f64_e32 v65, v[68:69]
	v_cvt_f32_f64_e32 v66, v[66:67]
	v_min3_f32 v65, v65, v66, v224
	v_add_f64 v[66:67], v[18:19], v[62:63]
	v_add_f64 v[68:69], v[16:17], v[60:61]
	v_cvt_f32_f64_e32 v68, v[68:69]
	v_cvt_f32_f64_e32 v66, v[66:67]
	;; [unrolled: 5-line block ×4, first 2 shown]
	v_min3_f32 v74, v72, v73, v152
	v_min3_f32 v68, v70, v68, v212
	v_add_f64 v[70:71], v[6:7], v[62:63]
	v_add_f64 v[72:73], v[4:5], v[60:61]
	v_add_f64 v[62:63], v[2:3], v[62:63]
	v_add_f64 v[60:61], v[0:1], v[60:61]
	v_cvt_f32_f64_e32 v100, v[100:101]
	v_cvt_f32_f64_e32 v101, v[102:103]
	v_cvt_f32_f64_e32 v60, v[60:61]
	v_cvt_f32_f64_e32 v61, v[62:63]
	v_min3_f32 v200, v100, v101, v159
	v_min3_f32 v100, v60, v61, v147
	v_add_f64 v[60:61], v[34:35], v[58:59]
	v_add_f64 v[62:63], v[32:33], v[56:57]
	v_cvt_f32_f64_e32 v62, v[62:63]
	v_cvt_f32_f64_e32 v60, v[60:61]
	v_min3_f32 v101, v62, v60, v209
	v_add_f64 v[60:61], v[30:31], v[58:59]
	v_add_f64 v[62:63], v[28:29], v[56:57]
	v_cvt_f32_f64_e32 v62, v[62:63]
	v_cvt_f32_f64_e32 v60, v[60:61]
	v_min3_f32 v102, v62, v60, v208
	v_add_f64 v[60:61], v[26:27], v[58:59]
	v_add_f64 v[62:63], v[24:25], v[56:57]
	v_cvt_f32_f64_e32 v62, v[62:63]
	v_cvt_f32_f64_e32 v60, v[60:61]
	v_min3_f32 v103, v62, v60, v207
	v_add_f64 v[60:61], v[18:19], v[58:59]
	v_add_f64 v[62:63], v[16:17], v[56:57]
	v_cvt_f32_f64_e32 v106, v[106:107]
	v_cvt_f32_f64_e32 v104, v[104:105]
	v_cvt_f32_f64_e32 v62, v[62:63]
	v_cvt_f32_f64_e32 v60, v[60:61]
	v_min3_f32 v195, v106, v104, v160
	v_min3_f32 v104, v62, v60, v206
	v_add_f64 v[60:61], v[14:15], v[58:59]
	v_add_f64 v[62:63], v[12:13], v[56:57]
	v_cvt_f32_f64_e32 v62, v[62:63]
	v_cvt_f32_f64_e32 v60, v[60:61]
	v_min3_f32 v105, v62, v60, v205
	v_add_f64 v[60:61], v[10:11], v[58:59]
	v_add_f64 v[62:63], v[8:9], v[56:57]
	v_cvt_f32_f64_e32 v62, v[62:63]
	v_cvt_f32_f64_e32 v60, v[60:61]
	v_min3_f32 v106, v62, v60, v204
	v_add_f64 v[60:61], v[6:7], v[58:59]
	v_add_f64 v[62:63], v[4:5], v[56:57]
	v_add_f64 v[58:59], v[2:3], v[58:59]
	v_add_f64 v[56:57], v[0:1], v[56:57]
	v_cvt_f32_f64_e32 v110, v[110:111]
	v_cvt_f32_f64_e32 v108, v[108:109]
	v_cvt_f32_f64_e32 v56, v[56:57]
	v_cvt_f32_f64_e32 v57, v[58:59]
	v_min3_f32 v171, v110, v108, v171
	v_min3_f32 v108, v56, v57, v125
	v_add_f64 v[56:57], v[34:35], v[54:55]
	v_add_f64 v[58:59], v[32:33], v[52:53]
	v_cvt_f32_f64_e32 v58, v[58:59]
	v_cvt_f32_f64_e32 v56, v[56:57]
	v_min3_f32 v109, v58, v56, v126
	v_add_f64 v[56:57], v[30:31], v[54:55]
	v_add_f64 v[58:59], v[28:29], v[52:53]
	v_cvt_f32_f64_e32 v58, v[58:59]
	v_cvt_f32_f64_e32 v56, v[56:57]
	v_min3_f32 v110, v58, v56, v127
	v_add_f64 v[56:57], v[26:27], v[54:55]
	v_add_f64 v[58:59], v[24:25], v[52:53]
	v_cvt_f32_f64_e32 v58, v[58:59]
	v_cvt_f32_f64_e32 v56, v[56:57]
	v_min3_f32 v111, v58, v56, v199
	v_add_f64 v[56:57], v[18:19], v[54:55]
	v_add_f64 v[58:59], v[16:17], v[52:53]
	v_cvt_f32_f64_e32 v114, v[114:115]
	v_cvt_f32_f64_e32 v112, v[112:113]
	v_cvt_f32_f64_e32 v58, v[58:59]
	v_cvt_f32_f64_e32 v56, v[56:57]
	v_min3_f32 v179, v114, v112, v179
	v_min3_f32 v112, v58, v56, v198
	v_add_f64 v[56:57], v[14:15], v[54:55]
	v_add_f64 v[58:59], v[12:13], v[52:53]
	v_cvt_f32_f64_e32 v58, v[58:59]
	v_cvt_f32_f64_e32 v56, v[56:57]
	v_min3_f32 v113, v58, v56, v197
	v_add_f64 v[56:57], v[10:11], v[54:55]
	v_add_f64 v[58:59], v[8:9], v[52:53]
	v_cvt_f32_f64_e32 v58, v[58:59]
	v_cvt_f32_f64_e32 v56, v[56:57]
	;; [unrolled: 43-line block ×3, first 2 shown]
	v_min3_f32 v122, v54, v52, v188
	v_add_f64 v[52:53], v[6:7], v[50:51]
	v_add_f64 v[54:55], v[4:5], v[48:49]
	;; [unrolled: 1-line block ×4, first 2 shown]
	v_cvt_f32_f64_e32 v62, v[62:63]
	v_cvt_f32_f64_e32 v60, v[60:61]
	;; [unrolled: 1-line block ×4, first 2 shown]
	v_min3_f32 v107, v62, v60, v124
	v_min3_f32 v124, v48, v49, v186
	v_add_f64 v[48:49], v[34:35], v[46:47]
	v_add_f64 v[50:51], v[32:33], v[44:45]
	v_cvt_f32_f64_e32 v50, v[50:51]
	v_cvt_f32_f64_e32 v48, v[48:49]
	v_min3_f32 v125, v50, v48, v185
	v_add_f64 v[48:49], v[30:31], v[46:47]
	v_add_f64 v[50:51], v[28:29], v[44:45]
	v_cvt_f32_f64_e32 v50, v[50:51]
	v_cvt_f32_f64_e32 v48, v[48:49]
	;; [unrolled: 5-line block ×3, first 2 shown]
	v_cvt_f32_f64_e32 v220, v[220:221]
	v_min3_f32 v127, v50, v48, v183
	v_add_f64 v[48:49], v[18:19], v[46:47]
	v_add_f64 v[50:51], v[16:17], v[44:45]
	v_min3_f32 v146, v220, v146, v211
	v_cvt_f32_f64_e32 v69, v[72:73]
	v_cvt_f32_f64_e32 v70, v[70:71]
	;; [unrolled: 1-line block ×4, first 2 shown]
	v_min3_f32 v69, v69, v70, v146
	v_min3_f32 v146, v50, v48, v182
	v_add_f64 v[48:49], v[14:15], v[46:47]
	v_add_f64 v[50:51], v[12:13], v[44:45]
	v_cvt_f32_f64_e32 v50, v[50:51]
	v_cvt_f32_f64_e32 v48, v[48:49]
	v_min3_f32 v147, v50, v48, v181
	v_add_f64 v[48:49], v[10:11], v[46:47]
	v_add_f64 v[50:51], v[8:9], v[44:45]
	v_cvt_f32_f64_e32 v50, v[50:51]
	v_cvt_f32_f64_e32 v48, v[48:49]
	v_min3_f32 v148, v50, v48, v180
	v_add_f64 v[48:49], v[6:7], v[46:47]
	v_add_f64 v[50:51], v[4:5], v[44:45]
	;; [unrolled: 1-line block ×4, first 2 shown]
	v_cvt_f32_f64_e32 v44, v[44:45]
	v_cvt_f32_f64_e32 v45, v[46:47]
	v_min3_f32 v152, v44, v45, v178
	v_add_f64 v[44:45], v[34:35], v[42:43]
	v_add_f64 v[46:47], v[32:33], v[40:41]
	v_cvt_f32_f64_e32 v46, v[46:47]
	v_cvt_f32_f64_e32 v44, v[44:45]
	v_add_f64 v[82:83], v[82:83], v[86:87]
	v_add_f64 v[80:81], v[80:81], v[84:85]
	v_min3_f32 v153, v46, v44, v177
	v_add_f64 v[44:45], v[30:31], v[42:43]
	v_add_f64 v[46:47], v[28:29], v[40:41]
	v_cvt_f32_f64_e32 v80, v[80:81]
	v_cvt_f32_f64_e32 v81, v[82:83]
	v_cvt_f32_f64_e32 v46, v[46:47]
	v_cvt_f32_f64_e32 v44, v[44:45]
	v_add_f64 v[90:91], v[90:91], v[86:87]
	v_add_f64 v[88:89], v[88:89], v[84:85]
	v_min3_f32 v80, v80, v81, v154
	v_min3_f32 v154, v46, v44, v176
	v_add_f64 v[44:45], v[26:27], v[42:43]
	v_add_f64 v[46:47], v[24:25], v[40:41]
	v_cvt_f32_f64_e32 v88, v[88:89]
	v_cvt_f32_f64_e32 v89, v[90:91]
	v_cvt_f32_f64_e32 v46, v[46:47]
	v_cvt_f32_f64_e32 v44, v[44:45]
	v_add_f64 v[94:95], v[94:95], v[86:87]
	v_add_f64 v[92:93], v[92:93], v[84:85]
	v_min3_f32 v88, v88, v89, v155
	;; [unrolled: 10-line block ×3, first 2 shown]
	v_min3_f32 v156, v46, v44, v174
	v_add_f64 v[44:45], v[14:15], v[42:43]
	v_add_f64 v[46:47], v[12:13], v[40:41]
	v_cvt_f32_f64_e32 v96, v[96:97]
	v_cvt_f32_f64_e32 v97, v[98:99]
	;; [unrolled: 1-line block ×4, first 2 shown]
	v_min3_f32 v96, v96, v97, v157
	v_min3_f32 v157, v46, v44, v173
	v_add_f64 v[44:45], v[10:11], v[42:43]
	v_add_f64 v[46:47], v[8:9], v[40:41]
	v_cvt_f32_f64_e32 v46, v[46:47]
	v_cvt_f32_f64_e32 v44, v[44:45]
	v_min3_f32 v159, v46, v44, v172
	v_add_f64 v[44:45], v[6:7], v[42:43]
	v_add_f64 v[46:47], v[4:5], v[40:41]
	;; [unrolled: 1-line block ×4, first 2 shown]
	v_cvt_f32_f64_e32 v40, v[40:41]
	v_cvt_f32_f64_e32 v41, v[42:43]
	v_min3_f32 v163, v40, v41, v170
	v_add_f64 v[40:41], v[34:35], v[38:39]
	v_add_f64 v[42:43], v[32:33], v[36:37]
	v_cvt_f32_f64_e32 v42, v[42:43]
	v_cvt_f32_f64_e32 v40, v[40:41]
	v_min3_f32 v164, v42, v40, v169
	v_add_f64 v[40:41], v[30:31], v[38:39]
	v_add_f64 v[42:43], v[28:29], v[36:37]
	;; [unrolled: 5-line block ×7, first 2 shown]
	v_add_f64 v[38:39], v[2:3], v[38:39]
	v_add_f64 v[36:37], v[0:1], v[36:37]
	;; [unrolled: 1-line block ×18, first 2 shown]
	v_cvt_f32_f64_e32 v54, v[54:55]
	v_cvt_f32_f64_e32 v52, v[52:53]
	v_cvt_f32_f64_e32 v50, v[50:51]
	v_cvt_f32_f64_e32 v48, v[48:49]
	v_cvt_f32_f64_e32 v46, v[46:47]
	v_cvt_f32_f64_e32 v44, v[44:45]
	v_cvt_f32_f64_e32 v36, v[36:37]
	v_cvt_f32_f64_e32 v37, v[38:39]
	v_cvt_f32_f64_e32 v32, v[32:33]
	v_cvt_f32_f64_e32 v33, v[34:35]
	v_cvt_f32_f64_e32 v28, v[28:29]
	v_cvt_f32_f64_e32 v29, v[30:31]
	v_cvt_f32_f64_e32 v24, v[24:25]
	v_cvt_f32_f64_e32 v25, v[26:27]
	v_cvt_f32_f64_e32 v16, v[16:17]
	v_cvt_f32_f64_e32 v17, v[18:19]
	v_cvt_f32_f64_e32 v12, v[12:13]
	v_cvt_f32_f64_e32 v13, v[14:15]
	v_cvt_f32_f64_e32 v8, v[8:9]
	v_cvt_f32_f64_e32 v9, v[10:11]
	v_cvt_f32_f64_e32 v4, v[4:5]
	v_cvt_f32_f64_e32 v5, v[6:7]
	v_cvt_f32_f64_e32 v0, v[0:1]
	v_cvt_f32_f64_e32 v1, v[2:3]
	v_min3_f32 v123, v54, v52, v187
	v_min3_f32 v149, v50, v48, v179
	;; [unrolled: 1-line block ×12, first 2 shown]
	ds_read_b128 v[36:39], v214 offset:256
	ds_read_b128 v[32:35], v214 offset:512
	;; [unrolled: 1-line block ×12, first 2 shown]
	ds_read_b128 v[96:99], v161
	ds_read_b128 v[48:51], v214
	ds_read_b128 v[72:75], v161 offset:6144
	ds_read_b128 v[24:27], v161 offset:7168
	;; [unrolled: 1-line block ×4, first 2 shown]
	s_waitcnt lgkmcnt(5)
	v_add_f64 v[44:45], v[38:39], v[98:99]
	v_add_f64 v[46:47], v[36:37], v[96:97]
	;; [unrolled: 1-line block ×8, first 2 shown]
	v_cvt_f32_f64_e32 v46, v[46:47]
	v_cvt_f32_f64_e32 v44, v[44:45]
	;; [unrolled: 1-line block ×10, first 2 shown]
	v_min3_f32 v186, v46, v44, v64
	v_min3_f32 v187, v54, v52, v65
	;; [unrolled: 1-line block ×4, first 2 shown]
	v_add_f64 v[64:65], v[18:19], v[98:99]
	v_add_f64 v[66:67], v[16:17], v[96:97]
	v_min3_f32 v171, v42, v40, v195
	s_waitcnt lgkmcnt(4)
	v_add_f64 v[40:41], v[50:51], v[98:99]
	v_add_f64 v[42:43], v[48:49], v[96:97]
	v_cvt_f32_f64_e32 v66, v[66:67]
	v_cvt_f32_f64_e32 v64, v[64:65]
	v_add_f64 v[70:71], v[14:15], v[98:99]
	v_add_f64 v[182:183], v[12:13], v[96:97]
	;; [unrolled: 1-line block ×4, first 2 shown]
	v_min3_f32 v190, v66, v64, v68
	v_cvt_f32_f64_e32 v68, v[182:183]
	v_cvt_f32_f64_e32 v96, v[96:97]
	;; [unrolled: 1-line block ×3, first 2 shown]
	v_add_f64 v[182:183], v[50:51], v[94:95]
	v_add_f64 v[184:185], v[48:49], v[92:93]
	v_min3_f32 v192, v96, v97, v100
	v_cvt_f32_f64_e32 v100, v[184:185]
	v_cvt_f32_f64_e32 v182, v[182:183]
	v_min3_f32 v184, v100, v182, v101
	v_add_f64 v[100:101], v[38:39], v[94:95]
	v_add_f64 v[182:183], v[36:37], v[92:93]
	v_cvt_f32_f64_e32 v182, v[182:183]
	v_cvt_f32_f64_e32 v100, v[100:101]
	v_min3_f32 v185, v182, v100, v102
	v_add_f64 v[100:101], v[34:35], v[94:95]
	v_add_f64 v[182:183], v[32:33], v[92:93]
	;; [unrolled: 5-line block ×34, first 2 shown]
	v_cvt_f32_f64_e32 v102, v[102:103]
	v_cvt_f32_f64_e32 v100, v[100:101]
	v_min3_f32 v160, v102, v100, v160
	s_waitcnt lgkmcnt(3)
	v_add_f64 v[100:101], v[50:51], v[74:75]
	v_add_f64 v[102:103], v[48:49], v[72:73]
	v_cvt_f32_f64_e32 v102, v[102:103]
	v_cvt_f32_f64_e32 v100, v[100:101]
	v_min3_f32 v164, v102, v100, v164
	v_add_f64 v[100:101], v[38:39], v[74:75]
	v_add_f64 v[102:103], v[36:37], v[72:73]
	v_cvt_f32_f64_e32 v102, v[102:103]
	v_cvt_f32_f64_e32 v100, v[100:101]
	v_min3_f32 v165, v102, v100, v165
	;; [unrolled: 5-line block ×4, first 2 shown]
	v_add_f64 v[100:101], v[22:23], v[74:75]
	v_add_f64 v[102:103], v[20:21], v[72:73]
	v_cvt_f32_f64_e32 v102, v[102:103]
	v_cvt_f32_f64_e32 v100, v[100:101]
	;; [unrolled: 1-line block ×4, first 2 shown]
	v_min3_f32 v226, v102, v100, v169
	v_add_f64 v[100:101], v[18:19], v[74:75]
	v_add_f64 v[102:103], v[16:17], v[72:73]
	v_min3_f32 v181, v42, v40, v201
	ds_read_b128 v[40:43], v214 offset:272
	v_cvt_f32_f64_e32 v102, v[102:103]
	v_cvt_f32_f64_e32 v100, v[100:101]
	v_add_f64 v[94:95], v[10:11], v[94:95]
	v_add_f64 v[92:93], v[8:9], v[92:93]
	;; [unrolled: 1-line block ×10, first 2 shown]
	v_min3_f32 v227, v102, v100, v170
	v_add_f64 v[100:101], v[14:15], v[74:75]
	v_add_f64 v[102:103], v[12:13], v[72:73]
	;; [unrolled: 1-line block ×4, first 2 shown]
	s_waitcnt lgkmcnt(3)
	v_add_f64 v[14:15], v[14:15], v[26:27]
	v_add_f64 v[12:13], v[12:13], v[24:25]
	;; [unrolled: 1-line block ×4, first 2 shown]
	ds_read_b128 v[44:47], v214 offset:528
	ds_read_b128 v[52:55], v214 offset:784
	v_cvt_f32_f64_e32 v12, v[12:13]
	v_cvt_f32_f64_e32 v13, v[14:15]
	;; [unrolled: 1-line block ×4, first 2 shown]
	v_min3_f32 v12, v12, v13, v179
	v_min3_f32 v13, v8, v9, v180
	s_waitcnt lgkmcnt(3)
	v_add_f64 v[8:9], v[2:3], v[6:7]
	v_add_f64 v[10:11], v[0:1], v[4:5]
	v_cvt_f32_f64_e32 v72, v[72:73]
	v_cvt_f32_f64_e32 v73, v[74:75]
	;; [unrolled: 1-line block ×5, first 2 shown]
	v_min3_f32 v101, v72, v73, v172
	ds_read_b128 v[72:75], v161 offset:7184
	v_min3_f32 v224, v10, v8, v181
	s_waitcnt lgkmcnt(3)
	v_add_f64 v[8:9], v[42:43], v[6:7]
	v_add_f64 v[10:11], v[40:41], v[4:5]
	ds_read_b128 v[56:59], v214 offset:1040
	ds_read_b128 v[60:63], v214 offset:1296
	v_cvt_f32_f64_e32 v10, v[10:11]
	v_cvt_f32_f64_e32 v8, v[8:9]
	v_min3_f32 v223, v10, v8, v186
	s_waitcnt lgkmcnt(4)
	v_add_f64 v[8:9], v[46:47], v[6:7]
	v_add_f64 v[10:11], v[44:45], v[4:5]
	v_cvt_f32_f64_e32 v10, v[10:11]
	v_cvt_f32_f64_e32 v8, v[8:9]
	;; [unrolled: 1-line block ×3, first 2 shown]
	v_min3_f32 v222, v10, v8, v187
	s_waitcnt lgkmcnt(3)
	v_add_f64 v[8:9], v[54:55], v[6:7]
	v_add_f64 v[10:11], v[52:53], v[4:5]
	ds_read_b128 v[64:67], v214 offset:1552
	v_min3_f32 v191, v68, v70, v69
	ds_read_b128 v[68:71], v214 offset:1808
	v_cvt_f32_f64_e32 v10, v[10:11]
	v_cvt_f32_f64_e32 v8, v[8:9]
	v_min3_f32 v221, v10, v8, v188
	s_waitcnt lgkmcnt(3)
	v_add_f64 v[8:9], v[58:59], v[6:7]
	v_add_f64 v[10:11], v[56:57], v[4:5]
	ds_read_b128 v[96:99], v161 offset:1040
	v_cvt_f32_f64_e32 v10, v[10:11]
	v_cvt_f32_f64_e32 v8, v[8:9]
	v_min3_f32 v220, v10, v8, v189
	s_waitcnt lgkmcnt(3)
	v_add_f64 v[8:9], v[62:63], v[6:7]
	v_add_f64 v[10:11], v[60:61], v[4:5]
	v_cvt_f32_f64_e32 v10, v[10:11]
	v_cvt_f32_f64_e32 v8, v[8:9]
	v_min3_f32 v212, v10, v8, v190
	s_waitcnt lgkmcnt(2)
	v_add_f64 v[8:9], v[66:67], v[6:7]
	v_add_f64 v[10:11], v[64:65], v[4:5]
	s_waitcnt lgkmcnt(1)
	v_add_f64 v[6:7], v[70:71], v[6:7]
	v_add_f64 v[4:5], v[68:69], v[4:5]
	v_cvt_f32_f64_e32 v92, v[92:93]
	v_cvt_f32_f64_e32 v93, v[94:95]
	;; [unrolled: 1-line block ×4, first 2 shown]
	v_min3_f32 v108, v92, v93, v108
	ds_read_b128 v[92:95], v161 offset:2064
	v_min3_f32 v210, v4, v5, v192
	s_waitcnt lgkmcnt(1)
	v_add_f64 v[4:5], v[2:3], v[98:99]
	v_add_f64 v[6:7], v[0:1], v[96:97]
	v_cvt_f32_f64_e32 v6, v[6:7]
	v_cvt_f32_f64_e32 v4, v[4:5]
	v_min3_f32 v209, v6, v4, v184
	v_add_f64 v[4:5], v[42:43], v[98:99]
	v_add_f64 v[6:7], v[40:41], v[96:97]
	v_cvt_f32_f64_e32 v6, v[6:7]
	v_cvt_f32_f64_e32 v4, v[4:5]
	v_min3_f32 v208, v6, v4, v185
	;; [unrolled: 5-line block ×8, first 2 shown]
	s_waitcnt lgkmcnt(0)
	v_add_f64 v[4:5], v[2:3], v[94:95]
	v_add_f64 v[6:7], v[0:1], v[92:93]
	v_cvt_f32_f64_e32 v6, v[6:7]
	v_cvt_f32_f64_e32 v4, v[4:5]
	v_min3_f32 v201, v6, v4, v109
	v_add_f64 v[4:5], v[42:43], v[94:95]
	v_add_f64 v[6:7], v[40:41], v[92:93]
	v_cvt_f32_f64_e32 v6, v[6:7]
	v_cvt_f32_f64_e32 v4, v[4:5]
	v_min3_f32 v200, v6, v4, v110
	v_add_f64 v[4:5], v[46:47], v[94:95]
	v_add_f64 v[6:7], v[44:45], v[92:93]
	v_cvt_f32_f64_e32 v6, v[6:7]
	v_cvt_f32_f64_e32 v4, v[4:5]
	v_min3_f32 v199, v6, v4, v111
	v_add_f64 v[4:5], v[54:55], v[94:95]
	v_add_f64 v[6:7], v[52:53], v[92:93]
	v_cvt_f32_f64_e32 v6, v[6:7]
	v_cvt_f32_f64_e32 v4, v[4:5]
	v_min3_f32 v198, v6, v4, v112
	v_add_f64 v[4:5], v[58:59], v[94:95]
	v_add_f64 v[6:7], v[56:57], v[92:93]
	v_cvt_f32_f64_e32 v6, v[6:7]
	v_cvt_f32_f64_e32 v4, v[4:5]
	;; [unrolled: 1-line block ×4, first 2 shown]
	v_min3_f32 v197, v6, v4, v113
	v_add_f64 v[4:5], v[62:63], v[94:95]
	v_add_f64 v[6:7], v[60:61], v[92:93]
	v_min3_f32 v116, v88, v89, v116
	ds_read_b128 v[88:91], v161 offset:3088
	v_cvt_f32_f64_e32 v6, v[6:7]
	v_cvt_f32_f64_e32 v4, v[4:5]
	v_min3_f32 v196, v6, v4, v114
	v_add_f64 v[4:5], v[66:67], v[94:95]
	v_add_f64 v[6:7], v[64:65], v[92:93]
	v_cvt_f32_f64_e32 v6, v[6:7]
	v_cvt_f32_f64_e32 v4, v[4:5]
	v_min3_f32 v195, v6, v4, v115
	v_add_f64 v[4:5], v[70:71], v[94:95]
	v_add_f64 v[6:7], v[68:69], v[92:93]
	v_cvt_f32_f64_e32 v84, v[84:85]
	v_cvt_f32_f64_e32 v85, v[86:87]
	;; [unrolled: 1-line block ×4, first 2 shown]
	v_min3_f32 v124, v84, v85, v124
	ds_read_b128 v[84:87], v161 offset:4112
	v_min3_f32 v194, v6, v4, v116
	s_waitcnt lgkmcnt(1)
	v_add_f64 v[4:5], v[2:3], v[90:91]
	v_add_f64 v[6:7], v[0:1], v[88:89]
	v_cvt_f32_f64_e32 v6, v[6:7]
	v_cvt_f32_f64_e32 v4, v[4:5]
	v_min3_f32 v193, v6, v4, v117
	v_add_f64 v[4:5], v[42:43], v[90:91]
	v_add_f64 v[6:7], v[40:41], v[88:89]
	v_cvt_f32_f64_e32 v6, v[6:7]
	v_cvt_f32_f64_e32 v4, v[4:5]
	v_min3_f32 v192, v6, v4, v118
	v_add_f64 v[4:5], v[46:47], v[90:91]
	v_add_f64 v[6:7], v[44:45], v[88:89]
	v_cvt_f32_f64_e32 v10, v[10:11]
	v_cvt_f32_f64_e32 v8, v[8:9]
	;; [unrolled: 1-line block ×4, first 2 shown]
	v_min3_f32 v211, v10, v8, v191
	v_min3_f32 v191, v6, v4, v119
	v_add_f64 v[4:5], v[54:55], v[90:91]
	v_add_f64 v[6:7], v[52:53], v[88:89]
	v_cvt_f32_f64_e32 v6, v[6:7]
	v_cvt_f32_f64_e32 v4, v[4:5]
	v_min3_f32 v190, v6, v4, v120
	v_add_f64 v[4:5], v[58:59], v[90:91]
	v_add_f64 v[6:7], v[56:57], v[88:89]
	v_cvt_f32_f64_e32 v6, v[6:7]
	v_cvt_f32_f64_e32 v4, v[4:5]
	;; [unrolled: 5-line block ×5, first 2 shown]
	v_min3_f32 v186, v6, v4, v124
	s_waitcnt lgkmcnt(0)
	v_add_f64 v[4:5], v[2:3], v[86:87]
	v_add_f64 v[6:7], v[0:1], v[84:85]
	v_cvt_f32_f64_e32 v6, v[6:7]
	v_cvt_f32_f64_e32 v4, v[4:5]
	v_min3_f32 v185, v6, v4, v125
	v_add_f64 v[4:5], v[42:43], v[86:87]
	v_add_f64 v[6:7], v[40:41], v[84:85]
	v_cvt_f32_f64_e32 v6, v[6:7]
	v_cvt_f32_f64_e32 v4, v[4:5]
	v_min3_f32 v184, v6, v4, v126
	;; [unrolled: 5-line block ×4, first 2 shown]
	v_add_f64 v[4:5], v[58:59], v[86:87]
	v_add_f64 v[6:7], v[56:57], v[84:85]
	v_cvt_f32_f64_e32 v6, v[6:7]
	v_cvt_f32_f64_e32 v4, v[4:5]
	;; [unrolled: 1-line block ×4, first 2 shown]
	v_min3_f32 v181, v6, v4, v147
	v_add_f64 v[4:5], v[62:63], v[86:87]
	v_add_f64 v[6:7], v[60:61], v[84:85]
	v_min3_f32 v152, v80, v81, v152
	ds_read_b128 v[80:83], v161 offset:5136
	v_cvt_f32_f64_e32 v6, v[6:7]
	v_cvt_f32_f64_e32 v4, v[4:5]
	v_min3_f32 v180, v6, v4, v148
	v_add_f64 v[4:5], v[66:67], v[86:87]
	v_add_f64 v[6:7], v[64:65], v[84:85]
	v_cvt_f32_f64_e32 v6, v[6:7]
	v_cvt_f32_f64_e32 v4, v[4:5]
	v_add_f64 v[18:19], v[18:19], v[26:27]
	v_add_f64 v[16:17], v[16:17], v[24:25]
	v_min3_f32 v179, v6, v4, v149
	v_add_f64 v[4:5], v[70:71], v[86:87]
	v_add_f64 v[6:7], v[68:69], v[84:85]
	v_cvt_f32_f64_e32 v76, v[76:77]
	v_cvt_f32_f64_e32 v77, v[78:79]
	;; [unrolled: 1-line block ×6, first 2 shown]
	v_min3_f32 v163, v76, v77, v163
	ds_read_b128 v[76:79], v161 offset:6160
	v_add_f64 v[22:23], v[22:23], v[26:27]
	v_add_f64 v[20:21], v[20:21], v[24:25]
	v_min3_f32 v16, v16, v17, v178
	v_min3_f32 v178, v6, v4, v152
	s_waitcnt lgkmcnt(1)
	v_add_f64 v[4:5], v[2:3], v[82:83]
	v_add_f64 v[6:7], v[0:1], v[80:81]
	v_cvt_f32_f64_e32 v20, v[20:21]
	v_cvt_f32_f64_e32 v21, v[22:23]
	v_cvt_f32_f64_e32 v6, v[6:7]
	v_cvt_f32_f64_e32 v4, v[4:5]
	v_add_f64 v[30:31], v[30:31], v[26:27]
	v_add_f64 v[28:29], v[28:29], v[24:25]
	v_min3_f32 v20, v20, v21, v177
	v_min3_f32 v177, v6, v4, v153
	v_add_f64 v[4:5], v[42:43], v[82:83]
	v_add_f64 v[6:7], v[40:41], v[80:81]
	v_cvt_f32_f64_e32 v28, v[28:29]
	v_cvt_f32_f64_e32 v29, v[30:31]
	v_cvt_f32_f64_e32 v6, v[6:7]
	v_cvt_f32_f64_e32 v4, v[4:5]
	v_add_f64 v[34:35], v[34:35], v[26:27]
	v_add_f64 v[32:33], v[32:33], v[24:25]
	v_min3_f32 v28, v28, v29, v176
	v_min3_f32 v176, v6, v4, v154
	v_add_f64 v[4:5], v[46:47], v[82:83]
	v_add_f64 v[6:7], v[44:45], v[80:81]
	v_cvt_f32_f64_e32 v32, v[32:33]
	v_cvt_f32_f64_e32 v33, v[34:35]
	v_cvt_f32_f64_e32 v6, v[6:7]
	v_cvt_f32_f64_e32 v4, v[4:5]
	v_add_f64 v[38:39], v[38:39], v[26:27]
	v_add_f64 v[36:37], v[36:37], v[24:25]
	v_min3_f32 v32, v32, v33, v175
	v_min3_f32 v175, v6, v4, v155
	v_add_f64 v[4:5], v[54:55], v[82:83]
	v_add_f64 v[6:7], v[52:53], v[80:81]
	v_cvt_f32_f64_e32 v36, v[36:37]
	v_cvt_f32_f64_e32 v37, v[38:39]
	v_cvt_f32_f64_e32 v6, v[6:7]
	v_cvt_f32_f64_e32 v4, v[4:5]
	v_add_f64 v[50:51], v[50:51], v[26:27]
	v_add_f64 v[48:49], v[48:49], v[24:25]
	v_min3_f32 v36, v36, v37, v174
	v_min3_f32 v174, v6, v4, v156
	v_add_f64 v[4:5], v[58:59], v[82:83]
	v_add_f64 v[6:7], v[56:57], v[80:81]
	v_cvt_f32_f64_e32 v48, v[48:49]
	v_cvt_f32_f64_e32 v49, v[50:51]
	;; [unrolled: 1-line block ×4, first 2 shown]
	v_min3_f32 v48, v48, v49, v173
	v_min3_f32 v173, v6, v4, v157
	v_add_f64 v[4:5], v[62:63], v[82:83]
	v_add_f64 v[6:7], v[60:61], v[80:81]
	v_cvt_f32_f64_e32 v6, v[6:7]
	v_cvt_f32_f64_e32 v4, v[4:5]
	v_min3_f32 v172, v6, v4, v159
	v_add_f64 v[4:5], v[66:67], v[82:83]
	v_add_f64 v[6:7], v[64:65], v[80:81]
	v_cvt_f32_f64_e32 v102, v[102:103]
	v_cvt_f32_f64_e32 v6, v[6:7]
	;; [unrolled: 1-line block ×3, first 2 shown]
	v_min3_f32 v100, v102, v100, v171
	v_min3_f32 v171, v6, v4, v160
	v_add_f64 v[4:5], v[70:71], v[82:83]
	v_add_f64 v[6:7], v[68:69], v[80:81]
	v_cvt_f32_f64_e32 v6, v[6:7]
	v_cvt_f32_f64_e32 v4, v[4:5]
	v_min3_f32 v170, v6, v4, v163
	s_waitcnt lgkmcnt(0)
	v_add_f64 v[4:5], v[2:3], v[78:79]
	v_add_f64 v[6:7], v[0:1], v[76:77]
	;; [unrolled: 1-line block ×4, first 2 shown]
	v_cvt_f32_f64_e32 v6, v[6:7]
	v_cvt_f32_f64_e32 v4, v[4:5]
	v_cvt_f32_f64_e32 v0, v[0:1]
	v_cvt_f32_f64_e32 v1, v[2:3]
	v_min3_f32 v169, v6, v4, v164
	v_add_f64 v[4:5], v[42:43], v[78:79]
	v_add_f64 v[6:7], v[40:41], v[76:77]
	v_min3_f32 v157, v0, v1, v48
	v_add_f64 v[0:1], v[42:43], v[74:75]
	v_add_f64 v[2:3], v[40:41], v[72:73]
	v_cvt_f32_f64_e32 v6, v[6:7]
	v_cvt_f32_f64_e32 v4, v[4:5]
	v_cvt_f32_f64_e32 v2, v[2:3]
	v_cvt_f32_f64_e32 v0, v[0:1]
	v_min3_f32 v167, v6, v4, v165
	v_add_f64 v[4:5], v[46:47], v[78:79]
	v_add_f64 v[6:7], v[44:45], v[76:77]
	v_min3_f32 v156, v2, v0, v36
	v_add_f64 v[0:1], v[46:47], v[74:75]
	v_add_f64 v[2:3], v[44:45], v[72:73]
	;; [unrolled: 10-line block ×7, first 2 shown]
	v_cvt_f32_f64_e32 v6, v[6:7]
	v_cvt_f32_f64_e32 v4, v[4:5]
	;; [unrolled: 1-line block ×4, first 2 shown]
	s_add_i32 s41, s41, 8
	v_min3_f32 v159, v6, v4, v101
	v_min3_f32 v148, v2, v0, v13
	s_cmp_ge_i32 s41, s38
	v_lshl_add_u64 v[130:131], v[130:131], 0, s[34:35]
	ds_write_b64 v215, v[136:137]
	ds_write2st64_b64 v216, v[138:139], v[140:141] offset1:4
	ds_write2st64_b64 v216, v[142:143], v[144:145] offset0:8 offset1:12
	s_waitcnt lgkmcnt(0)
	s_barrier
	s_cbranch_scc1 .LBB122_59
.LBB122_35:                             ; =>This Inner Loop Header: Depth=1
	v_add_u32_e32 v146, s41, v158
	v_add_u32_e32 v0, 8, v146
	v_cmp_le_i32_e64 s[10:11], s26, v0
	s_or_b64 s[12:13], vcc, s[10:11]
	s_nor_b64 s[36:37], s[20:21], s[12:13]
                                        ; implicit-def: $vgpr136_vgpr137
	s_and_saveexec_b64 s[42:43], s[36:37]
	s_xor_b64 s[36:37], exec, s[42:43]
	s_cbranch_execz .LBB122_37
; %bb.36:                               ;   in Loop: Header=BB122_35 Depth=1
	v_lshl_add_u64 v[2:3], v[130:131], 0, v[134:135]
	flat_load_dwordx2 v[2:3], v[2:3]
	s_waitcnt vmcnt(0) lgkmcnt(0)
	v_mul_f64 v[136:137], s[16:17], v[2:3]
.LBB122_37:                             ;   in Loop: Header=BB122_35 Depth=1
	s_andn2_saveexec_b64 s[36:37], s[36:37]
; %bb.38:                               ;   in Loop: Header=BB122_35 Depth=1
	v_cndmask_b32_e64 v137, 0, v219, s[12:13]
	v_cndmask_b32_e64 v136, 0, -1, s[12:13]
; %bb.39:                               ;   in Loop: Header=BB122_35 Depth=1
	s_or_b64 exec, exec, s[36:37]
	v_min_i32_e32 v0, s39, v0
	v_mad_i64_i32 v[0:1], s[12:13], v0, s40, 0
	v_lshl_add_u64 v[0:1], v[0:1], 3, s[18:19]
	s_or_b64 s[12:13], s[2:3], s[10:11]
	v_cndmask_b32_e64 v139, 0, v219, s[12:13]
	s_nor_b64 s[36:37], s[20:21], s[12:13]
	v_cndmask_b32_e64 v138, 0, -1, s[12:13]
	v_lshl_add_u64 v[0:1], v[128:129], 3, v[0:1]
	s_and_saveexec_b64 s[12:13], s[36:37]
	s_cbranch_execz .LBB122_41
; %bb.40:                               ;   in Loop: Header=BB122_35 Depth=1
	flat_load_dwordx2 v[2:3], v[0:1]
	s_waitcnt vmcnt(0) lgkmcnt(0)
	v_mul_f64 v[138:139], s[16:17], v[2:3]
.LBB122_41:                             ;   in Loop: Header=BB122_35 Depth=1
	s_or_b64 exec, exec, s[12:13]
	s_or_b64 s[12:13], s[4:5], s[10:11]
	v_cndmask_b32_e64 v141, 0, v219, s[12:13]
	s_nor_b64 s[36:37], s[20:21], s[12:13]
	v_cndmask_b32_e64 v140, 0, -1, s[12:13]
	s_and_saveexec_b64 s[12:13], s[36:37]
	s_cbranch_execz .LBB122_43
; %bb.42:                               ;   in Loop: Header=BB122_35 Depth=1
	flat_load_dwordx2 v[2:3], v[0:1] offset:512
	s_waitcnt vmcnt(0) lgkmcnt(0)
	v_mul_f64 v[140:141], s[16:17], v[2:3]
.LBB122_43:                             ;   in Loop: Header=BB122_35 Depth=1
	s_or_b64 exec, exec, s[12:13]
	s_or_b64 s[12:13], s[6:7], s[10:11]
	v_cndmask_b32_e64 v143, 0, v219, s[12:13]
	s_nor_b64 s[36:37], s[20:21], s[12:13]
	v_cndmask_b32_e64 v142, 0, -1, s[12:13]
	s_and_saveexec_b64 s[12:13], s[36:37]
	s_cbranch_execz .LBB122_45
; %bb.44:                               ;   in Loop: Header=BB122_35 Depth=1
	flat_load_dwordx2 v[2:3], v[0:1] offset:1024
	s_waitcnt vmcnt(0) lgkmcnt(0)
	v_mul_f64 v[142:143], s[16:17], v[2:3]
.LBB122_45:                             ;   in Loop: Header=BB122_35 Depth=1
	;; [unrolled: 12-line block ×3, first 2 shown]
	s_or_b64 exec, exec, s[10:11]
	ds_read_b128 v[124:127], v218
	ds_read_b128 v[60:63], v218 offset:16
	ds_read_b128 v[96:99], v217
	ds_read_b128 v[32:35], v217 offset:16
	ds_read_b128 v[92:95], v217 offset:256
	;; [unrolled: 1-line block ×29, first 2 shown]
	ds_write_b64 v213, v[136:137]
	ds_write2st64_b64 v168, v[138:139], v[140:141] offset1:4
	ds_write2st64_b64 v168, v[142:143], v[144:145] offset0:8 offset1:12
	v_add_u32_e32 v138, 12, v146
	v_cmp_le_i32_e64 s[10:11], s26, v138
	s_or_b64 s[12:13], vcc, s[10:11]
	s_nor_b64 s[36:37], s[20:21], s[12:13]
	s_waitcnt lgkmcnt(0)
	s_barrier
                                        ; implicit-def: $vgpr136_vgpr137
	s_and_saveexec_b64 s[42:43], s[36:37]
	s_xor_b64 s[36:37], exec, s[42:43]
	s_cbranch_execz .LBB122_49
; %bb.48:                               ;   in Loop: Header=BB122_35 Depth=1
	v_lshl_add_u64 v[136:137], v[130:131], 0, v[132:133]
	flat_load_dwordx2 v[136:137], v[136:137]
	s_waitcnt vmcnt(0) lgkmcnt(0)
	v_mul_f64 v[136:137], s[16:17], v[136:137]
.LBB122_49:                             ;   in Loop: Header=BB122_35 Depth=1
	s_andn2_saveexec_b64 s[36:37], s[36:37]
; %bb.50:                               ;   in Loop: Header=BB122_35 Depth=1
	v_cndmask_b32_e64 v137, 0, v219, s[12:13]
	v_cndmask_b32_e64 v136, 0, -1, s[12:13]
; %bb.51:                               ;   in Loop: Header=BB122_35 Depth=1
	s_or_b64 exec, exec, s[36:37]
	v_min_i32_e32 v138, s39, v138
	v_mad_i64_i32 v[138:139], s[12:13], v138, s40, 0
	v_lshl_add_u64 v[140:141], v[138:139], 3, s[18:19]
	s_or_b64 s[12:13], s[2:3], s[10:11]
	v_cndmask_b32_e64 v139, 0, v219, s[12:13]
	s_nor_b64 s[36:37], s[20:21], s[12:13]
	v_cndmask_b32_e64 v138, 0, -1, s[12:13]
	v_lshl_add_u64 v[146:147], v[128:129], 3, v[140:141]
	s_and_saveexec_b64 s[12:13], s[36:37]
	s_cbranch_execz .LBB122_53
; %bb.52:                               ;   in Loop: Header=BB122_35 Depth=1
	flat_load_dwordx2 v[138:139], v[146:147]
	s_waitcnt vmcnt(0) lgkmcnt(0)
	v_mul_f64 v[138:139], s[16:17], v[138:139]
.LBB122_53:                             ;   in Loop: Header=BB122_35 Depth=1
	s_or_b64 exec, exec, s[12:13]
	s_or_b64 s[12:13], s[4:5], s[10:11]
	v_cndmask_b32_e64 v141, 0, v219, s[12:13]
	s_nor_b64 s[36:37], s[20:21], s[12:13]
	v_cndmask_b32_e64 v140, 0, -1, s[12:13]
	s_and_saveexec_b64 s[12:13], s[36:37]
	s_cbranch_execz .LBB122_55
; %bb.54:                               ;   in Loop: Header=BB122_35 Depth=1
	flat_load_dwordx2 v[140:141], v[146:147] offset:512
	s_waitcnt vmcnt(0) lgkmcnt(0)
	v_mul_f64 v[140:141], s[16:17], v[140:141]
.LBB122_55:                             ;   in Loop: Header=BB122_35 Depth=1
	s_or_b64 exec, exec, s[12:13]
	s_or_b64 s[12:13], s[6:7], s[10:11]
	v_cndmask_b32_e64 v143, 0, v219, s[12:13]
	s_nor_b64 s[36:37], s[20:21], s[12:13]
	v_cndmask_b32_e64 v142, 0, -1, s[12:13]
	s_and_saveexec_b64 s[12:13], s[36:37]
	s_cbranch_execz .LBB122_57
; %bb.56:                               ;   in Loop: Header=BB122_35 Depth=1
	flat_load_dwordx2 v[142:143], v[146:147] offset:1024
	s_waitcnt vmcnt(0) lgkmcnt(0)
	v_mul_f64 v[142:143], s[16:17], v[142:143]
.LBB122_57:                             ;   in Loop: Header=BB122_35 Depth=1
	s_or_b64 exec, exec, s[12:13]
	s_or_b64 s[10:11], s[8:9], s[10:11]
	v_cndmask_b32_e64 v145, 0, v219, s[10:11]
	s_nor_b64 s[12:13], s[20:21], s[10:11]
	v_cndmask_b32_e64 v144, 0, -1, s[10:11]
	s_and_saveexec_b64 s[10:11], s[12:13]
	s_cbranch_execz .LBB122_34
; %bb.58:                               ;   in Loop: Header=BB122_35 Depth=1
	flat_load_dwordx2 v[144:145], v[146:147] offset:1536
	s_waitcnt vmcnt(0) lgkmcnt(0)
	v_mul_f64 v[144:145], s[16:17], v[144:145]
	s_branch .LBB122_34
.LBB122_59:
	s_load_dwordx2 s[2:3], s[0:1], 0x78
	s_load_dword s35, s[0:1], 0x58
	s_load_dword s34, s[0:1], 0x70
	ds_read_b128 v[68:71], v162 offset:18432
	ds_read_b128 v[64:67], v162 offset:18448
	;; [unrolled: 1-line block ×32, first 2 shown]
	s_waitcnt lgkmcnt(0)
	s_lshl_b64 s[0:1], s[2:3], 3
	s_add_u32 s20, s30, s0
	v_add_u32_e32 v128, s27, v150
	v_add_u32_e32 v150, s33, v151
	s_addc_u32 s21, s31, s1
	v_mad_i64_i32 v[130:131], s[0:1], v150, s35, 0
	v_lshl_add_u64 v[146:147], v[130:131], 3, s[28:29]
	v_mad_i64_i32 v[130:131], s[0:1], v150, s34, 0
	v_cmp_gt_i32_e64 s[2:3], s24, v128
	v_cmp_gt_i32_e64 s[18:19], s25, v150
	v_lshl_add_u64 v[144:145], v[130:131], 3, s[20:21]
	v_cndmask_b32_e64 v130, 0, 1, s[14:15]
	v_ashrrev_i32_e32 v129, 31, v128
	s_and_b64 s[6:7], s[2:3], s[18:19]
	v_cmp_ne_u32_e64 s[0:1], 1, v130
	s_and_saveexec_b64 s[4:5], s[6:7]
	s_cbranch_execz .LBB122_64
; %bb.60:
	s_and_b64 vcc, exec, s[0:1]
	s_cbranch_vccnz .LBB122_62
; %bb.61:
	v_lshl_add_u64 v[130:131], v[128:129], 3, v[146:147]
	flat_load_dwordx2 v[130:131], v[130:131]
	s_waitcnt vmcnt(0) lgkmcnt(0)
	v_mul_f64 v[130:131], s[22:23], v[130:131]
	v_cvt_f32_f64_e32 v130, v[130:131]
	s_branch .LBB122_63
.LBB122_62:
	v_mov_b32_e32 v130, 0
.LBB122_63:
	v_add_f64 v[132:133], v[70:71], v[126:127]
	v_add_f64 v[134:135], v[68:69], v[124:125]
	v_cvt_f32_f64_e32 v131, v[134:135]
	v_cvt_f32_f64_e32 v132, v[132:133]
	v_min3_f32 v131, v131, v132, v224
	v_add_f64 v[132:133], v[66:67], v[122:123]
	v_add_f64 v[134:135], v[64:65], v[120:121]
	v_cvt_f32_f64_e32 v134, v[134:135]
	v_cvt_f32_f64_e32 v132, v[132:133]
	v_min_f32_e32 v132, v134, v132
	v_min3_f32 v130, v130, v132, v131
	v_cvt_f64_f32_e32 v[130:131], v130
	v_lshl_add_u64 v[132:133], v[128:129], 3, v[144:145]
	flat_store_dwordx2 v[132:133], v[130:131]
.LBB122_64:
	s_or_b64 exec, exec, s[4:5]
	v_add_u32_e32 v130, 8, v128
	v_cmp_gt_i32_e64 s[4:5], s24, v130
	v_ashrrev_i32_e32 v131, 31, v130
	s_and_b64 s[8:9], s[4:5], s[18:19]
	s_and_saveexec_b64 s[6:7], s[8:9]
	s_cbranch_execz .LBB122_69
; %bb.65:
	s_and_b64 vcc, exec, s[0:1]
	s_cbranch_vccnz .LBB122_67
; %bb.66:
	v_lshl_add_u64 v[132:133], v[130:131], 3, v[146:147]
	flat_load_dwordx2 v[132:133], v[132:133]
	s_waitcnt vmcnt(0) lgkmcnt(0)
	v_mul_f64 v[132:133], s[22:23], v[132:133]
	v_cvt_f32_f64_e32 v132, v[132:133]
	s_branch .LBB122_68
.LBB122_67:
	v_mov_b32_e32 v132, 0
.LBB122_68:
	v_add_f64 v[134:135], v[62:63], v[126:127]
	v_add_f64 v[136:137], v[60:61], v[124:125]
	v_cvt_f32_f64_e32 v133, v[136:137]
	v_cvt_f32_f64_e32 v134, v[134:135]
	v_min3_f32 v133, v133, v134, v223
	v_add_f64 v[134:135], v[58:59], v[122:123]
	v_add_f64 v[136:137], v[56:57], v[120:121]
	v_cvt_f32_f64_e32 v136, v[136:137]
	v_cvt_f32_f64_e32 v134, v[134:135]
	v_min_f32_e32 v134, v136, v134
	v_min3_f32 v132, v132, v134, v133
	v_cvt_f64_f32_e32 v[132:133], v132
	v_lshl_add_u64 v[134:135], v[130:131], 3, v[144:145]
	flat_store_dwordx2 v[134:135], v[132:133]
.LBB122_69:
	s_or_b64 exec, exec, s[6:7]
	v_add_u32_e32 v132, 16, v128
	v_cmp_gt_i32_e64 s[6:7], s24, v132
	v_ashrrev_i32_e32 v133, 31, v132
	s_and_b64 s[10:11], s[6:7], s[18:19]
	;; [unrolled: 35-line block ×6, first 2 shown]
	s_and_saveexec_b64 s[16:17], s[26:27]
	s_cbranch_execz .LBB122_94
; %bb.90:
	s_and_b64 vcc, exec, s[0:1]
	s_cbranch_vccnz .LBB122_92
; %bb.91:
	v_lshl_add_u64 v[142:143], v[140:141], 3, v[146:147]
	flat_load_dwordx2 v[142:143], v[142:143]
	s_waitcnt vmcnt(0) lgkmcnt(0)
	v_mul_f64 v[142:143], s[22:23], v[142:143]
	v_cvt_f32_f64_e32 v142, v[142:143]
	s_branch .LBB122_93
.LBB122_92:
	v_mov_b32_e32 v142, 0
.LBB122_93:
	v_add_f64 v[212:213], v[22:23], v[126:127]
	v_add_f64 v[214:215], v[20:21], v[124:125]
	v_cvt_f32_f64_e32 v143, v[214:215]
	v_cvt_f32_f64_e32 v151, v[212:213]
	v_add_f64 v[212:213], v[18:19], v[122:123]
	v_add_f64 v[214:215], v[16:17], v[120:121]
	v_min3_f32 v143, v143, v151, v211
	v_cvt_f32_f64_e32 v151, v[214:215]
	v_cvt_f32_f64_e32 v158, v[212:213]
	v_min_f32_e32 v151, v151, v158
	v_min3_f32 v142, v142, v151, v143
	v_cvt_f64_f32_e32 v[142:143], v142
	v_lshl_add_u64 v[212:213], v[140:141], 3, v[144:145]
	flat_store_dwordx2 v[212:213], v[142:143]
.LBB122_94:
	s_or_b64 exec, exec, s[16:17]
	v_add_u32_e32 v142, 56, v128
	v_cmp_gt_i32_e64 s[16:17], s24, v142
	v_ashrrev_i32_e32 v143, 31, v142
	s_and_b64 s[26:27], s[16:17], s[18:19]
	s_and_saveexec_b64 s[18:19], s[26:27]
	s_cbranch_execz .LBB122_99
; %bb.95:
	s_and_b64 vcc, exec, s[0:1]
	s_cbranch_vccnz .LBB122_97
; %bb.96:
	v_lshl_add_u64 v[146:147], v[142:143], 3, v[146:147]
	flat_load_dwordx2 v[146:147], v[146:147]
	s_waitcnt vmcnt(0) lgkmcnt(0)
	v_mul_f64 v[146:147], s[22:23], v[146:147]
	v_cvt_f32_f64_e32 v146, v[146:147]
	s_branch .LBB122_98
.LBB122_97:
	v_mov_b32_e32 v146, 0
.LBB122_98:
	v_add_f64 v[126:127], v[6:7], v[126:127]
	v_add_f64 v[124:125], v[4:5], v[124:125]
	v_add_f64 v[122:123], v[2:3], v[122:123]
	v_add_f64 v[120:121], v[0:1], v[120:121]
	v_cvt_f32_f64_e32 v124, v[124:125]
	v_cvt_f32_f64_e32 v125, v[126:127]
	;; [unrolled: 1-line block ×4, first 2 shown]
	v_min3_f32 v124, v124, v125, v210
	v_min_f32_e32 v120, v120, v121
	v_min3_f32 v120, v146, v120, v124
	v_cvt_f64_f32_e32 v[120:121], v120
	v_lshl_add_u64 v[122:123], v[142:143], 3, v[144:145]
	flat_store_dwordx2 v[122:123], v[120:121]
.LBB122_99:
	s_or_b64 exec, exec, s[18:19]
	v_add_u32_e32 v124, 32, v150
	v_mad_i64_i32 v[120:121], s[26:27], v124, s35, 0
	v_cmp_gt_i32_e64 s[18:19], s25, v124
	v_lshl_add_u64 v[122:123], v[120:121], 3, s[28:29]
	v_mad_i64_i32 v[120:121], s[26:27], v124, s34, 0
	v_lshl_add_u64 v[120:121], v[120:121], 3, s[20:21]
	s_and_b64 s[30:31], s[2:3], s[18:19]
	s_and_saveexec_b64 s[26:27], s[30:31]
	s_cbranch_execnz .LBB122_107
; %bb.100:
	s_or_b64 exec, exec, s[26:27]
	s_and_b64 s[30:31], s[4:5], s[18:19]
	s_and_saveexec_b64 s[26:27], s[30:31]
	s_cbranch_execnz .LBB122_111
.LBB122_101:
	s_or_b64 exec, exec, s[26:27]
	s_and_b64 s[30:31], s[6:7], s[18:19]
	s_and_saveexec_b64 s[26:27], s[30:31]
	s_cbranch_execnz .LBB122_115
.LBB122_102:
	s_or_b64 exec, exec, s[26:27]
	s_and_b64 s[30:31], s[8:9], s[18:19]
	s_and_saveexec_b64 s[26:27], s[30:31]
	s_cbranch_execnz .LBB122_119
.LBB122_103:
	s_or_b64 exec, exec, s[26:27]
	s_and_b64 s[30:31], s[10:11], s[18:19]
	s_and_saveexec_b64 s[26:27], s[30:31]
	s_cbranch_execnz .LBB122_123
.LBB122_104:
	s_or_b64 exec, exec, s[26:27]
	s_and_b64 s[30:31], s[12:13], s[18:19]
	s_and_saveexec_b64 s[26:27], s[30:31]
	s_cbranch_execnz .LBB122_127
.LBB122_105:
	s_or_b64 exec, exec, s[26:27]
	s_and_b64 s[30:31], s[14:15], s[18:19]
	s_and_saveexec_b64 s[26:27], s[30:31]
	s_cbranch_execnz .LBB122_131
.LBB122_106:
	s_or_b64 exec, exec, s[26:27]
	s_and_b64 s[26:27], s[16:17], s[18:19]
	s_and_saveexec_b64 s[18:19], s[26:27]
	s_cbranch_execnz .LBB122_135
	s_branch .LBB122_139
.LBB122_107:
	s_and_b64 vcc, exec, s[0:1]
	s_cbranch_vccnz .LBB122_109
; %bb.108:
	v_lshl_add_u64 v[124:125], v[128:129], 3, v[122:123]
	flat_load_dwordx2 v[124:125], v[124:125]
	s_waitcnt vmcnt(0) lgkmcnt(0)
	v_mul_f64 v[124:125], s[22:23], v[124:125]
	v_cvt_f32_f64_e32 v124, v[124:125]
	s_branch .LBB122_110
.LBB122_109:
	v_mov_b32_e32 v124, 0
.LBB122_110:
	v_add_f64 v[126:127], v[70:71], v[118:119]
	v_add_f64 v[144:145], v[68:69], v[116:117]
	v_cvt_f32_f64_e32 v125, v[144:145]
	v_cvt_f32_f64_e32 v126, v[126:127]
	v_min3_f32 v125, v125, v126, v209
	v_add_f64 v[126:127], v[66:67], v[114:115]
	v_add_f64 v[144:145], v[64:65], v[112:113]
	v_cvt_f32_f64_e32 v144, v[144:145]
	v_cvt_f32_f64_e32 v126, v[126:127]
	v_min_f32_e32 v126, v144, v126
	v_min3_f32 v124, v124, v126, v125
	v_cvt_f64_f32_e32 v[124:125], v124
	v_lshl_add_u64 v[126:127], v[128:129], 3, v[120:121]
	flat_store_dwordx2 v[126:127], v[124:125]
	s_or_b64 exec, exec, s[26:27]
	s_and_b64 s[30:31], s[4:5], s[18:19]
	s_and_saveexec_b64 s[26:27], s[30:31]
	s_cbranch_execz .LBB122_101
.LBB122_111:
	s_and_b64 vcc, exec, s[0:1]
	s_cbranch_vccnz .LBB122_113
; %bb.112:
	v_lshl_add_u64 v[124:125], v[130:131], 3, v[122:123]
	flat_load_dwordx2 v[124:125], v[124:125]
	s_waitcnt vmcnt(0) lgkmcnt(0)
	v_mul_f64 v[124:125], s[22:23], v[124:125]
	v_cvt_f32_f64_e32 v124, v[124:125]
	s_branch .LBB122_114
.LBB122_113:
	v_mov_b32_e32 v124, 0
.LBB122_114:
	v_add_f64 v[126:127], v[62:63], v[118:119]
	v_add_f64 v[144:145], v[60:61], v[116:117]
	v_cvt_f32_f64_e32 v125, v[144:145]
	v_cvt_f32_f64_e32 v126, v[126:127]
	v_min3_f32 v125, v125, v126, v208
	v_add_f64 v[126:127], v[58:59], v[114:115]
	v_add_f64 v[144:145], v[56:57], v[112:113]
	v_cvt_f32_f64_e32 v144, v[144:145]
	v_cvt_f32_f64_e32 v126, v[126:127]
	v_min_f32_e32 v126, v144, v126
	v_min3_f32 v124, v124, v126, v125
	v_cvt_f64_f32_e32 v[124:125], v124
	v_lshl_add_u64 v[126:127], v[130:131], 3, v[120:121]
	flat_store_dwordx2 v[126:127], v[124:125]
	s_or_b64 exec, exec, s[26:27]
	s_and_b64 s[30:31], s[6:7], s[18:19]
	s_and_saveexec_b64 s[26:27], s[30:31]
	s_cbranch_execz .LBB122_102
.LBB122_115:
	s_and_b64 vcc, exec, s[0:1]
	s_cbranch_vccnz .LBB122_117
; %bb.116:
	v_lshl_add_u64 v[124:125], v[132:133], 3, v[122:123]
	flat_load_dwordx2 v[124:125], v[124:125]
	s_waitcnt vmcnt(0) lgkmcnt(0)
	v_mul_f64 v[124:125], s[22:23], v[124:125]
	v_cvt_f32_f64_e32 v124, v[124:125]
	s_branch .LBB122_118
.LBB122_117:
	v_mov_b32_e32 v124, 0
.LBB122_118:
	v_add_f64 v[126:127], v[54:55], v[118:119]
	v_add_f64 v[144:145], v[52:53], v[116:117]
	v_cvt_f32_f64_e32 v125, v[144:145]
	v_cvt_f32_f64_e32 v126, v[126:127]
	v_min3_f32 v125, v125, v126, v207
	v_add_f64 v[126:127], v[50:51], v[114:115]
	v_add_f64 v[144:145], v[48:49], v[112:113]
	v_cvt_f32_f64_e32 v144, v[144:145]
	v_cvt_f32_f64_e32 v126, v[126:127]
	v_min_f32_e32 v126, v144, v126
	v_min3_f32 v124, v124, v126, v125
	v_cvt_f64_f32_e32 v[124:125], v124
	v_lshl_add_u64 v[126:127], v[132:133], 3, v[120:121]
	flat_store_dwordx2 v[126:127], v[124:125]
	s_or_b64 exec, exec, s[26:27]
	s_and_b64 s[30:31], s[8:9], s[18:19]
	s_and_saveexec_b64 s[26:27], s[30:31]
	s_cbranch_execz .LBB122_103
.LBB122_119:
	s_and_b64 vcc, exec, s[0:1]
	s_cbranch_vccnz .LBB122_121
; %bb.120:
	v_lshl_add_u64 v[124:125], v[134:135], 3, v[122:123]
	flat_load_dwordx2 v[124:125], v[124:125]
	s_waitcnt vmcnt(0) lgkmcnt(0)
	v_mul_f64 v[124:125], s[22:23], v[124:125]
	v_cvt_f32_f64_e32 v124, v[124:125]
	s_branch .LBB122_122
.LBB122_121:
	v_mov_b32_e32 v124, 0
.LBB122_122:
	v_add_f64 v[126:127], v[46:47], v[118:119]
	v_add_f64 v[144:145], v[44:45], v[116:117]
	v_cvt_f32_f64_e32 v125, v[144:145]
	v_cvt_f32_f64_e32 v126, v[126:127]
	v_min3_f32 v125, v125, v126, v206
	v_add_f64 v[126:127], v[42:43], v[114:115]
	v_add_f64 v[144:145], v[40:41], v[112:113]
	v_cvt_f32_f64_e32 v144, v[144:145]
	v_cvt_f32_f64_e32 v126, v[126:127]
	v_min_f32_e32 v126, v144, v126
	v_min3_f32 v124, v124, v126, v125
	v_cvt_f64_f32_e32 v[124:125], v124
	v_lshl_add_u64 v[126:127], v[134:135], 3, v[120:121]
	flat_store_dwordx2 v[126:127], v[124:125]
	s_or_b64 exec, exec, s[26:27]
	s_and_b64 s[30:31], s[10:11], s[18:19]
	s_and_saveexec_b64 s[26:27], s[30:31]
	s_cbranch_execz .LBB122_104
.LBB122_123:
	s_and_b64 vcc, exec, s[0:1]
	s_cbranch_vccnz .LBB122_125
; %bb.124:
	v_lshl_add_u64 v[124:125], v[136:137], 3, v[122:123]
	flat_load_dwordx2 v[124:125], v[124:125]
	s_waitcnt vmcnt(0) lgkmcnt(0)
	v_mul_f64 v[124:125], s[22:23], v[124:125]
	v_cvt_f32_f64_e32 v124, v[124:125]
	s_branch .LBB122_126
.LBB122_125:
	v_mov_b32_e32 v124, 0
.LBB122_126:
	v_add_f64 v[126:127], v[38:39], v[118:119]
	v_add_f64 v[144:145], v[36:37], v[116:117]
	v_cvt_f32_f64_e32 v125, v[144:145]
	v_cvt_f32_f64_e32 v126, v[126:127]
	v_min3_f32 v125, v125, v126, v205
	v_add_f64 v[126:127], v[34:35], v[114:115]
	v_add_f64 v[144:145], v[32:33], v[112:113]
	v_cvt_f32_f64_e32 v144, v[144:145]
	v_cvt_f32_f64_e32 v126, v[126:127]
	v_min_f32_e32 v126, v144, v126
	v_min3_f32 v124, v124, v126, v125
	v_cvt_f64_f32_e32 v[124:125], v124
	v_lshl_add_u64 v[126:127], v[136:137], 3, v[120:121]
	flat_store_dwordx2 v[126:127], v[124:125]
	s_or_b64 exec, exec, s[26:27]
	s_and_b64 s[30:31], s[12:13], s[18:19]
	s_and_saveexec_b64 s[26:27], s[30:31]
	s_cbranch_execz .LBB122_105
.LBB122_127:
	s_and_b64 vcc, exec, s[0:1]
	s_cbranch_vccnz .LBB122_129
; %bb.128:
	v_lshl_add_u64 v[124:125], v[138:139], 3, v[122:123]
	flat_load_dwordx2 v[124:125], v[124:125]
	s_waitcnt vmcnt(0) lgkmcnt(0)
	v_mul_f64 v[124:125], s[22:23], v[124:125]
	v_cvt_f32_f64_e32 v124, v[124:125]
	s_branch .LBB122_130
.LBB122_129:
	v_mov_b32_e32 v124, 0
.LBB122_130:
	v_add_f64 v[126:127], v[30:31], v[118:119]
	v_add_f64 v[144:145], v[28:29], v[116:117]
	v_cvt_f32_f64_e32 v125, v[144:145]
	v_cvt_f32_f64_e32 v126, v[126:127]
	v_min3_f32 v125, v125, v126, v204
	v_add_f64 v[126:127], v[26:27], v[114:115]
	v_add_f64 v[144:145], v[24:25], v[112:113]
	v_cvt_f32_f64_e32 v144, v[144:145]
	v_cvt_f32_f64_e32 v126, v[126:127]
	v_min_f32_e32 v126, v144, v126
	v_min3_f32 v124, v124, v126, v125
	v_cvt_f64_f32_e32 v[124:125], v124
	v_lshl_add_u64 v[126:127], v[138:139], 3, v[120:121]
	flat_store_dwordx2 v[126:127], v[124:125]
	s_or_b64 exec, exec, s[26:27]
	s_and_b64 s[30:31], s[14:15], s[18:19]
	s_and_saveexec_b64 s[26:27], s[30:31]
	s_cbranch_execz .LBB122_106
.LBB122_131:
	s_and_b64 vcc, exec, s[0:1]
	s_cbranch_vccnz .LBB122_133
; %bb.132:
	v_lshl_add_u64 v[124:125], v[140:141], 3, v[122:123]
	flat_load_dwordx2 v[124:125], v[124:125]
	s_waitcnt vmcnt(0) lgkmcnt(0)
	v_mul_f64 v[124:125], s[22:23], v[124:125]
	v_cvt_f32_f64_e32 v124, v[124:125]
	s_branch .LBB122_134
.LBB122_133:
	v_mov_b32_e32 v124, 0
.LBB122_134:
	v_add_f64 v[126:127], v[22:23], v[118:119]
	v_add_f64 v[144:145], v[20:21], v[116:117]
	v_cvt_f32_f64_e32 v125, v[144:145]
	v_cvt_f32_f64_e32 v126, v[126:127]
	v_min3_f32 v125, v125, v126, v203
	v_add_f64 v[126:127], v[18:19], v[114:115]
	v_add_f64 v[144:145], v[16:17], v[112:113]
	v_cvt_f32_f64_e32 v144, v[144:145]
	v_cvt_f32_f64_e32 v126, v[126:127]
	v_min_f32_e32 v126, v144, v126
	v_min3_f32 v124, v124, v126, v125
	v_cvt_f64_f32_e32 v[124:125], v124
	v_lshl_add_u64 v[126:127], v[140:141], 3, v[120:121]
	flat_store_dwordx2 v[126:127], v[124:125]
	s_or_b64 exec, exec, s[26:27]
	s_and_b64 s[26:27], s[16:17], s[18:19]
	s_and_saveexec_b64 s[18:19], s[26:27]
	s_cbranch_execz .LBB122_139
.LBB122_135:
	s_and_b64 vcc, exec, s[0:1]
	s_cbranch_vccnz .LBB122_137
; %bb.136:
	v_lshl_add_u64 v[122:123], v[142:143], 3, v[122:123]
	flat_load_dwordx2 v[122:123], v[122:123]
	s_waitcnt vmcnt(0) lgkmcnt(0)
	v_mul_f64 v[122:123], s[22:23], v[122:123]
	v_cvt_f32_f64_e32 v122, v[122:123]
	s_branch .LBB122_138
.LBB122_137:
	v_mov_b32_e32 v122, 0
.LBB122_138:
	v_add_f64 v[118:119], v[6:7], v[118:119]
	v_add_f64 v[116:117], v[4:5], v[116:117]
	;; [unrolled: 1-line block ×4, first 2 shown]
	v_cvt_f32_f64_e32 v116, v[116:117]
	v_cvt_f32_f64_e32 v117, v[118:119]
	v_cvt_f32_f64_e32 v112, v[112:113]
	v_cvt_f32_f64_e32 v113, v[114:115]
	v_min3_f32 v116, v116, v117, v202
	v_min_f32_e32 v112, v112, v113
	v_min3_f32 v112, v122, v112, v116
	v_cvt_f64_f32_e32 v[112:113], v112
	v_lshl_add_u64 v[114:115], v[142:143], 3, v[120:121]
	flat_store_dwordx2 v[114:115], v[112:113]
.LBB122_139:
	s_or_b64 exec, exec, s[18:19]
	v_add_u32_e32 v116, 64, v150
	v_mad_i64_i32 v[112:113], s[26:27], v116, s35, 0
	v_cmp_gt_i32_e64 s[18:19], s25, v116
	v_lshl_add_u64 v[114:115], v[112:113], 3, s[28:29]
	v_mad_i64_i32 v[112:113], s[26:27], v116, s34, 0
	v_lshl_add_u64 v[112:113], v[112:113], 3, s[20:21]
	s_and_b64 s[30:31], s[2:3], s[18:19]
	s_and_saveexec_b64 s[26:27], s[30:31]
	s_cbranch_execnz .LBB122_147
; %bb.140:
	s_or_b64 exec, exec, s[26:27]
	s_and_b64 s[30:31], s[4:5], s[18:19]
	s_and_saveexec_b64 s[26:27], s[30:31]
	s_cbranch_execnz .LBB122_151
.LBB122_141:
	s_or_b64 exec, exec, s[26:27]
	s_and_b64 s[30:31], s[6:7], s[18:19]
	s_and_saveexec_b64 s[26:27], s[30:31]
	s_cbranch_execnz .LBB122_155
.LBB122_142:
	s_or_b64 exec, exec, s[26:27]
	s_and_b64 s[30:31], s[8:9], s[18:19]
	s_and_saveexec_b64 s[26:27], s[30:31]
	s_cbranch_execnz .LBB122_159
.LBB122_143:
	s_or_b64 exec, exec, s[26:27]
	s_and_b64 s[30:31], s[10:11], s[18:19]
	s_and_saveexec_b64 s[26:27], s[30:31]
	s_cbranch_execnz .LBB122_163
.LBB122_144:
	s_or_b64 exec, exec, s[26:27]
	s_and_b64 s[30:31], s[12:13], s[18:19]
	s_and_saveexec_b64 s[26:27], s[30:31]
	s_cbranch_execnz .LBB122_167
.LBB122_145:
	s_or_b64 exec, exec, s[26:27]
	s_and_b64 s[30:31], s[14:15], s[18:19]
	s_and_saveexec_b64 s[26:27], s[30:31]
	s_cbranch_execnz .LBB122_171
.LBB122_146:
	s_or_b64 exec, exec, s[26:27]
	s_and_b64 s[26:27], s[16:17], s[18:19]
	s_and_saveexec_b64 s[18:19], s[26:27]
	s_cbranch_execnz .LBB122_175
	s_branch .LBB122_179
.LBB122_147:
	s_and_b64 vcc, exec, s[0:1]
	s_cbranch_vccnz .LBB122_149
; %bb.148:
	v_lshl_add_u64 v[116:117], v[128:129], 3, v[114:115]
	flat_load_dwordx2 v[116:117], v[116:117]
	s_waitcnt vmcnt(0) lgkmcnt(0)
	v_mul_f64 v[116:117], s[22:23], v[116:117]
	v_cvt_f32_f64_e32 v116, v[116:117]
	s_branch .LBB122_150
.LBB122_149:
	v_mov_b32_e32 v116, 0
.LBB122_150:
	v_add_f64 v[118:119], v[70:71], v[110:111]
	v_add_f64 v[120:121], v[68:69], v[108:109]
	v_cvt_f32_f64_e32 v117, v[120:121]
	v_cvt_f32_f64_e32 v118, v[118:119]
	v_min3_f32 v117, v117, v118, v201
	v_add_f64 v[118:119], v[66:67], v[106:107]
	v_add_f64 v[120:121], v[64:65], v[104:105]
	v_cvt_f32_f64_e32 v120, v[120:121]
	v_cvt_f32_f64_e32 v118, v[118:119]
	v_min_f32_e32 v118, v120, v118
	v_min3_f32 v116, v116, v118, v117
	v_cvt_f64_f32_e32 v[116:117], v116
	v_lshl_add_u64 v[118:119], v[128:129], 3, v[112:113]
	flat_store_dwordx2 v[118:119], v[116:117]
	s_or_b64 exec, exec, s[26:27]
	s_and_b64 s[30:31], s[4:5], s[18:19]
	s_and_saveexec_b64 s[26:27], s[30:31]
	s_cbranch_execz .LBB122_141
.LBB122_151:
	s_and_b64 vcc, exec, s[0:1]
	s_cbranch_vccnz .LBB122_153
; %bb.152:
	v_lshl_add_u64 v[116:117], v[130:131], 3, v[114:115]
	flat_load_dwordx2 v[116:117], v[116:117]
	s_waitcnt vmcnt(0) lgkmcnt(0)
	v_mul_f64 v[116:117], s[22:23], v[116:117]
	v_cvt_f32_f64_e32 v116, v[116:117]
	s_branch .LBB122_154
.LBB122_153:
	v_mov_b32_e32 v116, 0
.LBB122_154:
	v_add_f64 v[118:119], v[62:63], v[110:111]
	v_add_f64 v[120:121], v[60:61], v[108:109]
	v_cvt_f32_f64_e32 v117, v[120:121]
	v_cvt_f32_f64_e32 v118, v[118:119]
	v_min3_f32 v117, v117, v118, v200
	v_add_f64 v[118:119], v[58:59], v[106:107]
	v_add_f64 v[120:121], v[56:57], v[104:105]
	v_cvt_f32_f64_e32 v120, v[120:121]
	v_cvt_f32_f64_e32 v118, v[118:119]
	v_min_f32_e32 v118, v120, v118
	v_min3_f32 v116, v116, v118, v117
	v_cvt_f64_f32_e32 v[116:117], v116
	v_lshl_add_u64 v[118:119], v[130:131], 3, v[112:113]
	flat_store_dwordx2 v[118:119], v[116:117]
	s_or_b64 exec, exec, s[26:27]
	s_and_b64 s[30:31], s[6:7], s[18:19]
	s_and_saveexec_b64 s[26:27], s[30:31]
	s_cbranch_execz .LBB122_142
.LBB122_155:
	s_and_b64 vcc, exec, s[0:1]
	s_cbranch_vccnz .LBB122_157
; %bb.156:
	v_lshl_add_u64 v[116:117], v[132:133], 3, v[114:115]
	flat_load_dwordx2 v[116:117], v[116:117]
	s_waitcnt vmcnt(0) lgkmcnt(0)
	v_mul_f64 v[116:117], s[22:23], v[116:117]
	v_cvt_f32_f64_e32 v116, v[116:117]
	s_branch .LBB122_158
.LBB122_157:
	v_mov_b32_e32 v116, 0
.LBB122_158:
	v_add_f64 v[118:119], v[54:55], v[110:111]
	v_add_f64 v[120:121], v[52:53], v[108:109]
	v_cvt_f32_f64_e32 v117, v[120:121]
	v_cvt_f32_f64_e32 v118, v[118:119]
	v_min3_f32 v117, v117, v118, v199
	v_add_f64 v[118:119], v[50:51], v[106:107]
	v_add_f64 v[120:121], v[48:49], v[104:105]
	v_cvt_f32_f64_e32 v120, v[120:121]
	v_cvt_f32_f64_e32 v118, v[118:119]
	v_min_f32_e32 v118, v120, v118
	v_min3_f32 v116, v116, v118, v117
	v_cvt_f64_f32_e32 v[116:117], v116
	v_lshl_add_u64 v[118:119], v[132:133], 3, v[112:113]
	flat_store_dwordx2 v[118:119], v[116:117]
	s_or_b64 exec, exec, s[26:27]
	s_and_b64 s[30:31], s[8:9], s[18:19]
	s_and_saveexec_b64 s[26:27], s[30:31]
	s_cbranch_execz .LBB122_143
.LBB122_159:
	s_and_b64 vcc, exec, s[0:1]
	s_cbranch_vccnz .LBB122_161
; %bb.160:
	v_lshl_add_u64 v[116:117], v[134:135], 3, v[114:115]
	flat_load_dwordx2 v[116:117], v[116:117]
	s_waitcnt vmcnt(0) lgkmcnt(0)
	v_mul_f64 v[116:117], s[22:23], v[116:117]
	v_cvt_f32_f64_e32 v116, v[116:117]
	s_branch .LBB122_162
.LBB122_161:
	v_mov_b32_e32 v116, 0
.LBB122_162:
	v_add_f64 v[118:119], v[46:47], v[110:111]
	v_add_f64 v[120:121], v[44:45], v[108:109]
	v_cvt_f32_f64_e32 v117, v[120:121]
	v_cvt_f32_f64_e32 v118, v[118:119]
	v_min3_f32 v117, v117, v118, v198
	v_add_f64 v[118:119], v[42:43], v[106:107]
	v_add_f64 v[120:121], v[40:41], v[104:105]
	v_cvt_f32_f64_e32 v120, v[120:121]
	v_cvt_f32_f64_e32 v118, v[118:119]
	v_min_f32_e32 v118, v120, v118
	v_min3_f32 v116, v116, v118, v117
	v_cvt_f64_f32_e32 v[116:117], v116
	v_lshl_add_u64 v[118:119], v[134:135], 3, v[112:113]
	flat_store_dwordx2 v[118:119], v[116:117]
	s_or_b64 exec, exec, s[26:27]
	s_and_b64 s[30:31], s[10:11], s[18:19]
	s_and_saveexec_b64 s[26:27], s[30:31]
	s_cbranch_execz .LBB122_144
.LBB122_163:
	s_and_b64 vcc, exec, s[0:1]
	s_cbranch_vccnz .LBB122_165
; %bb.164:
	v_lshl_add_u64 v[116:117], v[136:137], 3, v[114:115]
	flat_load_dwordx2 v[116:117], v[116:117]
	s_waitcnt vmcnt(0) lgkmcnt(0)
	v_mul_f64 v[116:117], s[22:23], v[116:117]
	v_cvt_f32_f64_e32 v116, v[116:117]
	s_branch .LBB122_166
.LBB122_165:
	v_mov_b32_e32 v116, 0
.LBB122_166:
	v_add_f64 v[118:119], v[38:39], v[110:111]
	v_add_f64 v[120:121], v[36:37], v[108:109]
	v_cvt_f32_f64_e32 v117, v[120:121]
	v_cvt_f32_f64_e32 v118, v[118:119]
	v_min3_f32 v117, v117, v118, v197
	v_add_f64 v[118:119], v[34:35], v[106:107]
	v_add_f64 v[120:121], v[32:33], v[104:105]
	v_cvt_f32_f64_e32 v120, v[120:121]
	v_cvt_f32_f64_e32 v118, v[118:119]
	v_min_f32_e32 v118, v120, v118
	v_min3_f32 v116, v116, v118, v117
	v_cvt_f64_f32_e32 v[116:117], v116
	v_lshl_add_u64 v[118:119], v[136:137], 3, v[112:113]
	flat_store_dwordx2 v[118:119], v[116:117]
	s_or_b64 exec, exec, s[26:27]
	s_and_b64 s[30:31], s[12:13], s[18:19]
	s_and_saveexec_b64 s[26:27], s[30:31]
	s_cbranch_execz .LBB122_145
.LBB122_167:
	s_and_b64 vcc, exec, s[0:1]
	s_cbranch_vccnz .LBB122_169
; %bb.168:
	v_lshl_add_u64 v[116:117], v[138:139], 3, v[114:115]
	flat_load_dwordx2 v[116:117], v[116:117]
	s_waitcnt vmcnt(0) lgkmcnt(0)
	v_mul_f64 v[116:117], s[22:23], v[116:117]
	v_cvt_f32_f64_e32 v116, v[116:117]
	s_branch .LBB122_170
.LBB122_169:
	v_mov_b32_e32 v116, 0
.LBB122_170:
	v_add_f64 v[118:119], v[30:31], v[110:111]
	v_add_f64 v[120:121], v[28:29], v[108:109]
	v_cvt_f32_f64_e32 v117, v[120:121]
	v_cvt_f32_f64_e32 v118, v[118:119]
	v_min3_f32 v117, v117, v118, v196
	v_add_f64 v[118:119], v[26:27], v[106:107]
	v_add_f64 v[120:121], v[24:25], v[104:105]
	v_cvt_f32_f64_e32 v120, v[120:121]
	v_cvt_f32_f64_e32 v118, v[118:119]
	v_min_f32_e32 v118, v120, v118
	v_min3_f32 v116, v116, v118, v117
	v_cvt_f64_f32_e32 v[116:117], v116
	v_lshl_add_u64 v[118:119], v[138:139], 3, v[112:113]
	flat_store_dwordx2 v[118:119], v[116:117]
	s_or_b64 exec, exec, s[26:27]
	s_and_b64 s[30:31], s[14:15], s[18:19]
	s_and_saveexec_b64 s[26:27], s[30:31]
	s_cbranch_execz .LBB122_146
.LBB122_171:
	s_and_b64 vcc, exec, s[0:1]
	s_cbranch_vccnz .LBB122_173
; %bb.172:
	v_lshl_add_u64 v[116:117], v[140:141], 3, v[114:115]
	flat_load_dwordx2 v[116:117], v[116:117]
	s_waitcnt vmcnt(0) lgkmcnt(0)
	v_mul_f64 v[116:117], s[22:23], v[116:117]
	v_cvt_f32_f64_e32 v116, v[116:117]
	s_branch .LBB122_174
.LBB122_173:
	v_mov_b32_e32 v116, 0
.LBB122_174:
	v_add_f64 v[118:119], v[22:23], v[110:111]
	v_add_f64 v[120:121], v[20:21], v[108:109]
	v_cvt_f32_f64_e32 v117, v[120:121]
	v_cvt_f32_f64_e32 v118, v[118:119]
	v_min3_f32 v117, v117, v118, v195
	v_add_f64 v[118:119], v[18:19], v[106:107]
	v_add_f64 v[120:121], v[16:17], v[104:105]
	v_cvt_f32_f64_e32 v120, v[120:121]
	v_cvt_f32_f64_e32 v118, v[118:119]
	v_min_f32_e32 v118, v120, v118
	v_min3_f32 v116, v116, v118, v117
	v_cvt_f64_f32_e32 v[116:117], v116
	v_lshl_add_u64 v[118:119], v[140:141], 3, v[112:113]
	flat_store_dwordx2 v[118:119], v[116:117]
	s_or_b64 exec, exec, s[26:27]
	s_and_b64 s[26:27], s[16:17], s[18:19]
	s_and_saveexec_b64 s[18:19], s[26:27]
	s_cbranch_execz .LBB122_179
.LBB122_175:
	s_and_b64 vcc, exec, s[0:1]
	s_cbranch_vccnz .LBB122_177
; %bb.176:
	v_lshl_add_u64 v[114:115], v[142:143], 3, v[114:115]
	flat_load_dwordx2 v[114:115], v[114:115]
	s_waitcnt vmcnt(0) lgkmcnt(0)
	v_mul_f64 v[114:115], s[22:23], v[114:115]
	v_cvt_f32_f64_e32 v114, v[114:115]
	s_branch .LBB122_178
.LBB122_177:
	v_mov_b32_e32 v114, 0
.LBB122_178:
	v_add_f64 v[110:111], v[6:7], v[110:111]
	v_add_f64 v[108:109], v[4:5], v[108:109]
	;; [unrolled: 1-line block ×4, first 2 shown]
	v_cvt_f32_f64_e32 v108, v[108:109]
	v_cvt_f32_f64_e32 v109, v[110:111]
	;; [unrolled: 1-line block ×4, first 2 shown]
	v_min3_f32 v108, v108, v109, v194
	v_min_f32_e32 v104, v104, v105
	v_min3_f32 v104, v114, v104, v108
	v_cvt_f64_f32_e32 v[104:105], v104
	v_lshl_add_u64 v[106:107], v[142:143], 3, v[112:113]
	flat_store_dwordx2 v[106:107], v[104:105]
.LBB122_179:
	s_or_b64 exec, exec, s[18:19]
	v_add_u32_e32 v108, 0x60, v150
	v_mad_i64_i32 v[104:105], s[26:27], v108, s35, 0
	v_cmp_gt_i32_e64 s[18:19], s25, v108
	v_lshl_add_u64 v[106:107], v[104:105], 3, s[28:29]
	v_mad_i64_i32 v[104:105], s[26:27], v108, s34, 0
	v_lshl_add_u64 v[104:105], v[104:105], 3, s[20:21]
	s_and_b64 s[30:31], s[2:3], s[18:19]
	s_and_saveexec_b64 s[26:27], s[30:31]
	s_cbranch_execnz .LBB122_187
; %bb.180:
	s_or_b64 exec, exec, s[26:27]
	s_and_b64 s[30:31], s[4:5], s[18:19]
	s_and_saveexec_b64 s[26:27], s[30:31]
	s_cbranch_execnz .LBB122_191
.LBB122_181:
	s_or_b64 exec, exec, s[26:27]
	s_and_b64 s[30:31], s[6:7], s[18:19]
	s_and_saveexec_b64 s[26:27], s[30:31]
	s_cbranch_execnz .LBB122_195
.LBB122_182:
	s_or_b64 exec, exec, s[26:27]
	s_and_b64 s[30:31], s[8:9], s[18:19]
	s_and_saveexec_b64 s[26:27], s[30:31]
	s_cbranch_execnz .LBB122_199
.LBB122_183:
	s_or_b64 exec, exec, s[26:27]
	s_and_b64 s[30:31], s[10:11], s[18:19]
	s_and_saveexec_b64 s[26:27], s[30:31]
	s_cbranch_execnz .LBB122_203
.LBB122_184:
	s_or_b64 exec, exec, s[26:27]
	s_and_b64 s[30:31], s[12:13], s[18:19]
	s_and_saveexec_b64 s[26:27], s[30:31]
	s_cbranch_execnz .LBB122_207
.LBB122_185:
	s_or_b64 exec, exec, s[26:27]
	s_and_b64 s[30:31], s[14:15], s[18:19]
	s_and_saveexec_b64 s[26:27], s[30:31]
	s_cbranch_execnz .LBB122_211
.LBB122_186:
	s_or_b64 exec, exec, s[26:27]
	s_and_b64 s[26:27], s[16:17], s[18:19]
	s_and_saveexec_b64 s[18:19], s[26:27]
	s_cbranch_execnz .LBB122_215
	s_branch .LBB122_219
.LBB122_187:
	s_and_b64 vcc, exec, s[0:1]
	s_cbranch_vccnz .LBB122_189
; %bb.188:
	v_lshl_add_u64 v[108:109], v[128:129], 3, v[106:107]
	flat_load_dwordx2 v[108:109], v[108:109]
	s_waitcnt vmcnt(0) lgkmcnt(0)
	v_mul_f64 v[108:109], s[22:23], v[108:109]
	v_cvt_f32_f64_e32 v108, v[108:109]
	s_branch .LBB122_190
.LBB122_189:
	v_mov_b32_e32 v108, 0
.LBB122_190:
	v_add_f64 v[110:111], v[70:71], v[102:103]
	v_add_f64 v[112:113], v[68:69], v[100:101]
	v_cvt_f32_f64_e32 v109, v[112:113]
	v_cvt_f32_f64_e32 v110, v[110:111]
	v_min3_f32 v109, v109, v110, v193
	v_add_f64 v[110:111], v[66:67], v[98:99]
	v_add_f64 v[112:113], v[64:65], v[96:97]
	v_cvt_f32_f64_e32 v112, v[112:113]
	v_cvt_f32_f64_e32 v110, v[110:111]
	v_min_f32_e32 v110, v112, v110
	v_min3_f32 v108, v108, v110, v109
	v_cvt_f64_f32_e32 v[108:109], v108
	v_lshl_add_u64 v[110:111], v[128:129], 3, v[104:105]
	flat_store_dwordx2 v[110:111], v[108:109]
	s_or_b64 exec, exec, s[26:27]
	s_and_b64 s[30:31], s[4:5], s[18:19]
	s_and_saveexec_b64 s[26:27], s[30:31]
	s_cbranch_execz .LBB122_181
.LBB122_191:
	s_and_b64 vcc, exec, s[0:1]
	s_cbranch_vccnz .LBB122_193
; %bb.192:
	v_lshl_add_u64 v[108:109], v[130:131], 3, v[106:107]
	flat_load_dwordx2 v[108:109], v[108:109]
	s_waitcnt vmcnt(0) lgkmcnt(0)
	v_mul_f64 v[108:109], s[22:23], v[108:109]
	v_cvt_f32_f64_e32 v108, v[108:109]
	s_branch .LBB122_194
.LBB122_193:
	v_mov_b32_e32 v108, 0
.LBB122_194:
	v_add_f64 v[110:111], v[62:63], v[102:103]
	v_add_f64 v[112:113], v[60:61], v[100:101]
	v_cvt_f32_f64_e32 v109, v[112:113]
	v_cvt_f32_f64_e32 v110, v[110:111]
	v_min3_f32 v109, v109, v110, v192
	v_add_f64 v[110:111], v[58:59], v[98:99]
	v_add_f64 v[112:113], v[56:57], v[96:97]
	v_cvt_f32_f64_e32 v112, v[112:113]
	v_cvt_f32_f64_e32 v110, v[110:111]
	v_min_f32_e32 v110, v112, v110
	v_min3_f32 v108, v108, v110, v109
	v_cvt_f64_f32_e32 v[108:109], v108
	v_lshl_add_u64 v[110:111], v[130:131], 3, v[104:105]
	flat_store_dwordx2 v[110:111], v[108:109]
	s_or_b64 exec, exec, s[26:27]
	s_and_b64 s[30:31], s[6:7], s[18:19]
	s_and_saveexec_b64 s[26:27], s[30:31]
	s_cbranch_execz .LBB122_182
.LBB122_195:
	s_and_b64 vcc, exec, s[0:1]
	s_cbranch_vccnz .LBB122_197
; %bb.196:
	v_lshl_add_u64 v[108:109], v[132:133], 3, v[106:107]
	flat_load_dwordx2 v[108:109], v[108:109]
	s_waitcnt vmcnt(0) lgkmcnt(0)
	v_mul_f64 v[108:109], s[22:23], v[108:109]
	v_cvt_f32_f64_e32 v108, v[108:109]
	s_branch .LBB122_198
.LBB122_197:
	v_mov_b32_e32 v108, 0
.LBB122_198:
	v_add_f64 v[110:111], v[54:55], v[102:103]
	v_add_f64 v[112:113], v[52:53], v[100:101]
	v_cvt_f32_f64_e32 v109, v[112:113]
	v_cvt_f32_f64_e32 v110, v[110:111]
	v_min3_f32 v109, v109, v110, v191
	v_add_f64 v[110:111], v[50:51], v[98:99]
	v_add_f64 v[112:113], v[48:49], v[96:97]
	v_cvt_f32_f64_e32 v112, v[112:113]
	v_cvt_f32_f64_e32 v110, v[110:111]
	v_min_f32_e32 v110, v112, v110
	v_min3_f32 v108, v108, v110, v109
	v_cvt_f64_f32_e32 v[108:109], v108
	v_lshl_add_u64 v[110:111], v[132:133], 3, v[104:105]
	flat_store_dwordx2 v[110:111], v[108:109]
	s_or_b64 exec, exec, s[26:27]
	s_and_b64 s[30:31], s[8:9], s[18:19]
	s_and_saveexec_b64 s[26:27], s[30:31]
	s_cbranch_execz .LBB122_183
.LBB122_199:
	s_and_b64 vcc, exec, s[0:1]
	s_cbranch_vccnz .LBB122_201
; %bb.200:
	v_lshl_add_u64 v[108:109], v[134:135], 3, v[106:107]
	flat_load_dwordx2 v[108:109], v[108:109]
	s_waitcnt vmcnt(0) lgkmcnt(0)
	v_mul_f64 v[108:109], s[22:23], v[108:109]
	v_cvt_f32_f64_e32 v108, v[108:109]
	s_branch .LBB122_202
.LBB122_201:
	v_mov_b32_e32 v108, 0
.LBB122_202:
	v_add_f64 v[110:111], v[46:47], v[102:103]
	v_add_f64 v[112:113], v[44:45], v[100:101]
	v_cvt_f32_f64_e32 v109, v[112:113]
	v_cvt_f32_f64_e32 v110, v[110:111]
	v_min3_f32 v109, v109, v110, v190
	v_add_f64 v[110:111], v[42:43], v[98:99]
	v_add_f64 v[112:113], v[40:41], v[96:97]
	v_cvt_f32_f64_e32 v112, v[112:113]
	v_cvt_f32_f64_e32 v110, v[110:111]
	v_min_f32_e32 v110, v112, v110
	v_min3_f32 v108, v108, v110, v109
	v_cvt_f64_f32_e32 v[108:109], v108
	v_lshl_add_u64 v[110:111], v[134:135], 3, v[104:105]
	flat_store_dwordx2 v[110:111], v[108:109]
	s_or_b64 exec, exec, s[26:27]
	s_and_b64 s[30:31], s[10:11], s[18:19]
	s_and_saveexec_b64 s[26:27], s[30:31]
	s_cbranch_execz .LBB122_184
.LBB122_203:
	s_and_b64 vcc, exec, s[0:1]
	s_cbranch_vccnz .LBB122_205
; %bb.204:
	v_lshl_add_u64 v[108:109], v[136:137], 3, v[106:107]
	flat_load_dwordx2 v[108:109], v[108:109]
	s_waitcnt vmcnt(0) lgkmcnt(0)
	v_mul_f64 v[108:109], s[22:23], v[108:109]
	v_cvt_f32_f64_e32 v108, v[108:109]
	s_branch .LBB122_206
.LBB122_205:
	v_mov_b32_e32 v108, 0
.LBB122_206:
	v_add_f64 v[110:111], v[38:39], v[102:103]
	v_add_f64 v[112:113], v[36:37], v[100:101]
	v_cvt_f32_f64_e32 v109, v[112:113]
	v_cvt_f32_f64_e32 v110, v[110:111]
	v_min3_f32 v109, v109, v110, v189
	v_add_f64 v[110:111], v[34:35], v[98:99]
	v_add_f64 v[112:113], v[32:33], v[96:97]
	v_cvt_f32_f64_e32 v112, v[112:113]
	v_cvt_f32_f64_e32 v110, v[110:111]
	v_min_f32_e32 v110, v112, v110
	v_min3_f32 v108, v108, v110, v109
	v_cvt_f64_f32_e32 v[108:109], v108
	v_lshl_add_u64 v[110:111], v[136:137], 3, v[104:105]
	flat_store_dwordx2 v[110:111], v[108:109]
	s_or_b64 exec, exec, s[26:27]
	s_and_b64 s[30:31], s[12:13], s[18:19]
	s_and_saveexec_b64 s[26:27], s[30:31]
	s_cbranch_execz .LBB122_185
.LBB122_207:
	s_and_b64 vcc, exec, s[0:1]
	s_cbranch_vccnz .LBB122_209
; %bb.208:
	v_lshl_add_u64 v[108:109], v[138:139], 3, v[106:107]
	flat_load_dwordx2 v[108:109], v[108:109]
	s_waitcnt vmcnt(0) lgkmcnt(0)
	v_mul_f64 v[108:109], s[22:23], v[108:109]
	v_cvt_f32_f64_e32 v108, v[108:109]
	s_branch .LBB122_210
.LBB122_209:
	v_mov_b32_e32 v108, 0
.LBB122_210:
	v_add_f64 v[110:111], v[30:31], v[102:103]
	v_add_f64 v[112:113], v[28:29], v[100:101]
	v_cvt_f32_f64_e32 v109, v[112:113]
	v_cvt_f32_f64_e32 v110, v[110:111]
	v_min3_f32 v109, v109, v110, v188
	v_add_f64 v[110:111], v[26:27], v[98:99]
	v_add_f64 v[112:113], v[24:25], v[96:97]
	v_cvt_f32_f64_e32 v112, v[112:113]
	v_cvt_f32_f64_e32 v110, v[110:111]
	v_min_f32_e32 v110, v112, v110
	v_min3_f32 v108, v108, v110, v109
	v_cvt_f64_f32_e32 v[108:109], v108
	v_lshl_add_u64 v[110:111], v[138:139], 3, v[104:105]
	flat_store_dwordx2 v[110:111], v[108:109]
	s_or_b64 exec, exec, s[26:27]
	s_and_b64 s[30:31], s[14:15], s[18:19]
	s_and_saveexec_b64 s[26:27], s[30:31]
	s_cbranch_execz .LBB122_186
.LBB122_211:
	s_and_b64 vcc, exec, s[0:1]
	s_cbranch_vccnz .LBB122_213
; %bb.212:
	v_lshl_add_u64 v[108:109], v[140:141], 3, v[106:107]
	flat_load_dwordx2 v[108:109], v[108:109]
	s_waitcnt vmcnt(0) lgkmcnt(0)
	v_mul_f64 v[108:109], s[22:23], v[108:109]
	v_cvt_f32_f64_e32 v108, v[108:109]
	s_branch .LBB122_214
.LBB122_213:
	v_mov_b32_e32 v108, 0
.LBB122_214:
	v_add_f64 v[110:111], v[22:23], v[102:103]
	v_add_f64 v[112:113], v[20:21], v[100:101]
	v_cvt_f32_f64_e32 v109, v[112:113]
	v_cvt_f32_f64_e32 v110, v[110:111]
	v_min3_f32 v109, v109, v110, v187
	v_add_f64 v[110:111], v[18:19], v[98:99]
	v_add_f64 v[112:113], v[16:17], v[96:97]
	v_cvt_f32_f64_e32 v112, v[112:113]
	v_cvt_f32_f64_e32 v110, v[110:111]
	v_min_f32_e32 v110, v112, v110
	v_min3_f32 v108, v108, v110, v109
	v_cvt_f64_f32_e32 v[108:109], v108
	v_lshl_add_u64 v[110:111], v[140:141], 3, v[104:105]
	flat_store_dwordx2 v[110:111], v[108:109]
	s_or_b64 exec, exec, s[26:27]
	s_and_b64 s[26:27], s[16:17], s[18:19]
	s_and_saveexec_b64 s[18:19], s[26:27]
	s_cbranch_execz .LBB122_219
.LBB122_215:
	s_and_b64 vcc, exec, s[0:1]
	s_cbranch_vccnz .LBB122_217
; %bb.216:
	v_lshl_add_u64 v[106:107], v[142:143], 3, v[106:107]
	flat_load_dwordx2 v[106:107], v[106:107]
	s_waitcnt vmcnt(0) lgkmcnt(0)
	v_mul_f64 v[106:107], s[22:23], v[106:107]
	v_cvt_f32_f64_e32 v106, v[106:107]
	s_branch .LBB122_218
.LBB122_217:
	v_mov_b32_e32 v106, 0
.LBB122_218:
	v_add_f64 v[102:103], v[6:7], v[102:103]
	v_add_f64 v[100:101], v[4:5], v[100:101]
	;; [unrolled: 1-line block ×4, first 2 shown]
	v_cvt_f32_f64_e32 v100, v[100:101]
	v_cvt_f32_f64_e32 v101, v[102:103]
	;; [unrolled: 1-line block ×4, first 2 shown]
	v_min3_f32 v100, v100, v101, v186
	v_min_f32_e32 v96, v96, v97
	v_min3_f32 v96, v106, v96, v100
	v_cvt_f64_f32_e32 v[96:97], v96
	v_lshl_add_u64 v[98:99], v[142:143], 3, v[104:105]
	flat_store_dwordx2 v[98:99], v[96:97]
.LBB122_219:
	s_or_b64 exec, exec, s[18:19]
	v_add_u32_e32 v100, 0x80, v150
	v_mad_i64_i32 v[96:97], s[26:27], v100, s35, 0
	v_cmp_gt_i32_e64 s[18:19], s25, v100
	v_lshl_add_u64 v[98:99], v[96:97], 3, s[28:29]
	v_mad_i64_i32 v[96:97], s[26:27], v100, s34, 0
	v_lshl_add_u64 v[96:97], v[96:97], 3, s[20:21]
	s_and_b64 s[30:31], s[2:3], s[18:19]
	s_and_saveexec_b64 s[26:27], s[30:31]
	s_cbranch_execnz .LBB122_227
; %bb.220:
	s_or_b64 exec, exec, s[26:27]
	s_and_b64 s[30:31], s[4:5], s[18:19]
	s_and_saveexec_b64 s[26:27], s[30:31]
	s_cbranch_execnz .LBB122_231
.LBB122_221:
	s_or_b64 exec, exec, s[26:27]
	s_and_b64 s[30:31], s[6:7], s[18:19]
	s_and_saveexec_b64 s[26:27], s[30:31]
	s_cbranch_execnz .LBB122_235
.LBB122_222:
	s_or_b64 exec, exec, s[26:27]
	s_and_b64 s[30:31], s[8:9], s[18:19]
	s_and_saveexec_b64 s[26:27], s[30:31]
	s_cbranch_execnz .LBB122_239
.LBB122_223:
	s_or_b64 exec, exec, s[26:27]
	s_and_b64 s[30:31], s[10:11], s[18:19]
	s_and_saveexec_b64 s[26:27], s[30:31]
	s_cbranch_execnz .LBB122_243
.LBB122_224:
	s_or_b64 exec, exec, s[26:27]
	s_and_b64 s[30:31], s[12:13], s[18:19]
	s_and_saveexec_b64 s[26:27], s[30:31]
	s_cbranch_execnz .LBB122_247
.LBB122_225:
	s_or_b64 exec, exec, s[26:27]
	s_and_b64 s[30:31], s[14:15], s[18:19]
	s_and_saveexec_b64 s[26:27], s[30:31]
	s_cbranch_execnz .LBB122_251
.LBB122_226:
	s_or_b64 exec, exec, s[26:27]
	s_and_b64 s[26:27], s[16:17], s[18:19]
	s_and_saveexec_b64 s[18:19], s[26:27]
	s_cbranch_execnz .LBB122_255
	s_branch .LBB122_259
.LBB122_227:
	s_and_b64 vcc, exec, s[0:1]
	s_cbranch_vccnz .LBB122_229
; %bb.228:
	v_lshl_add_u64 v[100:101], v[128:129], 3, v[98:99]
	flat_load_dwordx2 v[100:101], v[100:101]
	s_waitcnt vmcnt(0) lgkmcnt(0)
	v_mul_f64 v[100:101], s[22:23], v[100:101]
	v_cvt_f32_f64_e32 v100, v[100:101]
	s_branch .LBB122_230
.LBB122_229:
	v_mov_b32_e32 v100, 0
.LBB122_230:
	v_add_f64 v[102:103], v[70:71], v[94:95]
	v_add_f64 v[104:105], v[68:69], v[92:93]
	v_cvt_f32_f64_e32 v101, v[104:105]
	v_cvt_f32_f64_e32 v102, v[102:103]
	v_min3_f32 v101, v101, v102, v185
	v_add_f64 v[102:103], v[66:67], v[90:91]
	v_add_f64 v[104:105], v[64:65], v[88:89]
	v_cvt_f32_f64_e32 v104, v[104:105]
	v_cvt_f32_f64_e32 v102, v[102:103]
	v_min_f32_e32 v102, v104, v102
	v_min3_f32 v100, v100, v102, v101
	v_cvt_f64_f32_e32 v[100:101], v100
	v_lshl_add_u64 v[102:103], v[128:129], 3, v[96:97]
	flat_store_dwordx2 v[102:103], v[100:101]
	s_or_b64 exec, exec, s[26:27]
	s_and_b64 s[30:31], s[4:5], s[18:19]
	s_and_saveexec_b64 s[26:27], s[30:31]
	s_cbranch_execz .LBB122_221
.LBB122_231:
	s_and_b64 vcc, exec, s[0:1]
	s_cbranch_vccnz .LBB122_233
; %bb.232:
	v_lshl_add_u64 v[100:101], v[130:131], 3, v[98:99]
	flat_load_dwordx2 v[100:101], v[100:101]
	s_waitcnt vmcnt(0) lgkmcnt(0)
	v_mul_f64 v[100:101], s[22:23], v[100:101]
	v_cvt_f32_f64_e32 v100, v[100:101]
	s_branch .LBB122_234
.LBB122_233:
	v_mov_b32_e32 v100, 0
.LBB122_234:
	v_add_f64 v[102:103], v[62:63], v[94:95]
	v_add_f64 v[104:105], v[60:61], v[92:93]
	v_cvt_f32_f64_e32 v101, v[104:105]
	v_cvt_f32_f64_e32 v102, v[102:103]
	v_min3_f32 v101, v101, v102, v184
	v_add_f64 v[102:103], v[58:59], v[90:91]
	v_add_f64 v[104:105], v[56:57], v[88:89]
	v_cvt_f32_f64_e32 v104, v[104:105]
	v_cvt_f32_f64_e32 v102, v[102:103]
	v_min_f32_e32 v102, v104, v102
	v_min3_f32 v100, v100, v102, v101
	v_cvt_f64_f32_e32 v[100:101], v100
	v_lshl_add_u64 v[102:103], v[130:131], 3, v[96:97]
	flat_store_dwordx2 v[102:103], v[100:101]
	s_or_b64 exec, exec, s[26:27]
	s_and_b64 s[30:31], s[6:7], s[18:19]
	s_and_saveexec_b64 s[26:27], s[30:31]
	s_cbranch_execz .LBB122_222
.LBB122_235:
	s_and_b64 vcc, exec, s[0:1]
	s_cbranch_vccnz .LBB122_237
; %bb.236:
	v_lshl_add_u64 v[100:101], v[132:133], 3, v[98:99]
	flat_load_dwordx2 v[100:101], v[100:101]
	s_waitcnt vmcnt(0) lgkmcnt(0)
	v_mul_f64 v[100:101], s[22:23], v[100:101]
	v_cvt_f32_f64_e32 v100, v[100:101]
	s_branch .LBB122_238
.LBB122_237:
	v_mov_b32_e32 v100, 0
.LBB122_238:
	v_add_f64 v[102:103], v[54:55], v[94:95]
	v_add_f64 v[104:105], v[52:53], v[92:93]
	v_cvt_f32_f64_e32 v101, v[104:105]
	v_cvt_f32_f64_e32 v102, v[102:103]
	v_min3_f32 v101, v101, v102, v183
	v_add_f64 v[102:103], v[50:51], v[90:91]
	v_add_f64 v[104:105], v[48:49], v[88:89]
	v_cvt_f32_f64_e32 v104, v[104:105]
	v_cvt_f32_f64_e32 v102, v[102:103]
	v_min_f32_e32 v102, v104, v102
	v_min3_f32 v100, v100, v102, v101
	v_cvt_f64_f32_e32 v[100:101], v100
	v_lshl_add_u64 v[102:103], v[132:133], 3, v[96:97]
	flat_store_dwordx2 v[102:103], v[100:101]
	s_or_b64 exec, exec, s[26:27]
	s_and_b64 s[30:31], s[8:9], s[18:19]
	s_and_saveexec_b64 s[26:27], s[30:31]
	s_cbranch_execz .LBB122_223
.LBB122_239:
	s_and_b64 vcc, exec, s[0:1]
	s_cbranch_vccnz .LBB122_241
; %bb.240:
	v_lshl_add_u64 v[100:101], v[134:135], 3, v[98:99]
	flat_load_dwordx2 v[100:101], v[100:101]
	s_waitcnt vmcnt(0) lgkmcnt(0)
	v_mul_f64 v[100:101], s[22:23], v[100:101]
	v_cvt_f32_f64_e32 v100, v[100:101]
	s_branch .LBB122_242
.LBB122_241:
	v_mov_b32_e32 v100, 0
.LBB122_242:
	v_add_f64 v[102:103], v[46:47], v[94:95]
	v_add_f64 v[104:105], v[44:45], v[92:93]
	v_cvt_f32_f64_e32 v101, v[104:105]
	v_cvt_f32_f64_e32 v102, v[102:103]
	v_min3_f32 v101, v101, v102, v182
	v_add_f64 v[102:103], v[42:43], v[90:91]
	v_add_f64 v[104:105], v[40:41], v[88:89]
	v_cvt_f32_f64_e32 v104, v[104:105]
	v_cvt_f32_f64_e32 v102, v[102:103]
	v_min_f32_e32 v102, v104, v102
	v_min3_f32 v100, v100, v102, v101
	v_cvt_f64_f32_e32 v[100:101], v100
	v_lshl_add_u64 v[102:103], v[134:135], 3, v[96:97]
	flat_store_dwordx2 v[102:103], v[100:101]
	s_or_b64 exec, exec, s[26:27]
	s_and_b64 s[30:31], s[10:11], s[18:19]
	s_and_saveexec_b64 s[26:27], s[30:31]
	s_cbranch_execz .LBB122_224
.LBB122_243:
	s_and_b64 vcc, exec, s[0:1]
	s_cbranch_vccnz .LBB122_245
; %bb.244:
	v_lshl_add_u64 v[100:101], v[136:137], 3, v[98:99]
	flat_load_dwordx2 v[100:101], v[100:101]
	s_waitcnt vmcnt(0) lgkmcnt(0)
	v_mul_f64 v[100:101], s[22:23], v[100:101]
	v_cvt_f32_f64_e32 v100, v[100:101]
	s_branch .LBB122_246
.LBB122_245:
	v_mov_b32_e32 v100, 0
.LBB122_246:
	v_add_f64 v[102:103], v[38:39], v[94:95]
	v_add_f64 v[104:105], v[36:37], v[92:93]
	v_cvt_f32_f64_e32 v101, v[104:105]
	v_cvt_f32_f64_e32 v102, v[102:103]
	v_min3_f32 v101, v101, v102, v181
	v_add_f64 v[102:103], v[34:35], v[90:91]
	v_add_f64 v[104:105], v[32:33], v[88:89]
	v_cvt_f32_f64_e32 v104, v[104:105]
	v_cvt_f32_f64_e32 v102, v[102:103]
	v_min_f32_e32 v102, v104, v102
	v_min3_f32 v100, v100, v102, v101
	v_cvt_f64_f32_e32 v[100:101], v100
	v_lshl_add_u64 v[102:103], v[136:137], 3, v[96:97]
	flat_store_dwordx2 v[102:103], v[100:101]
	s_or_b64 exec, exec, s[26:27]
	s_and_b64 s[30:31], s[12:13], s[18:19]
	s_and_saveexec_b64 s[26:27], s[30:31]
	s_cbranch_execz .LBB122_225
.LBB122_247:
	s_and_b64 vcc, exec, s[0:1]
	s_cbranch_vccnz .LBB122_249
; %bb.248:
	v_lshl_add_u64 v[100:101], v[138:139], 3, v[98:99]
	flat_load_dwordx2 v[100:101], v[100:101]
	s_waitcnt vmcnt(0) lgkmcnt(0)
	v_mul_f64 v[100:101], s[22:23], v[100:101]
	v_cvt_f32_f64_e32 v100, v[100:101]
	s_branch .LBB122_250
.LBB122_249:
	v_mov_b32_e32 v100, 0
.LBB122_250:
	v_add_f64 v[102:103], v[30:31], v[94:95]
	v_add_f64 v[104:105], v[28:29], v[92:93]
	v_cvt_f32_f64_e32 v101, v[104:105]
	v_cvt_f32_f64_e32 v102, v[102:103]
	v_min3_f32 v101, v101, v102, v180
	v_add_f64 v[102:103], v[26:27], v[90:91]
	v_add_f64 v[104:105], v[24:25], v[88:89]
	v_cvt_f32_f64_e32 v104, v[104:105]
	v_cvt_f32_f64_e32 v102, v[102:103]
	v_min_f32_e32 v102, v104, v102
	v_min3_f32 v100, v100, v102, v101
	v_cvt_f64_f32_e32 v[100:101], v100
	v_lshl_add_u64 v[102:103], v[138:139], 3, v[96:97]
	flat_store_dwordx2 v[102:103], v[100:101]
	s_or_b64 exec, exec, s[26:27]
	s_and_b64 s[30:31], s[14:15], s[18:19]
	s_and_saveexec_b64 s[26:27], s[30:31]
	s_cbranch_execz .LBB122_226
.LBB122_251:
	s_and_b64 vcc, exec, s[0:1]
	s_cbranch_vccnz .LBB122_253
; %bb.252:
	v_lshl_add_u64 v[100:101], v[140:141], 3, v[98:99]
	flat_load_dwordx2 v[100:101], v[100:101]
	s_waitcnt vmcnt(0) lgkmcnt(0)
	v_mul_f64 v[100:101], s[22:23], v[100:101]
	v_cvt_f32_f64_e32 v100, v[100:101]
	s_branch .LBB122_254
.LBB122_253:
	v_mov_b32_e32 v100, 0
.LBB122_254:
	v_add_f64 v[102:103], v[22:23], v[94:95]
	v_add_f64 v[104:105], v[20:21], v[92:93]
	v_cvt_f32_f64_e32 v101, v[104:105]
	v_cvt_f32_f64_e32 v102, v[102:103]
	v_min3_f32 v101, v101, v102, v179
	v_add_f64 v[102:103], v[18:19], v[90:91]
	v_add_f64 v[104:105], v[16:17], v[88:89]
	v_cvt_f32_f64_e32 v104, v[104:105]
	v_cvt_f32_f64_e32 v102, v[102:103]
	v_min_f32_e32 v102, v104, v102
	v_min3_f32 v100, v100, v102, v101
	v_cvt_f64_f32_e32 v[100:101], v100
	v_lshl_add_u64 v[102:103], v[140:141], 3, v[96:97]
	flat_store_dwordx2 v[102:103], v[100:101]
	s_or_b64 exec, exec, s[26:27]
	s_and_b64 s[26:27], s[16:17], s[18:19]
	s_and_saveexec_b64 s[18:19], s[26:27]
	s_cbranch_execz .LBB122_259
.LBB122_255:
	s_and_b64 vcc, exec, s[0:1]
	s_cbranch_vccnz .LBB122_257
; %bb.256:
	v_lshl_add_u64 v[98:99], v[142:143], 3, v[98:99]
	flat_load_dwordx2 v[98:99], v[98:99]
	s_waitcnt vmcnt(0) lgkmcnt(0)
	v_mul_f64 v[98:99], s[22:23], v[98:99]
	v_cvt_f32_f64_e32 v98, v[98:99]
	s_branch .LBB122_258
.LBB122_257:
	v_mov_b32_e32 v98, 0
.LBB122_258:
	v_add_f64 v[94:95], v[6:7], v[94:95]
	v_add_f64 v[92:93], v[4:5], v[92:93]
	;; [unrolled: 1-line block ×4, first 2 shown]
	v_cvt_f32_f64_e32 v92, v[92:93]
	v_cvt_f32_f64_e32 v93, v[94:95]
	;; [unrolled: 1-line block ×4, first 2 shown]
	v_min3_f32 v92, v92, v93, v178
	v_min_f32_e32 v88, v88, v89
	v_min3_f32 v88, v98, v88, v92
	v_cvt_f64_f32_e32 v[88:89], v88
	v_lshl_add_u64 v[90:91], v[142:143], 3, v[96:97]
	flat_store_dwordx2 v[90:91], v[88:89]
.LBB122_259:
	s_or_b64 exec, exec, s[18:19]
	v_add_u32_e32 v92, 0xa0, v150
	v_mad_i64_i32 v[88:89], s[26:27], v92, s35, 0
	v_cmp_gt_i32_e64 s[18:19], s25, v92
	v_lshl_add_u64 v[90:91], v[88:89], 3, s[28:29]
	v_mad_i64_i32 v[88:89], s[26:27], v92, s34, 0
	v_lshl_add_u64 v[88:89], v[88:89], 3, s[20:21]
	s_and_b64 s[30:31], s[2:3], s[18:19]
	s_and_saveexec_b64 s[26:27], s[30:31]
	s_cbranch_execnz .LBB122_267
; %bb.260:
	s_or_b64 exec, exec, s[26:27]
	s_and_b64 s[30:31], s[4:5], s[18:19]
	s_and_saveexec_b64 s[26:27], s[30:31]
	s_cbranch_execnz .LBB122_271
.LBB122_261:
	s_or_b64 exec, exec, s[26:27]
	s_and_b64 s[30:31], s[6:7], s[18:19]
	s_and_saveexec_b64 s[26:27], s[30:31]
	s_cbranch_execnz .LBB122_275
.LBB122_262:
	s_or_b64 exec, exec, s[26:27]
	s_and_b64 s[30:31], s[8:9], s[18:19]
	s_and_saveexec_b64 s[26:27], s[30:31]
	s_cbranch_execnz .LBB122_279
.LBB122_263:
	s_or_b64 exec, exec, s[26:27]
	s_and_b64 s[30:31], s[10:11], s[18:19]
	s_and_saveexec_b64 s[26:27], s[30:31]
	s_cbranch_execnz .LBB122_283
.LBB122_264:
	s_or_b64 exec, exec, s[26:27]
	s_and_b64 s[30:31], s[12:13], s[18:19]
	s_and_saveexec_b64 s[26:27], s[30:31]
	s_cbranch_execnz .LBB122_287
.LBB122_265:
	s_or_b64 exec, exec, s[26:27]
	s_and_b64 s[30:31], s[14:15], s[18:19]
	s_and_saveexec_b64 s[26:27], s[30:31]
	s_cbranch_execnz .LBB122_291
.LBB122_266:
	s_or_b64 exec, exec, s[26:27]
	s_and_b64 s[26:27], s[16:17], s[18:19]
	s_and_saveexec_b64 s[18:19], s[26:27]
	s_cbranch_execnz .LBB122_295
	s_branch .LBB122_299
.LBB122_267:
	s_and_b64 vcc, exec, s[0:1]
	s_cbranch_vccnz .LBB122_269
; %bb.268:
	v_lshl_add_u64 v[92:93], v[128:129], 3, v[90:91]
	flat_load_dwordx2 v[92:93], v[92:93]
	s_waitcnt vmcnt(0) lgkmcnt(0)
	v_mul_f64 v[92:93], s[22:23], v[92:93]
	v_cvt_f32_f64_e32 v92, v[92:93]
	s_branch .LBB122_270
.LBB122_269:
	v_mov_b32_e32 v92, 0
.LBB122_270:
	v_add_f64 v[94:95], v[70:71], v[86:87]
	v_add_f64 v[96:97], v[68:69], v[84:85]
	v_cvt_f32_f64_e32 v93, v[96:97]
	v_cvt_f32_f64_e32 v94, v[94:95]
	v_min3_f32 v93, v93, v94, v177
	v_add_f64 v[94:95], v[66:67], v[82:83]
	v_add_f64 v[96:97], v[64:65], v[80:81]
	v_cvt_f32_f64_e32 v96, v[96:97]
	v_cvt_f32_f64_e32 v94, v[94:95]
	v_min_f32_e32 v94, v96, v94
	v_min3_f32 v92, v92, v94, v93
	v_cvt_f64_f32_e32 v[92:93], v92
	v_lshl_add_u64 v[94:95], v[128:129], 3, v[88:89]
	flat_store_dwordx2 v[94:95], v[92:93]
	s_or_b64 exec, exec, s[26:27]
	s_and_b64 s[30:31], s[4:5], s[18:19]
	s_and_saveexec_b64 s[26:27], s[30:31]
	s_cbranch_execz .LBB122_261
.LBB122_271:
	s_and_b64 vcc, exec, s[0:1]
	s_cbranch_vccnz .LBB122_273
; %bb.272:
	v_lshl_add_u64 v[92:93], v[130:131], 3, v[90:91]
	flat_load_dwordx2 v[92:93], v[92:93]
	s_waitcnt vmcnt(0) lgkmcnt(0)
	v_mul_f64 v[92:93], s[22:23], v[92:93]
	v_cvt_f32_f64_e32 v92, v[92:93]
	s_branch .LBB122_274
.LBB122_273:
	v_mov_b32_e32 v92, 0
.LBB122_274:
	v_add_f64 v[94:95], v[62:63], v[86:87]
	v_add_f64 v[96:97], v[60:61], v[84:85]
	v_cvt_f32_f64_e32 v93, v[96:97]
	v_cvt_f32_f64_e32 v94, v[94:95]
	v_min3_f32 v93, v93, v94, v176
	v_add_f64 v[94:95], v[58:59], v[82:83]
	v_add_f64 v[96:97], v[56:57], v[80:81]
	v_cvt_f32_f64_e32 v96, v[96:97]
	v_cvt_f32_f64_e32 v94, v[94:95]
	v_min_f32_e32 v94, v96, v94
	v_min3_f32 v92, v92, v94, v93
	v_cvt_f64_f32_e32 v[92:93], v92
	v_lshl_add_u64 v[94:95], v[130:131], 3, v[88:89]
	flat_store_dwordx2 v[94:95], v[92:93]
	s_or_b64 exec, exec, s[26:27]
	s_and_b64 s[30:31], s[6:7], s[18:19]
	s_and_saveexec_b64 s[26:27], s[30:31]
	s_cbranch_execz .LBB122_262
.LBB122_275:
	s_and_b64 vcc, exec, s[0:1]
	s_cbranch_vccnz .LBB122_277
; %bb.276:
	v_lshl_add_u64 v[92:93], v[132:133], 3, v[90:91]
	flat_load_dwordx2 v[92:93], v[92:93]
	s_waitcnt vmcnt(0) lgkmcnt(0)
	v_mul_f64 v[92:93], s[22:23], v[92:93]
	v_cvt_f32_f64_e32 v92, v[92:93]
	s_branch .LBB122_278
.LBB122_277:
	v_mov_b32_e32 v92, 0
.LBB122_278:
	v_add_f64 v[94:95], v[54:55], v[86:87]
	v_add_f64 v[96:97], v[52:53], v[84:85]
	v_cvt_f32_f64_e32 v93, v[96:97]
	v_cvt_f32_f64_e32 v94, v[94:95]
	v_min3_f32 v93, v93, v94, v175
	v_add_f64 v[94:95], v[50:51], v[82:83]
	v_add_f64 v[96:97], v[48:49], v[80:81]
	v_cvt_f32_f64_e32 v96, v[96:97]
	v_cvt_f32_f64_e32 v94, v[94:95]
	v_min_f32_e32 v94, v96, v94
	v_min3_f32 v92, v92, v94, v93
	v_cvt_f64_f32_e32 v[92:93], v92
	v_lshl_add_u64 v[94:95], v[132:133], 3, v[88:89]
	flat_store_dwordx2 v[94:95], v[92:93]
	s_or_b64 exec, exec, s[26:27]
	s_and_b64 s[30:31], s[8:9], s[18:19]
	s_and_saveexec_b64 s[26:27], s[30:31]
	s_cbranch_execz .LBB122_263
.LBB122_279:
	s_and_b64 vcc, exec, s[0:1]
	s_cbranch_vccnz .LBB122_281
; %bb.280:
	v_lshl_add_u64 v[92:93], v[134:135], 3, v[90:91]
	flat_load_dwordx2 v[92:93], v[92:93]
	s_waitcnt vmcnt(0) lgkmcnt(0)
	v_mul_f64 v[92:93], s[22:23], v[92:93]
	v_cvt_f32_f64_e32 v92, v[92:93]
	s_branch .LBB122_282
.LBB122_281:
	v_mov_b32_e32 v92, 0
.LBB122_282:
	v_add_f64 v[94:95], v[46:47], v[86:87]
	v_add_f64 v[96:97], v[44:45], v[84:85]
	v_cvt_f32_f64_e32 v93, v[96:97]
	v_cvt_f32_f64_e32 v94, v[94:95]
	v_min3_f32 v93, v93, v94, v174
	v_add_f64 v[94:95], v[42:43], v[82:83]
	v_add_f64 v[96:97], v[40:41], v[80:81]
	v_cvt_f32_f64_e32 v96, v[96:97]
	v_cvt_f32_f64_e32 v94, v[94:95]
	v_min_f32_e32 v94, v96, v94
	v_min3_f32 v92, v92, v94, v93
	v_cvt_f64_f32_e32 v[92:93], v92
	v_lshl_add_u64 v[94:95], v[134:135], 3, v[88:89]
	flat_store_dwordx2 v[94:95], v[92:93]
	s_or_b64 exec, exec, s[26:27]
	s_and_b64 s[30:31], s[10:11], s[18:19]
	s_and_saveexec_b64 s[26:27], s[30:31]
	s_cbranch_execz .LBB122_264
.LBB122_283:
	s_and_b64 vcc, exec, s[0:1]
	s_cbranch_vccnz .LBB122_285
; %bb.284:
	v_lshl_add_u64 v[92:93], v[136:137], 3, v[90:91]
	flat_load_dwordx2 v[92:93], v[92:93]
	s_waitcnt vmcnt(0) lgkmcnt(0)
	v_mul_f64 v[92:93], s[22:23], v[92:93]
	v_cvt_f32_f64_e32 v92, v[92:93]
	s_branch .LBB122_286
.LBB122_285:
	v_mov_b32_e32 v92, 0
.LBB122_286:
	v_add_f64 v[94:95], v[38:39], v[86:87]
	v_add_f64 v[96:97], v[36:37], v[84:85]
	v_cvt_f32_f64_e32 v93, v[96:97]
	v_cvt_f32_f64_e32 v94, v[94:95]
	v_min3_f32 v93, v93, v94, v173
	v_add_f64 v[94:95], v[34:35], v[82:83]
	v_add_f64 v[96:97], v[32:33], v[80:81]
	v_cvt_f32_f64_e32 v96, v[96:97]
	v_cvt_f32_f64_e32 v94, v[94:95]
	v_min_f32_e32 v94, v96, v94
	v_min3_f32 v92, v92, v94, v93
	v_cvt_f64_f32_e32 v[92:93], v92
	v_lshl_add_u64 v[94:95], v[136:137], 3, v[88:89]
	flat_store_dwordx2 v[94:95], v[92:93]
	s_or_b64 exec, exec, s[26:27]
	s_and_b64 s[30:31], s[12:13], s[18:19]
	s_and_saveexec_b64 s[26:27], s[30:31]
	s_cbranch_execz .LBB122_265
.LBB122_287:
	s_and_b64 vcc, exec, s[0:1]
	s_cbranch_vccnz .LBB122_289
; %bb.288:
	v_lshl_add_u64 v[92:93], v[138:139], 3, v[90:91]
	flat_load_dwordx2 v[92:93], v[92:93]
	s_waitcnt vmcnt(0) lgkmcnt(0)
	v_mul_f64 v[92:93], s[22:23], v[92:93]
	v_cvt_f32_f64_e32 v92, v[92:93]
	s_branch .LBB122_290
.LBB122_289:
	v_mov_b32_e32 v92, 0
.LBB122_290:
	v_add_f64 v[94:95], v[30:31], v[86:87]
	v_add_f64 v[96:97], v[28:29], v[84:85]
	v_cvt_f32_f64_e32 v93, v[96:97]
	v_cvt_f32_f64_e32 v94, v[94:95]
	v_min3_f32 v93, v93, v94, v172
	v_add_f64 v[94:95], v[26:27], v[82:83]
	v_add_f64 v[96:97], v[24:25], v[80:81]
	v_cvt_f32_f64_e32 v96, v[96:97]
	v_cvt_f32_f64_e32 v94, v[94:95]
	v_min_f32_e32 v94, v96, v94
	v_min3_f32 v92, v92, v94, v93
	v_cvt_f64_f32_e32 v[92:93], v92
	v_lshl_add_u64 v[94:95], v[138:139], 3, v[88:89]
	flat_store_dwordx2 v[94:95], v[92:93]
	s_or_b64 exec, exec, s[26:27]
	s_and_b64 s[30:31], s[14:15], s[18:19]
	s_and_saveexec_b64 s[26:27], s[30:31]
	s_cbranch_execz .LBB122_266
.LBB122_291:
	s_and_b64 vcc, exec, s[0:1]
	s_cbranch_vccnz .LBB122_293
; %bb.292:
	v_lshl_add_u64 v[92:93], v[140:141], 3, v[90:91]
	flat_load_dwordx2 v[92:93], v[92:93]
	s_waitcnt vmcnt(0) lgkmcnt(0)
	v_mul_f64 v[92:93], s[22:23], v[92:93]
	v_cvt_f32_f64_e32 v92, v[92:93]
	s_branch .LBB122_294
.LBB122_293:
	v_mov_b32_e32 v92, 0
.LBB122_294:
	v_add_f64 v[94:95], v[22:23], v[86:87]
	v_add_f64 v[96:97], v[20:21], v[84:85]
	v_cvt_f32_f64_e32 v93, v[96:97]
	v_cvt_f32_f64_e32 v94, v[94:95]
	v_min3_f32 v93, v93, v94, v171
	v_add_f64 v[94:95], v[18:19], v[82:83]
	v_add_f64 v[96:97], v[16:17], v[80:81]
	v_cvt_f32_f64_e32 v96, v[96:97]
	v_cvt_f32_f64_e32 v94, v[94:95]
	v_min_f32_e32 v94, v96, v94
	v_min3_f32 v92, v92, v94, v93
	v_cvt_f64_f32_e32 v[92:93], v92
	v_lshl_add_u64 v[94:95], v[140:141], 3, v[88:89]
	flat_store_dwordx2 v[94:95], v[92:93]
	s_or_b64 exec, exec, s[26:27]
	s_and_b64 s[26:27], s[16:17], s[18:19]
	s_and_saveexec_b64 s[18:19], s[26:27]
	s_cbranch_execz .LBB122_299
.LBB122_295:
	s_and_b64 vcc, exec, s[0:1]
	s_cbranch_vccnz .LBB122_297
; %bb.296:
	v_lshl_add_u64 v[90:91], v[142:143], 3, v[90:91]
	flat_load_dwordx2 v[90:91], v[90:91]
	s_waitcnt vmcnt(0) lgkmcnt(0)
	v_mul_f64 v[90:91], s[22:23], v[90:91]
	v_cvt_f32_f64_e32 v90, v[90:91]
	s_branch .LBB122_298
.LBB122_297:
	v_mov_b32_e32 v90, 0
.LBB122_298:
	v_add_f64 v[86:87], v[6:7], v[86:87]
	v_add_f64 v[84:85], v[4:5], v[84:85]
	;; [unrolled: 1-line block ×4, first 2 shown]
	v_cvt_f32_f64_e32 v84, v[84:85]
	v_cvt_f32_f64_e32 v85, v[86:87]
	;; [unrolled: 1-line block ×4, first 2 shown]
	v_min3_f32 v84, v84, v85, v170
	v_min_f32_e32 v80, v80, v81
	v_min3_f32 v80, v90, v80, v84
	v_cvt_f64_f32_e32 v[80:81], v80
	v_lshl_add_u64 v[82:83], v[142:143], 3, v[88:89]
	flat_store_dwordx2 v[82:83], v[80:81]
.LBB122_299:
	s_or_b64 exec, exec, s[18:19]
	v_add_u32_e32 v84, 0xc0, v150
	v_mad_i64_i32 v[80:81], s[26:27], v84, s35, 0
	v_cmp_gt_i32_e64 s[18:19], s25, v84
	v_lshl_add_u64 v[82:83], v[80:81], 3, s[28:29]
	v_mad_i64_i32 v[80:81], s[26:27], v84, s34, 0
	v_lshl_add_u64 v[80:81], v[80:81], 3, s[20:21]
	s_and_b64 s[30:31], s[2:3], s[18:19]
	s_and_saveexec_b64 s[26:27], s[30:31]
	s_cbranch_execnz .LBB122_307
; %bb.300:
	s_or_b64 exec, exec, s[26:27]
	s_and_b64 s[30:31], s[4:5], s[18:19]
	s_and_saveexec_b64 s[26:27], s[30:31]
	s_cbranch_execnz .LBB122_311
.LBB122_301:
	s_or_b64 exec, exec, s[26:27]
	s_and_b64 s[30:31], s[6:7], s[18:19]
	s_and_saveexec_b64 s[26:27], s[30:31]
	s_cbranch_execnz .LBB122_315
.LBB122_302:
	s_or_b64 exec, exec, s[26:27]
	s_and_b64 s[30:31], s[8:9], s[18:19]
	s_and_saveexec_b64 s[26:27], s[30:31]
	s_cbranch_execnz .LBB122_319
.LBB122_303:
	s_or_b64 exec, exec, s[26:27]
	s_and_b64 s[30:31], s[10:11], s[18:19]
	s_and_saveexec_b64 s[26:27], s[30:31]
	s_cbranch_execnz .LBB122_323
.LBB122_304:
	s_or_b64 exec, exec, s[26:27]
	s_and_b64 s[30:31], s[12:13], s[18:19]
	s_and_saveexec_b64 s[26:27], s[30:31]
	s_cbranch_execnz .LBB122_327
.LBB122_305:
	s_or_b64 exec, exec, s[26:27]
	s_and_b64 s[30:31], s[14:15], s[18:19]
	s_and_saveexec_b64 s[26:27], s[30:31]
	s_cbranch_execnz .LBB122_331
.LBB122_306:
	s_or_b64 exec, exec, s[26:27]
	s_and_b64 s[26:27], s[16:17], s[18:19]
	s_and_saveexec_b64 s[18:19], s[26:27]
	s_cbranch_execnz .LBB122_335
	s_branch .LBB122_339
.LBB122_307:
	s_and_b64 vcc, exec, s[0:1]
	s_cbranch_vccnz .LBB122_309
; %bb.308:
	v_lshl_add_u64 v[84:85], v[128:129], 3, v[82:83]
	flat_load_dwordx2 v[84:85], v[84:85]
	s_waitcnt vmcnt(0) lgkmcnt(0)
	v_mul_f64 v[84:85], s[22:23], v[84:85]
	v_cvt_f32_f64_e32 v84, v[84:85]
	s_branch .LBB122_310
.LBB122_309:
	v_mov_b32_e32 v84, 0
.LBB122_310:
	v_add_f64 v[86:87], v[70:71], v[78:79]
	v_add_f64 v[88:89], v[68:69], v[76:77]
	v_cvt_f32_f64_e32 v85, v[88:89]
	v_cvt_f32_f64_e32 v86, v[86:87]
	v_min3_f32 v85, v85, v86, v169
	v_add_f64 v[86:87], v[66:67], v[74:75]
	v_add_f64 v[88:89], v[64:65], v[72:73]
	v_cvt_f32_f64_e32 v88, v[88:89]
	v_cvt_f32_f64_e32 v86, v[86:87]
	v_min_f32_e32 v86, v88, v86
	v_min3_f32 v84, v84, v86, v85
	v_cvt_f64_f32_e32 v[84:85], v84
	v_lshl_add_u64 v[86:87], v[128:129], 3, v[80:81]
	flat_store_dwordx2 v[86:87], v[84:85]
	s_or_b64 exec, exec, s[26:27]
	s_and_b64 s[30:31], s[4:5], s[18:19]
	s_and_saveexec_b64 s[26:27], s[30:31]
	s_cbranch_execz .LBB122_301
.LBB122_311:
	s_and_b64 vcc, exec, s[0:1]
	s_cbranch_vccnz .LBB122_313
; %bb.312:
	v_lshl_add_u64 v[84:85], v[130:131], 3, v[82:83]
	flat_load_dwordx2 v[84:85], v[84:85]
	s_waitcnt vmcnt(0) lgkmcnt(0)
	v_mul_f64 v[84:85], s[22:23], v[84:85]
	v_cvt_f32_f64_e32 v84, v[84:85]
	s_branch .LBB122_314
.LBB122_313:
	v_mov_b32_e32 v84, 0
.LBB122_314:
	v_add_f64 v[86:87], v[62:63], v[78:79]
	v_add_f64 v[88:89], v[60:61], v[76:77]
	v_cvt_f32_f64_e32 v85, v[88:89]
	v_cvt_f32_f64_e32 v86, v[86:87]
	v_min3_f32 v85, v85, v86, v167
	v_add_f64 v[86:87], v[58:59], v[74:75]
	v_add_f64 v[88:89], v[56:57], v[72:73]
	v_cvt_f32_f64_e32 v88, v[88:89]
	v_cvt_f32_f64_e32 v86, v[86:87]
	v_min_f32_e32 v86, v88, v86
	v_min3_f32 v84, v84, v86, v85
	v_cvt_f64_f32_e32 v[84:85], v84
	v_lshl_add_u64 v[86:87], v[130:131], 3, v[80:81]
	flat_store_dwordx2 v[86:87], v[84:85]
	s_or_b64 exec, exec, s[26:27]
	s_and_b64 s[30:31], s[6:7], s[18:19]
	s_and_saveexec_b64 s[26:27], s[30:31]
	s_cbranch_execz .LBB122_302
.LBB122_315:
	s_and_b64 vcc, exec, s[0:1]
	s_cbranch_vccnz .LBB122_317
; %bb.316:
	v_lshl_add_u64 v[84:85], v[132:133], 3, v[82:83]
	flat_load_dwordx2 v[84:85], v[84:85]
	s_waitcnt vmcnt(0) lgkmcnt(0)
	v_mul_f64 v[84:85], s[22:23], v[84:85]
	v_cvt_f32_f64_e32 v84, v[84:85]
	s_branch .LBB122_318
.LBB122_317:
	v_mov_b32_e32 v84, 0
.LBB122_318:
	v_add_f64 v[86:87], v[54:55], v[78:79]
	v_add_f64 v[88:89], v[52:53], v[76:77]
	v_cvt_f32_f64_e32 v85, v[88:89]
	v_cvt_f32_f64_e32 v86, v[86:87]
	v_min3_f32 v85, v85, v86, v166
	v_add_f64 v[86:87], v[50:51], v[74:75]
	v_add_f64 v[88:89], v[48:49], v[72:73]
	v_cvt_f32_f64_e32 v88, v[88:89]
	v_cvt_f32_f64_e32 v86, v[86:87]
	v_min_f32_e32 v86, v88, v86
	v_min3_f32 v84, v84, v86, v85
	v_cvt_f64_f32_e32 v[84:85], v84
	v_lshl_add_u64 v[86:87], v[132:133], 3, v[80:81]
	flat_store_dwordx2 v[86:87], v[84:85]
	s_or_b64 exec, exec, s[26:27]
	s_and_b64 s[30:31], s[8:9], s[18:19]
	s_and_saveexec_b64 s[26:27], s[30:31]
	s_cbranch_execz .LBB122_303
.LBB122_319:
	s_and_b64 vcc, exec, s[0:1]
	s_cbranch_vccnz .LBB122_321
; %bb.320:
	v_lshl_add_u64 v[84:85], v[134:135], 3, v[82:83]
	flat_load_dwordx2 v[84:85], v[84:85]
	s_waitcnt vmcnt(0) lgkmcnt(0)
	v_mul_f64 v[84:85], s[22:23], v[84:85]
	v_cvt_f32_f64_e32 v84, v[84:85]
	s_branch .LBB122_322
.LBB122_321:
	v_mov_b32_e32 v84, 0
.LBB122_322:
	v_add_f64 v[86:87], v[46:47], v[78:79]
	v_add_f64 v[88:89], v[44:45], v[76:77]
	v_cvt_f32_f64_e32 v85, v[88:89]
	v_cvt_f32_f64_e32 v86, v[86:87]
	v_min3_f32 v85, v85, v86, v165
	v_add_f64 v[86:87], v[42:43], v[74:75]
	v_add_f64 v[88:89], v[40:41], v[72:73]
	v_cvt_f32_f64_e32 v88, v[88:89]
	v_cvt_f32_f64_e32 v86, v[86:87]
	v_min_f32_e32 v86, v88, v86
	v_min3_f32 v84, v84, v86, v85
	v_cvt_f64_f32_e32 v[84:85], v84
	v_lshl_add_u64 v[86:87], v[134:135], 3, v[80:81]
	flat_store_dwordx2 v[86:87], v[84:85]
	s_or_b64 exec, exec, s[26:27]
	s_and_b64 s[30:31], s[10:11], s[18:19]
	s_and_saveexec_b64 s[26:27], s[30:31]
	s_cbranch_execz .LBB122_304
.LBB122_323:
	s_and_b64 vcc, exec, s[0:1]
	s_cbranch_vccnz .LBB122_325
; %bb.324:
	v_lshl_add_u64 v[84:85], v[136:137], 3, v[82:83]
	flat_load_dwordx2 v[84:85], v[84:85]
	s_waitcnt vmcnt(0) lgkmcnt(0)
	v_mul_f64 v[84:85], s[22:23], v[84:85]
	v_cvt_f32_f64_e32 v84, v[84:85]
	s_branch .LBB122_326
.LBB122_325:
	v_mov_b32_e32 v84, 0
.LBB122_326:
	v_add_f64 v[86:87], v[38:39], v[78:79]
	v_add_f64 v[88:89], v[36:37], v[76:77]
	v_cvt_f32_f64_e32 v85, v[88:89]
	v_cvt_f32_f64_e32 v86, v[86:87]
	v_min3_f32 v85, v85, v86, v164
	v_add_f64 v[86:87], v[34:35], v[74:75]
	v_add_f64 v[88:89], v[32:33], v[72:73]
	v_cvt_f32_f64_e32 v88, v[88:89]
	v_cvt_f32_f64_e32 v86, v[86:87]
	v_min_f32_e32 v86, v88, v86
	v_min3_f32 v84, v84, v86, v85
	v_cvt_f64_f32_e32 v[84:85], v84
	v_lshl_add_u64 v[86:87], v[136:137], 3, v[80:81]
	flat_store_dwordx2 v[86:87], v[84:85]
	s_or_b64 exec, exec, s[26:27]
	s_and_b64 s[30:31], s[12:13], s[18:19]
	s_and_saveexec_b64 s[26:27], s[30:31]
	s_cbranch_execz .LBB122_305
.LBB122_327:
	s_and_b64 vcc, exec, s[0:1]
	s_cbranch_vccnz .LBB122_329
; %bb.328:
	v_lshl_add_u64 v[84:85], v[138:139], 3, v[82:83]
	flat_load_dwordx2 v[84:85], v[84:85]
	s_waitcnt vmcnt(0) lgkmcnt(0)
	v_mul_f64 v[84:85], s[22:23], v[84:85]
	v_cvt_f32_f64_e32 v84, v[84:85]
	s_branch .LBB122_330
.LBB122_329:
	v_mov_b32_e32 v84, 0
.LBB122_330:
	v_add_f64 v[86:87], v[30:31], v[78:79]
	v_add_f64 v[88:89], v[28:29], v[76:77]
	v_cvt_f32_f64_e32 v85, v[88:89]
	v_cvt_f32_f64_e32 v86, v[86:87]
	v_min3_f32 v85, v85, v86, v163
	v_add_f64 v[86:87], v[26:27], v[74:75]
	v_add_f64 v[88:89], v[24:25], v[72:73]
	v_cvt_f32_f64_e32 v88, v[88:89]
	v_cvt_f32_f64_e32 v86, v[86:87]
	v_min_f32_e32 v86, v88, v86
	v_min3_f32 v84, v84, v86, v85
	v_cvt_f64_f32_e32 v[84:85], v84
	v_lshl_add_u64 v[86:87], v[138:139], 3, v[80:81]
	flat_store_dwordx2 v[86:87], v[84:85]
	s_or_b64 exec, exec, s[26:27]
	s_and_b64 s[30:31], s[14:15], s[18:19]
	s_and_saveexec_b64 s[26:27], s[30:31]
	s_cbranch_execz .LBB122_306
.LBB122_331:
	s_and_b64 vcc, exec, s[0:1]
	s_cbranch_vccnz .LBB122_333
; %bb.332:
	v_lshl_add_u64 v[84:85], v[140:141], 3, v[82:83]
	flat_load_dwordx2 v[84:85], v[84:85]
	s_waitcnt vmcnt(0) lgkmcnt(0)
	v_mul_f64 v[84:85], s[22:23], v[84:85]
	v_cvt_f32_f64_e32 v84, v[84:85]
	s_branch .LBB122_334
.LBB122_333:
	v_mov_b32_e32 v84, 0
.LBB122_334:
	v_add_f64 v[86:87], v[22:23], v[78:79]
	v_add_f64 v[88:89], v[20:21], v[76:77]
	v_cvt_f32_f64_e32 v85, v[88:89]
	v_cvt_f32_f64_e32 v86, v[86:87]
	v_min3_f32 v85, v85, v86, v160
	v_add_f64 v[86:87], v[18:19], v[74:75]
	v_add_f64 v[88:89], v[16:17], v[72:73]
	v_cvt_f32_f64_e32 v88, v[88:89]
	v_cvt_f32_f64_e32 v86, v[86:87]
	v_min_f32_e32 v86, v88, v86
	v_min3_f32 v84, v84, v86, v85
	v_cvt_f64_f32_e32 v[84:85], v84
	v_lshl_add_u64 v[86:87], v[140:141], 3, v[80:81]
	flat_store_dwordx2 v[86:87], v[84:85]
	s_or_b64 exec, exec, s[26:27]
	s_and_b64 s[26:27], s[16:17], s[18:19]
	s_and_saveexec_b64 s[18:19], s[26:27]
	s_cbranch_execz .LBB122_339
.LBB122_335:
	s_and_b64 vcc, exec, s[0:1]
	s_cbranch_vccnz .LBB122_337
; %bb.336:
	v_lshl_add_u64 v[82:83], v[142:143], 3, v[82:83]
	flat_load_dwordx2 v[82:83], v[82:83]
	s_waitcnt vmcnt(0) lgkmcnt(0)
	v_mul_f64 v[82:83], s[22:23], v[82:83]
	v_cvt_f32_f64_e32 v82, v[82:83]
	s_branch .LBB122_338
.LBB122_337:
	v_mov_b32_e32 v82, 0
.LBB122_338:
	v_add_f64 v[78:79], v[6:7], v[78:79]
	v_add_f64 v[76:77], v[4:5], v[76:77]
	;; [unrolled: 1-line block ×4, first 2 shown]
	v_cvt_f32_f64_e32 v76, v[76:77]
	v_cvt_f32_f64_e32 v77, v[78:79]
	;; [unrolled: 1-line block ×4, first 2 shown]
	v_min3_f32 v76, v76, v77, v159
	v_min_f32_e32 v72, v72, v73
	v_min3_f32 v72, v82, v72, v76
	v_cvt_f64_f32_e32 v[72:73], v72
	v_lshl_add_u64 v[74:75], v[142:143], 3, v[80:81]
	flat_store_dwordx2 v[74:75], v[72:73]
.LBB122_339:
	s_or_b64 exec, exec, s[18:19]
	v_add_u32_e32 v76, 0xe0, v150
	v_cmp_gt_i32_e64 s[18:19], s25, v76
	v_mad_i64_i32 v[72:73], s[24:25], v76, s35, 0
	v_lshl_add_u64 v[74:75], v[72:73], 3, s[28:29]
	v_mad_i64_i32 v[72:73], s[24:25], v76, s34, 0
	v_lshl_add_u64 v[72:73], v[72:73], 3, s[20:21]
	s_and_b64 s[20:21], s[2:3], s[18:19]
	s_and_saveexec_b64 s[2:3], s[20:21]
	s_cbranch_execnz .LBB122_348
; %bb.340:
	s_or_b64 exec, exec, s[2:3]
	s_and_b64 s[4:5], s[4:5], s[18:19]
	s_and_saveexec_b64 s[2:3], s[4:5]
	s_cbranch_execnz .LBB122_352
.LBB122_341:
	s_or_b64 exec, exec, s[2:3]
	s_and_b64 s[4:5], s[6:7], s[18:19]
	s_and_saveexec_b64 s[2:3], s[4:5]
	s_cbranch_execnz .LBB122_356
.LBB122_342:
	s_or_b64 exec, exec, s[2:3]
	s_and_b64 s[4:5], s[8:9], s[18:19]
	s_and_saveexec_b64 s[2:3], s[4:5]
	s_cbranch_execnz .LBB122_360
.LBB122_343:
	s_or_b64 exec, exec, s[2:3]
	s_and_b64 s[4:5], s[10:11], s[18:19]
	s_and_saveexec_b64 s[2:3], s[4:5]
	s_cbranch_execnz .LBB122_364
.LBB122_344:
	s_or_b64 exec, exec, s[2:3]
	s_and_b64 s[4:5], s[12:13], s[18:19]
	s_and_saveexec_b64 s[2:3], s[4:5]
	s_cbranch_execnz .LBB122_368
.LBB122_345:
	s_or_b64 exec, exec, s[2:3]
	s_and_b64 s[4:5], s[14:15], s[18:19]
	s_and_saveexec_b64 s[2:3], s[4:5]
	s_cbranch_execnz .LBB122_372
.LBB122_346:
	s_or_b64 exec, exec, s[2:3]
	s_and_b64 s[2:3], s[16:17], s[18:19]
	s_and_saveexec_b64 s[4:5], s[2:3]
	s_cbranch_execnz .LBB122_376
.LBB122_347:
	s_endpgm
.LBB122_348:
	s_and_b64 vcc, exec, s[0:1]
	s_cbranch_vccnz .LBB122_350
; %bb.349:
	v_lshl_add_u64 v[76:77], v[128:129], 3, v[74:75]
	flat_load_dwordx2 v[76:77], v[76:77]
	s_waitcnt vmcnt(0) lgkmcnt(0)
	v_mul_f64 v[76:77], s[22:23], v[76:77]
	v_cvt_f32_f64_e32 v76, v[76:77]
	s_branch .LBB122_351
.LBB122_350:
	v_mov_b32_e32 v76, 0
.LBB122_351:
	v_add_f64 v[70:71], v[70:71], v[14:15]
	v_add_f64 v[68:69], v[68:69], v[12:13]
	;; [unrolled: 1-line block ×4, first 2 shown]
	v_cvt_f32_f64_e32 v68, v[68:69]
	v_cvt_f32_f64_e32 v69, v[70:71]
	;; [unrolled: 1-line block ×4, first 2 shown]
	v_min3_f32 v68, v68, v69, v157
	v_min_f32_e32 v64, v64, v65
	v_min3_f32 v64, v76, v64, v68
	v_cvt_f64_f32_e32 v[64:65], v64
	v_lshl_add_u64 v[66:67], v[128:129], 3, v[72:73]
	flat_store_dwordx2 v[66:67], v[64:65]
	s_or_b64 exec, exec, s[2:3]
	s_and_b64 s[4:5], s[4:5], s[18:19]
	s_and_saveexec_b64 s[2:3], s[4:5]
	s_cbranch_execz .LBB122_341
.LBB122_352:
	s_and_b64 vcc, exec, s[0:1]
	s_cbranch_vccnz .LBB122_354
; %bb.353:
	v_lshl_add_u64 v[64:65], v[130:131], 3, v[74:75]
	flat_load_dwordx2 v[64:65], v[64:65]
	s_waitcnt vmcnt(0) lgkmcnt(0)
	v_mul_f64 v[64:65], s[22:23], v[64:65]
	v_cvt_f32_f64_e32 v64, v[64:65]
	s_branch .LBB122_355
.LBB122_354:
	v_mov_b32_e32 v64, 0
.LBB122_355:
	v_add_f64 v[62:63], v[62:63], v[14:15]
	v_add_f64 v[60:61], v[60:61], v[12:13]
	;; [unrolled: 1-line block ×4, first 2 shown]
	v_cvt_f32_f64_e32 v60, v[60:61]
	v_cvt_f32_f64_e32 v61, v[62:63]
	;; [unrolled: 1-line block ×4, first 2 shown]
	v_min3_f32 v60, v60, v61, v156
	v_min_f32_e32 v56, v56, v57
	v_min3_f32 v56, v64, v56, v60
	v_cvt_f64_f32_e32 v[56:57], v56
	v_lshl_add_u64 v[58:59], v[130:131], 3, v[72:73]
	flat_store_dwordx2 v[58:59], v[56:57]
	s_or_b64 exec, exec, s[2:3]
	s_and_b64 s[4:5], s[6:7], s[18:19]
	s_and_saveexec_b64 s[2:3], s[4:5]
	s_cbranch_execz .LBB122_342
.LBB122_356:
	s_and_b64 vcc, exec, s[0:1]
	s_cbranch_vccnz .LBB122_358
; %bb.357:
	v_lshl_add_u64 v[56:57], v[132:133], 3, v[74:75]
	flat_load_dwordx2 v[56:57], v[56:57]
	s_waitcnt vmcnt(0) lgkmcnt(0)
	v_mul_f64 v[56:57], s[22:23], v[56:57]
	v_cvt_f32_f64_e32 v56, v[56:57]
	s_branch .LBB122_359
.LBB122_358:
	v_mov_b32_e32 v56, 0
.LBB122_359:
	v_add_f64 v[54:55], v[54:55], v[14:15]
	v_add_f64 v[52:53], v[52:53], v[12:13]
	;; [unrolled: 1-line block ×4, first 2 shown]
	v_cvt_f32_f64_e32 v52, v[52:53]
	v_cvt_f32_f64_e32 v53, v[54:55]
	;; [unrolled: 1-line block ×4, first 2 shown]
	v_min3_f32 v52, v52, v53, v155
	v_min_f32_e32 v48, v48, v49
	v_min3_f32 v48, v56, v48, v52
	v_cvt_f64_f32_e32 v[48:49], v48
	v_lshl_add_u64 v[50:51], v[132:133], 3, v[72:73]
	flat_store_dwordx2 v[50:51], v[48:49]
	s_or_b64 exec, exec, s[2:3]
	s_and_b64 s[4:5], s[8:9], s[18:19]
	s_and_saveexec_b64 s[2:3], s[4:5]
	s_cbranch_execz .LBB122_343
.LBB122_360:
	s_and_b64 vcc, exec, s[0:1]
	s_cbranch_vccnz .LBB122_362
; %bb.361:
	v_lshl_add_u64 v[48:49], v[134:135], 3, v[74:75]
	flat_load_dwordx2 v[48:49], v[48:49]
	s_waitcnt vmcnt(0) lgkmcnt(0)
	v_mul_f64 v[48:49], s[22:23], v[48:49]
	v_cvt_f32_f64_e32 v48, v[48:49]
	s_branch .LBB122_363
.LBB122_362:
	v_mov_b32_e32 v48, 0
.LBB122_363:
	v_add_f64 v[46:47], v[46:47], v[14:15]
	v_add_f64 v[44:45], v[44:45], v[12:13]
	;; [unrolled: 1-line block ×4, first 2 shown]
	v_cvt_f32_f64_e32 v44, v[44:45]
	v_cvt_f32_f64_e32 v45, v[46:47]
	;; [unrolled: 1-line block ×4, first 2 shown]
	v_min3_f32 v44, v44, v45, v154
	v_min_f32_e32 v40, v40, v41
	v_min3_f32 v40, v48, v40, v44
	v_cvt_f64_f32_e32 v[40:41], v40
	v_lshl_add_u64 v[42:43], v[134:135], 3, v[72:73]
	flat_store_dwordx2 v[42:43], v[40:41]
	s_or_b64 exec, exec, s[2:3]
	s_and_b64 s[4:5], s[10:11], s[18:19]
	s_and_saveexec_b64 s[2:3], s[4:5]
	s_cbranch_execz .LBB122_344
.LBB122_364:
	s_and_b64 vcc, exec, s[0:1]
	s_cbranch_vccnz .LBB122_366
; %bb.365:
	v_lshl_add_u64 v[40:41], v[136:137], 3, v[74:75]
	flat_load_dwordx2 v[40:41], v[40:41]
	s_waitcnt vmcnt(0) lgkmcnt(0)
	v_mul_f64 v[40:41], s[22:23], v[40:41]
	v_cvt_f32_f64_e32 v40, v[40:41]
	s_branch .LBB122_367
.LBB122_366:
	v_mov_b32_e32 v40, 0
.LBB122_367:
	v_add_f64 v[38:39], v[38:39], v[14:15]
	v_add_f64 v[36:37], v[36:37], v[12:13]
	;; [unrolled: 1-line block ×4, first 2 shown]
	v_cvt_f32_f64_e32 v36, v[36:37]
	v_cvt_f32_f64_e32 v37, v[38:39]
	;; [unrolled: 1-line block ×4, first 2 shown]
	v_min3_f32 v36, v36, v37, v153
	v_min_f32_e32 v32, v32, v33
	v_min3_f32 v32, v40, v32, v36
	v_cvt_f64_f32_e32 v[32:33], v32
	v_lshl_add_u64 v[34:35], v[136:137], 3, v[72:73]
	flat_store_dwordx2 v[34:35], v[32:33]
	s_or_b64 exec, exec, s[2:3]
	s_and_b64 s[4:5], s[12:13], s[18:19]
	s_and_saveexec_b64 s[2:3], s[4:5]
	s_cbranch_execz .LBB122_345
.LBB122_368:
	s_and_b64 vcc, exec, s[0:1]
	s_cbranch_vccnz .LBB122_370
; %bb.369:
	v_lshl_add_u64 v[32:33], v[138:139], 3, v[74:75]
	flat_load_dwordx2 v[32:33], v[32:33]
	s_waitcnt vmcnt(0) lgkmcnt(0)
	v_mul_f64 v[32:33], s[22:23], v[32:33]
	v_cvt_f32_f64_e32 v32, v[32:33]
	s_branch .LBB122_371
.LBB122_370:
	v_mov_b32_e32 v32, 0
.LBB122_371:
	v_add_f64 v[30:31], v[30:31], v[14:15]
	v_add_f64 v[28:29], v[28:29], v[12:13]
	;; [unrolled: 1-line block ×4, first 2 shown]
	v_cvt_f32_f64_e32 v28, v[28:29]
	v_cvt_f32_f64_e32 v29, v[30:31]
	;; [unrolled: 1-line block ×4, first 2 shown]
	v_min3_f32 v28, v28, v29, v152
	v_min_f32_e32 v24, v24, v25
	v_min3_f32 v24, v32, v24, v28
	v_cvt_f64_f32_e32 v[24:25], v24
	v_lshl_add_u64 v[26:27], v[138:139], 3, v[72:73]
	flat_store_dwordx2 v[26:27], v[24:25]
	s_or_b64 exec, exec, s[2:3]
	s_and_b64 s[4:5], s[14:15], s[18:19]
	s_and_saveexec_b64 s[2:3], s[4:5]
	s_cbranch_execz .LBB122_346
.LBB122_372:
	s_and_b64 vcc, exec, s[0:1]
	s_cbranch_vccnz .LBB122_374
; %bb.373:
	v_lshl_add_u64 v[24:25], v[140:141], 3, v[74:75]
	flat_load_dwordx2 v[24:25], v[24:25]
	s_waitcnt vmcnt(0) lgkmcnt(0)
	v_mul_f64 v[24:25], s[22:23], v[24:25]
	v_cvt_f32_f64_e32 v24, v[24:25]
	s_branch .LBB122_375
.LBB122_374:
	v_mov_b32_e32 v24, 0
.LBB122_375:
	v_add_f64 v[22:23], v[22:23], v[14:15]
	v_add_f64 v[20:21], v[20:21], v[12:13]
	;; [unrolled: 1-line block ×4, first 2 shown]
	v_cvt_f32_f64_e32 v20, v[20:21]
	v_cvt_f32_f64_e32 v21, v[22:23]
	;; [unrolled: 1-line block ×4, first 2 shown]
	v_min3_f32 v20, v20, v21, v149
	v_min_f32_e32 v16, v16, v17
	v_min3_f32 v16, v24, v16, v20
	v_cvt_f64_f32_e32 v[16:17], v16
	v_lshl_add_u64 v[18:19], v[140:141], 3, v[72:73]
	flat_store_dwordx2 v[18:19], v[16:17]
	s_or_b64 exec, exec, s[2:3]
	s_and_b64 s[2:3], s[16:17], s[18:19]
	s_and_saveexec_b64 s[4:5], s[2:3]
	s_cbranch_execz .LBB122_347
.LBB122_376:
	s_and_b64 vcc, exec, s[0:1]
	s_cbranch_vccnz .LBB122_378
; %bb.377:
	v_lshl_add_u64 v[16:17], v[142:143], 3, v[74:75]
	flat_load_dwordx2 v[16:17], v[16:17]
	s_waitcnt vmcnt(0) lgkmcnt(0)
	v_mul_f64 v[16:17], s[22:23], v[16:17]
	v_cvt_f32_f64_e32 v16, v[16:17]
	s_branch .LBB122_379
.LBB122_378:
	v_mov_b32_e32 v16, 0
.LBB122_379:
	v_add_f64 v[6:7], v[6:7], v[14:15]
	v_add_f64 v[4:5], v[4:5], v[12:13]
	;; [unrolled: 1-line block ×4, first 2 shown]
	v_cvt_f32_f64_e32 v4, v[4:5]
	v_cvt_f32_f64_e32 v5, v[6:7]
	;; [unrolled: 1-line block ×4, first 2 shown]
	v_min3_f32 v4, v4, v5, v148
	v_min_f32_e32 v0, v0, v1
	v_min3_f32 v0, v16, v0, v4
	v_cvt_f64_f32_e32 v[0:1], v0
	v_lshl_add_u64 v[2:3], v[142:143], 3, v[72:73]
	flat_store_dwordx2 v[2:3], v[0:1]
	s_endpgm
	.section	.rodata,"a",@progbits
	.p2align	6, 0x0
	.amdhsa_kernel _ZN12_GLOBAL__N_120geam_min_plus_kernelId15HIP_vector_typeIdLj2EEdLi8ELi32ELi64ELi256ELi4ELi64ELi4ELi64ELi4ELc78ELc84ELb0ELb1ELb1EdKPKdKPdEEviiiT16_PT17_ilSA_ilS8_SA_ilPT18_ili26rocblas_geam_ex_operation_
		.amdhsa_group_segment_fixed_size 20480
		.amdhsa_private_segment_fixed_size 0
		.amdhsa_kernarg_size 136
		.amdhsa_user_sgpr_count 2
		.amdhsa_user_sgpr_dispatch_ptr 0
		.amdhsa_user_sgpr_queue_ptr 0
		.amdhsa_user_sgpr_kernarg_segment_ptr 1
		.amdhsa_user_sgpr_dispatch_id 0
		.amdhsa_user_sgpr_kernarg_preload_length 0
		.amdhsa_user_sgpr_kernarg_preload_offset 0
		.amdhsa_user_sgpr_private_segment_size 0
		.amdhsa_uses_dynamic_stack 0
		.amdhsa_enable_private_segment 0
		.amdhsa_system_sgpr_workgroup_id_x 1
		.amdhsa_system_sgpr_workgroup_id_y 0
		.amdhsa_system_sgpr_workgroup_id_z 1
		.amdhsa_system_sgpr_workgroup_info 0
		.amdhsa_system_vgpr_workitem_id 1
		.amdhsa_next_free_vgpr 228
		.amdhsa_next_free_sgpr 44
		.amdhsa_accum_offset 228
		.amdhsa_reserve_vcc 1
		.amdhsa_float_round_mode_32 0
		.amdhsa_float_round_mode_16_64 0
		.amdhsa_float_denorm_mode_32 3
		.amdhsa_float_denorm_mode_16_64 3
		.amdhsa_dx10_clamp 1
		.amdhsa_ieee_mode 1
		.amdhsa_fp16_overflow 0
		.amdhsa_tg_split 0
		.amdhsa_exception_fp_ieee_invalid_op 0
		.amdhsa_exception_fp_denorm_src 0
		.amdhsa_exception_fp_ieee_div_zero 0
		.amdhsa_exception_fp_ieee_overflow 0
		.amdhsa_exception_fp_ieee_underflow 0
		.amdhsa_exception_fp_ieee_inexact 0
		.amdhsa_exception_int_div_zero 0
	.end_amdhsa_kernel
	.section	.text._ZN12_GLOBAL__N_120geam_min_plus_kernelId15HIP_vector_typeIdLj2EEdLi8ELi32ELi64ELi256ELi4ELi64ELi4ELi64ELi4ELc78ELc84ELb0ELb1ELb1EdKPKdKPdEEviiiT16_PT17_ilSA_ilS8_SA_ilPT18_ili26rocblas_geam_ex_operation_,"axG",@progbits,_ZN12_GLOBAL__N_120geam_min_plus_kernelId15HIP_vector_typeIdLj2EEdLi8ELi32ELi64ELi256ELi4ELi64ELi4ELi64ELi4ELc78ELc84ELb0ELb1ELb1EdKPKdKPdEEviiiT16_PT17_ilSA_ilS8_SA_ilPT18_ili26rocblas_geam_ex_operation_,comdat
.Lfunc_end122:
	.size	_ZN12_GLOBAL__N_120geam_min_plus_kernelId15HIP_vector_typeIdLj2EEdLi8ELi32ELi64ELi256ELi4ELi64ELi4ELi64ELi4ELc78ELc84ELb0ELb1ELb1EdKPKdKPdEEviiiT16_PT17_ilSA_ilS8_SA_ilPT18_ili26rocblas_geam_ex_operation_, .Lfunc_end122-_ZN12_GLOBAL__N_120geam_min_plus_kernelId15HIP_vector_typeIdLj2EEdLi8ELi32ELi64ELi256ELi4ELi64ELi4ELi64ELi4ELc78ELc84ELb0ELb1ELb1EdKPKdKPdEEviiiT16_PT17_ilSA_ilS8_SA_ilPT18_ili26rocblas_geam_ex_operation_
                                        ; -- End function
	.set _ZN12_GLOBAL__N_120geam_min_plus_kernelId15HIP_vector_typeIdLj2EEdLi8ELi32ELi64ELi256ELi4ELi64ELi4ELi64ELi4ELc78ELc84ELb0ELb1ELb1EdKPKdKPdEEviiiT16_PT17_ilSA_ilS8_SA_ilPT18_ili26rocblas_geam_ex_operation_.num_vgpr, 228
	.set _ZN12_GLOBAL__N_120geam_min_plus_kernelId15HIP_vector_typeIdLj2EEdLi8ELi32ELi64ELi256ELi4ELi64ELi4ELi64ELi4ELc78ELc84ELb0ELb1ELb1EdKPKdKPdEEviiiT16_PT17_ilSA_ilS8_SA_ilPT18_ili26rocblas_geam_ex_operation_.num_agpr, 0
	.set _ZN12_GLOBAL__N_120geam_min_plus_kernelId15HIP_vector_typeIdLj2EEdLi8ELi32ELi64ELi256ELi4ELi64ELi4ELi64ELi4ELc78ELc84ELb0ELb1ELb1EdKPKdKPdEEviiiT16_PT17_ilSA_ilS8_SA_ilPT18_ili26rocblas_geam_ex_operation_.numbered_sgpr, 44
	.set _ZN12_GLOBAL__N_120geam_min_plus_kernelId15HIP_vector_typeIdLj2EEdLi8ELi32ELi64ELi256ELi4ELi64ELi4ELi64ELi4ELc78ELc84ELb0ELb1ELb1EdKPKdKPdEEviiiT16_PT17_ilSA_ilS8_SA_ilPT18_ili26rocblas_geam_ex_operation_.num_named_barrier, 0
	.set _ZN12_GLOBAL__N_120geam_min_plus_kernelId15HIP_vector_typeIdLj2EEdLi8ELi32ELi64ELi256ELi4ELi64ELi4ELi64ELi4ELc78ELc84ELb0ELb1ELb1EdKPKdKPdEEviiiT16_PT17_ilSA_ilS8_SA_ilPT18_ili26rocblas_geam_ex_operation_.private_seg_size, 0
	.set _ZN12_GLOBAL__N_120geam_min_plus_kernelId15HIP_vector_typeIdLj2EEdLi8ELi32ELi64ELi256ELi4ELi64ELi4ELi64ELi4ELc78ELc84ELb0ELb1ELb1EdKPKdKPdEEviiiT16_PT17_ilSA_ilS8_SA_ilPT18_ili26rocblas_geam_ex_operation_.uses_vcc, 1
	.set _ZN12_GLOBAL__N_120geam_min_plus_kernelId15HIP_vector_typeIdLj2EEdLi8ELi32ELi64ELi256ELi4ELi64ELi4ELi64ELi4ELc78ELc84ELb0ELb1ELb1EdKPKdKPdEEviiiT16_PT17_ilSA_ilS8_SA_ilPT18_ili26rocblas_geam_ex_operation_.uses_flat_scratch, 0
	.set _ZN12_GLOBAL__N_120geam_min_plus_kernelId15HIP_vector_typeIdLj2EEdLi8ELi32ELi64ELi256ELi4ELi64ELi4ELi64ELi4ELc78ELc84ELb0ELb1ELb1EdKPKdKPdEEviiiT16_PT17_ilSA_ilS8_SA_ilPT18_ili26rocblas_geam_ex_operation_.has_dyn_sized_stack, 0
	.set _ZN12_GLOBAL__N_120geam_min_plus_kernelId15HIP_vector_typeIdLj2EEdLi8ELi32ELi64ELi256ELi4ELi64ELi4ELi64ELi4ELc78ELc84ELb0ELb1ELb1EdKPKdKPdEEviiiT16_PT17_ilSA_ilS8_SA_ilPT18_ili26rocblas_geam_ex_operation_.has_recursion, 0
	.set _ZN12_GLOBAL__N_120geam_min_plus_kernelId15HIP_vector_typeIdLj2EEdLi8ELi32ELi64ELi256ELi4ELi64ELi4ELi64ELi4ELc78ELc84ELb0ELb1ELb1EdKPKdKPdEEviiiT16_PT17_ilSA_ilS8_SA_ilPT18_ili26rocblas_geam_ex_operation_.has_indirect_call, 0
	.section	.AMDGPU.csdata,"",@progbits
; Kernel info:
; codeLenInByte = 26948
; TotalNumSgprs: 50
; NumVgprs: 228
; NumAgprs: 0
; TotalNumVgprs: 228
; ScratchSize: 0
; MemoryBound: 0
; FloatMode: 240
; IeeeMode: 1
; LDSByteSize: 20480 bytes/workgroup (compile time only)
; SGPRBlocks: 6
; VGPRBlocks: 28
; NumSGPRsForWavesPerEU: 50
; NumVGPRsForWavesPerEU: 228
; AccumOffset: 228
; Occupancy: 2
; WaveLimiterHint : 1
; COMPUTE_PGM_RSRC2:SCRATCH_EN: 0
; COMPUTE_PGM_RSRC2:USER_SGPR: 2
; COMPUTE_PGM_RSRC2:TRAP_HANDLER: 0
; COMPUTE_PGM_RSRC2:TGID_X_EN: 1
; COMPUTE_PGM_RSRC2:TGID_Y_EN: 0
; COMPUTE_PGM_RSRC2:TGID_Z_EN: 1
; COMPUTE_PGM_RSRC2:TIDIG_COMP_CNT: 1
; COMPUTE_PGM_RSRC3_GFX90A:ACCUM_OFFSET: 56
; COMPUTE_PGM_RSRC3_GFX90A:TG_SPLIT: 0
	.section	.text._ZN12_GLOBAL__N_120geam_min_plus_kernelId15HIP_vector_typeIdLj2EEdLi8ELi32ELi64ELi256ELi4ELi4ELi64ELi64ELi4ELc84ELc84ELb0ELb0ELb1EPKdKS4_KPdEEviiiT16_PT17_ilSA_ilS8_SA_ilPT18_ili26rocblas_geam_ex_operation_,"axG",@progbits,_ZN12_GLOBAL__N_120geam_min_plus_kernelId15HIP_vector_typeIdLj2EEdLi8ELi32ELi64ELi256ELi4ELi4ELi64ELi64ELi4ELc84ELc84ELb0ELb0ELb1EPKdKS4_KPdEEviiiT16_PT17_ilSA_ilS8_SA_ilPT18_ili26rocblas_geam_ex_operation_,comdat
	.globl	_ZN12_GLOBAL__N_120geam_min_plus_kernelId15HIP_vector_typeIdLj2EEdLi8ELi32ELi64ELi256ELi4ELi4ELi64ELi64ELi4ELc84ELc84ELb0ELb0ELb1EPKdKS4_KPdEEviiiT16_PT17_ilSA_ilS8_SA_ilPT18_ili26rocblas_geam_ex_operation_ ; -- Begin function _ZN12_GLOBAL__N_120geam_min_plus_kernelId15HIP_vector_typeIdLj2EEdLi8ELi32ELi64ELi256ELi4ELi4ELi64ELi64ELi4ELc84ELc84ELb0ELb0ELb1EPKdKS4_KPdEEviiiT16_PT17_ilSA_ilS8_SA_ilPT18_ili26rocblas_geam_ex_operation_
	.p2align	8
	.type	_ZN12_GLOBAL__N_120geam_min_plus_kernelId15HIP_vector_typeIdLj2EEdLi8ELi32ELi64ELi256ELi4ELi4ELi64ELi64ELi4ELc84ELc84ELb0ELb0ELb1EPKdKS4_KPdEEviiiT16_PT17_ilSA_ilS8_SA_ilPT18_ili26rocblas_geam_ex_operation_,@function
_ZN12_GLOBAL__N_120geam_min_plus_kernelId15HIP_vector_typeIdLj2EEdLi8ELi32ELi64ELi256ELi4ELi4ELi64ELi64ELi4ELc84ELc84ELb0ELb0ELb1EPKdKS4_KPdEEviiiT16_PT17_ilSA_ilS8_SA_ilPT18_ili26rocblas_geam_ex_operation_: ; @_ZN12_GLOBAL__N_120geam_min_plus_kernelId15HIP_vector_typeIdLj2EEdLi8ELi32ELi64ELi256ELi4ELi4ELi64ELi64ELi4ELc84ELc84ELb0ELb0ELb1EPKdKS4_KPdEEviiiT16_PT17_ilSA_ilS8_SA_ilPT18_ili26rocblas_geam_ex_operation_
; %bb.0:
	s_load_dwordx4 s[4:7], s[0:1], 0x10
	s_load_dwordx4 s[12:15], s[0:1], 0x28
	;; [unrolled: 1-line block ×3, first 2 shown]
	s_mov_b32 s16, s3
	s_mov_b32 s17, 0
	s_lshl_b64 s[24:25], s[16:17], 3
	s_waitcnt lgkmcnt(0)
	s_add_u32 s4, s4, s24
	s_addc_u32 s5, s5, s25
	s_load_dwordx2 s[18:19], s[4:5], 0x0
	s_load_dwordx2 s[26:27], s[0:1], 0x50
	s_add_u32 s10, s10, s24
	s_addc_u32 s11, s11, s25
	s_mov_b64 s[20:21], 0
	s_waitcnt lgkmcnt(0)
	v_cmp_eq_f64_e64 s[4:5], s[18:19], 0
	s_and_b64 s[4:5], exec, s[4:5]
	v_cmp_neq_f64_e64 s[16:17], s[18:19], 0
	s_mov_b64 s[22:23], 0
	s_mov_b64 vcc, s[4:5]
	s_cbranch_vccnz .LBB123_2
; %bb.1:
	s_add_u32 s6, s6, s24
	s_addc_u32 s7, s7, s25
	s_load_dwordx2 s[6:7], s[6:7], 0x0
	s_lshl_b64 s[12:13], s[12:13], 3
	s_waitcnt lgkmcnt(0)
	s_add_u32 s22, s6, s12
	s_addc_u32 s23, s7, s13
.LBB123_2:
	s_load_dwordx2 s[10:11], s[10:11], 0x0
	v_cndmask_b32_e64 v1, 0, 1, s[16:17]
	v_cmp_ne_u32_e64 s[6:7], 1, v1
	s_andn2_b64 vcc, exec, s[16:17]
	s_cbranch_vccnz .LBB123_4
; %bb.3:
	s_add_u32 s12, s14, s24
	s_addc_u32 s13, s15, s25
	s_load_dwordx2 s[12:13], s[12:13], 0x0
	s_lshl_b64 s[8:9], s[8:9], 3
	s_waitcnt lgkmcnt(0)
	s_add_u32 s20, s12, s8
	s_addc_u32 s21, s13, s9
.LBB123_4:
	s_load_dwordx4 s[12:15], s[0:1], 0x60
	s_waitcnt lgkmcnt(0)
	v_cmp_eq_f64_e64 s[8:9], s[10:11], 0
	s_and_b64 s[8:9], exec, s[8:9]
	s_mov_b64 s[16:17], 0
	s_mov_b64 vcc, s[8:9]
	s_cbranch_vccnz .LBB123_6
; %bb.5:
	s_add_u32 s16, s26, s24
	s_addc_u32 s17, s27, s25
	s_load_dwordx2 s[16:17], s[16:17], 0x0
	s_lshl_b64 s[12:13], s[12:13], 3
	s_waitcnt lgkmcnt(0)
	s_add_u32 s16, s16, s12
	s_addc_u32 s17, s17, s13
.LBB123_6:
	s_load_dword s12, s[0:1], 0x0
	s_load_dword s3, s[0:1], 0x20
	s_add_u32 s24, s14, s24
	s_addc_u32 s25, s15, s25
	v_and_b32_e32 v152, 0x3ff, v0
	s_waitcnt lgkmcnt(0)
	s_add_i32 s12, s12, -1
	s_ashr_i32 s13, s12, 31
	s_lshr_b32 s13, s13, 26
	s_add_i32 s12, s12, s13
	s_ashr_i32 s12, s12, 6
	s_add_i32 s13, s12, 1
	v_cvt_f32_u32_e32 v1, s13
	s_not_b32 s12, s12
	v_bfe_u32 v153, v0, 10, 10
	v_lshl_add_u32 v6, v153, 3, v152
	v_rcp_iflag_f32_e32 v2, v1
	v_and_b32_e32 v3, 3, v0
	v_lshrrev_b32_e32 v110, 2, v6
	v_mov_b64_e32 v[0:1], 0
	v_mul_f32_e32 v2, 0x4f7ffffe, v2
	v_cvt_u32_f32_e32 v2, v2
	v_mov_b64_e32 v[4:5], 0
	v_readfirstlane_b32 s14, v2
	s_mul_i32 s12, s12, s14
	s_mul_hi_u32 s12, s14, s12
	s_add_i32 s14, s14, s12
	s_mul_hi_u32 s12, s2, s14
	s_mul_i32 s14, s12, s13
	s_sub_i32 s14, s2, s14
	s_add_i32 s15, s12, 1
	s_sub_i32 s26, s14, s13
	s_cmp_ge_u32 s14, s13
	s_cselect_b32 s12, s15, s12
	s_cselect_b32 s14, s26, s14
	s_add_i32 s15, s12, 1
	s_cmp_ge_u32 s14, s13
	s_cselect_b32 s12, s15, s12
	s_mul_i32 s28, s12, s13
	s_sub_i32 s13, s2, s28
	s_lshl_b32 s26, s13, 6
	s_and_b64 vcc, exec, s[6:7]
	v_add_u32_e32 v16, s26, v110
	v_lshlrev_b32_e32 v2, 3, v3
	s_cbranch_vccnz .LBB123_8
; %bb.7:
	v_mad_i64_i32 v[4:5], s[14:15], v16, s3, 0
	v_lshl_add_u64 v[4:5], v[4:5], 3, s[22:23]
	v_mov_b32_e32 v3, 0
	v_lshl_add_u64 v[4:5], v[4:5], 0, v[2:3]
	flat_load_dwordx2 v[4:5], v[4:5]
	s_waitcnt vmcnt(0) lgkmcnt(0)
	v_mul_f64 v[4:5], s[18:19], v[4:5]
.LBB123_8:
	s_load_dword s14, s[0:1], 0x38
	v_and_b32_e32 v112, 63, v6
	v_lshrrev_b32_e32 v111, 6, v6
	s_lshl_b32 s27, s12, 8
	v_or_b32_e32 v8, s27, v112
	s_waitcnt lgkmcnt(0)
	v_mad_i64_i32 v[6:7], s[12:13], s14, v111, 0
	v_lshl_add_u64 v[14:15], v[6:7], 3, s[20:21]
	s_and_b64 vcc, exec, s[6:7]
	v_ashrrev_i32_e32 v9, 31, v8
	v_mov_b64_e32 v[6:7], 0
	s_cbranch_vccnz .LBB123_10
; %bb.9:
	v_lshl_add_u64 v[0:1], v[8:9], 3, v[14:15]
	flat_load_dwordx2 v[6:7], v[0:1]
	flat_load_dwordx2 v[10:11], v[0:1] offset:512
	s_waitcnt vmcnt(0) lgkmcnt(0)
	v_mul_f64 v[6:7], s[18:19], v[6:7]
	v_mul_f64 v[0:1], s[18:19], v[10:11]
.LBB123_10:
	s_ashr_i32 s15, s14, 31
	s_mov_b64 vcc, s[4:5]
	s_cbranch_vccz .LBB123_12
; %bb.11:
	s_mov_b32 s12, 0
	v_mov_b32_e32 v10, s12
	v_mov_b32_e32 v11, s12
	v_mov_b64_e32 v[100:101], 0
	v_mov_b64_e32 v[12:13], 0
	s_cbranch_execz .LBB123_13
	s_branch .LBB123_14
.LBB123_12:
                                        ; implicit-def: $vgpr10_vgpr11
	v_mov_b64_e32 v[100:101], 0
	v_mov_b64_e32 v[12:13], 0
.LBB123_13:
	v_lshl_add_u64 v[10:11], v[8:9], 3, v[14:15]
	flat_load_dwordx2 v[12:13], v[10:11] offset:1024
	flat_load_dwordx2 v[14:15], v[10:11] offset:1536
	s_waitcnt vmcnt(0) lgkmcnt(0)
	v_mul_f64 v[10:11], s[18:19], v[12:13]
	v_mul_f64 v[12:13], s[18:19], v[14:15]
.LBB123_14:
	s_and_b64 vcc, exec, s[6:7]
	s_cbranch_vccnz .LBB123_16
; %bb.15:
	v_mad_i64_i32 v[14:15], s[12:13], v16, s3, 0
	v_lshl_add_u64 v[14:15], v[14:15], 3, s[22:23]
	v_mov_b32_e32 v3, 0
	v_lshl_add_u64 v[14:15], v[14:15], 0, v[2:3]
	flat_load_dwordx2 v[14:15], v[14:15] offset:32
	s_waitcnt vmcnt(0) lgkmcnt(0)
	v_mul_f64 v[100:101], s[18:19], v[14:15]
.LBB123_16:
	v_add_u32_e32 v3, 4, v111
	v_mad_i64_i32 v[14:15], s[12:13], s14, v3, 0
	s_and_b64 vcc, exec, s[6:7]
	v_lshl_add_u64 v[14:15], v[14:15], 3, s[20:21]
	s_cbranch_vccnz .LBB123_19
; %bb.17:
	v_lshl_add_u64 v[16:17], v[8:9], 3, v[14:15]
	flat_load_dwordx2 v[18:19], v[16:17]
	flat_load_dwordx2 v[20:21], v[16:17] offset:512
	s_waitcnt vmcnt(0) lgkmcnt(0)
	v_mul_f64 v[104:105], s[18:19], v[18:19]
	v_mul_f64 v[102:103], s[18:19], v[20:21]
	s_mov_b64 vcc, s[4:5]
	s_cbranch_vccz .LBB123_20
.LBB123_18:
	s_mov_b32 s12, 0
	v_mov_b32_e32 v106, s12
	v_mov_b32_e32 v107, s12
	v_mov_b64_e32 v[108:109], 0
	s_cbranch_execz .LBB123_21
	s_branch .LBB123_22
.LBB123_19:
	v_mov_b64_e32 v[102:103], 0
	v_mov_b64_e32 v[104:105], v[102:103]
	s_mov_b64 vcc, s[4:5]
	s_cbranch_vccnz .LBB123_18
.LBB123_20:
                                        ; implicit-def: $vgpr106_vgpr107
	v_mov_b64_e32 v[108:109], 0
.LBB123_21:
	v_lshl_add_u64 v[8:9], v[8:9], 3, v[14:15]
	flat_load_dwordx2 v[14:15], v[8:9] offset:1024
	flat_load_dwordx2 v[16:17], v[8:9] offset:1536
	s_waitcnt vmcnt(0) lgkmcnt(0)
	v_mul_f64 v[106:107], s[18:19], v[14:15]
	v_mul_f64 v[108:109], s[18:19], v[16:17]
.LBB123_22:
	v_lshl_or_b32 v113, v110, 5, v2
	v_lshlrev_b32_e32 v2, 5, v112
	v_lshl_add_u32 v159, v111, 3, v2
	v_lshlrev_b32_e32 v155, 5, v152
	s_load_dwordx2 s[12:13], s[24:25], 0x0
	s_load_dword s29, s[0:1], 0x8
	ds_write_b64 v113, v[4:5] offset:16384
	ds_write2st64_b64 v159, v[6:7], v[0:1] offset1:4
	ds_write2st64_b64 v159, v[10:11], v[12:13] offset0:8 offset1:12
	s_waitcnt lgkmcnt(0)
	s_barrier
	v_lshlrev_b32_e32 v154, 5, v153
	ds_read_b128 v[32:35], v155 offset:16640
	ds_read_b128 v[28:31], v155 offset:16896
	ds_read_b128 v[24:27], v155 offset:17152
	ds_read_b128 v[20:23], v155 offset:17408
	ds_read_b128 v[16:19], v155 offset:17664
	ds_read_b128 v[12:15], v155 offset:17920
	ds_read_b128 v[8:11], v155 offset:18176
	ds_read_b128 v[92:95], v154 offset:1024
	ds_read_b128 v[88:91], v154 offset:2048
	ds_read_b128 v[84:87], v154 offset:3072
	ds_read_b128 v[52:55], v154 offset:4096
	ds_read_b128 v[48:51], v154 offset:5120
	ds_read_b128 v[40:43], v155 offset:16384
	ds_read_b128 v[96:99], v154
	ds_read_b128 v[44:47], v154 offset:6144
	ds_read_b128 v[36:39], v154 offset:7168
	;; [unrolled: 1-line block ×4, first 2 shown]
	s_waitcnt lgkmcnt(5)
	v_add_f64 v[116:117], v[42:43], v[94:95]
	v_add_f64 v[118:119], v[40:41], v[92:93]
	s_mov_b32 s24, 0x7f800000
	v_cvt_f32_f64_e32 v115, v[118:119]
	v_cvt_f32_f64_e32 v116, v[116:117]
	v_min3_f32 v177, v115, v116, s24
	v_add_f64 v[116:117], v[34:35], v[94:95]
	v_add_f64 v[118:119], v[32:33], v[92:93]
	v_cvt_f32_f64_e32 v115, v[118:119]
	v_cvt_f32_f64_e32 v116, v[116:117]
	v_min3_f32 v178, v115, v116, s24
	v_add_f64 v[116:117], v[30:31], v[94:95]
	v_add_f64 v[118:119], v[28:29], v[92:93]
	;; [unrolled: 5-line block ×34, first 2 shown]
	v_cvt_f32_f64_e32 v115, v[118:119]
	v_cvt_f32_f64_e32 v116, v[116:117]
	v_min3_f32 v121, v115, v116, s24
	s_waitcnt lgkmcnt(3)
	v_add_f64 v[116:117], v[42:43], v[46:47]
	v_add_f64 v[166:167], v[40:41], v[44:45]
	v_cvt_f32_f64_e32 v115, v[166:167]
	v_cvt_f32_f64_e32 v116, v[116:117]
	v_min3_f32 v127, v115, v116, s24
	v_add_f64 v[116:117], v[34:35], v[46:47]
	v_add_f64 v[166:167], v[32:33], v[44:45]
	v_cvt_f32_f64_e32 v115, v[166:167]
	v_cvt_f32_f64_e32 v116, v[116:117]
	v_min3_f32 v124, v115, v116, s24
	v_add_f64 v[116:117], v[30:31], v[46:47]
	v_add_f64 v[166:167], v[28:29], v[44:45]
	v_cvt_f32_f64_e32 v115, v[166:167]
	v_cvt_f32_f64_e32 v116, v[116:117]
	v_add_f64 v[56:57], v[42:43], v[98:99]
	v_add_f64 v[58:59], v[40:41], v[96:97]
	v_min3_f32 v122, v115, v116, s24
	v_add_f64 v[116:117], v[26:27], v[46:47]
	v_add_f64 v[166:167], v[24:25], v[44:45]
	v_cvt_f32_f64_e32 v58, v[58:59]
	v_cvt_f32_f64_e32 v56, v[56:57]
	;; [unrolled: 1-line block ×4, first 2 shown]
	v_min3_f32 v114, v58, v56, s24
	ds_read_b128 v[56:59], v155 offset:16656
	v_add_f64 v[60:61], v[34:35], v[98:99]
	v_add_f64 v[62:63], v[32:33], v[96:97]
	v_min3_f32 v120, v115, v116, s24
	v_add_f64 v[116:117], v[22:23], v[46:47]
	v_add_f64 v[166:167], v[20:21], v[44:45]
	v_cvt_f32_f64_e32 v62, v[62:63]
	v_cvt_f32_f64_e32 v60, v[60:61]
	;; [unrolled: 1-line block ×4, first 2 shown]
	v_add_f64 v[166:167], v[16:17], v[44:45]
	v_min3_f32 v170, v62, v60, s24
	ds_read_b128 v[60:63], v155 offset:16912
	v_add_f64 v[64:65], v[30:31], v[98:99]
	v_add_f64 v[66:67], v[28:29], v[96:97]
	;; [unrolled: 1-line block ×22, first 2 shown]
	v_min3_f32 v118, v115, v116, s24
	v_add_f64 v[116:117], v[18:19], v[46:47]
	v_cvt_f32_f64_e32 v115, v[166:167]
	v_add_f64 v[166:167], v[14:15], v[46:47]
	v_add_f64 v[168:169], v[12:13], v[44:45]
	;; [unrolled: 1-line block ×4, first 2 shown]
	s_waitcnt lgkmcnt(4)
	v_add_f64 v[14:15], v[14:15], v[38:39]
	v_add_f64 v[12:13], v[12:13], v[36:37]
	v_add_f64 v[10:11], v[10:11], v[38:39]
	v_add_f64 v[8:9], v[8:9], v[36:37]
	v_cvt_f32_f64_e32 v66, v[66:67]
	v_cvt_f32_f64_e32 v64, v[64:65]
	;; [unrolled: 1-line block ×7, first 2 shown]
	s_waitcnt lgkmcnt(2)
	v_add_f64 v[10:11], v[2:3], v[6:7]
	v_add_f64 v[14:15], v[0:1], v[4:5]
	v_min3_f32 v171, v66, v64, s24
	ds_read_b128 v[64:67], v155 offset:17168
	v_min3_f32 v117, v115, v116, s24
	v_cvt_f32_f64_e32 v115, v[168:169]
	v_cvt_f32_f64_e32 v116, v[166:167]
	;; [unrolled: 1-line block ×4, first 2 shown]
	v_min3_f32 v8, v8, v9, s24
	v_cvt_f32_f64_e32 v9, v[14:15]
	v_cvt_f32_f64_e32 v10, v[10:11]
	;; [unrolled: 1-line block ×4, first 2 shown]
	v_min3_f32 v116, v115, v116, s24
	v_min3_f32 v115, v44, v45, s24
	ds_read_b128 v[44:47], v154 offset:7184
	v_min3_f32 v226, v9, v10, v114
	s_waitcnt lgkmcnt(3)
	v_add_f64 v[10:11], v[58:59], v[6:7]
	v_add_f64 v[14:15], v[56:57], v[4:5]
	v_min3_f32 v172, v70, v68, s24
	ds_read_b128 v[68:71], v155 offset:17424
	v_cvt_f32_f64_e32 v9, v[14:15]
	v_cvt_f32_f64_e32 v10, v[10:11]
	v_cvt_f32_f64_e32 v74, v[74:75]
	v_cvt_f32_f64_e32 v72, v[72:73]
	v_min3_f32 v224, v9, v10, v170
	s_waitcnt lgkmcnt(3)
	v_add_f64 v[10:11], v[62:63], v[6:7]
	v_add_f64 v[14:15], v[60:61], v[4:5]
	v_min3_f32 v173, v74, v72, s24
	ds_read_b128 v[72:75], v155 offset:17680
	v_cvt_f32_f64_e32 v9, v[14:15]
	v_cvt_f32_f64_e32 v10, v[10:11]
	;; [unrolled: 1-line block ×6, first 2 shown]
	v_min3_f32 v225, v9, v10, v171
	s_waitcnt lgkmcnt(3)
	v_add_f64 v[10:11], v[66:67], v[6:7]
	v_add_f64 v[14:15], v[64:65], v[4:5]
	v_min3_f32 v174, v78, v76, s24
	ds_read_b128 v[76:79], v155 offset:17936
	v_min3_f32 v175, v82, v80, s24
	ds_read_b128 v[80:83], v155 offset:18192
	v_cvt_f32_f64_e32 v9, v[14:15]
	v_cvt_f32_f64_e32 v10, v[10:11]
	;; [unrolled: 1-line block ×4, first 2 shown]
	v_min3_f32 v222, v9, v10, v172
	s_waitcnt lgkmcnt(3)
	v_add_f64 v[10:11], v[70:71], v[6:7]
	v_add_f64 v[14:15], v[68:69], v[4:5]
	v_min3_f32 v176, v96, v97, s24
	ds_read_b128 v[96:99], v154 offset:1040
	v_cvt_f32_f64_e32 v9, v[14:15]
	v_cvt_f32_f64_e32 v10, v[10:11]
	v_min3_f32 v223, v9, v10, v173
	s_waitcnt lgkmcnt(3)
	v_add_f64 v[10:11], v[74:75], v[6:7]
	v_add_f64 v[14:15], v[72:73], v[4:5]
	v_cvt_f32_f64_e32 v9, v[14:15]
	v_cvt_f32_f64_e32 v10, v[10:11]
	v_min3_f32 v220, v9, v10, v174
	s_waitcnt lgkmcnt(2)
	v_add_f64 v[10:11], v[78:79], v[6:7]
	v_add_f64 v[14:15], v[76:77], v[4:5]
	s_waitcnt lgkmcnt(1)
	v_add_f64 v[6:7], v[82:83], v[6:7]
	v_add_f64 v[4:5], v[80:81], v[4:5]
	v_cvt_f32_f64_e32 v92, v[92:93]
	v_cvt_f32_f64_e32 v93, v[94:95]
	;; [unrolled: 1-line block ×4, first 2 shown]
	v_min3_f32 v150, v92, v93, s24
	ds_read_b128 v[92:95], v154 offset:2064
	v_min3_f32 v213, v4, v5, v176
	s_waitcnt lgkmcnt(1)
	v_add_f64 v[4:5], v[2:3], v[98:99]
	v_add_f64 v[6:7], v[0:1], v[96:97]
	v_cvt_f32_f64_e32 v6, v[6:7]
	v_cvt_f32_f64_e32 v4, v[4:5]
	v_min3_f32 v212, v6, v4, v177
	v_add_f64 v[4:5], v[58:59], v[98:99]
	v_add_f64 v[6:7], v[56:57], v[96:97]
	v_cvt_f32_f64_e32 v6, v[6:7]
	v_cvt_f32_f64_e32 v4, v[4:5]
	v_min3_f32 v211, v6, v4, v178
	;; [unrolled: 5-line block ×8, first 2 shown]
	s_waitcnt lgkmcnt(0)
	v_add_f64 v[4:5], v[2:3], v[94:95]
	v_add_f64 v[6:7], v[0:1], v[92:93]
	v_cvt_f32_f64_e32 v6, v[6:7]
	v_cvt_f32_f64_e32 v4, v[4:5]
	v_min3_f32 v204, v6, v4, v163
	v_add_f64 v[4:5], v[58:59], v[94:95]
	v_add_f64 v[6:7], v[56:57], v[92:93]
	v_cvt_f32_f64_e32 v6, v[6:7]
	v_cvt_f32_f64_e32 v4, v[4:5]
	v_min3_f32 v203, v6, v4, v161
	;; [unrolled: 5-line block ×4, first 2 shown]
	v_add_f64 v[4:5], v[70:71], v[94:95]
	v_add_f64 v[6:7], v[68:69], v[92:93]
	v_cvt_f32_f64_e32 v6, v[6:7]
	v_cvt_f32_f64_e32 v4, v[4:5]
	;; [unrolled: 1-line block ×4, first 2 shown]
	v_min3_f32 v200, v6, v4, v149
	v_add_f64 v[4:5], v[74:75], v[94:95]
	v_add_f64 v[6:7], v[72:73], v[92:93]
	v_min3_f32 v142, v88, v89, s24
	ds_read_b128 v[88:91], v154 offset:3088
	v_cvt_f32_f64_e32 v6, v[6:7]
	v_cvt_f32_f64_e32 v4, v[4:5]
	v_min3_f32 v199, v6, v4, v147
	v_add_f64 v[4:5], v[78:79], v[94:95]
	v_add_f64 v[6:7], v[76:77], v[92:93]
	v_cvt_f32_f64_e32 v6, v[6:7]
	v_cvt_f32_f64_e32 v4, v[4:5]
	v_min3_f32 v198, v6, v4, v145
	v_add_f64 v[4:5], v[82:83], v[94:95]
	v_add_f64 v[6:7], v[80:81], v[92:93]
	v_cvt_f32_f64_e32 v84, v[84:85]
	v_cvt_f32_f64_e32 v85, v[86:87]
	;; [unrolled: 1-line block ×4, first 2 shown]
	v_min3_f32 v134, v84, v85, s24
	ds_read_b128 v[84:87], v154 offset:4112
	v_min3_f32 v197, v6, v4, v142
	s_waitcnt lgkmcnt(1)
	v_add_f64 v[4:5], v[2:3], v[90:91]
	v_add_f64 v[6:7], v[0:1], v[88:89]
	v_cvt_f32_f64_e32 v6, v[6:7]
	v_cvt_f32_f64_e32 v4, v[4:5]
	v_min3_f32 v196, v6, v4, v151
	v_add_f64 v[4:5], v[58:59], v[90:91]
	v_add_f64 v[6:7], v[56:57], v[88:89]
	v_cvt_f32_f64_e32 v6, v[6:7]
	v_cvt_f32_f64_e32 v4, v[4:5]
	v_min3_f32 v195, v6, v4, v148
	;; [unrolled: 5-line block ×8, first 2 shown]
	s_waitcnt lgkmcnt(0)
	v_add_f64 v[4:5], v[2:3], v[86:87]
	v_add_f64 v[6:7], v[0:1], v[84:85]
	v_cvt_f32_f64_e32 v6, v[6:7]
	v_cvt_f32_f64_e32 v4, v[4:5]
	v_min3_f32 v188, v6, v4, v143
	v_add_f64 v[4:5], v[58:59], v[86:87]
	v_add_f64 v[6:7], v[56:57], v[84:85]
	v_cvt_f32_f64_e32 v6, v[6:7]
	v_cvt_f32_f64_e32 v4, v[4:5]
	v_min3_f32 v187, v6, v4, v140
	;; [unrolled: 5-line block ×4, first 2 shown]
	v_add_f64 v[4:5], v[70:71], v[86:87]
	v_add_f64 v[6:7], v[68:69], v[84:85]
	v_cvt_f32_f64_e32 v6, v[6:7]
	v_cvt_f32_f64_e32 v4, v[4:5]
	;; [unrolled: 1-line block ×4, first 2 shown]
	v_min3_f32 v184, v6, v4, v133
	v_add_f64 v[4:5], v[74:75], v[86:87]
	v_add_f64 v[6:7], v[72:73], v[84:85]
	v_min3_f32 v126, v52, v53, s24
	ds_read_b128 v[52:55], v154 offset:5136
	v_cvt_f32_f64_e32 v6, v[6:7]
	v_cvt_f32_f64_e32 v4, v[4:5]
	v_min3_f32 v183, v6, v4, v131
	v_add_f64 v[4:5], v[78:79], v[86:87]
	v_add_f64 v[6:7], v[76:77], v[84:85]
	v_cvt_f32_f64_e32 v6, v[6:7]
	v_cvt_f32_f64_e32 v4, v[4:5]
	v_min3_f32 v182, v6, v4, v129
	v_add_f64 v[4:5], v[82:83], v[86:87]
	v_add_f64 v[6:7], v[80:81], v[84:85]
	v_cvt_f32_f64_e32 v48, v[48:49]
	v_cvt_f32_f64_e32 v49, v[50:51]
	;; [unrolled: 1-line block ×4, first 2 shown]
	v_min3_f32 v119, v48, v49, s24
	ds_read_b128 v[48:51], v154 offset:6160
	v_min3_f32 v181, v6, v4, v126
	s_waitcnt lgkmcnt(1)
	v_add_f64 v[4:5], v[2:3], v[54:55]
	v_add_f64 v[6:7], v[0:1], v[52:53]
	v_cvt_f32_f64_e32 v6, v[6:7]
	v_cvt_f32_f64_e32 v4, v[4:5]
	v_min3_f32 v180, v6, v4, v135
	v_add_f64 v[4:5], v[58:59], v[54:55]
	v_add_f64 v[6:7], v[56:57], v[52:53]
	v_cvt_f32_f64_e32 v6, v[6:7]
	v_cvt_f32_f64_e32 v4, v[4:5]
	v_min3_f32 v179, v6, v4, v132
	;; [unrolled: 5-line block ×5, first 2 shown]
	v_add_f64 v[4:5], v[74:75], v[54:55]
	v_add_f64 v[6:7], v[72:73], v[52:53]
	v_cvt_f32_f64_e32 v9, v[14:15]
	v_cvt_f32_f64_e32 v10, v[10:11]
	v_cvt_f32_f64_e32 v6, v[6:7]
	v_cvt_f32_f64_e32 v4, v[4:5]
	v_min3_f32 v221, v9, v10, v175
	v_min3_f32 v175, v6, v4, v123
	v_add_f64 v[4:5], v[78:79], v[54:55]
	v_add_f64 v[6:7], v[76:77], v[52:53]
	v_cvt_f32_f64_e32 v6, v[6:7]
	v_cvt_f32_f64_e32 v4, v[4:5]
	v_min3_f32 v174, v6, v4, v121
	v_add_f64 v[4:5], v[82:83], v[54:55]
	v_add_f64 v[6:7], v[80:81], v[52:53]
	;; [unrolled: 1-line block ×4, first 2 shown]
	v_cvt_f32_f64_e32 v6, v[6:7]
	v_cvt_f32_f64_e32 v4, v[4:5]
	;; [unrolled: 1-line block ×4, first 2 shown]
	v_min3_f32 v173, v6, v4, v119
	s_waitcnt lgkmcnt(0)
	v_add_f64 v[4:5], v[2:3], v[50:51]
	v_add_f64 v[6:7], v[0:1], v[48:49]
	;; [unrolled: 1-line block ×4, first 2 shown]
	v_min3_f32 v40, v40, v41, s24
	v_add_f64 v[34:35], v[34:35], v[38:39]
	v_add_f64 v[32:33], v[32:33], v[36:37]
	v_cvt_f32_f64_e32 v6, v[6:7]
	v_cvt_f32_f64_e32 v4, v[4:5]
	v_cvt_f32_f64_e32 v0, v[0:1]
	v_cvt_f32_f64_e32 v1, v[2:3]
	v_cvt_f32_f64_e32 v32, v[32:33]
	v_cvt_f32_f64_e32 v33, v[34:35]
	v_min3_f32 v172, v6, v4, v127
	v_add_f64 v[4:5], v[58:59], v[50:51]
	v_add_f64 v[6:7], v[56:57], v[48:49]
	v_min3_f32 v164, v0, v1, v40
	v_add_f64 v[0:1], v[58:59], v[46:47]
	v_add_f64 v[2:3], v[56:57], v[44:45]
	v_min3_f32 v32, v32, v33, s24
	v_add_f64 v[30:31], v[30:31], v[38:39]
	v_add_f64 v[28:29], v[28:29], v[36:37]
	v_cvt_f32_f64_e32 v6, v[6:7]
	v_cvt_f32_f64_e32 v4, v[4:5]
	v_cvt_f32_f64_e32 v2, v[2:3]
	v_cvt_f32_f64_e32 v0, v[0:1]
	v_cvt_f32_f64_e32 v28, v[28:29]
	v_cvt_f32_f64_e32 v29, v[30:31]
	v_min3_f32 v171, v6, v4, v124
	v_add_f64 v[4:5], v[62:63], v[50:51]
	v_add_f64 v[6:7], v[60:61], v[48:49]
	v_min3_f32 v163, v2, v0, v32
	v_add_f64 v[0:1], v[62:63], v[46:47]
	v_add_f64 v[2:3], v[60:61], v[44:45]
	;; [unrolled: 15-line block ×5, first 2 shown]
	v_min3_f32 v16, v16, v17, s24
	v_cvt_f32_f64_e32 v6, v[6:7]
	v_cvt_f32_f64_e32 v4, v[4:5]
	;; [unrolled: 1-line block ×4, first 2 shown]
	v_min3_f32 v167, v6, v4, v117
	v_add_f64 v[4:5], v[78:79], v[50:51]
	v_add_f64 v[6:7], v[76:77], v[48:49]
	v_min3_f32 v158, v2, v0, v16
	v_add_f64 v[0:1], v[78:79], v[46:47]
	v_add_f64 v[2:3], v[76:77], v[44:45]
	v_min3_f32 v12, v12, v13, s24
	v_cvt_f32_f64_e32 v6, v[6:7]
	v_cvt_f32_f64_e32 v4, v[4:5]
	;; [unrolled: 1-line block ×4, first 2 shown]
	v_min3_f32 v166, v6, v4, v116
	v_add_f64 v[4:5], v[82:83], v[50:51]
	v_add_f64 v[6:7], v[80:81], v[48:49]
	v_min3_f32 v157, v2, v0, v12
	v_add_f64 v[0:1], v[82:83], v[46:47]
	v_add_f64 v[2:3], v[80:81], v[44:45]
	v_cvt_f32_f64_e32 v6, v[6:7]
	v_cvt_f32_f64_e32 v4, v[4:5]
	;; [unrolled: 1-line block ×4, first 2 shown]
	v_min3_f32 v165, v6, v4, v115
	v_min3_f32 v156, v2, v0, v8
	s_cmp_lt_i32 s29, 9
	ds_write_b64 v113, v[100:101] offset:18432
	ds_write2st64_b64 v159, v[104:105], v[102:103] offset0:16 offset1:20
	ds_write2st64_b64 v159, v[106:107], v[108:109] offset0:24 offset1:28
	s_waitcnt lgkmcnt(0)
	s_barrier
	s_cbranch_scc1 .LBB123_45
; %bb.23:
	v_mov_b32_e32 v0, 0x4800
	v_lshl_add_u32 v218, v152, 5, v0
	v_mov_b32_e32 v0, 0x2000
	v_lshl_add_u32 v219, v153, 5, v0
	v_lshl_add_u32 v0, s2, 6, v110
	s_lshl_b32 s2, s28, 6
	v_subrev_u32_e32 v0, s2, v0
	v_and_b32_e32 v2, 3, v152
	v_mad_i64_i32 v[0:1], s[2:3], s3, v0, 0
	v_lshlrev_b32_e32 v2, 3, v2
	v_mov_b32_e32 v3, 0
	v_lshl_add_u64 v[0:1], v[0:1], 3, v[2:3]
	v_lshl_add_u64 v[0:1], s[22:23], 0, v[0:1]
	;; [unrolled: 1-line block ×3, first 2 shown]
	v_add_u32_e32 v0, 8, v111
	v_mad_i64_i32 v[0:1], s[2:3], v0, s14, 0
	v_lshlrev_b64 v[138:139], 3, v[0:1]
	v_add_u32_e32 v0, s27, v112
	v_ashrrev_i32_e32 v1, 31, v0
	v_lshl_add_u64 v[140:141], v[0:1], 3, s[20:21]
	v_add_u32_e32 v0, 12, v111
	s_lshl_b64 s[2:3], s[14:15], 6
	v_mad_i64_i32 v[0:1], s[14:15], v0, s14, 0
	v_add_u32_e32 v214, 0x4000, v113
	v_add_u32_e32 v215, 0x4000, v155
	;; [unrolled: 1-line block ×3, first 2 shown]
	v_or_b32_e32 v217, 0x2000, v159
	s_add_i32 s24, s29, -8
	v_lshlrev_b64 v[142:143], 3, v[0:1]
	s_mov_b32 s20, 0
	s_mov_b32 s21, 0
	s_branch .LBB123_25
.LBB123_24:                             ;   in Loop: Header=BB123_25 Depth=1
	v_add_f64 v[2:3], v[106:107], v[134:135]
	v_add_f64 v[4:5], v[104:105], v[132:133]
	v_cvt_f32_f64_e32 v4, v[4:5]
	v_cvt_f32_f64_e32 v2, v[2:3]
	v_min3_f32 v6, v4, v2, v226
	v_add_f64 v[2:3], v[102:103], v[134:135]
	v_add_f64 v[4:5], v[100:101], v[132:133]
	v_cvt_f32_f64_e32 v4, v[4:5]
	v_cvt_f32_f64_e32 v2, v[2:3]
	v_min3_f32 v7, v4, v2, v224
	;; [unrolled: 5-line block ×128, first 2 shown]
	ds_read_b128 v[38:41], v215 offset:256
	ds_read_b128 v[34:37], v215 offset:512
	;; [unrolled: 1-line block ×12, first 2 shown]
	ds_read_b128 v[98:101], v154
	ds_read_b128 v[50:53], v215
	ds_read_b128 v[74:77], v154 offset:6144
	ds_read_b128 v[26:29], v154 offset:7168
	;; [unrolled: 1-line block ×4, first 2 shown]
	s_waitcnt lgkmcnt(5)
	v_add_f64 v[46:47], v[40:41], v[100:101]
	v_add_f64 v[48:49], v[38:39], v[98:99]
	;; [unrolled: 1-line block ×4, first 2 shown]
	v_cvt_f32_f64_e32 v48, v[48:49]
	v_cvt_f32_f64_e32 v46, v[46:47]
	;; [unrolled: 1-line block ×4, first 2 shown]
	v_min3_f32 v185, v48, v46, v72
	v_min3_f32 v186, v56, v54, v73
	v_add_f64 v[58:59], v[32:33], v[100:101]
	v_add_f64 v[60:61], v[30:31], v[98:99]
	;; [unrolled: 1-line block ×8, first 2 shown]
	v_cvt_f32_f64_e32 v60, v[60:61]
	v_cvt_f32_f64_e32 v58, v[58:59]
	;; [unrolled: 1-line block ×8, first 2 shown]
	v_min3_f32 v187, v60, v58, v102
	v_min3_f32 v188, v64, v62, v103
	;; [unrolled: 1-line block ×4, first 2 shown]
	s_waitcnt lgkmcnt(4)
	v_add_f64 v[102:103], v[52:53], v[96:97]
	v_add_f64 v[104:105], v[50:51], v[94:95]
	v_cvt_f32_f64_e32 v104, v[104:105]
	v_cvt_f32_f64_e32 v102, v[102:103]
	v_min3_f32 v107, v104, v102, v107
	v_add_f64 v[102:103], v[40:41], v[96:97]
	v_add_f64 v[104:105], v[38:39], v[94:95]
	v_cvt_f32_f64_e32 v104, v[104:105]
	v_cvt_f32_f64_e32 v102, v[102:103]
	v_min3_f32 v108, v104, v102, v108
	;; [unrolled: 5-line block ×35, first 2 shown]
	s_waitcnt lgkmcnt(3)
	v_add_f64 v[102:103], v[52:53], v[76:77]
	v_add_f64 v[104:105], v[50:51], v[74:75]
	v_cvt_f32_f64_e32 v104, v[104:105]
	v_cvt_f32_f64_e32 v102, v[102:103]
	v_min3_f32 v168, v104, v102, v168
	v_add_f64 v[102:103], v[40:41], v[76:77]
	v_add_f64 v[104:105], v[38:39], v[74:75]
	v_cvt_f32_f64_e32 v104, v[104:105]
	v_cvt_f32_f64_e32 v102, v[102:103]
	v_min3_f32 v169, v104, v102, v169
	;; [unrolled: 5-line block ×4, first 2 shown]
	v_add_f64 v[102:103], v[24:25], v[76:77]
	v_add_f64 v[104:105], v[22:23], v[74:75]
	;; [unrolled: 1-line block ×4, first 2 shown]
	v_cvt_f32_f64_e32 v104, v[104:105]
	v_cvt_f32_f64_e32 v102, v[102:103]
	;; [unrolled: 1-line block ×4, first 2 shown]
	v_min3_f32 v228, v104, v102, v172
	v_add_f64 v[102:103], v[20:21], v[76:77]
	v_add_f64 v[104:105], v[18:19], v[74:75]
	v_min3_f32 v184, v44, v42, v204
	ds_read_b128 v[42:45], v215 offset:272
	v_cvt_f32_f64_e32 v104, v[104:105]
	v_cvt_f32_f64_e32 v102, v[102:103]
	v_add_f64 v[100:101], v[12:13], v[100:101]
	v_add_f64 v[98:99], v[10:11], v[98:99]
	;; [unrolled: 1-line block ×12, first 2 shown]
	v_min3_f32 v229, v104, v102, v173
	v_add_f64 v[102:103], v[16:17], v[76:77]
	v_add_f64 v[104:105], v[14:15], v[74:75]
	;; [unrolled: 1-line block ×4, first 2 shown]
	s_waitcnt lgkmcnt(3)
	v_add_f64 v[16:17], v[16:17], v[28:29]
	v_add_f64 v[14:15], v[14:15], v[26:27]
	;; [unrolled: 1-line block ×4, first 2 shown]
	ds_read_b128 v[46:49], v215 offset:528
	ds_read_b128 v[54:57], v215 offset:784
	v_cvt_f32_f64_e32 v14, v[14:15]
	v_cvt_f32_f64_e32 v15, v[16:17]
	v_cvt_f32_f64_e32 v10, v[10:11]
	v_cvt_f32_f64_e32 v11, v[12:13]
	v_min3_f32 v14, v14, v15, v182
	v_min3_f32 v15, v10, v11, v183
	s_waitcnt lgkmcnt(3)
	v_add_f64 v[10:11], v[4:5], v[8:9]
	v_add_f64 v[12:13], v[2:3], v[6:7]
	v_cvt_f32_f64_e32 v74, v[74:75]
	v_cvt_f32_f64_e32 v75, v[76:77]
	;; [unrolled: 1-line block ×5, first 2 shown]
	v_min3_f32 v103, v74, v75, v175
	ds_read_b128 v[74:77], v154 offset:7184
	v_min3_f32 v226, v12, v10, v184
	s_waitcnt lgkmcnt(3)
	v_add_f64 v[10:11], v[44:45], v[8:9]
	v_add_f64 v[12:13], v[42:43], v[6:7]
	ds_read_b128 v[58:61], v215 offset:1040
	ds_read_b128 v[62:65], v215 offset:1296
	v_cvt_f32_f64_e32 v12, v[12:13]
	v_cvt_f32_f64_e32 v10, v[10:11]
	v_min3_f32 v224, v12, v10, v185
	s_waitcnt lgkmcnt(4)
	v_add_f64 v[10:11], v[48:49], v[8:9]
	v_add_f64 v[12:13], v[46:47], v[6:7]
	v_cvt_f32_f64_e32 v12, v[12:13]
	v_cvt_f32_f64_e32 v10, v[10:11]
	v_min3_f32 v225, v12, v10, v186
	s_waitcnt lgkmcnt(3)
	v_add_f64 v[10:11], v[56:57], v[8:9]
	v_add_f64 v[12:13], v[54:55], v[6:7]
	ds_read_b128 v[66:69], v215 offset:1552
	ds_read_b128 v[70:73], v215 offset:1808
	v_cvt_f32_f64_e32 v12, v[12:13]
	v_cvt_f32_f64_e32 v10, v[10:11]
	;; [unrolled: 1-line block ×4, first 2 shown]
	v_min3_f32 v222, v12, v10, v187
	s_waitcnt lgkmcnt(3)
	v_add_f64 v[10:11], v[60:61], v[8:9]
	v_add_f64 v[12:13], v[58:59], v[6:7]
	v_min3_f32 v106, v98, v99, v106
	ds_read_b128 v[98:101], v154 offset:1040
	v_cvt_f32_f64_e32 v12, v[12:13]
	v_cvt_f32_f64_e32 v10, v[10:11]
	v_min3_f32 v223, v12, v10, v188
	s_waitcnt lgkmcnt(3)
	v_add_f64 v[10:11], v[64:65], v[8:9]
	v_add_f64 v[12:13], v[62:63], v[6:7]
	v_cvt_f32_f64_e32 v12, v[12:13]
	v_cvt_f32_f64_e32 v10, v[10:11]
	v_min3_f32 v220, v12, v10, v189
	s_waitcnt lgkmcnt(2)
	v_add_f64 v[10:11], v[68:69], v[8:9]
	v_add_f64 v[12:13], v[66:67], v[6:7]
	s_waitcnt lgkmcnt(1)
	v_add_f64 v[8:9], v[72:73], v[8:9]
	v_add_f64 v[6:7], v[70:71], v[6:7]
	v_cvt_f32_f64_e32 v94, v[94:95]
	v_cvt_f32_f64_e32 v95, v[96:97]
	;; [unrolled: 1-line block ×4, first 2 shown]
	v_min3_f32 v114, v94, v95, v114
	ds_read_b128 v[94:97], v154 offset:2064
	v_min3_f32 v213, v6, v7, v106
	s_waitcnt lgkmcnt(1)
	v_add_f64 v[6:7], v[4:5], v[100:101]
	v_add_f64 v[8:9], v[2:3], v[98:99]
	v_cvt_f32_f64_e32 v8, v[8:9]
	v_cvt_f32_f64_e32 v6, v[6:7]
	v_min3_f32 v212, v8, v6, v107
	v_add_f64 v[6:7], v[44:45], v[100:101]
	v_add_f64 v[8:9], v[42:43], v[98:99]
	v_cvt_f32_f64_e32 v8, v[8:9]
	v_cvt_f32_f64_e32 v6, v[6:7]
	v_min3_f32 v211, v8, v6, v108
	;; [unrolled: 5-line block ×8, first 2 shown]
	s_waitcnt lgkmcnt(0)
	v_add_f64 v[6:7], v[4:5], v[96:97]
	v_add_f64 v[8:9], v[2:3], v[94:95]
	v_cvt_f32_f64_e32 v8, v[8:9]
	v_cvt_f32_f64_e32 v6, v[6:7]
	v_min3_f32 v204, v8, v6, v115
	v_add_f64 v[6:7], v[44:45], v[96:97]
	v_add_f64 v[8:9], v[42:43], v[94:95]
	v_cvt_f32_f64_e32 v8, v[8:9]
	v_cvt_f32_f64_e32 v6, v[6:7]
	v_min3_f32 v203, v8, v6, v116
	;; [unrolled: 5-line block ×4, first 2 shown]
	v_add_f64 v[6:7], v[60:61], v[96:97]
	v_add_f64 v[8:9], v[58:59], v[94:95]
	v_cvt_f32_f64_e32 v8, v[8:9]
	v_cvt_f32_f64_e32 v6, v[6:7]
	;; [unrolled: 1-line block ×4, first 2 shown]
	v_min3_f32 v200, v8, v6, v119
	v_add_f64 v[6:7], v[64:65], v[96:97]
	v_add_f64 v[8:9], v[62:63], v[94:95]
	v_min3_f32 v122, v90, v91, v122
	ds_read_b128 v[90:93], v154 offset:3088
	v_cvt_f32_f64_e32 v8, v[8:9]
	v_cvt_f32_f64_e32 v6, v[6:7]
	v_min3_f32 v199, v8, v6, v120
	v_add_f64 v[6:7], v[68:69], v[96:97]
	v_add_f64 v[8:9], v[66:67], v[94:95]
	v_cvt_f32_f64_e32 v8, v[8:9]
	v_cvt_f32_f64_e32 v6, v[6:7]
	v_min3_f32 v198, v8, v6, v121
	v_add_f64 v[6:7], v[72:73], v[96:97]
	v_add_f64 v[8:9], v[70:71], v[94:95]
	v_cvt_f32_f64_e32 v86, v[86:87]
	v_cvt_f32_f64_e32 v87, v[88:89]
	;; [unrolled: 1-line block ×4, first 2 shown]
	v_min3_f32 v130, v86, v87, v130
	ds_read_b128 v[86:89], v154 offset:4112
	v_min3_f32 v197, v8, v6, v122
	s_waitcnt lgkmcnt(1)
	v_add_f64 v[6:7], v[4:5], v[92:93]
	v_add_f64 v[8:9], v[2:3], v[90:91]
	v_cvt_f32_f64_e32 v8, v[8:9]
	v_cvt_f32_f64_e32 v6, v[6:7]
	v_min3_f32 v196, v8, v6, v123
	v_add_f64 v[6:7], v[44:45], v[92:93]
	v_add_f64 v[8:9], v[42:43], v[90:91]
	v_cvt_f32_f64_e32 v8, v[8:9]
	v_cvt_f32_f64_e32 v6, v[6:7]
	v_min3_f32 v195, v8, v6, v124
	v_add_f64 v[6:7], v[48:49], v[92:93]
	v_add_f64 v[8:9], v[46:47], v[90:91]
	v_cvt_f32_f64_e32 v8, v[8:9]
	v_cvt_f32_f64_e32 v6, v[6:7]
	v_min3_f32 v194, v8, v6, v125
	v_add_f64 v[6:7], v[56:57], v[92:93]
	v_add_f64 v[8:9], v[54:55], v[90:91]
	v_cvt_f32_f64_e32 v8, v[8:9]
	v_cvt_f32_f64_e32 v6, v[6:7]
	v_min3_f32 v193, v8, v6, v126
	v_add_f64 v[6:7], v[60:61], v[92:93]
	v_add_f64 v[8:9], v[58:59], v[90:91]
	v_cvt_f32_f64_e32 v8, v[8:9]
	v_cvt_f32_f64_e32 v6, v[6:7]
	v_min3_f32 v192, v8, v6, v127
	v_add_f64 v[6:7], v[64:65], v[92:93]
	v_add_f64 v[8:9], v[62:63], v[90:91]
	v_cvt_f32_f64_e32 v8, v[8:9]
	v_cvt_f32_f64_e32 v6, v[6:7]
	v_min3_f32 v191, v8, v6, v128
	v_add_f64 v[6:7], v[68:69], v[92:93]
	v_add_f64 v[8:9], v[66:67], v[90:91]
	v_cvt_f32_f64_e32 v12, v[12:13]
	v_cvt_f32_f64_e32 v10, v[10:11]
	v_cvt_f32_f64_e32 v8, v[8:9]
	v_cvt_f32_f64_e32 v6, v[6:7]
	v_min3_f32 v221, v12, v10, v190
	v_min3_f32 v190, v8, v6, v129
	v_add_f64 v[6:7], v[72:73], v[92:93]
	v_add_f64 v[8:9], v[70:71], v[90:91]
	v_cvt_f32_f64_e32 v8, v[8:9]
	v_cvt_f32_f64_e32 v6, v[6:7]
	v_min3_f32 v189, v8, v6, v130
	s_waitcnt lgkmcnt(0)
	v_add_f64 v[6:7], v[4:5], v[88:89]
	v_add_f64 v[8:9], v[2:3], v[86:87]
	v_cvt_f32_f64_e32 v8, v[8:9]
	v_cvt_f32_f64_e32 v6, v[6:7]
	v_min3_f32 v188, v8, v6, v131
	v_add_f64 v[6:7], v[44:45], v[88:89]
	v_add_f64 v[8:9], v[42:43], v[86:87]
	v_cvt_f32_f64_e32 v8, v[8:9]
	v_cvt_f32_f64_e32 v6, v[6:7]
	v_min3_f32 v187, v8, v6, v132
	;; [unrolled: 5-line block ×4, first 2 shown]
	v_add_f64 v[6:7], v[60:61], v[88:89]
	v_add_f64 v[8:9], v[58:59], v[86:87]
	v_cvt_f32_f64_e32 v8, v[8:9]
	v_cvt_f32_f64_e32 v6, v[6:7]
	;; [unrolled: 1-line block ×4, first 2 shown]
	v_min3_f32 v184, v8, v6, v135
	v_add_f64 v[6:7], v[64:65], v[88:89]
	v_add_f64 v[8:9], v[62:63], v[86:87]
	v_min3_f32 v158, v82, v83, v158
	ds_read_b128 v[82:85], v154 offset:5136
	v_cvt_f32_f64_e32 v8, v[8:9]
	v_cvt_f32_f64_e32 v6, v[6:7]
	v_min3_f32 v183, v8, v6, v156
	v_add_f64 v[6:7], v[68:69], v[88:89]
	v_add_f64 v[8:9], v[66:67], v[86:87]
	v_cvt_f32_f64_e32 v8, v[8:9]
	v_cvt_f32_f64_e32 v6, v[6:7]
	v_add_f64 v[20:21], v[20:21], v[28:29]
	v_add_f64 v[18:19], v[18:19], v[26:27]
	v_min3_f32 v182, v8, v6, v157
	v_add_f64 v[6:7], v[72:73], v[88:89]
	v_add_f64 v[8:9], v[70:71], v[86:87]
	v_cvt_f32_f64_e32 v78, v[78:79]
	v_cvt_f32_f64_e32 v79, v[80:81]
	;; [unrolled: 1-line block ×6, first 2 shown]
	v_min3_f32 v167, v78, v79, v167
	ds_read_b128 v[78:81], v154 offset:6160
	v_add_f64 v[24:25], v[24:25], v[28:29]
	v_add_f64 v[22:23], v[22:23], v[26:27]
	v_min3_f32 v18, v18, v19, v181
	v_min3_f32 v181, v8, v6, v158
	s_waitcnt lgkmcnt(1)
	v_add_f64 v[6:7], v[4:5], v[84:85]
	v_add_f64 v[8:9], v[2:3], v[82:83]
	v_cvt_f32_f64_e32 v22, v[22:23]
	v_cvt_f32_f64_e32 v23, v[24:25]
	v_cvt_f32_f64_e32 v8, v[8:9]
	v_cvt_f32_f64_e32 v6, v[6:7]
	v_add_f64 v[32:33], v[32:33], v[28:29]
	v_add_f64 v[30:31], v[30:31], v[26:27]
	v_min3_f32 v22, v22, v23, v180
	v_min3_f32 v180, v8, v6, v160
	v_add_f64 v[6:7], v[44:45], v[84:85]
	v_add_f64 v[8:9], v[42:43], v[82:83]
	v_cvt_f32_f64_e32 v30, v[30:31]
	v_cvt_f32_f64_e32 v31, v[32:33]
	v_cvt_f32_f64_e32 v8, v[8:9]
	v_cvt_f32_f64_e32 v6, v[6:7]
	v_add_f64 v[36:37], v[36:37], v[28:29]
	v_add_f64 v[34:35], v[34:35], v[26:27]
	v_min3_f32 v30, v30, v31, v179
	v_min3_f32 v179, v8, v6, v161
	;; [unrolled: 10-line block ×4, first 2 shown]
	v_add_f64 v[6:7], v[60:61], v[84:85]
	v_add_f64 v[8:9], v[58:59], v[82:83]
	v_cvt_f32_f64_e32 v50, v[50:51]
	v_cvt_f32_f64_e32 v51, v[52:53]
	;; [unrolled: 1-line block ×4, first 2 shown]
	v_min3_f32 v50, v50, v51, v176
	v_min3_f32 v176, v8, v6, v164
	v_add_f64 v[6:7], v[64:65], v[84:85]
	v_add_f64 v[8:9], v[62:63], v[82:83]
	v_cvt_f32_f64_e32 v8, v[8:9]
	v_cvt_f32_f64_e32 v6, v[6:7]
	v_min3_f32 v175, v8, v6, v165
	v_add_f64 v[6:7], v[68:69], v[84:85]
	v_add_f64 v[8:9], v[66:67], v[82:83]
	v_cvt_f32_f64_e32 v104, v[104:105]
	v_cvt_f32_f64_e32 v8, v[8:9]
	;; [unrolled: 1-line block ×3, first 2 shown]
	v_min3_f32 v102, v104, v102, v174
	v_min3_f32 v174, v8, v6, v166
	v_add_f64 v[6:7], v[72:73], v[84:85]
	v_add_f64 v[8:9], v[70:71], v[82:83]
	v_cvt_f32_f64_e32 v8, v[8:9]
	v_cvt_f32_f64_e32 v6, v[6:7]
	v_min3_f32 v173, v8, v6, v167
	s_waitcnt lgkmcnt(0)
	v_add_f64 v[6:7], v[4:5], v[80:81]
	v_add_f64 v[8:9], v[2:3], v[78:79]
	v_add_f64 v[4:5], v[4:5], v[76:77]
	v_add_f64 v[2:3], v[2:3], v[74:75]
	v_cvt_f32_f64_e32 v8, v[8:9]
	v_cvt_f32_f64_e32 v6, v[6:7]
	v_cvt_f32_f64_e32 v2, v[2:3]
	v_cvt_f32_f64_e32 v3, v[4:5]
	v_min3_f32 v172, v8, v6, v168
	v_add_f64 v[6:7], v[44:45], v[80:81]
	v_add_f64 v[8:9], v[42:43], v[78:79]
	v_min3_f32 v164, v2, v3, v50
	v_add_f64 v[2:3], v[44:45], v[76:77]
	v_add_f64 v[4:5], v[42:43], v[74:75]
	v_cvt_f32_f64_e32 v8, v[8:9]
	v_cvt_f32_f64_e32 v6, v[6:7]
	v_cvt_f32_f64_e32 v4, v[4:5]
	v_cvt_f32_f64_e32 v2, v[2:3]
	v_min3_f32 v171, v8, v6, v169
	v_add_f64 v[6:7], v[48:49], v[80:81]
	v_add_f64 v[8:9], v[46:47], v[78:79]
	v_min3_f32 v163, v4, v2, v38
	v_add_f64 v[2:3], v[48:49], v[76:77]
	v_add_f64 v[4:5], v[46:47], v[74:75]
	;; [unrolled: 10-line block ×7, first 2 shown]
	v_cvt_f32_f64_e32 v8, v[8:9]
	v_cvt_f32_f64_e32 v6, v[6:7]
	;; [unrolled: 1-line block ×4, first 2 shown]
	s_add_i32 s21, s21, 8
	v_min3_f32 v165, v8, v6, v103
	v_min3_f32 v156, v4, v2, v15
	v_lshl_add_u64 v[136:137], v[136:137], 0, 64
	s_cmp_ge_i32 s21, s24
	v_lshl_add_u64 v[140:141], v[140:141], 0, s[2:3]
	ds_write_b64 v216, v[144:145]
	ds_write2st64_b64 v217, v[0:1], v[146:147] offset1:4
	ds_write2st64_b64 v217, v[148:149], v[150:151] offset0:8 offset1:12
	s_waitcnt lgkmcnt(0)
	s_barrier
	s_cbranch_scc1 .LBB123_45
.LBB123_25:                             ; =>This Inner Loop Header: Depth=1
	s_and_b64 vcc, exec, s[6:7]
	s_cbranch_vccnz .LBB123_44
; %bb.26:                               ;   in Loop: Header=BB123_25 Depth=1
	flat_load_dwordx2 v[0:1], v[136:137]
	s_waitcnt vmcnt(0) lgkmcnt(0)
	v_mul_f64 v[146:147], s[18:19], v[0:1]
	s_mov_b64 s[14:15], -1
	s_mov_b64 vcc, s[4:5]
                                        ; implicit-def: $vgpr0_vgpr1_vgpr2_vgpr3_vgpr4_vgpr5_vgpr6_vgpr7
	s_cbranch_vccz .LBB123_28
.LBB123_27:                             ;   in Loop: Header=BB123_25 Depth=1
	v_mov_b32_e32 v0, s20
	v_mov_b32_e32 v1, s20
	s_mov_b64 s[14:15], 0
.LBB123_28:                             ;   in Loop: Header=BB123_25 Depth=1
	v_mov_b64_e32 v[2:3], 0
	s_andn2_b64 vcc, exec, s[14:15]
	v_lshl_add_u64 v[8:9], v[140:141], 0, v[138:139]
	s_cbranch_vccz .LBB123_38
; %bb.29:                               ;   in Loop: Header=BB123_25 Depth=1
	s_mov_b64 s[14:15], -1
	s_mov_b64 vcc, s[4:5]
                                        ; implicit-def: $vgpr4_vgpr5
	s_cbranch_vccnz .LBB123_39
.LBB123_30:                             ;   in Loop: Header=BB123_25 Depth=1
	v_mov_b64_e32 v[144:145], 0
	s_andn2_b64 vcc, exec, s[14:15]
	v_mov_b64_e32 v[6:7], 0
	s_cbranch_vccnz .LBB123_32
.LBB123_31:                             ;   in Loop: Header=BB123_25 Depth=1
	flat_load_dwordx2 v[4:5], v[8:9] offset:1024
	flat_load_dwordx2 v[6:7], v[8:9] offset:1536
	s_waitcnt vmcnt(0) lgkmcnt(0)
	v_mul_f64 v[4:5], s[18:19], v[4:5]
	v_mul_f64 v[6:7], s[18:19], v[6:7]
.LBB123_32:                             ;   in Loop: Header=BB123_25 Depth=1
	ds_read_b128 v[132:135], v219
	ds_read_b128 v[68:71], v219 offset:16
	ds_read_b128 v[104:107], v218
	ds_read_b128 v[40:43], v218 offset:16
	ds_read_b128 v[100:103], v218 offset:256
	ds_read_b128 v[36:39], v218 offset:272
	ds_read_b128 v[96:99], v218 offset:512
	ds_read_b128 v[32:35], v218 offset:528
	ds_read_b128 v[88:91], v218 offset:768
	ds_read_b128 v[24:27], v218 offset:784
	ds_read_b128 v[84:87], v218 offset:1024
	ds_read_b128 v[20:23], v218 offset:1040
	ds_read_b128 v[80:83], v218 offset:1280
	ds_read_b128 v[16:19], v218 offset:1296
	ds_read_b128 v[76:79], v218 offset:1536
	ds_read_b128 v[12:15], v218 offset:1552
	ds_read_b128 v[72:75], v218 offset:1792
	ds_read_b128 v[8:11], v218 offset:1808
	ds_read_b128 v[128:131], v219 offset:1024
	ds_read_b128 v[64:67], v219 offset:1040
	ds_read_b128 v[124:127], v219 offset:2048
	ds_read_b128 v[60:63], v219 offset:2064
	ds_read_b128 v[120:123], v219 offset:3072
	ds_read_b128 v[56:59], v219 offset:3088
	ds_read_b128 v[116:119], v219 offset:4096
	ds_read_b128 v[52:55], v219 offset:4112
	ds_read_b128 v[112:115], v219 offset:5120
	ds_read_b128 v[48:51], v219 offset:5136
	ds_read_b128 v[108:111], v219 offset:6144
	ds_read_b128 v[44:47], v219 offset:6160
	ds_read_b128 v[92:95], v219 offset:7168
	ds_read_b128 v[28:31], v219 offset:7184
	s_and_b64 vcc, exec, s[6:7]
	ds_write_b64 v214, v[146:147]
	ds_write2st64_b64 v159, v[0:1], v[2:3] offset1:4
	ds_write2st64_b64 v159, v[4:5], v[6:7] offset0:8 offset1:12
	s_waitcnt lgkmcnt(0)
	s_barrier
	s_cbranch_vccnz .LBB123_34
; %bb.33:                               ;   in Loop: Header=BB123_25 Depth=1
	flat_load_dwordx2 v[0:1], v[136:137] offset:32
	s_waitcnt vmcnt(0) lgkmcnt(0)
	v_mul_f64 v[144:145], s[18:19], v[0:1]
.LBB123_34:                             ;   in Loop: Header=BB123_25 Depth=1
	s_mov_b64 s[14:15], -1
	s_mov_b64 vcc, s[4:5]
                                        ; implicit-def: $vgpr0_vgpr1_vgpr2_vgpr3_vgpr4_vgpr5_vgpr6_vgpr7
	s_cbranch_vccnz .LBB123_40
; %bb.35:                               ;   in Loop: Header=BB123_25 Depth=1
	v_mov_b64_e32 v[146:147], 0
	s_andn2_b64 vcc, exec, s[14:15]
	v_lshl_add_u64 v[2:3], v[140:141], 0, v[142:143]
	s_cbranch_vccz .LBB123_41
.LBB123_36:                             ;   in Loop: Header=BB123_25 Depth=1
	s_mov_b64 s[14:15], -1
	s_mov_b64 vcc, s[4:5]
                                        ; implicit-def: $vgpr148_vgpr149
	s_cbranch_vccnz .LBB123_42
.LBB123_37:                             ;   in Loop: Header=BB123_25 Depth=1
	s_andn2_b64 vcc, exec, s[14:15]
	v_mov_b64_e32 v[150:151], 0
	s_cbranch_vccnz .LBB123_24
	s_branch .LBB123_43
.LBB123_38:                             ;   in Loop: Header=BB123_25 Depth=1
	flat_load_dwordx2 v[0:1], v[8:9]
	flat_load_dwordx2 v[2:3], v[8:9] offset:512
	s_waitcnt vmcnt(0) lgkmcnt(0)
	v_mul_f64 v[0:1], s[18:19], v[0:1]
	v_mul_f64 v[2:3], s[18:19], v[2:3]
	s_mov_b64 s[14:15], -1
	s_mov_b64 vcc, s[4:5]
                                        ; implicit-def: $vgpr4_vgpr5
	s_cbranch_vccz .LBB123_30
.LBB123_39:                             ;   in Loop: Header=BB123_25 Depth=1
	v_mov_b32_e32 v4, s20
	v_mov_b32_e32 v5, s20
	v_mov_b64_e32 v[144:145], 0
	v_mov_b64_e32 v[6:7], 0
	s_cbranch_execz .LBB123_31
	s_branch .LBB123_32
.LBB123_40:                             ;   in Loop: Header=BB123_25 Depth=1
	v_mov_b32_e32 v0, s20
	v_mov_b32_e32 v1, s20
	v_mov_b64_e32 v[146:147], 0
	v_lshl_add_u64 v[2:3], v[140:141], 0, v[142:143]
	s_cbranch_execnz .LBB123_36
.LBB123_41:                             ;   in Loop: Header=BB123_25 Depth=1
	flat_load_dwordx2 v[0:1], v[2:3]
	flat_load_dwordx2 v[4:5], v[2:3] offset:512
	s_waitcnt vmcnt(0) lgkmcnt(0)
	v_mul_f64 v[0:1], s[18:19], v[0:1]
	v_mul_f64 v[146:147], s[18:19], v[4:5]
	s_mov_b64 s[14:15], -1
	s_mov_b64 vcc, s[4:5]
                                        ; implicit-def: $vgpr148_vgpr149
	s_cbranch_vccz .LBB123_37
.LBB123_42:                             ;   in Loop: Header=BB123_25 Depth=1
	v_mov_b32_e32 v148, s20
	v_mov_b32_e32 v149, s20
	v_mov_b64_e32 v[150:151], 0
	s_cbranch_execnz .LBB123_24
.LBB123_43:                             ;   in Loop: Header=BB123_25 Depth=1
	flat_load_dwordx2 v[4:5], v[2:3] offset:1024
	s_nop 0
	flat_load_dwordx2 v[2:3], v[2:3] offset:1536
	s_waitcnt vmcnt(0) lgkmcnt(0)
	v_mul_f64 v[148:149], s[18:19], v[4:5]
	v_mul_f64 v[150:151], s[18:19], v[2:3]
	s_branch .LBB123_24
.LBB123_44:                             ;   in Loop: Header=BB123_25 Depth=1
	v_mov_b64_e32 v[146:147], 0
	s_mov_b64 s[14:15], -1
	s_mov_b64 vcc, s[4:5]
                                        ; implicit-def: $vgpr0_vgpr1_vgpr2_vgpr3_vgpr4_vgpr5_vgpr6_vgpr7
	s_cbranch_vccnz .LBB123_27
	s_branch .LBB123_28
.LBB123_45:
	s_load_dwordx2 s[2:3], s[0:1], 0x78
	s_load_dword s4, s[0:1], 0x58
	s_load_dword s5, s[0:1], 0x70
	ds_read_b128 v[68:71], v155 offset:18432
	ds_read_b128 v[124:127], v154 offset:8192
	ds_read_b128 v[64:67], v155 offset:18448
	ds_read_b128 v[120:123], v154 offset:8208
	s_waitcnt lgkmcnt(0)
	s_lshl_b64 s[0:1], s[2:3], 3
	s_add_u32 s0, s12, s0
	v_add_u32_e32 v159, s27, v153
	v_add_f64 v[0:1], v[70:71], v[126:127]
	v_add_f64 v[2:3], v[68:69], v[124:125]
	v_cvt_f32_f64_e32 v2, v[2:3]
	v_cvt_f32_f64_e32 v0, v[0:1]
	v_min3_f32 v132, v2, v0, v226
	ds_read_b128 v[60:63], v155 offset:18688
	ds_read_b128 v[52:55], v155 offset:18704
	;; [unrolled: 1-line block ×28, first 2 shown]
	v_add_f64 v[128:129], v[66:67], v[122:123]
	v_add_f64 v[130:131], v[64:65], v[120:121]
	v_cvt_f32_f64_e32 v130, v[130:131]
	v_cvt_f32_f64_e32 v128, v[128:129]
	s_addc_u32 s1, s13, s1
	v_min3_f32 v132, v130, v128, v132
	v_add_u32_e32 v136, s26, v152
	v_mad_i64_i32 v[130:131], s[2:3], v159, s5, 0
	v_add_u32_e32 v128, 8, v136
	v_lshl_add_u64 v[152:153], v[130:131], 3, s[0:1]
	v_mad_i64_i32 v[130:131], s[2:3], v159, s4, 0
	v_ashrrev_i32_e32 v137, 31, v136
	v_ashrrev_i32_e32 v129, 31, v128
	s_mov_b64 s[2:3], -1
	v_max_f32_e32 v133, v132, v132
	s_mov_b64 vcc, s[8:9]
	s_cbranch_vccz .LBB123_47
; %bb.46:
	v_min_f32_e32 v132, 0, v133
	v_cvt_f64_f32_e32 v[134:135], v132
	v_lshl_add_u64 v[138:139], v[136:137], 3, v[152:153]
	flat_store_dwordx2 v[138:139], v[134:135]
	s_mov_b64 s[2:3], 0
.LBB123_47:
	v_lshl_add_u64 v[154:155], v[130:131], 3, s[16:17]
	v_mov_b32_e32 v132, 0
	s_andn2_b64 vcc, exec, s[2:3]
	v_lshlrev_b64 v[140:141], 3, v[136:137]
	s_cbranch_vccnz .LBB123_49
; %bb.48:
	v_lshl_add_u64 v[130:131], v[154:155], 0, v[140:141]
	flat_load_dwordx2 v[130:131], v[130:131]
	v_lshl_add_u64 v[134:135], v[152:153], 0, v[140:141]
	s_waitcnt vmcnt(0) lgkmcnt(0)
	v_mul_f64 v[130:131], s[10:11], v[130:131]
	v_cvt_f32_f64_e32 v130, v[130:131]
	v_min_f32_e32 v130, v130, v133
	v_cvt_f64_f32_e32 v[130:131], v130
	flat_store_dwordx2 v[134:135], v[130:131]
	v_lshl_add_u64 v[130:131], v[128:129], 3, v[154:155]
	flat_load_dwordx2 v[130:131], v[130:131]
	s_waitcnt vmcnt(0) lgkmcnt(0)
	v_mul_f64 v[130:131], s[10:11], v[130:131]
	v_cvt_f32_f64_e32 v132, v[130:131]
.LBB123_49:
	s_waitcnt lgkmcnt(0)
	v_add_f64 v[130:131], v[62:63], v[126:127]
	v_add_f64 v[134:135], v[60:61], v[124:125]
	v_cvt_f32_f64_e32 v133, v[134:135]
	v_cvt_f32_f64_e32 v130, v[130:131]
	v_min3_f32 v133, v133, v130, v224
	v_add_f64 v[130:131], v[58:59], v[126:127]
	v_add_f64 v[134:135], v[56:57], v[124:125]
	v_cvt_f32_f64_e32 v134, v[134:135]
	v_cvt_f32_f64_e32 v130, v[130:131]
	v_min3_f32 v138, v134, v130, v225
	v_add_f64 v[130:131], v[54:55], v[122:123]
	v_add_f64 v[134:135], v[52:53], v[120:121]
	v_cvt_f32_f64_e32 v134, v[134:135]
	v_cvt_f32_f64_e32 v130, v[130:131]
	v_min_f32_e32 v142, v134, v130
	v_add_f64 v[130:131], v[50:51], v[122:123]
	v_add_f64 v[134:135], v[48:49], v[120:121]
	v_cvt_f32_f64_e32 v134, v[134:135]
	v_cvt_f32_f64_e32 v130, v[130:131]
	v_min3_f32 v132, v132, v142, v133
	v_min3_f32 v143, v134, v130, v138
	v_add_u32_e32 v138, 16, v136
	v_add_u32_e32 v130, 24, v136
	v_cvt_f64_f32_e32 v[132:133], v132
	v_lshl_add_u64 v[134:135], v[128:129], 3, v[152:153]
	v_ashrrev_i32_e32 v139, 31, v138
	v_ashrrev_i32_e32 v131, 31, v130
	flat_store_dwordx2 v[134:135], v[132:133]
	s_mov_b64 s[2:3], -1
	v_max_f32_e32 v132, v143, v143
	s_mov_b64 vcc, s[8:9]
	s_cbranch_vccz .LBB123_51
; %bb.50:
	v_min_f32_e32 v133, 0, v132
	v_cvt_f64_f32_e32 v[134:135], v133
	v_lshl_add_u64 v[142:143], v[138:139], 3, v[152:153]
	flat_store_dwordx2 v[142:143], v[134:135]
	s_mov_b64 s[2:3], 0
.LBB123_51:
	v_mov_b32_e32 v134, 0
	s_andn2_b64 vcc, exec, s[2:3]
	v_lshlrev_b64 v[144:145], 3, v[138:139]
	s_cbranch_vccnz .LBB123_53
; %bb.52:
	v_lshl_add_u64 v[134:135], v[154:155], 0, v[144:145]
	flat_load_dwordx2 v[134:135], v[134:135]
	v_lshl_add_u64 v[142:143], v[152:153], 0, v[144:145]
	s_waitcnt vmcnt(0) lgkmcnt(0)
	v_mul_f64 v[134:135], s[10:11], v[134:135]
	v_cvt_f32_f64_e32 v133, v[134:135]
	v_min_f32_e32 v132, v133, v132
	v_cvt_f64_f32_e32 v[132:133], v132
	flat_store_dwordx2 v[142:143], v[132:133]
	v_lshl_add_u64 v[132:133], v[130:131], 3, v[154:155]
	flat_load_dwordx2 v[132:133], v[132:133]
	s_waitcnt vmcnt(0) lgkmcnt(0)
	v_mul_f64 v[132:133], s[10:11], v[132:133]
	v_cvt_f32_f64_e32 v134, v[132:133]
.LBB123_53:
	v_add_f64 v[132:133], v[46:47], v[126:127]
	v_add_f64 v[142:143], v[44:45], v[124:125]
	v_cvt_f32_f64_e32 v135, v[142:143]
	v_cvt_f32_f64_e32 v132, v[132:133]
	v_min3_f32 v135, v135, v132, v222
	v_add_f64 v[132:133], v[42:43], v[126:127]
	v_add_f64 v[142:143], v[40:41], v[124:125]
	v_cvt_f32_f64_e32 v142, v[142:143]
	v_cvt_f32_f64_e32 v132, v[132:133]
	v_min3_f32 v146, v142, v132, v223
	v_add_f64 v[132:133], v[38:39], v[122:123]
	v_add_f64 v[142:143], v[36:37], v[120:121]
	v_cvt_f32_f64_e32 v142, v[142:143]
	v_cvt_f32_f64_e32 v132, v[132:133]
	v_min_f32_e32 v147, v142, v132
	v_add_f64 v[132:133], v[34:35], v[122:123]
	v_add_f64 v[142:143], v[32:33], v[120:121]
	v_cvt_f32_f64_e32 v142, v[142:143]
	v_cvt_f32_f64_e32 v132, v[132:133]
	v_min3_f32 v134, v134, v147, v135
	v_min3_f32 v148, v142, v132, v146
	v_add_u32_e32 v142, 32, v136
	v_add_u32_e32 v132, 40, v136
	v_cvt_f64_f32_e32 v[134:135], v134
	v_lshl_add_u64 v[146:147], v[130:131], 3, v[152:153]
	v_ashrrev_i32_e32 v143, 31, v142
	v_ashrrev_i32_e32 v133, 31, v132
	flat_store_dwordx2 v[146:147], v[134:135]
	s_mov_b64 s[2:3], -1
	v_max_f32_e32 v134, v148, v148
	s_mov_b64 vcc, s[8:9]
	s_cbranch_vccz .LBB123_55
; %bb.54:
	v_min_f32_e32 v135, 0, v134
	v_cvt_f64_f32_e32 v[146:147], v135
	v_lshl_add_u64 v[148:149], v[142:143], 3, v[152:153]
	flat_store_dwordx2 v[148:149], v[146:147]
	s_mov_b64 s[2:3], 0
.LBB123_55:
	v_mov_b32_e32 v150, 0
	s_andn2_b64 vcc, exec, s[2:3]
	v_lshlrev_b64 v[148:149], 3, v[142:143]
	s_cbranch_vccnz .LBB123_57
; %bb.56:
	v_lshl_add_u64 v[146:147], v[154:155], 0, v[148:149]
	flat_load_dwordx2 v[146:147], v[146:147]
	v_lshl_add_u64 v[150:151], v[152:153], 0, v[148:149]
	s_waitcnt vmcnt(0) lgkmcnt(0)
	v_mul_f64 v[146:147], s[10:11], v[146:147]
	v_cvt_f32_f64_e32 v135, v[146:147]
	v_min_f32_e32 v134, v135, v134
	v_cvt_f64_f32_e32 v[134:135], v134
	flat_store_dwordx2 v[150:151], v[134:135]
	v_lshl_add_u64 v[134:135], v[132:133], 3, v[154:155]
	flat_load_dwordx2 v[134:135], v[134:135]
	s_waitcnt vmcnt(0) lgkmcnt(0)
	v_mul_f64 v[134:135], s[10:11], v[134:135]
	v_cvt_f32_f64_e32 v150, v[134:135]
.LBB123_57:
	v_add_f64 v[134:135], v[30:31], v[126:127]
	v_add_f64 v[146:147], v[28:29], v[124:125]
	v_cvt_f32_f64_e32 v146, v[146:147]
	v_cvt_f32_f64_e32 v134, v[134:135]
	v_min3_f32 v151, v146, v134, v220
	v_add_f64 v[134:135], v[26:27], v[126:127]
	v_add_f64 v[146:147], v[24:25], v[124:125]
	v_cvt_f32_f64_e32 v146, v[146:147]
	v_cvt_f32_f64_e32 v134, v[134:135]
	v_min3_f32 v214, v146, v134, v221
	v_add_f64 v[134:135], v[22:23], v[122:123]
	v_add_f64 v[146:147], v[20:21], v[120:121]
	v_cvt_f32_f64_e32 v146, v[146:147]
	v_cvt_f32_f64_e32 v134, v[134:135]
	v_min_f32_e32 v215, v146, v134
	v_add_f64 v[134:135], v[18:19], v[122:123]
	v_add_f64 v[146:147], v[16:17], v[120:121]
	v_cvt_f32_f64_e32 v146, v[146:147]
	v_cvt_f32_f64_e32 v134, v[134:135]
	v_min3_f32 v150, v150, v215, v151
	v_min3_f32 v216, v146, v134, v214
	v_add_u32_e32 v146, 48, v136
	v_add_u32_e32 v134, 56, v136
	v_cvt_f64_f32_e32 v[150:151], v150
	v_lshl_add_u64 v[214:215], v[132:133], 3, v[152:153]
	v_ashrrev_i32_e32 v147, 31, v146
	v_ashrrev_i32_e32 v135, 31, v134
	flat_store_dwordx2 v[214:215], v[150:151]
	s_mov_b64 s[2:3], -1
	v_max_f32_e32 v215, v216, v216
	s_mov_b64 vcc, s[8:9]
	s_cbranch_vccz .LBB123_59
; %bb.58:
	v_min_f32_e32 v150, 0, v215
	v_cvt_f64_f32_e32 v[150:151], v150
	v_lshl_add_u64 v[216:217], v[146:147], 3, v[152:153]
	flat_store_dwordx2 v[216:217], v[150:151]
	s_mov_b64 s[2:3], 0
.LBB123_59:
	v_mov_b32_e32 v214, 0
	s_andn2_b64 vcc, exec, s[2:3]
	v_lshlrev_b64 v[150:151], 3, v[146:147]
	s_cbranch_vccnz .LBB123_61
; %bb.60:
	v_lshl_add_u64 v[216:217], v[154:155], 0, v[150:151]
	flat_load_dwordx2 v[216:217], v[216:217]
	v_lshl_add_u64 v[218:219], v[152:153], 0, v[150:151]
	v_lshl_add_u64 v[154:155], v[134:135], 3, v[154:155]
	s_waitcnt vmcnt(0) lgkmcnt(0)
	v_mul_f64 v[216:217], s[10:11], v[216:217]
	v_cvt_f32_f64_e32 v214, v[216:217]
	v_min_f32_e32 v214, v214, v215
	v_cvt_f64_f32_e32 v[214:215], v214
	flat_store_dwordx2 v[218:219], v[214:215]
	flat_load_dwordx2 v[154:155], v[154:155]
	s_waitcnt vmcnt(0) lgkmcnt(0)
	v_mul_f64 v[154:155], s[10:11], v[154:155]
	v_cvt_f32_f64_e32 v214, v[154:155]
.LBB123_61:
	v_add_f64 v[126:127], v[2:3], v[126:127]
	v_add_f64 v[124:125], v[0:1], v[124:125]
	v_cvt_f32_f64_e32 v124, v[124:125]
	v_cvt_f32_f64_e32 v125, v[126:127]
	v_add_f64 v[122:123], v[10:11], v[122:123]
	v_add_f64 v[120:121], v[8:9], v[120:121]
	v_min3_f32 v154, v124, v125, v213
	v_add_f64 v[124:125], v[70:71], v[118:119]
	v_add_f64 v[126:127], v[68:69], v[116:117]
	v_cvt_f32_f64_e32 v120, v[120:121]
	v_cvt_f32_f64_e32 v121, v[122:123]
	;; [unrolled: 1-line block ×4, first 2 shown]
	v_min_f32_e32 v125, v120, v121
	v_add_f64 v[120:121], v[66:67], v[114:115]
	v_add_f64 v[122:123], v[64:65], v[112:113]
	v_min3_f32 v124, v126, v124, v212
	v_cvt_f32_f64_e32 v122, v[122:123]
	v_cvt_f32_f64_e32 v120, v[120:121]
	v_min3_f32 v124, v122, v120, v124
	v_min3_f32 v120, v214, v125, v154
	v_cvt_f64_f32_e32 v[120:121], v120
	v_lshl_add_u64 v[122:123], v[134:135], 3, v[152:153]
	flat_store_dwordx2 v[122:123], v[120:121]
	v_add_u32_e32 v122, 32, v159
	v_mad_i64_i32 v[120:121], s[2:3], v122, s5, 0
	v_mad_i64_i32 v[122:123], s[2:3], v122, s4, 0
	v_lshl_add_u64 v[120:121], v[120:121], 3, s[0:1]
	s_mov_b64 s[2:3], -1
	v_max_f32_e32 v125, v124, v124
	s_mov_b64 vcc, s[8:9]
	s_cbranch_vccz .LBB123_63
; %bb.62:
	v_min_f32_e32 v124, 0, v125
	v_cvt_f64_f32_e32 v[126:127], v124
	v_lshl_add_u64 v[152:153], v[136:137], 3, v[120:121]
	flat_store_dwordx2 v[152:153], v[126:127]
	s_mov_b64 s[2:3], 0
.LBB123_63:
	v_lshl_add_u64 v[122:123], v[122:123], 3, s[16:17]
	s_andn2_b64 vcc, exec, s[2:3]
	v_mov_b32_e32 v124, 0
	s_cbranch_vccnz .LBB123_65
; %bb.64:
	v_lshl_add_u64 v[126:127], v[122:123], 0, v[140:141]
	flat_load_dwordx2 v[126:127], v[126:127]
	v_lshl_add_u64 v[152:153], v[120:121], 0, v[140:141]
	s_waitcnt vmcnt(0) lgkmcnt(0)
	v_mul_f64 v[126:127], s[10:11], v[126:127]
	v_cvt_f32_f64_e32 v124, v[126:127]
	v_min_f32_e32 v124, v124, v125
	v_cvt_f64_f32_e32 v[124:125], v124
	flat_store_dwordx2 v[152:153], v[124:125]
	v_lshl_add_u64 v[124:125], v[128:129], 3, v[122:123]
	flat_load_dwordx2 v[124:125], v[124:125]
	s_waitcnt vmcnt(0) lgkmcnt(0)
	v_mul_f64 v[124:125], s[10:11], v[124:125]
	v_cvt_f32_f64_e32 v124, v[124:125]
.LBB123_65:
	v_add_f64 v[126:127], v[62:63], v[118:119]
	v_add_f64 v[152:153], v[60:61], v[116:117]
	v_cvt_f32_f64_e32 v125, v[152:153]
	v_cvt_f32_f64_e32 v126, v[126:127]
	v_min3_f32 v125, v125, v126, v211
	v_add_f64 v[126:127], v[58:59], v[118:119]
	v_add_f64 v[152:153], v[56:57], v[116:117]
	v_cvt_f32_f64_e32 v152, v[152:153]
	v_cvt_f32_f64_e32 v126, v[126:127]
	v_min3_f32 v154, v152, v126, v210
	v_add_f64 v[126:127], v[54:55], v[114:115]
	v_add_f64 v[152:153], v[52:53], v[112:113]
	v_cvt_f32_f64_e32 v152, v[152:153]
	v_cvt_f32_f64_e32 v126, v[126:127]
	v_min_f32_e32 v155, v152, v126
	v_add_f64 v[126:127], v[50:51], v[114:115]
	v_add_f64 v[152:153], v[48:49], v[112:113]
	v_cvt_f32_f64_e32 v152, v[152:153]
	v_cvt_f32_f64_e32 v126, v[126:127]
	v_min3_f32 v124, v124, v155, v125
	v_min3_f32 v152, v152, v126, v154
	v_cvt_f64_f32_e32 v[124:125], v124
	v_lshl_add_u64 v[126:127], v[128:129], 3, v[120:121]
	flat_store_dwordx2 v[126:127], v[124:125]
	s_mov_b64 s[2:3], -1
	v_max_f32_e32 v125, v152, v152
	s_mov_b64 vcc, s[8:9]
	s_cbranch_vccz .LBB123_67
; %bb.66:
	v_min_f32_e32 v124, 0, v125
	v_cvt_f64_f32_e32 v[126:127], v124
	v_lshl_add_u64 v[152:153], v[138:139], 3, v[120:121]
	flat_store_dwordx2 v[152:153], v[126:127]
	s_mov_b64 s[2:3], 0
.LBB123_67:
	s_andn2_b64 vcc, exec, s[2:3]
	v_mov_b32_e32 v124, 0
	s_cbranch_vccnz .LBB123_69
; %bb.68:
	v_lshl_add_u64 v[126:127], v[122:123], 0, v[144:145]
	flat_load_dwordx2 v[126:127], v[126:127]
	v_lshl_add_u64 v[152:153], v[120:121], 0, v[144:145]
	s_waitcnt vmcnt(0) lgkmcnt(0)
	v_mul_f64 v[126:127], s[10:11], v[126:127]
	v_cvt_f32_f64_e32 v124, v[126:127]
	v_min_f32_e32 v124, v124, v125
	v_cvt_f64_f32_e32 v[124:125], v124
	flat_store_dwordx2 v[152:153], v[124:125]
	v_lshl_add_u64 v[124:125], v[130:131], 3, v[122:123]
	flat_load_dwordx2 v[124:125], v[124:125]
	s_waitcnt vmcnt(0) lgkmcnt(0)
	v_mul_f64 v[124:125], s[10:11], v[124:125]
	v_cvt_f32_f64_e32 v124, v[124:125]
.LBB123_69:
	v_add_f64 v[126:127], v[46:47], v[118:119]
	v_add_f64 v[152:153], v[44:45], v[116:117]
	v_cvt_f32_f64_e32 v125, v[152:153]
	v_cvt_f32_f64_e32 v126, v[126:127]
	v_min3_f32 v125, v125, v126, v209
	v_add_f64 v[126:127], v[42:43], v[118:119]
	v_add_f64 v[152:153], v[40:41], v[116:117]
	v_cvt_f32_f64_e32 v152, v[152:153]
	v_cvt_f32_f64_e32 v126, v[126:127]
	v_min3_f32 v154, v152, v126, v208
	v_add_f64 v[126:127], v[38:39], v[114:115]
	v_add_f64 v[152:153], v[36:37], v[112:113]
	v_cvt_f32_f64_e32 v152, v[152:153]
	v_cvt_f32_f64_e32 v126, v[126:127]
	v_min_f32_e32 v155, v152, v126
	v_add_f64 v[126:127], v[34:35], v[114:115]
	v_add_f64 v[152:153], v[32:33], v[112:113]
	v_cvt_f32_f64_e32 v152, v[152:153]
	v_cvt_f32_f64_e32 v126, v[126:127]
	v_min3_f32 v124, v124, v155, v125
	v_min3_f32 v152, v152, v126, v154
	v_cvt_f64_f32_e32 v[124:125], v124
	v_lshl_add_u64 v[126:127], v[130:131], 3, v[120:121]
	flat_store_dwordx2 v[126:127], v[124:125]
	s_mov_b64 s[2:3], -1
	v_max_f32_e32 v125, v152, v152
	s_mov_b64 vcc, s[8:9]
	s_cbranch_vccz .LBB123_71
; %bb.70:
	v_min_f32_e32 v124, 0, v125
	v_cvt_f64_f32_e32 v[126:127], v124
	v_lshl_add_u64 v[152:153], v[142:143], 3, v[120:121]
	flat_store_dwordx2 v[152:153], v[126:127]
	s_mov_b64 s[2:3], 0
.LBB123_71:
	s_andn2_b64 vcc, exec, s[2:3]
	v_mov_b32_e32 v124, 0
	s_cbranch_vccnz .LBB123_73
; %bb.72:
	v_lshl_add_u64 v[126:127], v[122:123], 0, v[148:149]
	flat_load_dwordx2 v[126:127], v[126:127]
	v_lshl_add_u64 v[152:153], v[120:121], 0, v[148:149]
	s_waitcnt vmcnt(0) lgkmcnt(0)
	v_mul_f64 v[126:127], s[10:11], v[126:127]
	v_cvt_f32_f64_e32 v124, v[126:127]
	v_min_f32_e32 v124, v124, v125
	v_cvt_f64_f32_e32 v[124:125], v124
	flat_store_dwordx2 v[152:153], v[124:125]
	v_lshl_add_u64 v[124:125], v[132:133], 3, v[122:123]
	flat_load_dwordx2 v[124:125], v[124:125]
	s_waitcnt vmcnt(0) lgkmcnt(0)
	v_mul_f64 v[124:125], s[10:11], v[124:125]
	v_cvt_f32_f64_e32 v124, v[124:125]
.LBB123_73:
	v_add_f64 v[126:127], v[30:31], v[118:119]
	v_add_f64 v[152:153], v[28:29], v[116:117]
	v_cvt_f32_f64_e32 v125, v[152:153]
	v_cvt_f32_f64_e32 v126, v[126:127]
	v_min3_f32 v125, v125, v126, v207
	v_add_f64 v[126:127], v[26:27], v[118:119]
	v_add_f64 v[152:153], v[24:25], v[116:117]
	v_cvt_f32_f64_e32 v152, v[152:153]
	v_cvt_f32_f64_e32 v126, v[126:127]
	v_min3_f32 v154, v152, v126, v206
	v_add_f64 v[126:127], v[22:23], v[114:115]
	v_add_f64 v[152:153], v[20:21], v[112:113]
	v_cvt_f32_f64_e32 v152, v[152:153]
	v_cvt_f32_f64_e32 v126, v[126:127]
	v_min_f32_e32 v155, v152, v126
	v_add_f64 v[126:127], v[18:19], v[114:115]
	v_add_f64 v[152:153], v[16:17], v[112:113]
	v_cvt_f32_f64_e32 v152, v[152:153]
	v_cvt_f32_f64_e32 v126, v[126:127]
	v_min3_f32 v124, v124, v155, v125
	v_min3_f32 v152, v152, v126, v154
	v_cvt_f64_f32_e32 v[124:125], v124
	v_lshl_add_u64 v[126:127], v[132:133], 3, v[120:121]
	flat_store_dwordx2 v[126:127], v[124:125]
	s_mov_b64 s[2:3], -1
	v_max_f32_e32 v125, v152, v152
	s_mov_b64 vcc, s[8:9]
	s_cbranch_vccz .LBB123_75
; %bb.74:
	v_min_f32_e32 v124, 0, v125
	v_cvt_f64_f32_e32 v[126:127], v124
	v_lshl_add_u64 v[152:153], v[146:147], 3, v[120:121]
	flat_store_dwordx2 v[152:153], v[126:127]
	s_mov_b64 s[2:3], 0
.LBB123_75:
	s_andn2_b64 vcc, exec, s[2:3]
	v_mov_b32_e32 v124, 0
	s_cbranch_vccnz .LBB123_77
; %bb.76:
	v_lshl_add_u64 v[126:127], v[122:123], 0, v[150:151]
	flat_load_dwordx2 v[126:127], v[126:127]
	v_lshl_add_u64 v[152:153], v[120:121], 0, v[150:151]
	v_lshl_add_u64 v[122:123], v[134:135], 3, v[122:123]
	s_waitcnt vmcnt(0) lgkmcnt(0)
	v_mul_f64 v[126:127], s[10:11], v[126:127]
	v_cvt_f32_f64_e32 v124, v[126:127]
	v_min_f32_e32 v124, v124, v125
	v_cvt_f64_f32_e32 v[124:125], v124
	flat_store_dwordx2 v[152:153], v[124:125]
	flat_load_dwordx2 v[122:123], v[122:123]
	s_waitcnt vmcnt(0) lgkmcnt(0)
	v_mul_f64 v[122:123], s[10:11], v[122:123]
	v_cvt_f32_f64_e32 v124, v[122:123]
.LBB123_77:
	v_add_f64 v[118:119], v[2:3], v[118:119]
	v_add_f64 v[116:117], v[0:1], v[116:117]
	v_cvt_f32_f64_e32 v116, v[116:117]
	v_cvt_f32_f64_e32 v117, v[118:119]
	v_add_f64 v[114:115], v[10:11], v[114:115]
	v_add_f64 v[112:113], v[8:9], v[112:113]
	v_min3_f32 v122, v116, v117, v205
	v_add_f64 v[116:117], v[70:71], v[110:111]
	v_add_f64 v[118:119], v[68:69], v[108:109]
	v_cvt_f32_f64_e32 v112, v[112:113]
	v_cvt_f32_f64_e32 v113, v[114:115]
	v_cvt_f32_f64_e32 v118, v[118:119]
	v_cvt_f32_f64_e32 v116, v[116:117]
	v_min_f32_e32 v117, v112, v113
	v_add_f64 v[112:113], v[66:67], v[106:107]
	v_add_f64 v[114:115], v[64:65], v[104:105]
	v_min3_f32 v116, v118, v116, v204
	v_cvt_f32_f64_e32 v114, v[114:115]
	v_cvt_f32_f64_e32 v112, v[112:113]
	v_min3_f32 v116, v114, v112, v116
	v_min3_f32 v112, v124, v117, v122
	v_cvt_f64_f32_e32 v[112:113], v112
	v_lshl_add_u64 v[114:115], v[134:135], 3, v[120:121]
	flat_store_dwordx2 v[114:115], v[112:113]
	v_add_u32_e32 v114, 64, v159
	v_mad_i64_i32 v[112:113], s[2:3], v114, s5, 0
	v_mad_i64_i32 v[114:115], s[2:3], v114, s4, 0
	v_lshl_add_u64 v[112:113], v[112:113], 3, s[0:1]
	s_mov_b64 s[2:3], -1
	v_max_f32_e32 v117, v116, v116
	s_mov_b64 vcc, s[8:9]
	s_cbranch_vccz .LBB123_79
; %bb.78:
	v_min_f32_e32 v116, 0, v117
	v_cvt_f64_f32_e32 v[118:119], v116
	v_lshl_add_u64 v[120:121], v[136:137], 3, v[112:113]
	flat_store_dwordx2 v[120:121], v[118:119]
	s_mov_b64 s[2:3], 0
.LBB123_79:
	v_lshl_add_u64 v[114:115], v[114:115], 3, s[16:17]
	s_andn2_b64 vcc, exec, s[2:3]
	v_mov_b32_e32 v116, 0
	s_cbranch_vccnz .LBB123_81
; %bb.80:
	v_lshl_add_u64 v[118:119], v[114:115], 0, v[140:141]
	flat_load_dwordx2 v[118:119], v[118:119]
	v_lshl_add_u64 v[120:121], v[112:113], 0, v[140:141]
	s_waitcnt vmcnt(0) lgkmcnt(0)
	v_mul_f64 v[118:119], s[10:11], v[118:119]
	v_cvt_f32_f64_e32 v116, v[118:119]
	v_min_f32_e32 v116, v116, v117
	v_cvt_f64_f32_e32 v[116:117], v116
	flat_store_dwordx2 v[120:121], v[116:117]
	v_lshl_add_u64 v[116:117], v[128:129], 3, v[114:115]
	flat_load_dwordx2 v[116:117], v[116:117]
	s_waitcnt vmcnt(0) lgkmcnt(0)
	v_mul_f64 v[116:117], s[10:11], v[116:117]
	v_cvt_f32_f64_e32 v116, v[116:117]
.LBB123_81:
	v_add_f64 v[118:119], v[62:63], v[110:111]
	v_add_f64 v[120:121], v[60:61], v[108:109]
	v_cvt_f32_f64_e32 v117, v[120:121]
	v_cvt_f32_f64_e32 v118, v[118:119]
	v_min3_f32 v117, v117, v118, v203
	v_add_f64 v[118:119], v[58:59], v[110:111]
	v_add_f64 v[120:121], v[56:57], v[108:109]
	v_cvt_f32_f64_e32 v120, v[120:121]
	v_cvt_f32_f64_e32 v118, v[118:119]
	v_min3_f32 v122, v120, v118, v202
	v_add_f64 v[118:119], v[54:55], v[106:107]
	v_add_f64 v[120:121], v[52:53], v[104:105]
	v_cvt_f32_f64_e32 v120, v[120:121]
	v_cvt_f32_f64_e32 v118, v[118:119]
	v_min_f32_e32 v123, v120, v118
	v_add_f64 v[118:119], v[50:51], v[106:107]
	v_add_f64 v[120:121], v[48:49], v[104:105]
	v_cvt_f32_f64_e32 v120, v[120:121]
	v_cvt_f32_f64_e32 v118, v[118:119]
	v_min3_f32 v116, v116, v123, v117
	v_min3_f32 v120, v120, v118, v122
	v_cvt_f64_f32_e32 v[116:117], v116
	v_lshl_add_u64 v[118:119], v[128:129], 3, v[112:113]
	flat_store_dwordx2 v[118:119], v[116:117]
	s_mov_b64 s[2:3], -1
	v_max_f32_e32 v117, v120, v120
	s_mov_b64 vcc, s[8:9]
	s_cbranch_vccz .LBB123_83
; %bb.82:
	v_min_f32_e32 v116, 0, v117
	v_cvt_f64_f32_e32 v[118:119], v116
	v_lshl_add_u64 v[120:121], v[138:139], 3, v[112:113]
	flat_store_dwordx2 v[120:121], v[118:119]
	s_mov_b64 s[2:3], 0
.LBB123_83:
	s_andn2_b64 vcc, exec, s[2:3]
	v_mov_b32_e32 v116, 0
	s_cbranch_vccnz .LBB123_85
; %bb.84:
	v_lshl_add_u64 v[118:119], v[114:115], 0, v[144:145]
	flat_load_dwordx2 v[118:119], v[118:119]
	v_lshl_add_u64 v[120:121], v[112:113], 0, v[144:145]
	s_waitcnt vmcnt(0) lgkmcnt(0)
	v_mul_f64 v[118:119], s[10:11], v[118:119]
	v_cvt_f32_f64_e32 v116, v[118:119]
	v_min_f32_e32 v116, v116, v117
	v_cvt_f64_f32_e32 v[116:117], v116
	flat_store_dwordx2 v[120:121], v[116:117]
	v_lshl_add_u64 v[116:117], v[130:131], 3, v[114:115]
	flat_load_dwordx2 v[116:117], v[116:117]
	s_waitcnt vmcnt(0) lgkmcnt(0)
	v_mul_f64 v[116:117], s[10:11], v[116:117]
	v_cvt_f32_f64_e32 v116, v[116:117]
.LBB123_85:
	v_add_f64 v[118:119], v[46:47], v[110:111]
	v_add_f64 v[120:121], v[44:45], v[108:109]
	v_cvt_f32_f64_e32 v117, v[120:121]
	v_cvt_f32_f64_e32 v118, v[118:119]
	v_min3_f32 v117, v117, v118, v201
	v_add_f64 v[118:119], v[42:43], v[110:111]
	v_add_f64 v[120:121], v[40:41], v[108:109]
	v_cvt_f32_f64_e32 v120, v[120:121]
	v_cvt_f32_f64_e32 v118, v[118:119]
	v_min3_f32 v122, v120, v118, v200
	v_add_f64 v[118:119], v[38:39], v[106:107]
	v_add_f64 v[120:121], v[36:37], v[104:105]
	v_cvt_f32_f64_e32 v120, v[120:121]
	v_cvt_f32_f64_e32 v118, v[118:119]
	v_min_f32_e32 v123, v120, v118
	v_add_f64 v[118:119], v[34:35], v[106:107]
	v_add_f64 v[120:121], v[32:33], v[104:105]
	v_cvt_f32_f64_e32 v120, v[120:121]
	v_cvt_f32_f64_e32 v118, v[118:119]
	v_min3_f32 v116, v116, v123, v117
	v_min3_f32 v120, v120, v118, v122
	v_cvt_f64_f32_e32 v[116:117], v116
	v_lshl_add_u64 v[118:119], v[130:131], 3, v[112:113]
	flat_store_dwordx2 v[118:119], v[116:117]
	s_mov_b64 s[2:3], -1
	v_max_f32_e32 v117, v120, v120
	s_mov_b64 vcc, s[8:9]
	s_cbranch_vccz .LBB123_87
; %bb.86:
	v_min_f32_e32 v116, 0, v117
	v_cvt_f64_f32_e32 v[118:119], v116
	v_lshl_add_u64 v[120:121], v[142:143], 3, v[112:113]
	flat_store_dwordx2 v[120:121], v[118:119]
	s_mov_b64 s[2:3], 0
.LBB123_87:
	;; [unrolled: 54-line block ×3, first 2 shown]
	s_andn2_b64 vcc, exec, s[2:3]
	v_mov_b32_e32 v116, 0
	s_cbranch_vccnz .LBB123_93
; %bb.92:
	v_lshl_add_u64 v[118:119], v[114:115], 0, v[150:151]
	flat_load_dwordx2 v[118:119], v[118:119]
	v_lshl_add_u64 v[120:121], v[112:113], 0, v[150:151]
	v_lshl_add_u64 v[114:115], v[134:135], 3, v[114:115]
	s_waitcnt vmcnt(0) lgkmcnt(0)
	v_mul_f64 v[118:119], s[10:11], v[118:119]
	v_cvt_f32_f64_e32 v116, v[118:119]
	v_min_f32_e32 v116, v116, v117
	v_cvt_f64_f32_e32 v[116:117], v116
	flat_store_dwordx2 v[120:121], v[116:117]
	flat_load_dwordx2 v[114:115], v[114:115]
	s_waitcnt vmcnt(0) lgkmcnt(0)
	v_mul_f64 v[114:115], s[10:11], v[114:115]
	v_cvt_f32_f64_e32 v116, v[114:115]
.LBB123_93:
	v_add_f64 v[110:111], v[2:3], v[110:111]
	v_add_f64 v[108:109], v[0:1], v[108:109]
	v_cvt_f32_f64_e32 v108, v[108:109]
	v_cvt_f32_f64_e32 v109, v[110:111]
	v_add_f64 v[106:107], v[10:11], v[106:107]
	v_add_f64 v[104:105], v[8:9], v[104:105]
	v_min3_f32 v114, v108, v109, v197
	v_add_f64 v[108:109], v[70:71], v[102:103]
	v_add_f64 v[110:111], v[68:69], v[100:101]
	v_cvt_f32_f64_e32 v104, v[104:105]
	v_cvt_f32_f64_e32 v105, v[106:107]
	;; [unrolled: 1-line block ×4, first 2 shown]
	v_min_f32_e32 v109, v104, v105
	v_add_f64 v[104:105], v[66:67], v[98:99]
	v_add_f64 v[106:107], v[64:65], v[96:97]
	v_min3_f32 v108, v110, v108, v196
	v_cvt_f32_f64_e32 v106, v[106:107]
	v_cvt_f32_f64_e32 v104, v[104:105]
	v_min3_f32 v108, v106, v104, v108
	v_min3_f32 v104, v116, v109, v114
	v_cvt_f64_f32_e32 v[104:105], v104
	v_lshl_add_u64 v[106:107], v[134:135], 3, v[112:113]
	flat_store_dwordx2 v[106:107], v[104:105]
	v_add_u32_e32 v106, 0x60, v159
	v_mad_i64_i32 v[104:105], s[2:3], v106, s5, 0
	v_mad_i64_i32 v[106:107], s[2:3], v106, s4, 0
	v_lshl_add_u64 v[104:105], v[104:105], 3, s[0:1]
	s_mov_b64 s[2:3], -1
	v_max_f32_e32 v109, v108, v108
	s_mov_b64 vcc, s[8:9]
	s_cbranch_vccz .LBB123_95
; %bb.94:
	v_min_f32_e32 v108, 0, v109
	v_cvt_f64_f32_e32 v[110:111], v108
	v_lshl_add_u64 v[112:113], v[136:137], 3, v[104:105]
	flat_store_dwordx2 v[112:113], v[110:111]
	s_mov_b64 s[2:3], 0
.LBB123_95:
	v_lshl_add_u64 v[106:107], v[106:107], 3, s[16:17]
	s_andn2_b64 vcc, exec, s[2:3]
	v_mov_b32_e32 v108, 0
	s_cbranch_vccnz .LBB123_97
; %bb.96:
	v_lshl_add_u64 v[110:111], v[106:107], 0, v[140:141]
	flat_load_dwordx2 v[110:111], v[110:111]
	v_lshl_add_u64 v[112:113], v[104:105], 0, v[140:141]
	s_waitcnt vmcnt(0) lgkmcnt(0)
	v_mul_f64 v[110:111], s[10:11], v[110:111]
	v_cvt_f32_f64_e32 v108, v[110:111]
	v_min_f32_e32 v108, v108, v109
	v_cvt_f64_f32_e32 v[108:109], v108
	flat_store_dwordx2 v[112:113], v[108:109]
	v_lshl_add_u64 v[108:109], v[128:129], 3, v[106:107]
	flat_load_dwordx2 v[108:109], v[108:109]
	s_waitcnt vmcnt(0) lgkmcnt(0)
	v_mul_f64 v[108:109], s[10:11], v[108:109]
	v_cvt_f32_f64_e32 v108, v[108:109]
.LBB123_97:
	v_add_f64 v[110:111], v[62:63], v[102:103]
	v_add_f64 v[112:113], v[60:61], v[100:101]
	v_cvt_f32_f64_e32 v109, v[112:113]
	v_cvt_f32_f64_e32 v110, v[110:111]
	v_min3_f32 v109, v109, v110, v195
	v_add_f64 v[110:111], v[58:59], v[102:103]
	v_add_f64 v[112:113], v[56:57], v[100:101]
	v_cvt_f32_f64_e32 v112, v[112:113]
	v_cvt_f32_f64_e32 v110, v[110:111]
	v_min3_f32 v114, v112, v110, v194
	v_add_f64 v[110:111], v[54:55], v[98:99]
	v_add_f64 v[112:113], v[52:53], v[96:97]
	v_cvt_f32_f64_e32 v112, v[112:113]
	v_cvt_f32_f64_e32 v110, v[110:111]
	v_min_f32_e32 v115, v112, v110
	v_add_f64 v[110:111], v[50:51], v[98:99]
	v_add_f64 v[112:113], v[48:49], v[96:97]
	v_cvt_f32_f64_e32 v112, v[112:113]
	v_cvt_f32_f64_e32 v110, v[110:111]
	v_min3_f32 v108, v108, v115, v109
	v_min3_f32 v112, v112, v110, v114
	v_cvt_f64_f32_e32 v[108:109], v108
	v_lshl_add_u64 v[110:111], v[128:129], 3, v[104:105]
	flat_store_dwordx2 v[110:111], v[108:109]
	s_mov_b64 s[2:3], -1
	v_max_f32_e32 v109, v112, v112
	s_mov_b64 vcc, s[8:9]
	s_cbranch_vccz .LBB123_99
; %bb.98:
	v_min_f32_e32 v108, 0, v109
	v_cvt_f64_f32_e32 v[110:111], v108
	v_lshl_add_u64 v[112:113], v[138:139], 3, v[104:105]
	flat_store_dwordx2 v[112:113], v[110:111]
	s_mov_b64 s[2:3], 0
.LBB123_99:
	s_andn2_b64 vcc, exec, s[2:3]
	v_mov_b32_e32 v108, 0
	s_cbranch_vccnz .LBB123_101
; %bb.100:
	v_lshl_add_u64 v[110:111], v[106:107], 0, v[144:145]
	flat_load_dwordx2 v[110:111], v[110:111]
	v_lshl_add_u64 v[112:113], v[104:105], 0, v[144:145]
	s_waitcnt vmcnt(0) lgkmcnt(0)
	v_mul_f64 v[110:111], s[10:11], v[110:111]
	v_cvt_f32_f64_e32 v108, v[110:111]
	v_min_f32_e32 v108, v108, v109
	v_cvt_f64_f32_e32 v[108:109], v108
	flat_store_dwordx2 v[112:113], v[108:109]
	v_lshl_add_u64 v[108:109], v[130:131], 3, v[106:107]
	flat_load_dwordx2 v[108:109], v[108:109]
	s_waitcnt vmcnt(0) lgkmcnt(0)
	v_mul_f64 v[108:109], s[10:11], v[108:109]
	v_cvt_f32_f64_e32 v108, v[108:109]
.LBB123_101:
	v_add_f64 v[110:111], v[46:47], v[102:103]
	v_add_f64 v[112:113], v[44:45], v[100:101]
	v_cvt_f32_f64_e32 v109, v[112:113]
	v_cvt_f32_f64_e32 v110, v[110:111]
	v_min3_f32 v109, v109, v110, v193
	v_add_f64 v[110:111], v[42:43], v[102:103]
	v_add_f64 v[112:113], v[40:41], v[100:101]
	v_cvt_f32_f64_e32 v112, v[112:113]
	v_cvt_f32_f64_e32 v110, v[110:111]
	v_min3_f32 v114, v112, v110, v192
	v_add_f64 v[110:111], v[38:39], v[98:99]
	v_add_f64 v[112:113], v[36:37], v[96:97]
	v_cvt_f32_f64_e32 v112, v[112:113]
	v_cvt_f32_f64_e32 v110, v[110:111]
	v_min_f32_e32 v115, v112, v110
	v_add_f64 v[110:111], v[34:35], v[98:99]
	v_add_f64 v[112:113], v[32:33], v[96:97]
	v_cvt_f32_f64_e32 v112, v[112:113]
	v_cvt_f32_f64_e32 v110, v[110:111]
	v_min3_f32 v108, v108, v115, v109
	v_min3_f32 v112, v112, v110, v114
	v_cvt_f64_f32_e32 v[108:109], v108
	v_lshl_add_u64 v[110:111], v[130:131], 3, v[104:105]
	flat_store_dwordx2 v[110:111], v[108:109]
	s_mov_b64 s[2:3], -1
	v_max_f32_e32 v109, v112, v112
	s_mov_b64 vcc, s[8:9]
	s_cbranch_vccz .LBB123_103
; %bb.102:
	v_min_f32_e32 v108, 0, v109
	v_cvt_f64_f32_e32 v[110:111], v108
	v_lshl_add_u64 v[112:113], v[142:143], 3, v[104:105]
	flat_store_dwordx2 v[112:113], v[110:111]
	s_mov_b64 s[2:3], 0
.LBB123_103:
	;; [unrolled: 54-line block ×3, first 2 shown]
	s_andn2_b64 vcc, exec, s[2:3]
	v_mov_b32_e32 v108, 0
	s_cbranch_vccnz .LBB123_109
; %bb.108:
	v_lshl_add_u64 v[110:111], v[106:107], 0, v[150:151]
	flat_load_dwordx2 v[110:111], v[110:111]
	v_lshl_add_u64 v[112:113], v[104:105], 0, v[150:151]
	v_lshl_add_u64 v[106:107], v[134:135], 3, v[106:107]
	s_waitcnt vmcnt(0) lgkmcnt(0)
	v_mul_f64 v[110:111], s[10:11], v[110:111]
	v_cvt_f32_f64_e32 v108, v[110:111]
	v_min_f32_e32 v108, v108, v109
	v_cvt_f64_f32_e32 v[108:109], v108
	flat_store_dwordx2 v[112:113], v[108:109]
	flat_load_dwordx2 v[106:107], v[106:107]
	s_waitcnt vmcnt(0) lgkmcnt(0)
	v_mul_f64 v[106:107], s[10:11], v[106:107]
	v_cvt_f32_f64_e32 v108, v[106:107]
.LBB123_109:
	v_add_f64 v[102:103], v[2:3], v[102:103]
	v_add_f64 v[100:101], v[0:1], v[100:101]
	v_cvt_f32_f64_e32 v100, v[100:101]
	v_cvt_f32_f64_e32 v101, v[102:103]
	v_add_f64 v[98:99], v[10:11], v[98:99]
	v_add_f64 v[96:97], v[8:9], v[96:97]
	v_min3_f32 v106, v100, v101, v189
	v_add_f64 v[100:101], v[70:71], v[94:95]
	v_add_f64 v[102:103], v[68:69], v[92:93]
	v_cvt_f32_f64_e32 v96, v[96:97]
	v_cvt_f32_f64_e32 v97, v[98:99]
	;; [unrolled: 1-line block ×4, first 2 shown]
	v_min_f32_e32 v101, v96, v97
	v_add_f64 v[96:97], v[66:67], v[90:91]
	v_add_f64 v[98:99], v[64:65], v[88:89]
	v_min3_f32 v100, v102, v100, v188
	v_cvt_f32_f64_e32 v98, v[98:99]
	v_cvt_f32_f64_e32 v96, v[96:97]
	v_min3_f32 v100, v98, v96, v100
	v_min3_f32 v96, v108, v101, v106
	v_cvt_f64_f32_e32 v[96:97], v96
	v_lshl_add_u64 v[98:99], v[134:135], 3, v[104:105]
	flat_store_dwordx2 v[98:99], v[96:97]
	v_add_u32_e32 v98, 0x80, v159
	v_mad_i64_i32 v[96:97], s[2:3], v98, s5, 0
	v_mad_i64_i32 v[98:99], s[2:3], v98, s4, 0
	v_lshl_add_u64 v[96:97], v[96:97], 3, s[0:1]
	s_mov_b64 s[2:3], -1
	v_max_f32_e32 v101, v100, v100
	s_mov_b64 vcc, s[8:9]
	s_cbranch_vccz .LBB123_111
; %bb.110:
	v_min_f32_e32 v100, 0, v101
	v_cvt_f64_f32_e32 v[102:103], v100
	v_lshl_add_u64 v[104:105], v[136:137], 3, v[96:97]
	flat_store_dwordx2 v[104:105], v[102:103]
	s_mov_b64 s[2:3], 0
.LBB123_111:
	v_lshl_add_u64 v[98:99], v[98:99], 3, s[16:17]
	s_andn2_b64 vcc, exec, s[2:3]
	v_mov_b32_e32 v100, 0
	s_cbranch_vccnz .LBB123_113
; %bb.112:
	v_lshl_add_u64 v[102:103], v[98:99], 0, v[140:141]
	flat_load_dwordx2 v[102:103], v[102:103]
	v_lshl_add_u64 v[104:105], v[96:97], 0, v[140:141]
	s_waitcnt vmcnt(0) lgkmcnt(0)
	v_mul_f64 v[102:103], s[10:11], v[102:103]
	v_cvt_f32_f64_e32 v100, v[102:103]
	v_min_f32_e32 v100, v100, v101
	v_cvt_f64_f32_e32 v[100:101], v100
	flat_store_dwordx2 v[104:105], v[100:101]
	v_lshl_add_u64 v[100:101], v[128:129], 3, v[98:99]
	flat_load_dwordx2 v[100:101], v[100:101]
	s_waitcnt vmcnt(0) lgkmcnt(0)
	v_mul_f64 v[100:101], s[10:11], v[100:101]
	v_cvt_f32_f64_e32 v100, v[100:101]
.LBB123_113:
	v_add_f64 v[102:103], v[62:63], v[94:95]
	v_add_f64 v[104:105], v[60:61], v[92:93]
	v_cvt_f32_f64_e32 v101, v[104:105]
	v_cvt_f32_f64_e32 v102, v[102:103]
	v_min3_f32 v101, v101, v102, v187
	v_add_f64 v[102:103], v[58:59], v[94:95]
	v_add_f64 v[104:105], v[56:57], v[92:93]
	v_cvt_f32_f64_e32 v104, v[104:105]
	v_cvt_f32_f64_e32 v102, v[102:103]
	v_min3_f32 v106, v104, v102, v186
	v_add_f64 v[102:103], v[54:55], v[90:91]
	v_add_f64 v[104:105], v[52:53], v[88:89]
	v_cvt_f32_f64_e32 v104, v[104:105]
	v_cvt_f32_f64_e32 v102, v[102:103]
	v_min_f32_e32 v107, v104, v102
	v_add_f64 v[102:103], v[50:51], v[90:91]
	v_add_f64 v[104:105], v[48:49], v[88:89]
	v_cvt_f32_f64_e32 v104, v[104:105]
	v_cvt_f32_f64_e32 v102, v[102:103]
	v_min3_f32 v100, v100, v107, v101
	v_min3_f32 v104, v104, v102, v106
	v_cvt_f64_f32_e32 v[100:101], v100
	v_lshl_add_u64 v[102:103], v[128:129], 3, v[96:97]
	flat_store_dwordx2 v[102:103], v[100:101]
	s_mov_b64 s[2:3], -1
	v_max_f32_e32 v101, v104, v104
	s_mov_b64 vcc, s[8:9]
	s_cbranch_vccz .LBB123_115
; %bb.114:
	v_min_f32_e32 v100, 0, v101
	v_cvt_f64_f32_e32 v[102:103], v100
	v_lshl_add_u64 v[104:105], v[138:139], 3, v[96:97]
	flat_store_dwordx2 v[104:105], v[102:103]
	s_mov_b64 s[2:3], 0
.LBB123_115:
	s_andn2_b64 vcc, exec, s[2:3]
	v_mov_b32_e32 v100, 0
	s_cbranch_vccnz .LBB123_117
; %bb.116:
	v_lshl_add_u64 v[102:103], v[98:99], 0, v[144:145]
	flat_load_dwordx2 v[102:103], v[102:103]
	v_lshl_add_u64 v[104:105], v[96:97], 0, v[144:145]
	s_waitcnt vmcnt(0) lgkmcnt(0)
	v_mul_f64 v[102:103], s[10:11], v[102:103]
	v_cvt_f32_f64_e32 v100, v[102:103]
	v_min_f32_e32 v100, v100, v101
	v_cvt_f64_f32_e32 v[100:101], v100
	flat_store_dwordx2 v[104:105], v[100:101]
	v_lshl_add_u64 v[100:101], v[130:131], 3, v[98:99]
	flat_load_dwordx2 v[100:101], v[100:101]
	s_waitcnt vmcnt(0) lgkmcnt(0)
	v_mul_f64 v[100:101], s[10:11], v[100:101]
	v_cvt_f32_f64_e32 v100, v[100:101]
.LBB123_117:
	v_add_f64 v[102:103], v[46:47], v[94:95]
	v_add_f64 v[104:105], v[44:45], v[92:93]
	v_cvt_f32_f64_e32 v101, v[104:105]
	v_cvt_f32_f64_e32 v102, v[102:103]
	v_min3_f32 v101, v101, v102, v185
	v_add_f64 v[102:103], v[42:43], v[94:95]
	v_add_f64 v[104:105], v[40:41], v[92:93]
	v_cvt_f32_f64_e32 v104, v[104:105]
	v_cvt_f32_f64_e32 v102, v[102:103]
	v_min3_f32 v106, v104, v102, v184
	v_add_f64 v[102:103], v[38:39], v[90:91]
	v_add_f64 v[104:105], v[36:37], v[88:89]
	v_cvt_f32_f64_e32 v104, v[104:105]
	v_cvt_f32_f64_e32 v102, v[102:103]
	v_min_f32_e32 v107, v104, v102
	v_add_f64 v[102:103], v[34:35], v[90:91]
	v_add_f64 v[104:105], v[32:33], v[88:89]
	v_cvt_f32_f64_e32 v104, v[104:105]
	v_cvt_f32_f64_e32 v102, v[102:103]
	v_min3_f32 v100, v100, v107, v101
	v_min3_f32 v104, v104, v102, v106
	v_cvt_f64_f32_e32 v[100:101], v100
	v_lshl_add_u64 v[102:103], v[130:131], 3, v[96:97]
	flat_store_dwordx2 v[102:103], v[100:101]
	s_mov_b64 s[2:3], -1
	v_max_f32_e32 v101, v104, v104
	s_mov_b64 vcc, s[8:9]
	s_cbranch_vccz .LBB123_119
; %bb.118:
	v_min_f32_e32 v100, 0, v101
	v_cvt_f64_f32_e32 v[102:103], v100
	v_lshl_add_u64 v[104:105], v[142:143], 3, v[96:97]
	flat_store_dwordx2 v[104:105], v[102:103]
	s_mov_b64 s[2:3], 0
.LBB123_119:
	s_andn2_b64 vcc, exec, s[2:3]
	v_mov_b32_e32 v100, 0
	s_cbranch_vccnz .LBB123_121
; %bb.120:
	v_lshl_add_u64 v[102:103], v[98:99], 0, v[148:149]
	flat_load_dwordx2 v[102:103], v[102:103]
	v_lshl_add_u64 v[104:105], v[96:97], 0, v[148:149]
	s_waitcnt vmcnt(0) lgkmcnt(0)
	v_mul_f64 v[102:103], s[10:11], v[102:103]
	v_cvt_f32_f64_e32 v100, v[102:103]
	v_min_f32_e32 v100, v100, v101
	v_cvt_f64_f32_e32 v[100:101], v100
	flat_store_dwordx2 v[104:105], v[100:101]
	v_lshl_add_u64 v[100:101], v[132:133], 3, v[98:99]
	flat_load_dwordx2 v[100:101], v[100:101]
	s_waitcnt vmcnt(0) lgkmcnt(0)
	v_mul_f64 v[100:101], s[10:11], v[100:101]
	v_cvt_f32_f64_e32 v100, v[100:101]
.LBB123_121:
	v_add_f64 v[102:103], v[30:31], v[94:95]
	v_add_f64 v[104:105], v[28:29], v[92:93]
	v_cvt_f32_f64_e32 v101, v[104:105]
	v_cvt_f32_f64_e32 v102, v[102:103]
	v_min3_f32 v101, v101, v102, v183
	v_add_f64 v[102:103], v[26:27], v[94:95]
	v_add_f64 v[104:105], v[24:25], v[92:93]
	v_cvt_f32_f64_e32 v104, v[104:105]
	v_cvt_f32_f64_e32 v102, v[102:103]
	v_min3_f32 v106, v104, v102, v182
	v_add_f64 v[102:103], v[22:23], v[90:91]
	v_add_f64 v[104:105], v[20:21], v[88:89]
	v_cvt_f32_f64_e32 v104, v[104:105]
	v_cvt_f32_f64_e32 v102, v[102:103]
	v_min_f32_e32 v107, v104, v102
	v_add_f64 v[102:103], v[18:19], v[90:91]
	v_add_f64 v[104:105], v[16:17], v[88:89]
	v_cvt_f32_f64_e32 v104, v[104:105]
	v_cvt_f32_f64_e32 v102, v[102:103]
	v_min3_f32 v100, v100, v107, v101
	v_min3_f32 v104, v104, v102, v106
	v_cvt_f64_f32_e32 v[100:101], v100
	v_lshl_add_u64 v[102:103], v[132:133], 3, v[96:97]
	flat_store_dwordx2 v[102:103], v[100:101]
	s_mov_b64 s[2:3], -1
	v_max_f32_e32 v101, v104, v104
	s_mov_b64 vcc, s[8:9]
	s_cbranch_vccz .LBB123_123
; %bb.122:
	v_min_f32_e32 v100, 0, v101
	v_cvt_f64_f32_e32 v[102:103], v100
	v_lshl_add_u64 v[104:105], v[146:147], 3, v[96:97]
	flat_store_dwordx2 v[104:105], v[102:103]
	s_mov_b64 s[2:3], 0
.LBB123_123:
	s_andn2_b64 vcc, exec, s[2:3]
	v_mov_b32_e32 v100, 0
	s_cbranch_vccnz .LBB123_125
; %bb.124:
	v_lshl_add_u64 v[102:103], v[98:99], 0, v[150:151]
	flat_load_dwordx2 v[102:103], v[102:103]
	v_lshl_add_u64 v[104:105], v[96:97], 0, v[150:151]
	v_lshl_add_u64 v[98:99], v[134:135], 3, v[98:99]
	s_waitcnt vmcnt(0) lgkmcnt(0)
	v_mul_f64 v[102:103], s[10:11], v[102:103]
	v_cvt_f32_f64_e32 v100, v[102:103]
	v_min_f32_e32 v100, v100, v101
	v_cvt_f64_f32_e32 v[100:101], v100
	flat_store_dwordx2 v[104:105], v[100:101]
	flat_load_dwordx2 v[98:99], v[98:99]
	s_waitcnt vmcnt(0) lgkmcnt(0)
	v_mul_f64 v[98:99], s[10:11], v[98:99]
	v_cvt_f32_f64_e32 v100, v[98:99]
.LBB123_125:
	v_add_f64 v[94:95], v[2:3], v[94:95]
	v_add_f64 v[92:93], v[0:1], v[92:93]
	v_cvt_f32_f64_e32 v92, v[92:93]
	v_cvt_f32_f64_e32 v93, v[94:95]
	v_add_f64 v[90:91], v[10:11], v[90:91]
	v_add_f64 v[88:89], v[8:9], v[88:89]
	v_min3_f32 v98, v92, v93, v181
	v_add_f64 v[92:93], v[70:71], v[86:87]
	v_add_f64 v[94:95], v[68:69], v[84:85]
	v_cvt_f32_f64_e32 v88, v[88:89]
	v_cvt_f32_f64_e32 v89, v[90:91]
	;; [unrolled: 1-line block ×4, first 2 shown]
	v_min_f32_e32 v93, v88, v89
	v_add_f64 v[88:89], v[66:67], v[82:83]
	v_add_f64 v[90:91], v[64:65], v[80:81]
	v_min3_f32 v92, v94, v92, v180
	v_cvt_f32_f64_e32 v90, v[90:91]
	v_cvt_f32_f64_e32 v88, v[88:89]
	v_min3_f32 v92, v90, v88, v92
	v_min3_f32 v88, v100, v93, v98
	v_cvt_f64_f32_e32 v[88:89], v88
	v_lshl_add_u64 v[90:91], v[134:135], 3, v[96:97]
	flat_store_dwordx2 v[90:91], v[88:89]
	v_add_u32_e32 v90, 0xa0, v159
	v_mad_i64_i32 v[88:89], s[2:3], v90, s5, 0
	v_mad_i64_i32 v[90:91], s[2:3], v90, s4, 0
	v_lshl_add_u64 v[88:89], v[88:89], 3, s[0:1]
	s_mov_b64 s[2:3], -1
	v_max_f32_e32 v93, v92, v92
	s_mov_b64 vcc, s[8:9]
	s_cbranch_vccz .LBB123_127
; %bb.126:
	v_min_f32_e32 v92, 0, v93
	v_cvt_f64_f32_e32 v[94:95], v92
	v_lshl_add_u64 v[96:97], v[136:137], 3, v[88:89]
	flat_store_dwordx2 v[96:97], v[94:95]
	s_mov_b64 s[2:3], 0
.LBB123_127:
	v_lshl_add_u64 v[90:91], v[90:91], 3, s[16:17]
	s_andn2_b64 vcc, exec, s[2:3]
	v_mov_b32_e32 v92, 0
	s_cbranch_vccnz .LBB123_129
; %bb.128:
	v_lshl_add_u64 v[94:95], v[90:91], 0, v[140:141]
	flat_load_dwordx2 v[94:95], v[94:95]
	v_lshl_add_u64 v[96:97], v[88:89], 0, v[140:141]
	s_waitcnt vmcnt(0) lgkmcnt(0)
	v_mul_f64 v[94:95], s[10:11], v[94:95]
	v_cvt_f32_f64_e32 v92, v[94:95]
	v_min_f32_e32 v92, v92, v93
	v_cvt_f64_f32_e32 v[92:93], v92
	flat_store_dwordx2 v[96:97], v[92:93]
	v_lshl_add_u64 v[92:93], v[128:129], 3, v[90:91]
	flat_load_dwordx2 v[92:93], v[92:93]
	s_waitcnt vmcnt(0) lgkmcnt(0)
	v_mul_f64 v[92:93], s[10:11], v[92:93]
	v_cvt_f32_f64_e32 v92, v[92:93]
.LBB123_129:
	v_add_f64 v[94:95], v[62:63], v[86:87]
	v_add_f64 v[96:97], v[60:61], v[84:85]
	v_cvt_f32_f64_e32 v93, v[96:97]
	v_cvt_f32_f64_e32 v94, v[94:95]
	v_min3_f32 v93, v93, v94, v179
	v_add_f64 v[94:95], v[58:59], v[86:87]
	v_add_f64 v[96:97], v[56:57], v[84:85]
	v_cvt_f32_f64_e32 v96, v[96:97]
	v_cvt_f32_f64_e32 v94, v[94:95]
	v_min3_f32 v98, v96, v94, v178
	v_add_f64 v[94:95], v[54:55], v[82:83]
	v_add_f64 v[96:97], v[52:53], v[80:81]
	v_cvt_f32_f64_e32 v96, v[96:97]
	v_cvt_f32_f64_e32 v94, v[94:95]
	v_min_f32_e32 v99, v96, v94
	v_add_f64 v[94:95], v[50:51], v[82:83]
	v_add_f64 v[96:97], v[48:49], v[80:81]
	v_cvt_f32_f64_e32 v96, v[96:97]
	v_cvt_f32_f64_e32 v94, v[94:95]
	v_min3_f32 v92, v92, v99, v93
	v_min3_f32 v96, v96, v94, v98
	v_cvt_f64_f32_e32 v[92:93], v92
	v_lshl_add_u64 v[94:95], v[128:129], 3, v[88:89]
	flat_store_dwordx2 v[94:95], v[92:93]
	s_mov_b64 s[2:3], -1
	v_max_f32_e32 v93, v96, v96
	s_mov_b64 vcc, s[8:9]
	s_cbranch_vccz .LBB123_131
; %bb.130:
	v_min_f32_e32 v92, 0, v93
	v_cvt_f64_f32_e32 v[94:95], v92
	v_lshl_add_u64 v[96:97], v[138:139], 3, v[88:89]
	flat_store_dwordx2 v[96:97], v[94:95]
	s_mov_b64 s[2:3], 0
.LBB123_131:
	s_andn2_b64 vcc, exec, s[2:3]
	v_mov_b32_e32 v92, 0
	s_cbranch_vccnz .LBB123_133
; %bb.132:
	v_lshl_add_u64 v[94:95], v[90:91], 0, v[144:145]
	flat_load_dwordx2 v[94:95], v[94:95]
	v_lshl_add_u64 v[96:97], v[88:89], 0, v[144:145]
	s_waitcnt vmcnt(0) lgkmcnt(0)
	v_mul_f64 v[94:95], s[10:11], v[94:95]
	v_cvt_f32_f64_e32 v92, v[94:95]
	v_min_f32_e32 v92, v92, v93
	v_cvt_f64_f32_e32 v[92:93], v92
	flat_store_dwordx2 v[96:97], v[92:93]
	v_lshl_add_u64 v[92:93], v[130:131], 3, v[90:91]
	flat_load_dwordx2 v[92:93], v[92:93]
	s_waitcnt vmcnt(0) lgkmcnt(0)
	v_mul_f64 v[92:93], s[10:11], v[92:93]
	v_cvt_f32_f64_e32 v92, v[92:93]
.LBB123_133:
	v_add_f64 v[94:95], v[46:47], v[86:87]
	v_add_f64 v[96:97], v[44:45], v[84:85]
	v_cvt_f32_f64_e32 v93, v[96:97]
	v_cvt_f32_f64_e32 v94, v[94:95]
	v_min3_f32 v93, v93, v94, v177
	v_add_f64 v[94:95], v[42:43], v[86:87]
	v_add_f64 v[96:97], v[40:41], v[84:85]
	v_cvt_f32_f64_e32 v96, v[96:97]
	v_cvt_f32_f64_e32 v94, v[94:95]
	v_min3_f32 v98, v96, v94, v176
	v_add_f64 v[94:95], v[38:39], v[82:83]
	v_add_f64 v[96:97], v[36:37], v[80:81]
	v_cvt_f32_f64_e32 v96, v[96:97]
	v_cvt_f32_f64_e32 v94, v[94:95]
	v_min_f32_e32 v99, v96, v94
	v_add_f64 v[94:95], v[34:35], v[82:83]
	v_add_f64 v[96:97], v[32:33], v[80:81]
	v_cvt_f32_f64_e32 v96, v[96:97]
	v_cvt_f32_f64_e32 v94, v[94:95]
	v_min3_f32 v92, v92, v99, v93
	v_min3_f32 v96, v96, v94, v98
	v_cvt_f64_f32_e32 v[92:93], v92
	v_lshl_add_u64 v[94:95], v[130:131], 3, v[88:89]
	flat_store_dwordx2 v[94:95], v[92:93]
	s_mov_b64 s[2:3], -1
	v_max_f32_e32 v93, v96, v96
	s_mov_b64 vcc, s[8:9]
	s_cbranch_vccz .LBB123_135
; %bb.134:
	v_min_f32_e32 v92, 0, v93
	v_cvt_f64_f32_e32 v[94:95], v92
	v_lshl_add_u64 v[96:97], v[142:143], 3, v[88:89]
	flat_store_dwordx2 v[96:97], v[94:95]
	s_mov_b64 s[2:3], 0
.LBB123_135:
	;; [unrolled: 54-line block ×3, first 2 shown]
	s_andn2_b64 vcc, exec, s[2:3]
	v_mov_b32_e32 v92, 0
	s_cbranch_vccnz .LBB123_141
; %bb.140:
	v_lshl_add_u64 v[94:95], v[90:91], 0, v[150:151]
	flat_load_dwordx2 v[94:95], v[94:95]
	v_lshl_add_u64 v[96:97], v[88:89], 0, v[150:151]
	v_lshl_add_u64 v[90:91], v[134:135], 3, v[90:91]
	s_waitcnt vmcnt(0) lgkmcnt(0)
	v_mul_f64 v[94:95], s[10:11], v[94:95]
	v_cvt_f32_f64_e32 v92, v[94:95]
	v_min_f32_e32 v92, v92, v93
	v_cvt_f64_f32_e32 v[92:93], v92
	flat_store_dwordx2 v[96:97], v[92:93]
	flat_load_dwordx2 v[90:91], v[90:91]
	s_waitcnt vmcnt(0) lgkmcnt(0)
	v_mul_f64 v[90:91], s[10:11], v[90:91]
	v_cvt_f32_f64_e32 v92, v[90:91]
.LBB123_141:
	v_add_f64 v[86:87], v[2:3], v[86:87]
	v_add_f64 v[84:85], v[0:1], v[84:85]
	v_cvt_f32_f64_e32 v84, v[84:85]
	v_cvt_f32_f64_e32 v85, v[86:87]
	v_add_f64 v[82:83], v[10:11], v[82:83]
	v_add_f64 v[80:81], v[8:9], v[80:81]
	v_min3_f32 v90, v84, v85, v173
	v_add_f64 v[84:85], v[70:71], v[78:79]
	v_add_f64 v[86:87], v[68:69], v[76:77]
	v_cvt_f32_f64_e32 v80, v[80:81]
	v_cvt_f32_f64_e32 v81, v[82:83]
	;; [unrolled: 1-line block ×4, first 2 shown]
	v_min_f32_e32 v85, v80, v81
	v_add_f64 v[80:81], v[66:67], v[74:75]
	v_add_f64 v[82:83], v[64:65], v[72:73]
	v_min3_f32 v84, v86, v84, v172
	v_cvt_f32_f64_e32 v82, v[82:83]
	v_cvt_f32_f64_e32 v80, v[80:81]
	v_min3_f32 v84, v82, v80, v84
	v_min3_f32 v80, v92, v85, v90
	v_cvt_f64_f32_e32 v[80:81], v80
	v_lshl_add_u64 v[82:83], v[134:135], 3, v[88:89]
	flat_store_dwordx2 v[82:83], v[80:81]
	v_add_u32_e32 v82, 0xc0, v159
	v_mad_i64_i32 v[80:81], s[2:3], v82, s5, 0
	v_mad_i64_i32 v[82:83], s[2:3], v82, s4, 0
	v_lshl_add_u64 v[80:81], v[80:81], 3, s[0:1]
	s_mov_b64 s[2:3], -1
	v_max_f32_e32 v85, v84, v84
	s_mov_b64 vcc, s[8:9]
	s_cbranch_vccz .LBB123_143
; %bb.142:
	v_min_f32_e32 v84, 0, v85
	v_cvt_f64_f32_e32 v[86:87], v84
	v_lshl_add_u64 v[88:89], v[136:137], 3, v[80:81]
	flat_store_dwordx2 v[88:89], v[86:87]
	s_mov_b64 s[2:3], 0
.LBB123_143:
	v_lshl_add_u64 v[82:83], v[82:83], 3, s[16:17]
	s_andn2_b64 vcc, exec, s[2:3]
	v_mov_b32_e32 v84, 0
	s_cbranch_vccnz .LBB123_145
; %bb.144:
	v_lshl_add_u64 v[86:87], v[82:83], 0, v[140:141]
	flat_load_dwordx2 v[86:87], v[86:87]
	v_lshl_add_u64 v[88:89], v[80:81], 0, v[140:141]
	s_waitcnt vmcnt(0) lgkmcnt(0)
	v_mul_f64 v[86:87], s[10:11], v[86:87]
	v_cvt_f32_f64_e32 v84, v[86:87]
	v_min_f32_e32 v84, v84, v85
	v_cvt_f64_f32_e32 v[84:85], v84
	flat_store_dwordx2 v[88:89], v[84:85]
	v_lshl_add_u64 v[84:85], v[128:129], 3, v[82:83]
	flat_load_dwordx2 v[84:85], v[84:85]
	s_waitcnt vmcnt(0) lgkmcnt(0)
	v_mul_f64 v[84:85], s[10:11], v[84:85]
	v_cvt_f32_f64_e32 v84, v[84:85]
.LBB123_145:
	v_add_f64 v[86:87], v[62:63], v[78:79]
	v_add_f64 v[88:89], v[60:61], v[76:77]
	v_cvt_f32_f64_e32 v85, v[88:89]
	v_cvt_f32_f64_e32 v86, v[86:87]
	v_min3_f32 v85, v85, v86, v171
	v_add_f64 v[86:87], v[58:59], v[78:79]
	v_add_f64 v[88:89], v[56:57], v[76:77]
	v_cvt_f32_f64_e32 v88, v[88:89]
	v_cvt_f32_f64_e32 v86, v[86:87]
	v_min3_f32 v90, v88, v86, v170
	v_add_f64 v[86:87], v[54:55], v[74:75]
	v_add_f64 v[88:89], v[52:53], v[72:73]
	v_cvt_f32_f64_e32 v88, v[88:89]
	v_cvt_f32_f64_e32 v86, v[86:87]
	v_min_f32_e32 v91, v88, v86
	v_add_f64 v[86:87], v[50:51], v[74:75]
	v_add_f64 v[88:89], v[48:49], v[72:73]
	v_cvt_f32_f64_e32 v88, v[88:89]
	v_cvt_f32_f64_e32 v86, v[86:87]
	v_min3_f32 v84, v84, v91, v85
	v_min3_f32 v88, v88, v86, v90
	v_cvt_f64_f32_e32 v[84:85], v84
	v_lshl_add_u64 v[86:87], v[128:129], 3, v[80:81]
	flat_store_dwordx2 v[86:87], v[84:85]
	s_mov_b64 s[2:3], -1
	v_max_f32_e32 v85, v88, v88
	s_mov_b64 vcc, s[8:9]
	s_cbranch_vccz .LBB123_147
; %bb.146:
	v_min_f32_e32 v84, 0, v85
	v_cvt_f64_f32_e32 v[86:87], v84
	v_lshl_add_u64 v[88:89], v[138:139], 3, v[80:81]
	flat_store_dwordx2 v[88:89], v[86:87]
	s_mov_b64 s[2:3], 0
.LBB123_147:
	s_andn2_b64 vcc, exec, s[2:3]
	v_mov_b32_e32 v84, 0
	s_cbranch_vccnz .LBB123_149
; %bb.148:
	v_lshl_add_u64 v[86:87], v[82:83], 0, v[144:145]
	flat_load_dwordx2 v[86:87], v[86:87]
	v_lshl_add_u64 v[88:89], v[80:81], 0, v[144:145]
	s_waitcnt vmcnt(0) lgkmcnt(0)
	v_mul_f64 v[86:87], s[10:11], v[86:87]
	v_cvt_f32_f64_e32 v84, v[86:87]
	v_min_f32_e32 v84, v84, v85
	v_cvt_f64_f32_e32 v[84:85], v84
	flat_store_dwordx2 v[88:89], v[84:85]
	v_lshl_add_u64 v[84:85], v[130:131], 3, v[82:83]
	flat_load_dwordx2 v[84:85], v[84:85]
	s_waitcnt vmcnt(0) lgkmcnt(0)
	v_mul_f64 v[84:85], s[10:11], v[84:85]
	v_cvt_f32_f64_e32 v84, v[84:85]
.LBB123_149:
	v_add_f64 v[86:87], v[46:47], v[78:79]
	v_add_f64 v[88:89], v[44:45], v[76:77]
	v_cvt_f32_f64_e32 v85, v[88:89]
	v_cvt_f32_f64_e32 v86, v[86:87]
	v_min3_f32 v85, v85, v86, v169
	v_add_f64 v[86:87], v[42:43], v[78:79]
	v_add_f64 v[88:89], v[40:41], v[76:77]
	v_cvt_f32_f64_e32 v88, v[88:89]
	v_cvt_f32_f64_e32 v86, v[86:87]
	v_min3_f32 v90, v88, v86, v168
	v_add_f64 v[86:87], v[38:39], v[74:75]
	v_add_f64 v[88:89], v[36:37], v[72:73]
	v_cvt_f32_f64_e32 v88, v[88:89]
	v_cvt_f32_f64_e32 v86, v[86:87]
	v_min_f32_e32 v91, v88, v86
	v_add_f64 v[86:87], v[34:35], v[74:75]
	v_add_f64 v[88:89], v[32:33], v[72:73]
	v_cvt_f32_f64_e32 v88, v[88:89]
	v_cvt_f32_f64_e32 v86, v[86:87]
	v_min3_f32 v84, v84, v91, v85
	v_min3_f32 v88, v88, v86, v90
	v_cvt_f64_f32_e32 v[84:85], v84
	v_lshl_add_u64 v[86:87], v[130:131], 3, v[80:81]
	flat_store_dwordx2 v[86:87], v[84:85]
	s_mov_b64 s[2:3], -1
	v_max_f32_e32 v85, v88, v88
	s_mov_b64 vcc, s[8:9]
	s_cbranch_vccz .LBB123_151
; %bb.150:
	v_min_f32_e32 v84, 0, v85
	v_cvt_f64_f32_e32 v[86:87], v84
	v_lshl_add_u64 v[88:89], v[142:143], 3, v[80:81]
	flat_store_dwordx2 v[88:89], v[86:87]
	s_mov_b64 s[2:3], 0
.LBB123_151:
	;; [unrolled: 54-line block ×3, first 2 shown]
	s_andn2_b64 vcc, exec, s[2:3]
	v_mov_b32_e32 v84, 0
	s_cbranch_vccnz .LBB123_157
; %bb.156:
	v_lshl_add_u64 v[86:87], v[82:83], 0, v[150:151]
	flat_load_dwordx2 v[86:87], v[86:87]
	v_lshl_add_u64 v[88:89], v[80:81], 0, v[150:151]
	v_lshl_add_u64 v[82:83], v[134:135], 3, v[82:83]
	s_waitcnt vmcnt(0) lgkmcnt(0)
	v_mul_f64 v[86:87], s[10:11], v[86:87]
	v_cvt_f32_f64_e32 v84, v[86:87]
	v_min_f32_e32 v84, v84, v85
	v_cvt_f64_f32_e32 v[84:85], v84
	flat_store_dwordx2 v[88:89], v[84:85]
	flat_load_dwordx2 v[82:83], v[82:83]
	s_waitcnt vmcnt(0) lgkmcnt(0)
	v_mul_f64 v[82:83], s[10:11], v[82:83]
	v_cvt_f32_f64_e32 v84, v[82:83]
.LBB123_157:
	v_add_f64 v[78:79], v[2:3], v[78:79]
	v_add_f64 v[76:77], v[0:1], v[76:77]
	;; [unrolled: 1-line block ×4, first 2 shown]
	v_cvt_f32_f64_e32 v76, v[76:77]
	v_cvt_f32_f64_e32 v77, v[78:79]
	;; [unrolled: 1-line block ×4, first 2 shown]
	v_min3_f32 v76, v76, v77, v165
	v_min3_f32 v77, v68, v69, v164
	v_add_f64 v[68:69], v[10:11], v[74:75]
	v_add_f64 v[70:71], v[8:9], v[72:73]
	v_cvt_f32_f64_e32 v70, v[70:71]
	v_cvt_f32_f64_e32 v68, v[68:69]
	v_add_f64 v[66:67], v[66:67], v[14:15]
	v_add_f64 v[64:65], v[64:65], v[12:13]
	v_min_f32_e32 v68, v70, v68
	v_cvt_f32_f64_e32 v64, v[64:65]
	v_cvt_f32_f64_e32 v65, v[66:67]
	v_min3_f32 v69, v64, v65, v77
	v_min3_f32 v64, v84, v68, v76
	v_cvt_f64_f32_e32 v[64:65], v64
	v_lshl_add_u64 v[66:67], v[134:135], 3, v[80:81]
	flat_store_dwordx2 v[66:67], v[64:65]
	v_add_u32_e32 v66, 0xe0, v159
	v_mad_i64_i32 v[64:65], s[2:3], v66, s5, 0
	v_lshl_add_u64 v[64:65], v[64:65], 3, s[0:1]
	v_mad_i64_i32 v[66:67], s[0:1], v66, s4, 0
	s_mov_b64 s[0:1], -1
	v_max_f32_e32 v69, v69, v69
	s_mov_b64 vcc, s[8:9]
	s_cbranch_vccz .LBB123_159
; %bb.158:
	v_min_f32_e32 v68, 0, v69
	v_cvt_f64_f32_e32 v[70:71], v68
	v_lshl_add_u64 v[72:73], v[136:137], 3, v[64:65]
	flat_store_dwordx2 v[72:73], v[70:71]
	s_mov_b64 s[0:1], 0
.LBB123_159:
	v_lshl_add_u64 v[66:67], v[66:67], 3, s[16:17]
	s_andn2_b64 vcc, exec, s[0:1]
	v_mov_b32_e32 v68, 0
	s_cbranch_vccnz .LBB123_161
; %bb.160:
	v_lshl_add_u64 v[70:71], v[66:67], 0, v[140:141]
	flat_load_dwordx2 v[70:71], v[70:71]
	v_lshl_add_u64 v[72:73], v[64:65], 0, v[140:141]
	s_waitcnt vmcnt(0) lgkmcnt(0)
	v_mul_f64 v[70:71], s[10:11], v[70:71]
	v_cvt_f32_f64_e32 v68, v[70:71]
	v_min_f32_e32 v68, v68, v69
	v_cvt_f64_f32_e32 v[68:69], v68
	flat_store_dwordx2 v[72:73], v[68:69]
	v_lshl_add_u64 v[68:69], v[128:129], 3, v[66:67]
	flat_load_dwordx2 v[68:69], v[68:69]
	s_waitcnt vmcnt(0) lgkmcnt(0)
	v_mul_f64 v[68:69], s[10:11], v[68:69]
	v_cvt_f32_f64_e32 v68, v[68:69]
.LBB123_161:
	v_add_f64 v[62:63], v[62:63], v[6:7]
	v_add_f64 v[60:61], v[60:61], v[4:5]
	v_add_f64 v[58:59], v[58:59], v[6:7]
	v_add_f64 v[56:57], v[56:57], v[4:5]
	v_add_f64 v[54:55], v[54:55], v[14:15]
	v_add_f64 v[52:53], v[52:53], v[12:13]
	v_cvt_f32_f64_e32 v60, v[60:61]
	v_cvt_f32_f64_e32 v61, v[62:63]
	v_cvt_f32_f64_e32 v56, v[56:57]
	v_cvt_f32_f64_e32 v57, v[58:59]
	v_cvt_f32_f64_e32 v52, v[52:53]
	v_cvt_f32_f64_e32 v53, v[54:55]
	v_add_f64 v[50:51], v[50:51], v[14:15]
	v_add_f64 v[48:49], v[48:49], v[12:13]
	v_min3_f32 v60, v60, v61, v163
	v_min3_f32 v56, v56, v57, v162
	v_min_f32_e32 v52, v52, v53
	v_cvt_f32_f64_e32 v48, v[48:49]
	v_cvt_f32_f64_e32 v49, v[50:51]
	v_min3_f32 v53, v48, v49, v56
	v_min3_f32 v48, v68, v52, v60
	v_cvt_f64_f32_e32 v[48:49], v48
	v_lshl_add_u64 v[50:51], v[128:129], 3, v[64:65]
	flat_store_dwordx2 v[50:51], v[48:49]
	s_mov_b64 s[0:1], -1
	v_max_f32_e32 v49, v53, v53
	s_mov_b64 vcc, s[8:9]
	s_cbranch_vccz .LBB123_163
; %bb.162:
	v_min_f32_e32 v48, 0, v49
	v_cvt_f64_f32_e32 v[50:51], v48
	v_lshl_add_u64 v[52:53], v[138:139], 3, v[64:65]
	flat_store_dwordx2 v[52:53], v[50:51]
	s_mov_b64 s[0:1], 0
.LBB123_163:
	s_andn2_b64 vcc, exec, s[0:1]
	v_mov_b32_e32 v48, 0
	s_cbranch_vccnz .LBB123_165
; %bb.164:
	v_lshl_add_u64 v[50:51], v[66:67], 0, v[144:145]
	flat_load_dwordx2 v[50:51], v[50:51]
	v_lshl_add_u64 v[52:53], v[64:65], 0, v[144:145]
	s_waitcnt vmcnt(0) lgkmcnt(0)
	v_mul_f64 v[50:51], s[10:11], v[50:51]
	v_cvt_f32_f64_e32 v48, v[50:51]
	v_min_f32_e32 v48, v48, v49
	v_cvt_f64_f32_e32 v[48:49], v48
	flat_store_dwordx2 v[52:53], v[48:49]
	v_lshl_add_u64 v[48:49], v[130:131], 3, v[66:67]
	flat_load_dwordx2 v[48:49], v[48:49]
	s_waitcnt vmcnt(0) lgkmcnt(0)
	v_mul_f64 v[48:49], s[10:11], v[48:49]
	v_cvt_f32_f64_e32 v48, v[48:49]
.LBB123_165:
	v_add_f64 v[46:47], v[46:47], v[6:7]
	v_add_f64 v[44:45], v[44:45], v[4:5]
	v_add_f64 v[42:43], v[42:43], v[6:7]
	v_add_f64 v[40:41], v[40:41], v[4:5]
	v_add_f64 v[38:39], v[38:39], v[14:15]
	v_add_f64 v[36:37], v[36:37], v[12:13]
	v_cvt_f32_f64_e32 v44, v[44:45]
	v_cvt_f32_f64_e32 v45, v[46:47]
	v_cvt_f32_f64_e32 v40, v[40:41]
	v_cvt_f32_f64_e32 v41, v[42:43]
	v_cvt_f32_f64_e32 v36, v[36:37]
	v_cvt_f32_f64_e32 v37, v[38:39]
	v_add_f64 v[34:35], v[34:35], v[14:15]
	v_add_f64 v[32:33], v[32:33], v[12:13]
	v_min3_f32 v44, v44, v45, v161
	v_min3_f32 v40, v40, v41, v160
	v_min_f32_e32 v36, v36, v37
	v_cvt_f32_f64_e32 v32, v[32:33]
	v_cvt_f32_f64_e32 v33, v[34:35]
	v_min3_f32 v37, v32, v33, v40
	v_min3_f32 v32, v48, v36, v44
	v_cvt_f64_f32_e32 v[32:33], v32
	v_lshl_add_u64 v[34:35], v[130:131], 3, v[64:65]
	flat_store_dwordx2 v[34:35], v[32:33]
	s_mov_b64 s[0:1], -1
	v_max_f32_e32 v33, v37, v37
	s_mov_b64 vcc, s[8:9]
	s_cbranch_vccz .LBB123_167
; %bb.166:
	v_min_f32_e32 v32, 0, v33
	v_cvt_f64_f32_e32 v[34:35], v32
	v_lshl_add_u64 v[36:37], v[142:143], 3, v[64:65]
	flat_store_dwordx2 v[36:37], v[34:35]
	s_mov_b64 s[0:1], 0
.LBB123_167:
	;; [unrolled: 54-line block ×3, first 2 shown]
	s_andn2_b64 vcc, exec, s[0:1]
	v_mov_b32_e32 v16, 0
	s_cbranch_vccnz .LBB123_173
; %bb.172:
	v_lshl_add_u64 v[18:19], v[66:67], 0, v[150:151]
	flat_load_dwordx2 v[18:19], v[18:19]
	v_lshl_add_u64 v[20:21], v[64:65], 0, v[150:151]
	s_waitcnt vmcnt(0) lgkmcnt(0)
	v_mul_f64 v[18:19], s[10:11], v[18:19]
	v_cvt_f32_f64_e32 v16, v[18:19]
	v_min_f32_e32 v16, v16, v17
	v_cvt_f64_f32_e32 v[16:17], v16
	flat_store_dwordx2 v[20:21], v[16:17]
	v_lshl_add_u64 v[16:17], v[134:135], 3, v[66:67]
	flat_load_dwordx2 v[16:17], v[16:17]
	s_waitcnt vmcnt(0) lgkmcnt(0)
	v_mul_f64 v[16:17], s[10:11], v[16:17]
	v_cvt_f32_f64_e32 v16, v[16:17]
.LBB123_173:
	v_add_f64 v[10:11], v[10:11], v[14:15]
	v_add_f64 v[8:9], v[8:9], v[12:13]
	;; [unrolled: 1-line block ×4, first 2 shown]
	v_cvt_f32_f64_e32 v8, v[8:9]
	v_cvt_f32_f64_e32 v9, v[10:11]
	;; [unrolled: 1-line block ×4, first 2 shown]
	v_min_f32_e32 v8, v8, v9
	v_min3_f32 v0, v0, v1, v156
	v_min3_f32 v0, v16, v8, v0
	v_cvt_f64_f32_e32 v[0:1], v0
	v_lshl_add_u64 v[2:3], v[134:135], 3, v[64:65]
	flat_store_dwordx2 v[2:3], v[0:1]
	s_endpgm
	.section	.rodata,"a",@progbits
	.p2align	6, 0x0
	.amdhsa_kernel _ZN12_GLOBAL__N_120geam_min_plus_kernelId15HIP_vector_typeIdLj2EEdLi8ELi32ELi64ELi256ELi4ELi4ELi64ELi64ELi4ELc84ELc84ELb0ELb0ELb1EPKdKS4_KPdEEviiiT16_PT17_ilSA_ilS8_SA_ilPT18_ili26rocblas_geam_ex_operation_
		.amdhsa_group_segment_fixed_size 20480
		.amdhsa_private_segment_fixed_size 0
		.amdhsa_kernarg_size 136
		.amdhsa_user_sgpr_count 2
		.amdhsa_user_sgpr_dispatch_ptr 0
		.amdhsa_user_sgpr_queue_ptr 0
		.amdhsa_user_sgpr_kernarg_segment_ptr 1
		.amdhsa_user_sgpr_dispatch_id 0
		.amdhsa_user_sgpr_kernarg_preload_length 0
		.amdhsa_user_sgpr_kernarg_preload_offset 0
		.amdhsa_user_sgpr_private_segment_size 0
		.amdhsa_uses_dynamic_stack 0
		.amdhsa_enable_private_segment 0
		.amdhsa_system_sgpr_workgroup_id_x 1
		.amdhsa_system_sgpr_workgroup_id_y 0
		.amdhsa_system_sgpr_workgroup_id_z 1
		.amdhsa_system_sgpr_workgroup_info 0
		.amdhsa_system_vgpr_workitem_id 1
		.amdhsa_next_free_vgpr 230
		.amdhsa_next_free_sgpr 30
		.amdhsa_accum_offset 232
		.amdhsa_reserve_vcc 1
		.amdhsa_float_round_mode_32 0
		.amdhsa_float_round_mode_16_64 0
		.amdhsa_float_denorm_mode_32 3
		.amdhsa_float_denorm_mode_16_64 3
		.amdhsa_dx10_clamp 1
		.amdhsa_ieee_mode 1
		.amdhsa_fp16_overflow 0
		.amdhsa_tg_split 0
		.amdhsa_exception_fp_ieee_invalid_op 0
		.amdhsa_exception_fp_denorm_src 0
		.amdhsa_exception_fp_ieee_div_zero 0
		.amdhsa_exception_fp_ieee_overflow 0
		.amdhsa_exception_fp_ieee_underflow 0
		.amdhsa_exception_fp_ieee_inexact 0
		.amdhsa_exception_int_div_zero 0
	.end_amdhsa_kernel
	.section	.text._ZN12_GLOBAL__N_120geam_min_plus_kernelId15HIP_vector_typeIdLj2EEdLi8ELi32ELi64ELi256ELi4ELi4ELi64ELi64ELi4ELc84ELc84ELb0ELb0ELb1EPKdKS4_KPdEEviiiT16_PT17_ilSA_ilS8_SA_ilPT18_ili26rocblas_geam_ex_operation_,"axG",@progbits,_ZN12_GLOBAL__N_120geam_min_plus_kernelId15HIP_vector_typeIdLj2EEdLi8ELi32ELi64ELi256ELi4ELi4ELi64ELi64ELi4ELc84ELc84ELb0ELb0ELb1EPKdKS4_KPdEEviiiT16_PT17_ilSA_ilS8_SA_ilPT18_ili26rocblas_geam_ex_operation_,comdat
.Lfunc_end123:
	.size	_ZN12_GLOBAL__N_120geam_min_plus_kernelId15HIP_vector_typeIdLj2EEdLi8ELi32ELi64ELi256ELi4ELi4ELi64ELi64ELi4ELc84ELc84ELb0ELb0ELb1EPKdKS4_KPdEEviiiT16_PT17_ilSA_ilS8_SA_ilPT18_ili26rocblas_geam_ex_operation_, .Lfunc_end123-_ZN12_GLOBAL__N_120geam_min_plus_kernelId15HIP_vector_typeIdLj2EEdLi8ELi32ELi64ELi256ELi4ELi4ELi64ELi64ELi4ELc84ELc84ELb0ELb0ELb1EPKdKS4_KPdEEviiiT16_PT17_ilSA_ilS8_SA_ilPT18_ili26rocblas_geam_ex_operation_
                                        ; -- End function
	.set _ZN12_GLOBAL__N_120geam_min_plus_kernelId15HIP_vector_typeIdLj2EEdLi8ELi32ELi64ELi256ELi4ELi4ELi64ELi64ELi4ELc84ELc84ELb0ELb0ELb1EPKdKS4_KPdEEviiiT16_PT17_ilSA_ilS8_SA_ilPT18_ili26rocblas_geam_ex_operation_.num_vgpr, 230
	.set _ZN12_GLOBAL__N_120geam_min_plus_kernelId15HIP_vector_typeIdLj2EEdLi8ELi32ELi64ELi256ELi4ELi4ELi64ELi64ELi4ELc84ELc84ELb0ELb0ELb1EPKdKS4_KPdEEviiiT16_PT17_ilSA_ilS8_SA_ilPT18_ili26rocblas_geam_ex_operation_.num_agpr, 0
	.set _ZN12_GLOBAL__N_120geam_min_plus_kernelId15HIP_vector_typeIdLj2EEdLi8ELi32ELi64ELi256ELi4ELi4ELi64ELi64ELi4ELc84ELc84ELb0ELb0ELb1EPKdKS4_KPdEEviiiT16_PT17_ilSA_ilS8_SA_ilPT18_ili26rocblas_geam_ex_operation_.numbered_sgpr, 30
	.set _ZN12_GLOBAL__N_120geam_min_plus_kernelId15HIP_vector_typeIdLj2EEdLi8ELi32ELi64ELi256ELi4ELi4ELi64ELi64ELi4ELc84ELc84ELb0ELb0ELb1EPKdKS4_KPdEEviiiT16_PT17_ilSA_ilS8_SA_ilPT18_ili26rocblas_geam_ex_operation_.num_named_barrier, 0
	.set _ZN12_GLOBAL__N_120geam_min_plus_kernelId15HIP_vector_typeIdLj2EEdLi8ELi32ELi64ELi256ELi4ELi4ELi64ELi64ELi4ELc84ELc84ELb0ELb0ELb1EPKdKS4_KPdEEviiiT16_PT17_ilSA_ilS8_SA_ilPT18_ili26rocblas_geam_ex_operation_.private_seg_size, 0
	.set _ZN12_GLOBAL__N_120geam_min_plus_kernelId15HIP_vector_typeIdLj2EEdLi8ELi32ELi64ELi256ELi4ELi4ELi64ELi64ELi4ELc84ELc84ELb0ELb0ELb1EPKdKS4_KPdEEviiiT16_PT17_ilSA_ilS8_SA_ilPT18_ili26rocblas_geam_ex_operation_.uses_vcc, 1
	.set _ZN12_GLOBAL__N_120geam_min_plus_kernelId15HIP_vector_typeIdLj2EEdLi8ELi32ELi64ELi256ELi4ELi4ELi64ELi64ELi4ELc84ELc84ELb0ELb0ELb1EPKdKS4_KPdEEviiiT16_PT17_ilSA_ilS8_SA_ilPT18_ili26rocblas_geam_ex_operation_.uses_flat_scratch, 0
	.set _ZN12_GLOBAL__N_120geam_min_plus_kernelId15HIP_vector_typeIdLj2EEdLi8ELi32ELi64ELi256ELi4ELi4ELi64ELi64ELi4ELc84ELc84ELb0ELb0ELb1EPKdKS4_KPdEEviiiT16_PT17_ilSA_ilS8_SA_ilPT18_ili26rocblas_geam_ex_operation_.has_dyn_sized_stack, 0
	.set _ZN12_GLOBAL__N_120geam_min_plus_kernelId15HIP_vector_typeIdLj2EEdLi8ELi32ELi64ELi256ELi4ELi4ELi64ELi64ELi4ELc84ELc84ELb0ELb0ELb1EPKdKS4_KPdEEviiiT16_PT17_ilSA_ilS8_SA_ilPT18_ili26rocblas_geam_ex_operation_.has_recursion, 0
	.set _ZN12_GLOBAL__N_120geam_min_plus_kernelId15HIP_vector_typeIdLj2EEdLi8ELi32ELi64ELi256ELi4ELi4ELi64ELi64ELi4ELc84ELc84ELb0ELb0ELb1EPKdKS4_KPdEEviiiT16_PT17_ilSA_ilS8_SA_ilPT18_ili26rocblas_geam_ex_operation_.has_indirect_call, 0
	.section	.AMDGPU.csdata,"",@progbits
; Kernel info:
; codeLenInByte = 25188
; TotalNumSgprs: 36
; NumVgprs: 230
; NumAgprs: 0
; TotalNumVgprs: 230
; ScratchSize: 0
; MemoryBound: 1
; FloatMode: 240
; IeeeMode: 1
; LDSByteSize: 20480 bytes/workgroup (compile time only)
; SGPRBlocks: 4
; VGPRBlocks: 28
; NumSGPRsForWavesPerEU: 36
; NumVGPRsForWavesPerEU: 230
; AccumOffset: 232
; Occupancy: 2
; WaveLimiterHint : 1
; COMPUTE_PGM_RSRC2:SCRATCH_EN: 0
; COMPUTE_PGM_RSRC2:USER_SGPR: 2
; COMPUTE_PGM_RSRC2:TRAP_HANDLER: 0
; COMPUTE_PGM_RSRC2:TGID_X_EN: 1
; COMPUTE_PGM_RSRC2:TGID_Y_EN: 0
; COMPUTE_PGM_RSRC2:TGID_Z_EN: 1
; COMPUTE_PGM_RSRC2:TIDIG_COMP_CNT: 1
; COMPUTE_PGM_RSRC3_GFX90A:ACCUM_OFFSET: 57
; COMPUTE_PGM_RSRC3_GFX90A:TG_SPLIT: 0
	.section	.text._ZN12_GLOBAL__N_120geam_min_plus_kernelId15HIP_vector_typeIdLj2EEdLi8ELi32ELi64ELi256ELi4ELi4ELi64ELi64ELi4ELc84ELc84ELb1ELb0ELb1EdKPKdKPdEEviiiT16_PT17_ilSA_ilS8_SA_ilPT18_ili26rocblas_geam_ex_operation_,"axG",@progbits,_ZN12_GLOBAL__N_120geam_min_plus_kernelId15HIP_vector_typeIdLj2EEdLi8ELi32ELi64ELi256ELi4ELi4ELi64ELi64ELi4ELc84ELc84ELb1ELb0ELb1EdKPKdKPdEEviiiT16_PT17_ilSA_ilS8_SA_ilPT18_ili26rocblas_geam_ex_operation_,comdat
	.globl	_ZN12_GLOBAL__N_120geam_min_plus_kernelId15HIP_vector_typeIdLj2EEdLi8ELi32ELi64ELi256ELi4ELi4ELi64ELi64ELi4ELc84ELc84ELb1ELb0ELb1EdKPKdKPdEEviiiT16_PT17_ilSA_ilS8_SA_ilPT18_ili26rocblas_geam_ex_operation_ ; -- Begin function _ZN12_GLOBAL__N_120geam_min_plus_kernelId15HIP_vector_typeIdLj2EEdLi8ELi32ELi64ELi256ELi4ELi4ELi64ELi64ELi4ELc84ELc84ELb1ELb0ELb1EdKPKdKPdEEviiiT16_PT17_ilSA_ilS8_SA_ilPT18_ili26rocblas_geam_ex_operation_
	.p2align	8
	.type	_ZN12_GLOBAL__N_120geam_min_plus_kernelId15HIP_vector_typeIdLj2EEdLi8ELi32ELi64ELi256ELi4ELi4ELi64ELi64ELi4ELc84ELc84ELb1ELb0ELb1EdKPKdKPdEEviiiT16_PT17_ilSA_ilS8_SA_ilPT18_ili26rocblas_geam_ex_operation_,@function
_ZN12_GLOBAL__N_120geam_min_plus_kernelId15HIP_vector_typeIdLj2EEdLi8ELi32ELi64ELi256ELi4ELi4ELi64ELi64ELi4ELc84ELc84ELb1ELb0ELb1EdKPKdKPdEEviiiT16_PT17_ilSA_ilS8_SA_ilPT18_ili26rocblas_geam_ex_operation_: ; @_ZN12_GLOBAL__N_120geam_min_plus_kernelId15HIP_vector_typeIdLj2EEdLi8ELi32ELi64ELi256ELi4ELi4ELi64ELi64ELi4ELc84ELc84ELb1ELb0ELb1EdKPKdKPdEEviiiT16_PT17_ilSA_ilS8_SA_ilPT18_ili26rocblas_geam_ex_operation_
; %bb.0:
	s_load_dwordx4 s[4:7], s[0:1], 0x10
	s_load_dwordx4 s[8:11], s[0:1], 0x28
	s_mov_b32 s18, s3
	s_mov_b64 s[14:15], 0
	s_waitcnt lgkmcnt(0)
	v_cmp_eq_f64_e64 s[12:13], s[4:5], 0
	s_and_b64 vcc, exec, s[12:13]
	s_cbranch_vccnz .LBB124_2
; %bb.1:
	s_mov_b32 s19, 0
	s_lshl_b64 s[4:5], s[18:19], 3
	s_add_u32 s4, s6, s4
	s_addc_u32 s5, s7, s5
	s_load_dwordx2 s[4:5], s[4:5], 0x0
	s_lshl_b64 s[6:7], s[8:9], 3
	s_waitcnt lgkmcnt(0)
	s_add_u32 s14, s4, s6
	s_addc_u32 s15, s5, s7
.LBB124_2:
	s_load_dwordx4 s[4:7], s[0:1], 0x40
	s_load_dwordx2 s[20:21], s[0:1], 0x50
	s_andn2_b64 vcc, exec, s[12:13]
	s_mov_b32 s19, 0
	s_cbranch_vccnz .LBB124_4
; %bb.3:
	s_mov_b64 s[12:13], 0
	s_mov_b64 s[16:17], 0
	s_cbranch_execz .LBB124_5
	s_branch .LBB124_6
.LBB124_4:
	s_mov_b64 s[12:13], 0
	s_mov_b64 s[16:17], 0
.LBB124_5:
	s_lshl_b64 s[8:9], s[18:19], 3
	s_add_u32 s8, s10, s8
	s_addc_u32 s9, s11, s9
	s_load_dwordx2 s[8:9], s[8:9], 0x0
	s_waitcnt lgkmcnt(0)
	s_lshl_b64 s[4:5], s[4:5], 3
	s_add_u32 s16, s8, s4
	s_addc_u32 s17, s9, s5
.LBB124_6:
	s_load_dwordx4 s[8:11], s[0:1], 0x60
	s_waitcnt lgkmcnt(0)
	v_cmp_eq_f64_e64 s[4:5], s[6:7], 0
	s_and_b64 s[4:5], exec, s[4:5]
	s_mov_b64 vcc, s[4:5]
	s_cbranch_vccnz .LBB124_8
; %bb.7:
	s_lshl_b64 s[12:13], s[18:19], 3
	s_add_u32 s12, s20, s12
	s_addc_u32 s13, s21, s13
	s_load_dwordx2 s[12:13], s[12:13], 0x0
	s_lshl_b64 s[8:9], s[8:9], 3
	s_waitcnt lgkmcnt(0)
	s_add_u32 s12, s12, s8
	s_addc_u32 s13, s13, s9
.LBB124_8:
	s_load_dword s3, s[0:1], 0x0
	s_load_dword s21, s[0:1], 0x20
	s_lshl_b64 s[8:9], s[18:19], 3
	s_add_u32 s8, s10, s8
	s_addc_u32 s9, s11, s9
	s_waitcnt lgkmcnt(0)
	s_add_i32 s3, s3, -1
	s_ashr_i32 s11, s3, 31
	s_lshr_b32 s11, s11, 26
	s_add_i32 s3, s3, s11
	s_ashr_i32 s3, s3, 6
	s_add_i32 s11, s3, 1
	v_cvt_f32_u32_e32 v1, s11
	s_not_b32 s3, s3
	v_and_b32_e32 v128, 0x3ff, v0
	v_bfe_u32 v129, v0, 10, 10
	v_rcp_iflag_f32_e32 v1, v1
	v_lshl_add_u32 v2, v129, 3, v128
	s_load_dword s10, s[0:1], 0x38
	s_load_dword s20, s[0:1], 0x8
	v_lshrrev_b32_e32 v16, 2, v2
	v_mul_f32_e32 v1, 0x4f7ffffe, v1
	v_cvt_u32_f32_e32 v1, v1
	v_and_b32_e32 v17, 63, v2
	v_lshlrev_b32_e32 v0, 3, v0
	v_lshrrev_b32_e32 v118, 6, v2
	v_readfirstlane_b32 s18, v1
	s_mul_i32 s3, s3, s18
	s_mul_hi_u32 s3, s18, s3
	s_add_i32 s18, s18, s3
	s_mul_hi_u32 s3, s2, s18
	s_mul_i32 s18, s3, s11
	s_sub_i32 s18, s2, s18
	s_add_i32 s19, s3, 1
	s_sub_i32 s22, s18, s11
	s_cmp_ge_u32 s18, s11
	s_cselect_b32 s3, s19, s3
	s_cselect_b32 s18, s22, s18
	s_add_i32 s19, s3, 1
	s_cmp_ge_u32 s18, s11
	s_cselect_b32 s3, s19, s3
	s_mul_i32 s11, s3, s11
	s_sub_i32 s2, s2, s11
	s_lshl_b32 s18, s2, 6
	v_add_u32_e32 v1, s18, v16
	s_lshl_b32 s19, s3, 8
	v_mad_i64_i32 v[100:101], s[2:3], v1, s21, 0
	v_lshl_add_u64 v[2:3], v[100:101], 3, s[14:15]
	v_and_b32_e32 v102, 24, v0
	v_mov_b32_e32 v103, 0
	v_or_b32_e32 v104, s19, v17
	v_lshl_add_u64 v[0:1], v[2:3], 0, v[102:103]
	s_waitcnt lgkmcnt(0)
	v_mad_i64_i32 v[2:3], s[2:3], s10, v118, 0
	v_ashrrev_i32_e32 v105, 31, v104
	v_lshl_add_u64 v[2:3], v[2:3], 3, s[16:17]
	v_lshlrev_b64 v[4:5], 3, v[104:105]
	v_lshl_add_u64 v[2:3], v[2:3], 0, v[4:5]
	flat_load_dwordx2 v[6:7], v[2:3]
	flat_load_dwordx2 v[8:9], v[2:3] offset:512
	flat_load_dwordx2 v[10:11], v[2:3] offset:1024
	;; [unrolled: 1-line block ×3, first 2 shown]
	flat_load_dwordx2 v[14:15], v[0:1]
	v_add_u32_e32 v2, 4, v118
	v_lshlrev_b32_e32 v3, 5, v17
	s_load_dwordx2 s[2:3], s[8:9], 0x0
	v_lshl_add_u32 v117, v118, 3, v3
	v_mad_i64_i32 v[2:3], s[8:9], s10, v2, 0
	v_lshl_add_u64 v[2:3], v[2:3], 3, s[16:17]
	v_lshlrev_b32_e32 v116, 5, v128
	v_lshl_add_u64 v[2:3], v[2:3], 0, v[4:5]
	v_lshlrev_b32_e32 v130, 5, v129
	v_lshl_or_b32 v102, v16, 5, v102
	flat_load_dwordx2 v[106:107], v[2:3]
	flat_load_dwordx2 v[110:111], v[2:3] offset:512
	flat_load_dwordx2 v[108:109], v[2:3] offset:1024
	;; [unrolled: 1-line block ×4, first 2 shown]
	s_mov_b32 s11, 0x7f800000
	s_cmp_lt_i32 s20, 9
	s_waitcnt vmcnt(0) lgkmcnt(0)
	ds_write2st64_b64 v117, v[6:7], v[8:9] offset1:4
	ds_write2st64_b64 v117, v[10:11], v[12:13] offset0:8 offset1:12
	ds_write_b64 v102, v[14:15] offset:16384
	s_waitcnt lgkmcnt(0)
	s_barrier
	ds_read_b128 v[12:15], v116 offset:17920
	ds_read_b128 v[8:11], v116 offset:18176
	ds_read_b128 v[76:79], v130 offset:1024
	ds_read_b128 v[72:75], v130 offset:2048
	ds_read_b128 v[68:71], v130 offset:3072
	ds_read_b128 v[36:39], v130 offset:4096
	ds_read_b128 v[32:35], v130 offset:5120
	ds_read_b128 v[28:31], v130 offset:6144
	ds_read_b128 v[16:19], v130 offset:7168
	ds_read_b128 v[24:27], v116 offset:16384
	ds_read_b128 v[0:3], v116 offset:16400
	ds_read_b128 v[80:83], v130
	ds_read_b128 v[4:7], v130 offset:16
	ds_read_b128 v[20:23], v116 offset:16640
	;; [unrolled: 1-line block ×11, first 2 shown]
	s_waitcnt lgkmcnt(11)
	v_add_f64 v[60:61], v[26:27], v[82:83]
	v_add_f64 v[62:63], v[24:25], v[80:81]
	s_waitcnt lgkmcnt(9)
	v_add_f64 v[64:65], v[22:23], v[82:83]
	s_waitcnt lgkmcnt(7)
	;; [unrolled: 2-line block ×3, first 2 shown]
	v_add_f64 v[132:133], v[94:95], v[82:83]
	v_add_f64 v[134:135], v[92:93], v[80:81]
	s_waitcnt lgkmcnt(1)
	v_add_f64 v[136:137], v[98:99], v[82:83]
	v_add_f64 v[138:139], v[96:97], v[80:81]
	v_cvt_f32_f64_e32 v62, v[62:63]
	v_cvt_f32_f64_e32 v60, v[60:61]
	v_add_f64 v[122:123], v[84:85], v[80:81]
	v_cvt_f32_f64_e32 v63, v[64:65]
	v_cvt_f32_f64_e32 v65, v[120:121]
	;; [unrolled: 1-line block ×5, first 2 shown]
	v_min3_f32 v138, v62, v60, s11
	v_cvt_f32_f64_e32 v60, v[136:137]
	v_cvt_f32_f64_e32 v64, v[122:123]
	v_min3_f32 v176, v119, v120, s11
	v_min3_f32 v177, v121, v60, s11
	v_add_f64 v[120:121], v[26:27], v[78:79]
	v_add_f64 v[122:123], v[24:25], v[76:77]
	v_cvt_f32_f64_e32 v119, v[122:123]
	v_cvt_f32_f64_e32 v120, v[120:121]
	v_min3_f32 v180, v119, v120, s11
	v_add_f64 v[120:121], v[22:23], v[78:79]
	v_add_f64 v[122:123], v[20:21], v[76:77]
	v_cvt_f32_f64_e32 v119, v[122:123]
	v_cvt_f32_f64_e32 v120, v[120:121]
	;; [unrolled: 5-line block ×33, first 2 shown]
	v_min3_f32 v136, v119, v120, s11
	v_add_f64 v[120:121], v[98:99], v[34:35]
	v_add_f64 v[122:123], v[96:97], v[32:33]
	;; [unrolled: 1-line block ×4, first 2 shown]
	v_cvt_f32_f64_e32 v119, v[122:123]
	v_cvt_f32_f64_e32 v120, v[120:121]
	;; [unrolled: 1-line block ×4, first 2 shown]
	v_min3_f32 v127, v119, v120, s11
	v_add_f64 v[120:121], v[14:15], v[34:35]
	v_add_f64 v[122:123], v[12:13], v[32:33]
	;; [unrolled: 1-line block ×3, first 2 shown]
	v_cvt_f32_f64_e32 v119, v[122:123]
	v_cvt_f32_f64_e32 v120, v[120:121]
	;; [unrolled: 1-line block ×3, first 2 shown]
	v_min3_f32 v125, v119, v120, s11
	v_add_f64 v[120:121], v[26:27], v[30:31]
	v_add_f64 v[132:133], v[24:25], v[28:29]
	v_cvt_f32_f64_e32 v119, v[132:133]
	v_cvt_f32_f64_e32 v120, v[120:121]
	v_min3_f32 v140, v119, v120, s11
	v_add_f64 v[120:121], v[22:23], v[30:31]
	v_add_f64 v[132:133], v[20:21], v[28:29]
	v_cvt_f32_f64_e32 v119, v[132:133]
	v_cvt_f32_f64_e32 v120, v[120:121]
	;; [unrolled: 5-line block ×5, first 2 shown]
	v_add_f64 v[132:133], v[96:97], v[28:29]
	v_min3_f32 v174, v64, v65, s11
	v_min3_f32 v175, v66, v67, s11
	v_add_f64 v[64:65], v[14:15], v[82:83]
	v_add_f64 v[66:67], v[12:13], v[80:81]
	;; [unrolled: 1-line block ×14, first 2 shown]
	v_min3_f32 v122, v119, v120, s11
	v_add_f64 v[120:121], v[98:99], v[30:31]
	v_cvt_f32_f64_e32 v119, v[132:133]
	v_add_f64 v[132:133], v[14:15], v[30:31]
	v_add_f64 v[134:135], v[12:13], v[28:29]
	;; [unrolled: 1-line block ×8, first 2 shown]
	v_cvt_f32_f64_e32 v12, v[12:13]
	v_cvt_f32_f64_e32 v13, v[14:15]
	;; [unrolled: 1-line block ×4, first 2 shown]
	v_add_f64 v[10:11], v[2:3], v[6:7]
	v_add_f64 v[14:15], v[0:1], v[4:5]
	;; [unrolled: 1-line block ×4, first 2 shown]
	v_min3_f32 v8, v8, v9, s11
	v_cvt_f32_f64_e32 v9, v[14:15]
	v_cvt_f32_f64_e32 v10, v[10:11]
	;; [unrolled: 1-line block ×4, first 2 shown]
	v_add_f64 v[26:27], v[88:89], v[16:17]
	v_min3_f32 v88, v9, v10, v138
	v_add_f64 v[10:11], v[58:59], v[6:7]
	v_add_f64 v[14:15], v[56:57], v[4:5]
	v_min3_f32 v139, v61, v63, s11
	v_cvt_f32_f64_e32 v9, v[14:15]
	v_cvt_f32_f64_e32 v10, v[10:11]
	v_min3_f32 v138, v9, v10, v139
	v_add_f64 v[10:11], v[54:55], v[6:7]
	v_add_f64 v[14:15], v[52:53], v[4:5]
	v_cvt_f32_f64_e32 v9, v[14:15]
	v_cvt_f32_f64_e32 v10, v[10:11]
	v_cvt_f32_f64_e32 v66, v[66:67]
	v_cvt_f32_f64_e32 v64, v[64:65]
	v_min3_f32 v139, v9, v10, v174
	v_add_f64 v[10:11], v[50:51], v[6:7]
	v_add_f64 v[14:15], v[48:49], v[4:5]
	ds_read_b128 v[60:63], v116 offset:17936
	v_min3_f32 v178, v66, v64, s11
	ds_read_b128 v[64:67], v116 offset:18192
	v_cvt_f32_f64_e32 v120, v[120:121]
	v_cvt_f32_f64_e32 v9, v[14:15]
	;; [unrolled: 1-line block ×5, first 2 shown]
	v_min3_f32 v121, v119, v120, s11
	v_cvt_f32_f64_e32 v120, v[132:133]
	v_min3_f32 v132, v9, v10, v175
	v_add_f64 v[10:11], v[46:47], v[6:7]
	v_add_f64 v[14:15], v[44:45], v[4:5]
	v_min3_f32 v179, v80, v81, s11
	ds_read_b128 v[80:83], v130 offset:1040
	v_cvt_f32_f64_e32 v9, v[14:15]
	v_cvt_f32_f64_e32 v10, v[10:11]
	v_min3_f32 v133, v9, v10, v176
	s_waitcnt lgkmcnt(3)
	v_add_f64 v[10:11], v[42:43], v[6:7]
	v_add_f64 v[14:15], v[40:41], v[4:5]
	v_cvt_f32_f64_e32 v9, v[14:15]
	v_cvt_f32_f64_e32 v10, v[10:11]
	;; [unrolled: 1-line block ×3, first 2 shown]
	v_min3_f32 v134, v9, v10, v177
	s_waitcnt lgkmcnt(2)
	v_add_f64 v[10:11], v[62:63], v[6:7]
	v_add_f64 v[14:15], v[60:61], v[4:5]
	s_waitcnt lgkmcnt(1)
	v_add_f64 v[6:7], v[66:67], v[6:7]
	v_add_f64 v[4:5], v[64:65], v[4:5]
	v_cvt_f32_f64_e32 v76, v[76:77]
	v_cvt_f32_f64_e32 v77, v[78:79]
	;; [unrolled: 1-line block ×4, first 2 shown]
	v_min3_f32 v163, v76, v77, s11
	ds_read_b128 v[76:79], v130 offset:2064
	v_min3_f32 v211, v4, v5, v179
	s_waitcnt lgkmcnt(1)
	v_add_f64 v[4:5], v[2:3], v[82:83]
	v_add_f64 v[6:7], v[0:1], v[80:81]
	v_cvt_f32_f64_e32 v6, v[6:7]
	v_cvt_f32_f64_e32 v4, v[4:5]
	v_min3_f32 v212, v6, v4, v180
	v_add_f64 v[4:5], v[58:59], v[82:83]
	v_add_f64 v[6:7], v[56:57], v[80:81]
	v_cvt_f32_f64_e32 v6, v[6:7]
	v_cvt_f32_f64_e32 v4, v[4:5]
	v_min3_f32 v209, v6, v4, v181
	;; [unrolled: 5-line block ×8, first 2 shown]
	s_waitcnt lgkmcnt(0)
	v_add_f64 v[4:5], v[2:3], v[78:79]
	v_add_f64 v[6:7], v[0:1], v[76:77]
	v_cvt_f32_f64_e32 v6, v[6:7]
	v_cvt_f32_f64_e32 v4, v[4:5]
	v_min3_f32 v205, v6, v4, v171
	v_add_f64 v[4:5], v[58:59], v[78:79]
	v_add_f64 v[6:7], v[56:57], v[76:77]
	v_cvt_f32_f64_e32 v6, v[6:7]
	v_cvt_f32_f64_e32 v4, v[4:5]
	v_min3_f32 v201, v6, v4, v169
	;; [unrolled: 5-line block ×4, first 2 shown]
	v_add_f64 v[4:5], v[46:47], v[78:79]
	v_add_f64 v[6:7], v[44:45], v[76:77]
	v_cvt_f32_f64_e32 v6, v[6:7]
	v_cvt_f32_f64_e32 v4, v[4:5]
	;; [unrolled: 1-line block ×4, first 2 shown]
	v_min3_f32 v200, v6, v4, v162
	v_add_f64 v[4:5], v[42:43], v[78:79]
	v_add_f64 v[6:7], v[40:41], v[76:77]
	v_min3_f32 v155, v72, v73, s11
	ds_read_b128 v[72:75], v130 offset:3088
	v_cvt_f32_f64_e32 v6, v[6:7]
	v_cvt_f32_f64_e32 v4, v[4:5]
	v_min3_f32 v195, v6, v4, v160
	v_add_f64 v[4:5], v[62:63], v[78:79]
	v_add_f64 v[6:7], v[60:61], v[76:77]
	v_cvt_f32_f64_e32 v6, v[6:7]
	v_cvt_f32_f64_e32 v4, v[4:5]
	v_min3_f32 v197, v6, v4, v158
	v_add_f64 v[4:5], v[66:67], v[78:79]
	v_add_f64 v[6:7], v[64:65], v[76:77]
	v_cvt_f32_f64_e32 v68, v[68:69]
	v_cvt_f32_f64_e32 v69, v[70:71]
	;; [unrolled: 1-line block ×4, first 2 shown]
	v_min3_f32 v147, v68, v69, s11
	ds_read_b128 v[68:71], v130 offset:4112
	v_min3_f32 v194, v6, v4, v155
	s_waitcnt lgkmcnt(1)
	v_add_f64 v[4:5], v[2:3], v[74:75]
	v_add_f64 v[6:7], v[0:1], v[72:73]
	v_cvt_f32_f64_e32 v6, v[6:7]
	v_cvt_f32_f64_e32 v4, v[4:5]
	v_min3_f32 v196, v6, v4, v164
	v_add_f64 v[4:5], v[58:59], v[74:75]
	v_add_f64 v[6:7], v[56:57], v[72:73]
	v_cvt_f32_f64_e32 v6, v[6:7]
	v_cvt_f32_f64_e32 v4, v[4:5]
	v_min3_f32 v192, v6, v4, v161
	;; [unrolled: 5-line block ×8, first 2 shown]
	s_waitcnt lgkmcnt(0)
	v_add_f64 v[4:5], v[2:3], v[70:71]
	v_add_f64 v[6:7], v[0:1], v[68:69]
	v_cvt_f32_f64_e32 v6, v[6:7]
	v_cvt_f32_f64_e32 v4, v[4:5]
	v_min3_f32 v188, v6, v4, v156
	v_add_f64 v[4:5], v[58:59], v[70:71]
	v_add_f64 v[6:7], v[56:57], v[68:69]
	v_cvt_f32_f64_e32 v6, v[6:7]
	v_cvt_f32_f64_e32 v4, v[4:5]
	v_min3_f32 v184, v6, v4, v153
	;; [unrolled: 5-line block ×4, first 2 shown]
	v_add_f64 v[4:5], v[46:47], v[70:71]
	v_add_f64 v[6:7], v[44:45], v[68:69]
	v_cvt_f32_f64_e32 v6, v[6:7]
	v_cvt_f32_f64_e32 v4, v[4:5]
	;; [unrolled: 1-line block ×4, first 2 shown]
	v_min3_f32 v183, v6, v4, v146
	v_add_f64 v[4:5], v[42:43], v[70:71]
	v_add_f64 v[6:7], v[40:41], v[68:69]
	v_min3_f32 v137, v36, v37, s11
	ds_read_b128 v[36:39], v130 offset:5136
	v_cvt_f32_f64_e32 v6, v[6:7]
	v_cvt_f32_f64_e32 v4, v[4:5]
	v_min3_f32 v179, v6, v4, v144
	v_add_f64 v[4:5], v[62:63], v[70:71]
	v_add_f64 v[6:7], v[60:61], v[68:69]
	v_cvt_f32_f64_e32 v6, v[6:7]
	v_cvt_f32_f64_e32 v4, v[4:5]
	v_min3_f32 v181, v6, v4, v142
	v_add_f64 v[4:5], v[66:67], v[70:71]
	v_add_f64 v[6:7], v[64:65], v[68:69]
	v_cvt_f32_f64_e32 v32, v[32:33]
	v_cvt_f32_f64_e32 v33, v[34:35]
	;; [unrolled: 1-line block ×6, first 2 shown]
	v_min3_f32 v123, v32, v33, s11
	ds_read_b128 v[32:35], v130 offset:6160
	v_min3_f32 v135, v9, v10, v178
	v_min3_f32 v178, v6, v4, v137
	s_waitcnt lgkmcnt(1)
	v_add_f64 v[4:5], v[2:3], v[38:39]
	v_add_f64 v[6:7], v[0:1], v[36:37]
	v_cvt_f32_f64_e32 v6, v[6:7]
	v_cvt_f32_f64_e32 v4, v[4:5]
	v_min3_f32 v180, v6, v4, v148
	v_add_f64 v[4:5], v[58:59], v[38:39]
	v_add_f64 v[6:7], v[56:57], v[36:37]
	v_cvt_f32_f64_e32 v6, v[6:7]
	v_cvt_f32_f64_e32 v4, v[4:5]
	v_min3_f32 v176, v6, v4, v145
	;; [unrolled: 5-line block ×4, first 2 shown]
	v_add_f64 v[4:5], v[46:47], v[38:39]
	v_add_f64 v[6:7], v[44:45], v[36:37]
	v_cvt_f32_f64_e32 v6, v[6:7]
	v_cvt_f32_f64_e32 v4, v[4:5]
	;; [unrolled: 1-line block ×4, first 2 shown]
	v_min3_f32 v175, v6, v4, v136
	v_add_f64 v[4:5], v[42:43], v[38:39]
	v_add_f64 v[6:7], v[40:41], v[36:37]
	v_min3_f32 v120, v119, v120, s11
	v_min3_f32 v119, v28, v29, s11
	ds_read_b128 v[28:31], v130 offset:7184
	v_cvt_f32_f64_e32 v6, v[6:7]
	v_cvt_f32_f64_e32 v4, v[4:5]
	v_min3_f32 v171, v6, v4, v127
	v_add_f64 v[4:5], v[62:63], v[38:39]
	v_add_f64 v[6:7], v[60:61], v[36:37]
	v_cvt_f32_f64_e32 v6, v[6:7]
	v_cvt_f32_f64_e32 v4, v[4:5]
	v_min3_f32 v173, v6, v4, v125
	v_add_f64 v[4:5], v[66:67], v[38:39]
	v_add_f64 v[6:7], v[64:65], v[36:37]
	v_cvt_f32_f64_e32 v6, v[6:7]
	v_cvt_f32_f64_e32 v4, v[4:5]
	v_min3_f32 v170, v6, v4, v123
	s_waitcnt lgkmcnt(1)
	v_add_f64 v[4:5], v[2:3], v[34:35]
	v_add_f64 v[6:7], v[0:1], v[32:33]
	s_waitcnt lgkmcnt(0)
	v_add_f64 v[2:3], v[2:3], v[30:31]
	v_add_f64 v[0:1], v[0:1], v[28:29]
	v_min3_f32 v25, v24, v25, s11
	v_add_f64 v[22:23], v[22:23], v[18:19]
	v_add_f64 v[20:21], v[20:21], v[16:17]
	v_cvt_f32_f64_e32 v6, v[6:7]
	v_cvt_f32_f64_e32 v4, v[4:5]
	v_cvt_f32_f64_e32 v0, v[0:1]
	v_cvt_f32_f64_e32 v1, v[2:3]
	v_cvt_f32_f64_e32 v20, v[20:21]
	v_cvt_f32_f64_e32 v21, v[22:23]
	v_min3_f32 v172, v6, v4, v140
	v_add_f64 v[4:5], v[58:59], v[34:35]
	v_add_f64 v[6:7], v[56:57], v[32:33]
	v_min3_f32 v163, v0, v1, v25
	v_add_f64 v[0:1], v[58:59], v[30:31]
	v_add_f64 v[2:3], v[56:57], v[28:29]
	;; [unrolled: 3-line block ×3, first 2 shown]
	v_cvt_f32_f64_e32 v6, v[6:7]
	v_cvt_f32_f64_e32 v4, v[4:5]
	;; [unrolled: 1-line block ×6, first 2 shown]
	v_min3_f32 v168, v6, v4, v131
	v_add_f64 v[4:5], v[54:55], v[34:35]
	v_add_f64 v[6:7], v[52:53], v[32:33]
	v_min3_f32 v160, v2, v0, v24
	v_add_f64 v[0:1], v[54:55], v[30:31]
	v_add_f64 v[2:3], v[52:53], v[28:29]
	v_min3_f32 v23, v22, v20, s11
	v_add_f64 v[20:21], v[90:91], v[18:19]
	v_cvt_f32_f64_e32 v6, v[6:7]
	v_cvt_f32_f64_e32 v4, v[4:5]
	;; [unrolled: 1-line block ×6, first 2 shown]
	v_min3_f32 v169, v6, v4, v126
	v_add_f64 v[4:5], v[50:51], v[34:35]
	v_add_f64 v[6:7], v[48:49], v[32:33]
	v_min3_f32 v161, v2, v0, v23
	v_add_f64 v[0:1], v[50:51], v[30:31]
	v_add_f64 v[2:3], v[48:49], v[28:29]
	;; [unrolled: 3-line block ×3, first 2 shown]
	v_cvt_f32_f64_e32 v6, v[6:7]
	v_cvt_f32_f64_e32 v4, v[4:5]
	;; [unrolled: 1-line block ×6, first 2 shown]
	v_min3_f32 v166, v6, v4, v124
	v_add_f64 v[4:5], v[46:47], v[34:35]
	v_add_f64 v[6:7], v[44:45], v[32:33]
	v_min3_f32 v158, v2, v0, v22
	v_add_f64 v[0:1], v[46:47], v[30:31]
	v_add_f64 v[2:3], v[44:45], v[28:29]
	;; [unrolled: 3-line block ×3, first 2 shown]
	v_cvt_f32_f64_e32 v6, v[6:7]
	v_cvt_f32_f64_e32 v4, v[4:5]
	;; [unrolled: 1-line block ×6, first 2 shown]
	v_min3_f32 v167, v6, v4, v122
	v_add_f64 v[4:5], v[42:43], v[34:35]
	v_add_f64 v[6:7], v[40:41], v[32:33]
	v_min3_f32 v159, v2, v0, v21
	v_add_f64 v[0:1], v[42:43], v[30:31]
	v_add_f64 v[2:3], v[40:41], v[28:29]
	v_min3_f32 v20, v20, v26, s11
	v_cvt_f32_f64_e32 v6, v[6:7]
	v_cvt_f32_f64_e32 v4, v[4:5]
	;; [unrolled: 1-line block ×4, first 2 shown]
	v_min3_f32 v164, v6, v4, v121
	v_add_f64 v[4:5], v[62:63], v[34:35]
	v_add_f64 v[6:7], v[60:61], v[32:33]
	v_min3_f32 v156, v2, v0, v20
	v_add_f64 v[0:1], v[62:63], v[30:31]
	v_add_f64 v[2:3], v[60:61], v[28:29]
	v_min3_f32 v12, v12, v13, s11
	v_cvt_f32_f64_e32 v6, v[6:7]
	v_cvt_f32_f64_e32 v4, v[4:5]
	;; [unrolled: 1-line block ×4, first 2 shown]
	v_min3_f32 v165, v6, v4, v120
	v_add_f64 v[4:5], v[66:67], v[34:35]
	v_add_f64 v[6:7], v[64:65], v[32:33]
	v_min3_f32 v157, v2, v0, v12
	v_add_f64 v[0:1], v[66:67], v[30:31]
	v_add_f64 v[2:3], v[64:65], v[28:29]
	v_cvt_f32_f64_e32 v6, v[6:7]
	v_cvt_f32_f64_e32 v4, v[4:5]
	;; [unrolled: 1-line block ×4, first 2 shown]
	v_min3_f32 v162, v6, v4, v119
	v_min3_f32 v198, v2, v0, v8
	ds_write_b64 v102, v[114:115] offset:18432
	ds_write2st64_b64 v117, v[106:107], v[110:111] offset0:16 offset1:20
	ds_write2st64_b64 v117, v[108:109], v[112:113] offset0:24 offset1:28
	s_waitcnt lgkmcnt(0)
	s_barrier
	s_cbranch_scc1 .LBB124_11
; %bb.9:
	v_mov_b32_e32 v0, 0x4800
	v_lshl_add_u32 v86, v128, 5, v0
	v_mov_b32_e32 v0, 0x2000
	v_lshl_add_u32 v87, v129, 5, v0
	v_add_u32_e32 v0, 12, v118
	v_mad_i64_i32 v[0:1], s[8:9], v0, s10, 0
	v_lshlrev_b64 v[66:67], 3, v[0:1]
	v_and_b32_e32 v0, 3, v128
	v_add_u32_e32 v82, 0x4000, v102
	v_add_u32_e32 v84, 0x4800, v102
	v_lshlrev_b32_e32 v102, 3, v0
	v_lshl_add_u64 v[0:1], v[100:101], 3, v[102:103]
	v_lshl_add_u64 v[0:1], s[14:15], 0, v[0:1]
	s_ashr_i32 s11, s10, 31
	v_lshl_add_u64 v[68:69], v[0:1], 0, 64
	v_add_u32_e32 v0, 8, v118
	s_lshl_b64 s[8:9], s[10:11], 6
	v_mad_i64_i32 v[0:1], s[10:11], v0, s10, 0
	v_add_u32_e32 v83, 0x4000, v116
	v_or_b32_e32 v85, 0x2000, v117
	s_add_i32 s20, s20, -8
	v_lshl_add_u64 v[64:65], v[104:105], 3, s[16:17]
	v_lshlrev_b64 v[70:71], 3, v[0:1]
	s_mov_b32 s10, 0
.LBB124_10:                             ; =>This Inner Loop Header: Depth=1
	v_lshl_add_u64 v[0:1], v[64:65], 0, v[70:71]
	flat_load_dwordx2 v[80:81], v[68:69]
	flat_load_dwordx2 v[76:77], v[0:1]
	flat_load_dwordx2 v[78:79], v[0:1] offset:512
	flat_load_dwordx2 v[72:73], v[0:1] offset:1024
	;; [unrolled: 1-line block ×3, first 2 shown]
	ds_read_b128 v[36:39], v86 offset:256
	ds_read_b128 v[32:35], v86 offset:512
	;; [unrolled: 1-line block ×14, first 2 shown]
	ds_read_b128 v[94:97], v87
	ds_read_b128 v[4:7], v87 offset:16
	ds_read_b128 v[56:59], v86
	ds_read_b128 v[0:3], v86 offset:16
	s_add_i32 s10, s10, 8
	s_cmp_ge_i32 s10, s20
	s_waitcnt lgkmcnt(0)
	v_add_f64 v[98:99], v[58:59], v[96:97]
	v_add_f64 v[100:101], v[56:57], v[94:95]
	v_cvt_f32_f64_e32 v89, v[100:101]
	v_cvt_f32_f64_e32 v98, v[98:99]
	v_min3_f32 v213, v89, v98, v88
	v_add_f64 v[88:89], v[38:39], v[96:97]
	v_add_f64 v[98:99], v[36:37], v[94:95]
	v_cvt_f32_f64_e32 v98, v[98:99]
	v_cvt_f32_f64_e32 v88, v[88:89]
	v_min3_f32 v155, v98, v88, v138
	v_add_f64 v[88:89], v[34:35], v[96:97]
	v_add_f64 v[98:99], v[32:33], v[94:95]
	v_cvt_f32_f64_e32 v98, v[98:99]
	v_cvt_f32_f64_e32 v88, v[88:89]
	v_min3_f32 v154, v98, v88, v139
	v_add_f64 v[88:89], v[30:31], v[96:97]
	v_add_f64 v[98:99], v[28:29], v[94:95]
	v_cvt_f32_f64_e32 v98, v[98:99]
	v_cvt_f32_f64_e32 v88, v[88:89]
	v_min3_f32 v153, v98, v88, v132
	v_add_f64 v[88:89], v[26:27], v[96:97]
	v_add_f64 v[98:99], v[24:25], v[94:95]
	v_cvt_f32_f64_e32 v98, v[98:99]
	v_cvt_f32_f64_e32 v88, v[88:89]
	v_min3_f32 v152, v98, v88, v133
	v_add_f64 v[88:89], v[22:23], v[96:97]
	v_add_f64 v[98:99], v[20:21], v[94:95]
	v_cvt_f32_f64_e32 v98, v[98:99]
	v_cvt_f32_f64_e32 v88, v[88:89]
	v_min3_f32 v151, v98, v88, v134
	v_add_f64 v[88:89], v[14:15], v[96:97]
	v_add_f64 v[98:99], v[12:13], v[94:95]
	v_cvt_f32_f64_e32 v98, v[98:99]
	v_cvt_f32_f64_e32 v88, v[88:89]
	v_min3_f32 v150, v98, v88, v135
	v_add_f64 v[88:89], v[10:11], v[96:97]
	v_add_f64 v[94:95], v[8:9], v[94:95]
	v_cvt_f32_f64_e32 v94, v[94:95]
	v_cvt_f32_f64_e32 v88, v[88:89]
	v_min3_f32 v149, v94, v88, v211
	v_add_f64 v[88:89], v[58:59], v[62:63]
	v_add_f64 v[94:95], v[56:57], v[60:61]
	v_cvt_f32_f64_e32 v94, v[94:95]
	v_cvt_f32_f64_e32 v88, v[88:89]
	v_min3_f32 v148, v94, v88, v212
	v_add_f64 v[88:89], v[38:39], v[62:63]
	v_add_f64 v[94:95], v[36:37], v[60:61]
	v_cvt_f32_f64_e32 v94, v[94:95]
	v_cvt_f32_f64_e32 v88, v[88:89]
	v_min3_f32 v147, v94, v88, v209
	v_add_f64 v[88:89], v[34:35], v[62:63]
	v_add_f64 v[94:95], v[32:33], v[60:61]
	v_cvt_f32_f64_e32 v94, v[94:95]
	v_cvt_f32_f64_e32 v88, v[88:89]
	v_min3_f32 v146, v94, v88, v210
	v_add_f64 v[88:89], v[30:31], v[62:63]
	v_add_f64 v[94:95], v[28:29], v[60:61]
	v_cvt_f32_f64_e32 v94, v[94:95]
	v_cvt_f32_f64_e32 v88, v[88:89]
	v_min3_f32 v145, v94, v88, v207
	v_add_f64 v[88:89], v[26:27], v[62:63]
	v_add_f64 v[94:95], v[24:25], v[60:61]
	v_cvt_f32_f64_e32 v94, v[94:95]
	v_cvt_f32_f64_e32 v88, v[88:89]
	v_min3_f32 v144, v94, v88, v208
	v_add_f64 v[88:89], v[22:23], v[62:63]
	v_add_f64 v[94:95], v[20:21], v[60:61]
	v_cvt_f32_f64_e32 v94, v[94:95]
	v_cvt_f32_f64_e32 v88, v[88:89]
	v_min3_f32 v143, v94, v88, v204
	v_add_f64 v[88:89], v[14:15], v[62:63]
	v_add_f64 v[94:95], v[12:13], v[60:61]
	;; [unrolled: 1-line block ×4, first 2 shown]
	v_cvt_f32_f64_e32 v60, v[60:61]
	v_cvt_f32_f64_e32 v61, v[62:63]
	v_min3_f32 v141, v60, v61, v203
	v_add_f64 v[60:61], v[58:59], v[92:93]
	v_add_f64 v[62:63], v[56:57], v[90:91]
	v_cvt_f32_f64_e32 v62, v[62:63]
	v_cvt_f32_f64_e32 v60, v[60:61]
	v_min3_f32 v140, v62, v60, v205
	v_add_f64 v[60:61], v[38:39], v[92:93]
	v_add_f64 v[62:63], v[36:37], v[90:91]
	;; [unrolled: 5-line block ×15, first 2 shown]
	v_add_f64 v[54:55], v[10:11], v[54:55]
	v_add_f64 v[52:53], v[8:9], v[52:53]
	v_cvt_f32_f64_e32 v52, v[52:53]
	v_cvt_f32_f64_e32 v53, v[54:55]
	v_min3_f32 v122, v52, v53, v186
	v_add_f64 v[52:53], v[58:59], v[50:51]
	v_add_f64 v[54:55], v[56:57], v[48:49]
	v_cvt_f32_f64_e32 v54, v[54:55]
	v_cvt_f32_f64_e32 v52, v[52:53]
	v_min3_f32 v121, v54, v52, v188
	v_add_f64 v[52:53], v[38:39], v[50:51]
	v_add_f64 v[54:55], v[36:37], v[48:49]
	v_cvt_f32_f64_e32 v54, v[54:55]
	v_cvt_f32_f64_e32 v52, v[52:53]
	v_min3_f32 v120, v54, v52, v184
	v_add_f64 v[52:53], v[34:35], v[50:51]
	v_add_f64 v[54:55], v[32:33], v[48:49]
	v_cvt_f32_f64_e32 v54, v[54:55]
	v_cvt_f32_f64_e32 v52, v[52:53]
	v_min3_f32 v119, v54, v52, v185
	v_add_f64 v[52:53], v[30:31], v[50:51]
	v_add_f64 v[54:55], v[28:29], v[48:49]
	v_cvt_f32_f64_e32 v54, v[54:55]
	v_cvt_f32_f64_e32 v52, v[52:53]
	v_min3_f32 v118, v54, v52, v182
	v_add_f64 v[52:53], v[26:27], v[50:51]
	v_add_f64 v[54:55], v[24:25], v[48:49]
	v_cvt_f32_f64_e32 v54, v[54:55]
	v_cvt_f32_f64_e32 v52, v[52:53]
	v_min3_f32 v115, v54, v52, v183
	v_add_f64 v[52:53], v[22:23], v[50:51]
	v_add_f64 v[54:55], v[20:21], v[48:49]
	v_cvt_f32_f64_e32 v54, v[54:55]
	v_cvt_f32_f64_e32 v52, v[52:53]
	v_min3_f32 v114, v54, v52, v179
	v_add_f64 v[52:53], v[14:15], v[50:51]
	v_add_f64 v[54:55], v[12:13], v[48:49]
	v_add_f64 v[50:51], v[10:11], v[50:51]
	v_add_f64 v[48:49], v[8:9], v[48:49]
	v_cvt_f32_f64_e32 v48, v[48:49]
	v_cvt_f32_f64_e32 v49, v[50:51]
	v_min3_f32 v112, v48, v49, v178
	v_add_f64 v[48:49], v[58:59], v[46:47]
	v_add_f64 v[50:51], v[56:57], v[44:45]
	v_cvt_f32_f64_e32 v50, v[50:51]
	v_cvt_f32_f64_e32 v48, v[48:49]
	v_min3_f32 v111, v50, v48, v180
	v_add_f64 v[48:49], v[38:39], v[46:47]
	v_add_f64 v[50:51], v[36:37], v[44:45]
	v_cvt_f32_f64_e32 v50, v[50:51]
	v_cvt_f32_f64_e32 v48, v[48:49]
	v_min3_f32 v110, v50, v48, v176
	v_add_f64 v[48:49], v[34:35], v[46:47]
	v_add_f64 v[50:51], v[32:33], v[44:45]
	v_cvt_f32_f64_e32 v50, v[50:51]
	v_cvt_f32_f64_e32 v48, v[48:49]
	v_min3_f32 v109, v50, v48, v177
	v_add_f64 v[48:49], v[30:31], v[46:47]
	v_add_f64 v[50:51], v[28:29], v[44:45]
	v_cvt_f32_f64_e32 v50, v[50:51]
	v_cvt_f32_f64_e32 v48, v[48:49]
	v_min3_f32 v108, v50, v48, v174
	v_add_f64 v[48:49], v[26:27], v[46:47]
	v_add_f64 v[50:51], v[24:25], v[44:45]
	v_cvt_f32_f64_e32 v50, v[50:51]
	v_cvt_f32_f64_e32 v48, v[48:49]
	v_min3_f32 v107, v50, v48, v175
	v_add_f64 v[48:49], v[22:23], v[46:47]
	v_add_f64 v[50:51], v[20:21], v[44:45]
	v_cvt_f32_f64_e32 v50, v[50:51]
	v_cvt_f32_f64_e32 v48, v[48:49]
	v_min3_f32 v106, v50, v48, v171
	v_add_f64 v[48:49], v[14:15], v[46:47]
	v_add_f64 v[50:51], v[12:13], v[44:45]
	;; [unrolled: 37-line block ×3, first 2 shown]
	v_add_f64 v[42:43], v[10:11], v[42:43]
	v_add_f64 v[40:41], v[8:9], v[40:41]
	;; [unrolled: 1-line block ×10, first 2 shown]
	v_cvt_f32_f64_e32 v40, v[40:41]
	v_cvt_f32_f64_e32 v41, v[42:43]
	v_cvt_f32_f64_e32 v28, v[28:29]
	v_cvt_f32_f64_e32 v29, v[30:31]
	v_cvt_f32_f64_e32 v24, v[24:25]
	v_cvt_f32_f64_e32 v25, v[26:27]
	v_cvt_f32_f64_e32 v20, v[20:21]
	v_cvt_f32_f64_e32 v21, v[22:23]
	v_cvt_f32_f64_e32 v12, v[12:13]
	v_cvt_f32_f64_e32 v13, v[14:15]
	v_cvt_f32_f64_e32 v88, v[88:89]
	v_min3_f32 v96, v40, v41, v162
	v_add_f64 v[40:41], v[58:59], v[18:19]
	v_add_f64 v[42:43], v[56:57], v[16:17]
	;; [unrolled: 1-line block ×6, first 2 shown]
	v_min3_f32 v92, v28, v29, v158
	v_min3_f32 v91, v24, v25, v159
	;; [unrolled: 1-line block ×4, first 2 shown]
	v_add_f64 v[10:11], v[10:11], v[18:19]
	v_add_f64 v[8:9], v[8:9], v[16:17]
	;; [unrolled: 1-line block ×4, first 2 shown]
	v_cvt_f32_f64_e32 v94, v[94:95]
	v_cvt_f32_f64_e32 v62, v[62:63]
	;; [unrolled: 1-line block ×19, first 2 shown]
	v_min3_f32 v142, v94, v88, v206
	v_min3_f32 v123, v62, v60, v189
	v_min3_f32 v113, v54, v52, v181
	v_min3_f32 v105, v50, v48, v173
	v_min3_f32 v97, v46, v44, v165
	v_min3_f32 v95, v42, v40, v163
	v_min3_f32 v94, v36, v37, v160
	v_min3_f32 v93, v32, v33, v161
	v_min3_f32 v88, v8, v9, v198
	ds_read_b128 v[32:35], v86 offset:272
	ds_read_b128 v[28:31], v86 offset:528
	ds_read_b128 v[24:27], v86 offset:784
	ds_read_b128 v[20:23], v86 offset:1040
	ds_read_b128 v[16:19], v86 offset:1296
	ds_read_b128 v[12:15], v86 offset:1552
	ds_read_b128 v[8:11], v86 offset:1808
	ds_read_b128 v[60:63], v87 offset:1040
	ds_read_b128 v[56:59], v87 offset:2064
	ds_read_b128 v[52:55], v87 offset:3088
	ds_read_b128 v[48:51], v87 offset:4112
	ds_read_b128 v[44:47], v87 offset:5136
	ds_read_b128 v[40:43], v87 offset:6160
	ds_read_b128 v[36:39], v87 offset:7184
	v_min3_f32 v156, v158, v156, v213
	s_waitcnt lgkmcnt(0)
	v_add_f64 v[158:159], v[34:35], v[6:7]
	v_add_f64 v[160:161], v[32:33], v[4:5]
	v_cvt_f32_f64_e32 v157, v[160:161]
	v_cvt_f32_f64_e32 v158, v[158:159]
	v_min3_f32 v155, v157, v158, v155
	v_add_f64 v[158:159], v[30:31], v[6:7]
	v_add_f64 v[160:161], v[28:29], v[4:5]
	v_cvt_f32_f64_e32 v157, v[160:161]
	v_cvt_f32_f64_e32 v158, v[158:159]
	v_min3_f32 v154, v157, v158, v154
	;; [unrolled: 5-line block ×5, first 2 shown]
	v_add_f64 v[158:159], v[14:15], v[6:7]
	v_add_f64 v[160:161], v[12:13], v[4:5]
	;; [unrolled: 1-line block ×4, first 2 shown]
	v_cvt_f32_f64_e32 v4, v[4:5]
	v_cvt_f32_f64_e32 v5, v[6:7]
	v_min3_f32 v149, v4, v5, v149
	v_add_f64 v[4:5], v[2:3], v[62:63]
	v_add_f64 v[6:7], v[0:1], v[60:61]
	v_cvt_f32_f64_e32 v6, v[6:7]
	v_cvt_f32_f64_e32 v4, v[4:5]
	v_min3_f32 v148, v6, v4, v148
	v_add_f64 v[4:5], v[34:35], v[62:63]
	v_add_f64 v[6:7], v[32:33], v[60:61]
	;; [unrolled: 5-line block ×41, first 2 shown]
	v_add_f64 v[2:3], v[2:3], v[38:39]
	v_add_f64 v[0:1], v[0:1], v[36:37]
	v_cvt_f32_f64_e32 v0, v[0:1]
	v_cvt_f32_f64_e32 v1, v[2:3]
	v_cvt_f32_f64_e32 v6, v[6:7]
	v_cvt_f32_f64_e32 v4, v[4:5]
	v_min3_f32 v95, v0, v1, v95
	v_add_f64 v[0:1], v[34:35], v[38:39]
	v_add_f64 v[2:3], v[32:33], v[36:37]
	v_min3_f32 v103, v6, v4, v103
	v_add_f64 v[4:5], v[34:35], v[42:43]
	v_add_f64 v[6:7], v[32:33], v[40:41]
	v_cvt_f32_f64_e32 v2, v[2:3]
	v_cvt_f32_f64_e32 v0, v[0:1]
	v_cvt_f32_f64_e32 v6, v[6:7]
	v_cvt_f32_f64_e32 v4, v[4:5]
	v_min3_f32 v94, v2, v0, v94
	v_add_f64 v[0:1], v[30:31], v[38:39]
	v_add_f64 v[2:3], v[28:29], v[36:37]
	v_min3_f32 v102, v6, v4, v102
	;; [unrolled: 10-line block ×6, first 2 shown]
	v_add_f64 v[4:5], v[14:15], v[42:43]
	v_add_f64 v[6:7], v[12:13], v[40:41]
	v_cvt_f32_f64_e32 v2, v[2:3]
	v_cvt_f32_f64_e32 v0, v[0:1]
	;; [unrolled: 1-line block ×4, first 2 shown]
	v_min3_f32 v89, v2, v0, v89
	v_add_f64 v[0:1], v[10:11], v[38:39]
	v_add_f64 v[2:3], v[8:9], v[36:37]
	v_cvt_f32_f64_e32 v157, v[160:161]
	v_cvt_f32_f64_e32 v158, v[158:159]
	v_min3_f32 v97, v6, v4, v97
	v_add_f64 v[4:5], v[10:11], v[42:43]
	v_add_f64 v[6:7], v[8:9], v[40:41]
	v_cvt_f32_f64_e32 v2, v[2:3]
	v_cvt_f32_f64_e32 v0, v[0:1]
	v_min3_f32 v150, v157, v158, v150
	v_cvt_f32_f64_e32 v6, v[6:7]
	v_cvt_f32_f64_e32 v4, v[4:5]
	v_min3_f32 v157, v2, v0, v88
	v_lshl_add_u64 v[0:1], v[64:65], 0, v[66:67]
	v_min3_f32 v96, v6, v4, v96
	s_waitcnt vmcnt(0)
	ds_write_b64 v82, v[80:81]
	ds_write2st64_b64 v117, v[76:77], v[78:79] offset1:4
	ds_write2st64_b64 v117, v[72:73], v[74:75] offset0:8 offset1:12
	s_waitcnt lgkmcnt(0)
	s_barrier
	flat_load_dwordx2 v[72:73], v[68:69] offset:32
	flat_load_dwordx2 v[74:75], v[0:1]
	flat_load_dwordx2 v[76:77], v[0:1] offset:512
	flat_load_dwordx2 v[78:79], v[0:1] offset:1024
	;; [unrolled: 1-line block ×3, first 2 shown]
	ds_read_b128 v[32:35], v83 offset:256
	ds_read_b128 v[28:31], v83 offset:512
	;; [unrolled: 1-line block ×14, first 2 shown]
	ds_read_b128 v[40:43], v83
	ds_read_b128 v[0:3], v83 offset:16
	ds_read_b128 v[170:173], v130
	ds_read_b128 v[36:39], v130 offset:16
	v_lshl_add_u64 v[64:65], v[64:65], 0, s[8:9]
	v_lshl_add_u64 v[68:69], v[68:69], 0, 64
	s_waitcnt lgkmcnt(0)
	v_add_f64 v[132:133], v[42:43], v[172:173]
	v_add_f64 v[134:135], v[40:41], v[170:171]
	v_cvt_f32_f64_e32 v88, v[134:135]
	v_cvt_f32_f64_e32 v127, v[132:133]
	v_add_f64 v[132:133], v[34:35], v[172:173]
	v_add_f64 v[134:135], v[32:33], v[170:171]
	v_min3_f32 v88, v88, v127, v156
	v_cvt_f32_f64_e32 v127, v[134:135]
	v_cvt_f32_f64_e32 v131, v[132:133]
	v_add_f64 v[132:133], v[30:31], v[172:173]
	v_add_f64 v[134:135], v[28:29], v[170:171]
	v_min3_f32 v138, v127, v131, v155
	;; [unrolled: 5-line block ×4, first 2 shown]
	v_cvt_f32_f64_e32 v127, v[154:155]
	v_cvt_f32_f64_e32 v131, v[134:135]
	v_min3_f32 v133, v127, v131, v152
	v_add_f64 v[134:135], v[18:19], v[172:173]
	v_add_f64 v[152:153], v[16:17], v[170:171]
	v_cvt_f32_f64_e32 v127, v[152:153]
	v_cvt_f32_f64_e32 v131, v[134:135]
	v_add_f64 v[152:153], v[10:11], v[172:173]
	v_add_f64 v[154:155], v[8:9], v[170:171]
	v_min3_f32 v134, v127, v131, v151
	v_cvt_f32_f64_e32 v127, v[154:155]
	v_cvt_f32_f64_e32 v131, v[152:153]
	v_min3_f32 v135, v127, v131, v150
	v_add_f64 v[150:151], v[6:7], v[172:173]
	v_add_f64 v[152:153], v[4:5], v[170:171]
	v_cvt_f32_f64_e32 v127, v[152:153]
	v_cvt_f32_f64_e32 v131, v[150:151]
	v_add_f64 v[150:151], v[42:43], v[160:161]
	v_add_f64 v[152:153], v[40:41], v[158:159]
	v_min3_f32 v156, v127, v131, v149
	;; [unrolled: 10-line block ×6, first 2 shown]
	v_cvt_f32_f64_e32 v60, v[144:145]
	v_cvt_f32_f64_e32 v127, v[142:143]
	v_min3_f32 v147, v60, v127, v61
	v_add_f64 v[60:61], v[34:35], v[164:165]
	v_add_f64 v[142:143], v[32:33], v[162:163]
	v_cvt_f32_f64_e32 v127, v[142:143]
	v_cvt_f32_f64_e32 v60, v[60:61]
	v_min3_f32 v146, v127, v60, v62
	v_add_f64 v[60:61], v[30:31], v[164:165]
	v_add_f64 v[142:143], v[28:29], v[162:163]
	;; [unrolled: 5-line block ×22, first 2 shown]
	v_add_f64 v[54:55], v[6:7], v[54:55]
	v_add_f64 v[52:53], v[4:5], v[52:53]
	v_cvt_f32_f64_e32 v58, v[58:59]
	v_cvt_f32_f64_e32 v56, v[56:57]
	;; [unrolled: 1-line block ×4, first 2 shown]
	v_min3_f32 v114, v58, v56, v113
	v_min3_f32 v113, v52, v53, v112
	v_add_f64 v[52:53], v[42:43], v[50:51]
	v_add_f64 v[54:55], v[40:41], v[48:49]
	v_cvt_f32_f64_e32 v54, v[54:55]
	v_cvt_f32_f64_e32 v52, v[52:53]
	v_min3_f32 v112, v54, v52, v111
	v_add_f64 v[52:53], v[34:35], v[50:51]
	v_add_f64 v[54:55], v[32:33], v[48:49]
	v_cvt_f32_f64_e32 v54, v[54:55]
	v_cvt_f32_f64_e32 v52, v[52:53]
	;; [unrolled: 5-line block ×6, first 2 shown]
	v_min3_f32 v107, v54, v52, v106
	v_add_f64 v[52:53], v[10:11], v[50:51]
	v_add_f64 v[54:55], v[8:9], v[48:49]
	;; [unrolled: 1-line block ×4, first 2 shown]
	v_cvt_f32_f64_e32 v54, v[54:55]
	v_cvt_f32_f64_e32 v52, v[52:53]
	;; [unrolled: 1-line block ×4, first 2 shown]
	v_min3_f32 v106, v54, v52, v105
	v_min3_f32 v105, v48, v49, v104
	v_add_f64 v[48:49], v[42:43], v[46:47]
	v_add_f64 v[50:51], v[40:41], v[44:45]
	v_cvt_f32_f64_e32 v50, v[50:51]
	v_cvt_f32_f64_e32 v48, v[48:49]
	v_min3_f32 v104, v50, v48, v103
	v_add_f64 v[48:49], v[34:35], v[46:47]
	v_add_f64 v[50:51], v[32:33], v[44:45]
	v_cvt_f32_f64_e32 v50, v[50:51]
	v_cvt_f32_f64_e32 v48, v[48:49]
	;; [unrolled: 5-line block ×6, first 2 shown]
	v_min3_f32 v99, v50, v48, v98
	v_add_f64 v[48:49], v[10:11], v[46:47]
	v_add_f64 v[50:51], v[8:9], v[44:45]
	;; [unrolled: 1-line block ×20, first 2 shown]
	v_cvt_f32_f64_e32 v50, v[50:51]
	v_cvt_f32_f64_e32 v48, v[48:49]
	;; [unrolled: 1-line block ×20, first 2 shown]
	v_add_f64 v[158:159], v[2:3], v[38:39]
	v_add_f64 v[160:161], v[0:1], v[36:37]
	v_min3_f32 v98, v50, v48, v97
	v_min3_f32 v97, v44, v45, v96
	;; [unrolled: 1-line block ×10, first 2 shown]
	v_cvt_f32_f64_e32 v157, v[160:161]
	v_cvt_f32_f64_e32 v158, v[158:159]
	ds_read_b128 v[28:31], v83 offset:272
	ds_read_b128 v[24:27], v83 offset:528
	;; [unrolled: 1-line block ×14, first 2 shown]
	v_min3_f32 v88, v157, v158, v88
	s_waitcnt lgkmcnt(0)
	v_add_f64 v[158:159], v[30:31], v[38:39]
	v_add_f64 v[160:161], v[28:29], v[36:37]
	v_cvt_f32_f64_e32 v157, v[160:161]
	v_cvt_f32_f64_e32 v158, v[158:159]
	v_min3_f32 v138, v157, v158, v138
	v_add_f64 v[158:159], v[26:27], v[38:39]
	v_add_f64 v[160:161], v[24:25], v[36:37]
	v_cvt_f32_f64_e32 v157, v[160:161]
	v_cvt_f32_f64_e32 v158, v[158:159]
	v_min3_f32 v139, v157, v158, v139
	;; [unrolled: 5-line block ×5, first 2 shown]
	v_add_f64 v[158:159], v[10:11], v[38:39]
	v_add_f64 v[160:161], v[8:9], v[36:37]
	;; [unrolled: 1-line block ×4, first 2 shown]
	v_cvt_f32_f64_e32 v36, v[36:37]
	v_cvt_f32_f64_e32 v37, v[38:39]
	v_min3_f32 v211, v36, v37, v156
	v_add_f64 v[36:37], v[2:3], v[62:63]
	v_add_f64 v[38:39], v[0:1], v[60:61]
	v_cvt_f32_f64_e32 v38, v[38:39]
	v_cvt_f32_f64_e32 v36, v[36:37]
	v_min3_f32 v212, v38, v36, v155
	v_add_f64 v[36:37], v[30:31], v[62:63]
	v_add_f64 v[38:39], v[28:29], v[60:61]
	;; [unrolled: 5-line block ×41, first 2 shown]
	v_add_f64 v[2:3], v[2:3], v[34:35]
	v_add_f64 v[0:1], v[0:1], v[32:33]
	v_cvt_f32_f64_e32 v38, v[38:39]
	v_cvt_f32_f64_e32 v36, v[36:37]
	;; [unrolled: 1-line block ×4, first 2 shown]
	v_min3_f32 v172, v38, v36, v104
	v_add_f64 v[36:37], v[30:31], v[42:43]
	v_add_f64 v[38:39], v[28:29], v[40:41]
	v_min3_f32 v163, v0, v1, v96
	v_add_f64 v[0:1], v[30:31], v[34:35]
	v_add_f64 v[2:3], v[28:29], v[32:33]
	v_cvt_f32_f64_e32 v38, v[38:39]
	v_cvt_f32_f64_e32 v36, v[36:37]
	;; [unrolled: 1-line block ×5, first 2 shown]
	v_min3_f32 v168, v38, v36, v103
	v_add_f64 v[36:37], v[26:27], v[42:43]
	v_add_f64 v[38:39], v[24:25], v[40:41]
	v_min3_f32 v160, v2, v0, v95
	v_add_f64 v[0:1], v[26:27], v[34:35]
	v_add_f64 v[2:3], v[24:25], v[32:33]
	v_cvt_f32_f64_e32 v38, v[38:39]
	v_cvt_f32_f64_e32 v36, v[36:37]
	;; [unrolled: 1-line block ×4, first 2 shown]
	v_min3_f32 v169, v38, v36, v102
	v_add_f64 v[36:37], v[22:23], v[42:43]
	v_add_f64 v[38:39], v[20:21], v[40:41]
	v_min3_f32 v161, v2, v0, v94
	v_add_f64 v[0:1], v[22:23], v[34:35]
	v_add_f64 v[2:3], v[20:21], v[32:33]
	v_cvt_f32_f64_e32 v158, v[158:159]
	v_cvt_f32_f64_e32 v38, v[38:39]
	;; [unrolled: 1-line block ×5, first 2 shown]
	v_min3_f32 v135, v157, v158, v135
	v_min3_f32 v166, v38, v36, v101
	v_add_f64 v[36:37], v[18:19], v[42:43]
	v_add_f64 v[38:39], v[16:17], v[40:41]
	v_min3_f32 v158, v2, v0, v93
	v_add_f64 v[0:1], v[18:19], v[34:35]
	v_add_f64 v[2:3], v[16:17], v[32:33]
	v_cvt_f32_f64_e32 v38, v[38:39]
	v_cvt_f32_f64_e32 v36, v[36:37]
	v_cvt_f32_f64_e32 v2, v[2:3]
	v_cvt_f32_f64_e32 v0, v[0:1]
	v_min3_f32 v167, v38, v36, v100
	v_add_f64 v[36:37], v[14:15], v[42:43]
	v_add_f64 v[38:39], v[12:13], v[40:41]
	v_min3_f32 v159, v2, v0, v92
	v_add_f64 v[0:1], v[14:15], v[34:35]
	v_add_f64 v[2:3], v[12:13], v[32:33]
	v_cvt_f32_f64_e32 v38, v[38:39]
	v_cvt_f32_f64_e32 v36, v[36:37]
	v_cvt_f32_f64_e32 v2, v[2:3]
	v_cvt_f32_f64_e32 v0, v[0:1]
	;; [unrolled: 10-line block ×4, first 2 shown]
	v_min3_f32 v162, v38, v36, v97
	v_min3_f32 v198, v2, v0, v89
	s_waitcnt vmcnt(0)
	ds_write_b64 v84, v[72:73]
	ds_write2st64_b64 v85, v[74:75], v[76:77] offset1:4
	ds_write2st64_b64 v85, v[78:79], v[80:81] offset0:8 offset1:12
	s_waitcnt lgkmcnt(0)
	s_barrier
	s_cbranch_scc0 .LBB124_10
.LBB124_11:
	s_load_dwordx2 s[10:11], s[0:1], 0x78
	s_load_dword s8, s[0:1], 0x58
	s_load_dword s9, s[0:1], 0x70
	ds_read_b128 v[68:71], v116 offset:18432
	ds_read_b128 v[124:127], v130 offset:8192
	;; [unrolled: 1-line block ×4, first 2 shown]
	s_waitcnt lgkmcnt(0)
	s_lshl_b64 s[0:1], s[10:11], 3
	s_add_u32 s0, s2, s0
	v_add_u32_e32 v213, s19, v129
	v_add_f64 v[0:1], v[70:71], v[126:127]
	v_add_f64 v[2:3], v[68:69], v[124:125]
	v_cvt_f32_f64_e32 v2, v[2:3]
	v_cvt_f32_f64_e32 v0, v[0:1]
	v_min3_f32 v140, v2, v0, v88
	ds_read_b128 v[60:63], v116 offset:18688
	ds_read_b128 v[52:55], v116 offset:18704
	;; [unrolled: 1-line block ×28, first 2 shown]
	v_add_f64 v[130:131], v[66:67], v[122:123]
	v_add_f64 v[136:137], v[64:65], v[120:121]
	v_cvt_f32_f64_e32 v136, v[136:137]
	v_cvt_f32_f64_e32 v130, v[130:131]
	s_addc_u32 s1, s3, s1
	v_min3_f32 v140, v136, v130, v140
	v_add_u32_e32 v136, s18, v128
	v_mad_i64_i32 v[130:131], s[2:3], v213, s9, 0
	v_add_u32_e32 v128, 8, v136
	v_lshl_add_u64 v[152:153], v[130:131], 3, s[0:1]
	v_mad_i64_i32 v[130:131], s[2:3], v213, s8, 0
	v_ashrrev_i32_e32 v137, 31, v136
	v_ashrrev_i32_e32 v129, 31, v128
	s_mov_b64 s[2:3], -1
	v_max_f32_e32 v143, v140, v140
	s_mov_b64 vcc, s[4:5]
	s_cbranch_vccz .LBB124_13
; %bb.12:
	v_min_f32_e32 v140, 0, v143
	v_cvt_f64_f32_e32 v[140:141], v140
	v_lshl_add_u64 v[144:145], v[136:137], 3, v[152:153]
	flat_store_dwordx2 v[144:145], v[140:141]
	s_mov_b64 s[2:3], 0
.LBB124_13:
	v_lshl_add_u64 v[154:155], v[130:131], 3, s[12:13]
	v_mov_b32_e32 v142, 0
	s_andn2_b64 vcc, exec, s[2:3]
	v_lshlrev_b64 v[140:141], 3, v[136:137]
	s_cbranch_vccnz .LBB124_15
; %bb.14:
	v_lshl_add_u64 v[130:131], v[154:155], 0, v[140:141]
	flat_load_dwordx2 v[130:131], v[130:131]
	v_lshl_add_u64 v[144:145], v[152:153], 0, v[140:141]
	s_waitcnt vmcnt(0) lgkmcnt(0)
	v_mul_f64 v[130:131], s[6:7], v[130:131]
	v_cvt_f32_f64_e32 v130, v[130:131]
	v_min_f32_e32 v130, v130, v143
	v_cvt_f64_f32_e32 v[130:131], v130
	flat_store_dwordx2 v[144:145], v[130:131]
	v_lshl_add_u64 v[130:131], v[128:129], 3, v[154:155]
	flat_load_dwordx2 v[130:131], v[130:131]
	s_waitcnt vmcnt(0) lgkmcnt(0)
	v_mul_f64 v[130:131], s[6:7], v[130:131]
	v_cvt_f32_f64_e32 v142, v[130:131]
.LBB124_15:
	s_waitcnt lgkmcnt(0)
	v_add_f64 v[130:131], v[62:63], v[126:127]
	v_add_f64 v[144:145], v[60:61], v[124:125]
	v_cvt_f32_f64_e32 v143, v[144:145]
	v_cvt_f32_f64_e32 v130, v[130:131]
	v_min3_f32 v143, v143, v130, v138
	v_add_f64 v[130:131], v[58:59], v[126:127]
	v_add_f64 v[144:145], v[56:57], v[124:125]
	v_cvt_f32_f64_e32 v138, v[144:145]
	v_cvt_f32_f64_e32 v130, v[130:131]
	v_min3_f32 v144, v138, v130, v139
	v_add_f64 v[130:131], v[54:55], v[122:123]
	v_add_f64 v[138:139], v[52:53], v[120:121]
	v_cvt_f32_f64_e32 v138, v[138:139]
	v_cvt_f32_f64_e32 v130, v[130:131]
	v_min_f32_e32 v145, v138, v130
	v_add_f64 v[130:131], v[50:51], v[122:123]
	v_add_f64 v[138:139], v[48:49], v[120:121]
	v_cvt_f32_f64_e32 v138, v[138:139]
	v_cvt_f32_f64_e32 v130, v[130:131]
	v_min3_f32 v142, v142, v145, v143
	v_min3_f32 v146, v138, v130, v144
	v_add_u32_e32 v138, 16, v136
	v_add_u32_e32 v130, 24, v136
	v_cvt_f64_f32_e32 v[142:143], v142
	v_lshl_add_u64 v[144:145], v[128:129], 3, v[152:153]
	v_ashrrev_i32_e32 v139, 31, v138
	v_ashrrev_i32_e32 v131, 31, v130
	flat_store_dwordx2 v[144:145], v[142:143]
	s_mov_b64 s[2:3], -1
	v_max_f32_e32 v142, v146, v146
	s_mov_b64 vcc, s[4:5]
	s_cbranch_vccz .LBB124_17
; %bb.16:
	v_min_f32_e32 v143, 0, v142
	v_cvt_f64_f32_e32 v[144:145], v143
	v_lshl_add_u64 v[146:147], v[138:139], 3, v[152:153]
	flat_store_dwordx2 v[146:147], v[144:145]
	s_mov_b64 s[2:3], 0
.LBB124_17:
	v_mov_b32_e32 v146, 0
	s_andn2_b64 vcc, exec, s[2:3]
	v_lshlrev_b64 v[144:145], 3, v[138:139]
	s_cbranch_vccnz .LBB124_19
; %bb.18:
	v_lshl_add_u64 v[146:147], v[154:155], 0, v[144:145]
	flat_load_dwordx2 v[146:147], v[146:147]
	v_lshl_add_u64 v[148:149], v[152:153], 0, v[144:145]
	s_waitcnt vmcnt(0) lgkmcnt(0)
	v_mul_f64 v[146:147], s[6:7], v[146:147]
	v_cvt_f32_f64_e32 v143, v[146:147]
	v_min_f32_e32 v142, v143, v142
	v_cvt_f64_f32_e32 v[142:143], v142
	flat_store_dwordx2 v[148:149], v[142:143]
	v_lshl_add_u64 v[142:143], v[130:131], 3, v[154:155]
	flat_load_dwordx2 v[142:143], v[142:143]
	s_waitcnt vmcnt(0) lgkmcnt(0)
	v_mul_f64 v[142:143], s[6:7], v[142:143]
	v_cvt_f32_f64_e32 v146, v[142:143]
.LBB124_19:
	v_add_f64 v[142:143], v[46:47], v[126:127]
	v_add_f64 v[148:149], v[44:45], v[124:125]
	v_cvt_f32_f64_e32 v147, v[148:149]
	v_cvt_f32_f64_e32 v142, v[142:143]
	v_min3_f32 v147, v147, v142, v132
	v_add_f64 v[142:143], v[42:43], v[126:127]
	v_add_f64 v[148:149], v[40:41], v[124:125]
	v_cvt_f32_f64_e32 v132, v[148:149]
	v_cvt_f32_f64_e32 v142, v[142:143]
	v_min3_f32 v148, v132, v142, v133
	v_add_f64 v[132:133], v[38:39], v[122:123]
	v_add_f64 v[142:143], v[36:37], v[120:121]
	v_cvt_f32_f64_e32 v142, v[142:143]
	v_cvt_f32_f64_e32 v132, v[132:133]
	v_min_f32_e32 v149, v142, v132
	v_add_f64 v[132:133], v[34:35], v[122:123]
	v_add_f64 v[142:143], v[32:33], v[120:121]
	v_cvt_f32_f64_e32 v142, v[142:143]
	v_cvt_f32_f64_e32 v132, v[132:133]
	v_min3_f32 v146, v146, v149, v147
	v_min3_f32 v150, v142, v132, v148
	v_add_u32_e32 v142, 32, v136
	v_add_u32_e32 v132, 40, v136
	v_cvt_f64_f32_e32 v[146:147], v146
	v_lshl_add_u64 v[148:149], v[130:131], 3, v[152:153]
	v_ashrrev_i32_e32 v143, 31, v142
	v_ashrrev_i32_e32 v133, 31, v132
	flat_store_dwordx2 v[148:149], v[146:147]
	s_mov_b64 s[2:3], -1
	v_max_f32_e32 v146, v150, v150
	s_mov_b64 vcc, s[4:5]
	s_cbranch_vccz .LBB124_21
; %bb.20:
	v_min_f32_e32 v147, 0, v146
	v_cvt_f64_f32_e32 v[148:149], v147
	v_lshl_add_u64 v[150:151], v[142:143], 3, v[152:153]
	flat_store_dwordx2 v[150:151], v[148:149]
	s_mov_b64 s[2:3], 0
.LBB124_21:
	v_mov_b32_e32 v150, 0
	s_andn2_b64 vcc, exec, s[2:3]
	v_lshlrev_b64 v[148:149], 3, v[142:143]
	s_cbranch_vccnz .LBB124_23
; %bb.22:
	v_lshl_add_u64 v[150:151], v[154:155], 0, v[148:149]
	flat_load_dwordx2 v[150:151], v[150:151]
	v_lshl_add_u64 v[214:215], v[152:153], 0, v[148:149]
	s_waitcnt vmcnt(0) lgkmcnt(0)
	v_mul_f64 v[150:151], s[6:7], v[150:151]
	v_cvt_f32_f64_e32 v147, v[150:151]
	v_min_f32_e32 v146, v147, v146
	v_cvt_f64_f32_e32 v[146:147], v146
	flat_store_dwordx2 v[214:215], v[146:147]
	v_lshl_add_u64 v[146:147], v[132:133], 3, v[154:155]
	flat_load_dwordx2 v[146:147], v[146:147]
	s_waitcnt vmcnt(0) lgkmcnt(0)
	v_mul_f64 v[146:147], s[6:7], v[146:147]
	v_cvt_f32_f64_e32 v150, v[146:147]
.LBB124_23:
	v_add_f64 v[146:147], v[30:31], v[126:127]
	v_add_f64 v[214:215], v[28:29], v[124:125]
	v_cvt_f32_f64_e32 v151, v[214:215]
	v_cvt_f32_f64_e32 v146, v[146:147]
	v_min3_f32 v151, v151, v146, v134
	v_add_f64 v[146:147], v[26:27], v[126:127]
	v_add_f64 v[214:215], v[24:25], v[124:125]
	v_cvt_f32_f64_e32 v134, v[214:215]
	v_cvt_f32_f64_e32 v146, v[146:147]
	v_min3_f32 v214, v134, v146, v135
	v_add_f64 v[134:135], v[22:23], v[122:123]
	v_add_f64 v[146:147], v[20:21], v[120:121]
	v_cvt_f32_f64_e32 v146, v[146:147]
	v_cvt_f32_f64_e32 v134, v[134:135]
	v_min_f32_e32 v215, v146, v134
	v_add_f64 v[134:135], v[18:19], v[122:123]
	v_add_f64 v[146:147], v[16:17], v[120:121]
	v_cvt_f32_f64_e32 v146, v[146:147]
	v_cvt_f32_f64_e32 v134, v[134:135]
	v_min3_f32 v150, v150, v215, v151
	v_min3_f32 v216, v146, v134, v214
	v_add_u32_e32 v146, 48, v136
	v_add_u32_e32 v134, 56, v136
	v_cvt_f64_f32_e32 v[150:151], v150
	v_lshl_add_u64 v[214:215], v[132:133], 3, v[152:153]
	v_ashrrev_i32_e32 v147, 31, v146
	v_ashrrev_i32_e32 v135, 31, v134
	flat_store_dwordx2 v[214:215], v[150:151]
	s_mov_b64 s[2:3], -1
	v_max_f32_e32 v215, v216, v216
	s_mov_b64 vcc, s[4:5]
	s_cbranch_vccz .LBB124_25
; %bb.24:
	v_min_f32_e32 v150, 0, v215
	v_cvt_f64_f32_e32 v[150:151], v150
	v_lshl_add_u64 v[216:217], v[146:147], 3, v[152:153]
	flat_store_dwordx2 v[216:217], v[150:151]
	s_mov_b64 s[2:3], 0
.LBB124_25:
	v_mov_b32_e32 v214, 0
	s_andn2_b64 vcc, exec, s[2:3]
	v_lshlrev_b64 v[150:151], 3, v[146:147]
	s_cbranch_vccnz .LBB124_27
; %bb.26:
	v_lshl_add_u64 v[216:217], v[154:155], 0, v[150:151]
	flat_load_dwordx2 v[216:217], v[216:217]
	v_lshl_add_u64 v[218:219], v[152:153], 0, v[150:151]
	v_lshl_add_u64 v[154:155], v[134:135], 3, v[154:155]
	s_waitcnt vmcnt(0) lgkmcnt(0)
	v_mul_f64 v[216:217], s[6:7], v[216:217]
	v_cvt_f32_f64_e32 v214, v[216:217]
	v_min_f32_e32 v214, v214, v215
	v_cvt_f64_f32_e32 v[214:215], v214
	flat_store_dwordx2 v[218:219], v[214:215]
	flat_load_dwordx2 v[154:155], v[154:155]
	s_waitcnt vmcnt(0) lgkmcnt(0)
	v_mul_f64 v[154:155], s[6:7], v[154:155]
	v_cvt_f32_f64_e32 v214, v[154:155]
.LBB124_27:
	v_add_f64 v[126:127], v[2:3], v[126:127]
	v_add_f64 v[124:125], v[0:1], v[124:125]
	v_cvt_f32_f64_e32 v124, v[124:125]
	v_cvt_f32_f64_e32 v125, v[126:127]
	v_add_f64 v[122:123], v[10:11], v[122:123]
	v_add_f64 v[120:121], v[8:9], v[120:121]
	v_min3_f32 v154, v124, v125, v211
	v_add_f64 v[124:125], v[70:71], v[118:119]
	v_add_f64 v[126:127], v[68:69], v[116:117]
	v_cvt_f32_f64_e32 v120, v[120:121]
	v_cvt_f32_f64_e32 v121, v[122:123]
	;; [unrolled: 1-line block ×4, first 2 shown]
	v_min_f32_e32 v125, v120, v121
	v_add_f64 v[120:121], v[66:67], v[114:115]
	v_add_f64 v[122:123], v[64:65], v[112:113]
	v_min3_f32 v124, v126, v124, v212
	v_cvt_f32_f64_e32 v122, v[122:123]
	v_cvt_f32_f64_e32 v120, v[120:121]
	v_min3_f32 v124, v122, v120, v124
	v_min3_f32 v120, v214, v125, v154
	v_cvt_f64_f32_e32 v[120:121], v120
	v_lshl_add_u64 v[122:123], v[134:135], 3, v[152:153]
	flat_store_dwordx2 v[122:123], v[120:121]
	v_add_u32_e32 v122, 32, v213
	v_mad_i64_i32 v[120:121], s[2:3], v122, s9, 0
	v_mad_i64_i32 v[122:123], s[2:3], v122, s8, 0
	v_lshl_add_u64 v[120:121], v[120:121], 3, s[0:1]
	s_mov_b64 s[2:3], -1
	v_max_f32_e32 v125, v124, v124
	s_mov_b64 vcc, s[4:5]
	s_cbranch_vccz .LBB124_29
; %bb.28:
	v_min_f32_e32 v124, 0, v125
	v_cvt_f64_f32_e32 v[126:127], v124
	v_lshl_add_u64 v[152:153], v[136:137], 3, v[120:121]
	flat_store_dwordx2 v[152:153], v[126:127]
	s_mov_b64 s[2:3], 0
.LBB124_29:
	v_lshl_add_u64 v[122:123], v[122:123], 3, s[12:13]
	s_andn2_b64 vcc, exec, s[2:3]
	v_mov_b32_e32 v124, 0
	s_cbranch_vccnz .LBB124_31
; %bb.30:
	v_lshl_add_u64 v[126:127], v[122:123], 0, v[140:141]
	flat_load_dwordx2 v[126:127], v[126:127]
	v_lshl_add_u64 v[152:153], v[120:121], 0, v[140:141]
	s_waitcnt vmcnt(0) lgkmcnt(0)
	v_mul_f64 v[126:127], s[6:7], v[126:127]
	v_cvt_f32_f64_e32 v124, v[126:127]
	v_min_f32_e32 v124, v124, v125
	v_cvt_f64_f32_e32 v[124:125], v124
	flat_store_dwordx2 v[152:153], v[124:125]
	v_lshl_add_u64 v[124:125], v[128:129], 3, v[122:123]
	flat_load_dwordx2 v[124:125], v[124:125]
	s_waitcnt vmcnt(0) lgkmcnt(0)
	v_mul_f64 v[124:125], s[6:7], v[124:125]
	v_cvt_f32_f64_e32 v124, v[124:125]
.LBB124_31:
	v_add_f64 v[126:127], v[62:63], v[118:119]
	v_add_f64 v[152:153], v[60:61], v[116:117]
	v_cvt_f32_f64_e32 v125, v[152:153]
	v_cvt_f32_f64_e32 v126, v[126:127]
	v_min3_f32 v125, v125, v126, v209
	v_add_f64 v[126:127], v[58:59], v[118:119]
	v_add_f64 v[152:153], v[56:57], v[116:117]
	v_cvt_f32_f64_e32 v152, v[152:153]
	v_cvt_f32_f64_e32 v126, v[126:127]
	v_min3_f32 v154, v152, v126, v210
	v_add_f64 v[126:127], v[54:55], v[114:115]
	v_add_f64 v[152:153], v[52:53], v[112:113]
	v_cvt_f32_f64_e32 v152, v[152:153]
	v_cvt_f32_f64_e32 v126, v[126:127]
	v_min_f32_e32 v155, v152, v126
	v_add_f64 v[126:127], v[50:51], v[114:115]
	v_add_f64 v[152:153], v[48:49], v[112:113]
	v_cvt_f32_f64_e32 v152, v[152:153]
	v_cvt_f32_f64_e32 v126, v[126:127]
	v_min3_f32 v124, v124, v155, v125
	v_min3_f32 v152, v152, v126, v154
	v_cvt_f64_f32_e32 v[124:125], v124
	v_lshl_add_u64 v[126:127], v[128:129], 3, v[120:121]
	flat_store_dwordx2 v[126:127], v[124:125]
	s_mov_b64 s[2:3], -1
	v_max_f32_e32 v125, v152, v152
	s_mov_b64 vcc, s[4:5]
	s_cbranch_vccz .LBB124_33
; %bb.32:
	v_min_f32_e32 v124, 0, v125
	v_cvt_f64_f32_e32 v[126:127], v124
	v_lshl_add_u64 v[152:153], v[138:139], 3, v[120:121]
	flat_store_dwordx2 v[152:153], v[126:127]
	s_mov_b64 s[2:3], 0
.LBB124_33:
	s_andn2_b64 vcc, exec, s[2:3]
	v_mov_b32_e32 v124, 0
	s_cbranch_vccnz .LBB124_35
; %bb.34:
	v_lshl_add_u64 v[126:127], v[122:123], 0, v[144:145]
	flat_load_dwordx2 v[126:127], v[126:127]
	v_lshl_add_u64 v[152:153], v[120:121], 0, v[144:145]
	s_waitcnt vmcnt(0) lgkmcnt(0)
	v_mul_f64 v[126:127], s[6:7], v[126:127]
	v_cvt_f32_f64_e32 v124, v[126:127]
	v_min_f32_e32 v124, v124, v125
	v_cvt_f64_f32_e32 v[124:125], v124
	flat_store_dwordx2 v[152:153], v[124:125]
	v_lshl_add_u64 v[124:125], v[130:131], 3, v[122:123]
	flat_load_dwordx2 v[124:125], v[124:125]
	s_waitcnt vmcnt(0) lgkmcnt(0)
	v_mul_f64 v[124:125], s[6:7], v[124:125]
	v_cvt_f32_f64_e32 v124, v[124:125]
.LBB124_35:
	v_add_f64 v[126:127], v[46:47], v[118:119]
	v_add_f64 v[152:153], v[44:45], v[116:117]
	v_cvt_f32_f64_e32 v125, v[152:153]
	v_cvt_f32_f64_e32 v126, v[126:127]
	v_min3_f32 v125, v125, v126, v207
	v_add_f64 v[126:127], v[42:43], v[118:119]
	v_add_f64 v[152:153], v[40:41], v[116:117]
	v_cvt_f32_f64_e32 v152, v[152:153]
	v_cvt_f32_f64_e32 v126, v[126:127]
	v_min3_f32 v154, v152, v126, v208
	v_add_f64 v[126:127], v[38:39], v[114:115]
	v_add_f64 v[152:153], v[36:37], v[112:113]
	v_cvt_f32_f64_e32 v152, v[152:153]
	v_cvt_f32_f64_e32 v126, v[126:127]
	v_min_f32_e32 v155, v152, v126
	v_add_f64 v[126:127], v[34:35], v[114:115]
	v_add_f64 v[152:153], v[32:33], v[112:113]
	v_cvt_f32_f64_e32 v152, v[152:153]
	v_cvt_f32_f64_e32 v126, v[126:127]
	v_min3_f32 v124, v124, v155, v125
	v_min3_f32 v152, v152, v126, v154
	v_cvt_f64_f32_e32 v[124:125], v124
	v_lshl_add_u64 v[126:127], v[130:131], 3, v[120:121]
	flat_store_dwordx2 v[126:127], v[124:125]
	s_mov_b64 s[2:3], -1
	v_max_f32_e32 v125, v152, v152
	s_mov_b64 vcc, s[4:5]
	s_cbranch_vccz .LBB124_37
; %bb.36:
	v_min_f32_e32 v124, 0, v125
	v_cvt_f64_f32_e32 v[126:127], v124
	v_lshl_add_u64 v[152:153], v[142:143], 3, v[120:121]
	flat_store_dwordx2 v[152:153], v[126:127]
	s_mov_b64 s[2:3], 0
.LBB124_37:
	;; [unrolled: 54-line block ×3, first 2 shown]
	s_andn2_b64 vcc, exec, s[2:3]
	v_mov_b32_e32 v124, 0
	s_cbranch_vccnz .LBB124_43
; %bb.42:
	v_lshl_add_u64 v[126:127], v[122:123], 0, v[150:151]
	flat_load_dwordx2 v[126:127], v[126:127]
	v_lshl_add_u64 v[152:153], v[120:121], 0, v[150:151]
	v_lshl_add_u64 v[122:123], v[134:135], 3, v[122:123]
	s_waitcnt vmcnt(0) lgkmcnt(0)
	v_mul_f64 v[126:127], s[6:7], v[126:127]
	v_cvt_f32_f64_e32 v124, v[126:127]
	v_min_f32_e32 v124, v124, v125
	v_cvt_f64_f32_e32 v[124:125], v124
	flat_store_dwordx2 v[152:153], v[124:125]
	flat_load_dwordx2 v[122:123], v[122:123]
	s_waitcnt vmcnt(0) lgkmcnt(0)
	v_mul_f64 v[122:123], s[6:7], v[122:123]
	v_cvt_f32_f64_e32 v124, v[122:123]
.LBB124_43:
	v_add_f64 v[118:119], v[2:3], v[118:119]
	v_add_f64 v[116:117], v[0:1], v[116:117]
	v_cvt_f32_f64_e32 v116, v[116:117]
	v_cvt_f32_f64_e32 v117, v[118:119]
	v_add_f64 v[114:115], v[10:11], v[114:115]
	v_add_f64 v[112:113], v[8:9], v[112:113]
	v_min3_f32 v122, v116, v117, v203
	v_add_f64 v[116:117], v[70:71], v[110:111]
	v_add_f64 v[118:119], v[68:69], v[108:109]
	v_cvt_f32_f64_e32 v112, v[112:113]
	v_cvt_f32_f64_e32 v113, v[114:115]
	v_cvt_f32_f64_e32 v118, v[118:119]
	v_cvt_f32_f64_e32 v116, v[116:117]
	v_min_f32_e32 v117, v112, v113
	v_add_f64 v[112:113], v[66:67], v[106:107]
	v_add_f64 v[114:115], v[64:65], v[104:105]
	v_min3_f32 v116, v118, v116, v205
	v_cvt_f32_f64_e32 v114, v[114:115]
	v_cvt_f32_f64_e32 v112, v[112:113]
	v_min3_f32 v116, v114, v112, v116
	v_min3_f32 v112, v124, v117, v122
	v_cvt_f64_f32_e32 v[112:113], v112
	v_lshl_add_u64 v[114:115], v[134:135], 3, v[120:121]
	flat_store_dwordx2 v[114:115], v[112:113]
	v_add_u32_e32 v114, 64, v213
	v_mad_i64_i32 v[112:113], s[2:3], v114, s9, 0
	v_mad_i64_i32 v[114:115], s[2:3], v114, s8, 0
	v_lshl_add_u64 v[112:113], v[112:113], 3, s[0:1]
	s_mov_b64 s[2:3], -1
	v_max_f32_e32 v117, v116, v116
	s_mov_b64 vcc, s[4:5]
	s_cbranch_vccz .LBB124_45
; %bb.44:
	v_min_f32_e32 v116, 0, v117
	v_cvt_f64_f32_e32 v[118:119], v116
	v_lshl_add_u64 v[120:121], v[136:137], 3, v[112:113]
	flat_store_dwordx2 v[120:121], v[118:119]
	s_mov_b64 s[2:3], 0
.LBB124_45:
	v_lshl_add_u64 v[114:115], v[114:115], 3, s[12:13]
	s_andn2_b64 vcc, exec, s[2:3]
	v_mov_b32_e32 v116, 0
	s_cbranch_vccnz .LBB124_47
; %bb.46:
	v_lshl_add_u64 v[118:119], v[114:115], 0, v[140:141]
	flat_load_dwordx2 v[118:119], v[118:119]
	v_lshl_add_u64 v[120:121], v[112:113], 0, v[140:141]
	s_waitcnt vmcnt(0) lgkmcnt(0)
	v_mul_f64 v[118:119], s[6:7], v[118:119]
	v_cvt_f32_f64_e32 v116, v[118:119]
	v_min_f32_e32 v116, v116, v117
	v_cvt_f64_f32_e32 v[116:117], v116
	flat_store_dwordx2 v[120:121], v[116:117]
	v_lshl_add_u64 v[116:117], v[128:129], 3, v[114:115]
	flat_load_dwordx2 v[116:117], v[116:117]
	s_waitcnt vmcnt(0) lgkmcnt(0)
	v_mul_f64 v[116:117], s[6:7], v[116:117]
	v_cvt_f32_f64_e32 v116, v[116:117]
.LBB124_47:
	v_add_f64 v[118:119], v[62:63], v[110:111]
	v_add_f64 v[120:121], v[60:61], v[108:109]
	v_cvt_f32_f64_e32 v117, v[120:121]
	v_cvt_f32_f64_e32 v118, v[118:119]
	v_min3_f32 v117, v117, v118, v201
	v_add_f64 v[118:119], v[58:59], v[110:111]
	v_add_f64 v[120:121], v[56:57], v[108:109]
	v_cvt_f32_f64_e32 v120, v[120:121]
	v_cvt_f32_f64_e32 v118, v[118:119]
	v_min3_f32 v122, v120, v118, v202
	v_add_f64 v[118:119], v[54:55], v[106:107]
	v_add_f64 v[120:121], v[52:53], v[104:105]
	v_cvt_f32_f64_e32 v120, v[120:121]
	v_cvt_f32_f64_e32 v118, v[118:119]
	v_min_f32_e32 v123, v120, v118
	v_add_f64 v[118:119], v[50:51], v[106:107]
	v_add_f64 v[120:121], v[48:49], v[104:105]
	v_cvt_f32_f64_e32 v120, v[120:121]
	v_cvt_f32_f64_e32 v118, v[118:119]
	v_min3_f32 v116, v116, v123, v117
	v_min3_f32 v120, v120, v118, v122
	v_cvt_f64_f32_e32 v[116:117], v116
	v_lshl_add_u64 v[118:119], v[128:129], 3, v[112:113]
	flat_store_dwordx2 v[118:119], v[116:117]
	s_mov_b64 s[2:3], -1
	v_max_f32_e32 v117, v120, v120
	s_mov_b64 vcc, s[4:5]
	s_cbranch_vccz .LBB124_49
; %bb.48:
	v_min_f32_e32 v116, 0, v117
	v_cvt_f64_f32_e32 v[118:119], v116
	v_lshl_add_u64 v[120:121], v[138:139], 3, v[112:113]
	flat_store_dwordx2 v[120:121], v[118:119]
	s_mov_b64 s[2:3], 0
.LBB124_49:
	s_andn2_b64 vcc, exec, s[2:3]
	v_mov_b32_e32 v116, 0
	s_cbranch_vccnz .LBB124_51
; %bb.50:
	v_lshl_add_u64 v[118:119], v[114:115], 0, v[144:145]
	flat_load_dwordx2 v[118:119], v[118:119]
	v_lshl_add_u64 v[120:121], v[112:113], 0, v[144:145]
	s_waitcnt vmcnt(0) lgkmcnt(0)
	v_mul_f64 v[118:119], s[6:7], v[118:119]
	v_cvt_f32_f64_e32 v116, v[118:119]
	v_min_f32_e32 v116, v116, v117
	v_cvt_f64_f32_e32 v[116:117], v116
	flat_store_dwordx2 v[120:121], v[116:117]
	v_lshl_add_u64 v[116:117], v[130:131], 3, v[114:115]
	flat_load_dwordx2 v[116:117], v[116:117]
	s_waitcnt vmcnt(0) lgkmcnt(0)
	v_mul_f64 v[116:117], s[6:7], v[116:117]
	v_cvt_f32_f64_e32 v116, v[116:117]
.LBB124_51:
	v_add_f64 v[118:119], v[46:47], v[110:111]
	v_add_f64 v[120:121], v[44:45], v[108:109]
	v_cvt_f32_f64_e32 v117, v[120:121]
	v_cvt_f32_f64_e32 v118, v[118:119]
	v_min3_f32 v117, v117, v118, v199
	v_add_f64 v[118:119], v[42:43], v[110:111]
	v_add_f64 v[120:121], v[40:41], v[108:109]
	v_cvt_f32_f64_e32 v120, v[120:121]
	v_cvt_f32_f64_e32 v118, v[118:119]
	v_min3_f32 v122, v120, v118, v200
	v_add_f64 v[118:119], v[38:39], v[106:107]
	v_add_f64 v[120:121], v[36:37], v[104:105]
	v_cvt_f32_f64_e32 v120, v[120:121]
	v_cvt_f32_f64_e32 v118, v[118:119]
	v_min_f32_e32 v123, v120, v118
	v_add_f64 v[118:119], v[34:35], v[106:107]
	v_add_f64 v[120:121], v[32:33], v[104:105]
	v_cvt_f32_f64_e32 v120, v[120:121]
	v_cvt_f32_f64_e32 v118, v[118:119]
	v_min3_f32 v116, v116, v123, v117
	v_min3_f32 v120, v120, v118, v122
	v_cvt_f64_f32_e32 v[116:117], v116
	v_lshl_add_u64 v[118:119], v[130:131], 3, v[112:113]
	flat_store_dwordx2 v[118:119], v[116:117]
	s_mov_b64 s[2:3], -1
	v_max_f32_e32 v117, v120, v120
	s_mov_b64 vcc, s[4:5]
	s_cbranch_vccz .LBB124_53
; %bb.52:
	v_min_f32_e32 v116, 0, v117
	v_cvt_f64_f32_e32 v[118:119], v116
	v_lshl_add_u64 v[120:121], v[142:143], 3, v[112:113]
	flat_store_dwordx2 v[120:121], v[118:119]
	s_mov_b64 s[2:3], 0
.LBB124_53:
	;; [unrolled: 54-line block ×3, first 2 shown]
	s_andn2_b64 vcc, exec, s[2:3]
	v_mov_b32_e32 v116, 0
	s_cbranch_vccnz .LBB124_59
; %bb.58:
	v_lshl_add_u64 v[118:119], v[114:115], 0, v[150:151]
	flat_load_dwordx2 v[118:119], v[118:119]
	v_lshl_add_u64 v[120:121], v[112:113], 0, v[150:151]
	v_lshl_add_u64 v[114:115], v[134:135], 3, v[114:115]
	s_waitcnt vmcnt(0) lgkmcnt(0)
	v_mul_f64 v[118:119], s[6:7], v[118:119]
	v_cvt_f32_f64_e32 v116, v[118:119]
	v_min_f32_e32 v116, v116, v117
	v_cvt_f64_f32_e32 v[116:117], v116
	flat_store_dwordx2 v[120:121], v[116:117]
	flat_load_dwordx2 v[114:115], v[114:115]
	s_waitcnt vmcnt(0) lgkmcnt(0)
	v_mul_f64 v[114:115], s[6:7], v[114:115]
	v_cvt_f32_f64_e32 v116, v[114:115]
.LBB124_59:
	v_add_f64 v[110:111], v[2:3], v[110:111]
	v_add_f64 v[108:109], v[0:1], v[108:109]
	v_cvt_f32_f64_e32 v108, v[108:109]
	v_cvt_f32_f64_e32 v109, v[110:111]
	v_add_f64 v[106:107], v[10:11], v[106:107]
	v_add_f64 v[104:105], v[8:9], v[104:105]
	v_min3_f32 v114, v108, v109, v194
	v_add_f64 v[108:109], v[70:71], v[102:103]
	v_add_f64 v[110:111], v[68:69], v[100:101]
	v_cvt_f32_f64_e32 v104, v[104:105]
	v_cvt_f32_f64_e32 v105, v[106:107]
	;; [unrolled: 1-line block ×4, first 2 shown]
	v_min_f32_e32 v109, v104, v105
	v_add_f64 v[104:105], v[66:67], v[98:99]
	v_add_f64 v[106:107], v[64:65], v[96:97]
	v_min3_f32 v108, v110, v108, v196
	v_cvt_f32_f64_e32 v106, v[106:107]
	v_cvt_f32_f64_e32 v104, v[104:105]
	v_min3_f32 v108, v106, v104, v108
	v_min3_f32 v104, v116, v109, v114
	v_cvt_f64_f32_e32 v[104:105], v104
	v_lshl_add_u64 v[106:107], v[134:135], 3, v[112:113]
	flat_store_dwordx2 v[106:107], v[104:105]
	v_add_u32_e32 v106, 0x60, v213
	v_mad_i64_i32 v[104:105], s[2:3], v106, s9, 0
	v_mad_i64_i32 v[106:107], s[2:3], v106, s8, 0
	v_lshl_add_u64 v[104:105], v[104:105], 3, s[0:1]
	s_mov_b64 s[2:3], -1
	v_max_f32_e32 v109, v108, v108
	s_mov_b64 vcc, s[4:5]
	s_cbranch_vccz .LBB124_61
; %bb.60:
	v_min_f32_e32 v108, 0, v109
	v_cvt_f64_f32_e32 v[110:111], v108
	v_lshl_add_u64 v[112:113], v[136:137], 3, v[104:105]
	flat_store_dwordx2 v[112:113], v[110:111]
	s_mov_b64 s[2:3], 0
.LBB124_61:
	v_lshl_add_u64 v[106:107], v[106:107], 3, s[12:13]
	s_andn2_b64 vcc, exec, s[2:3]
	v_mov_b32_e32 v108, 0
	s_cbranch_vccnz .LBB124_63
; %bb.62:
	v_lshl_add_u64 v[110:111], v[106:107], 0, v[140:141]
	flat_load_dwordx2 v[110:111], v[110:111]
	v_lshl_add_u64 v[112:113], v[104:105], 0, v[140:141]
	s_waitcnt vmcnt(0) lgkmcnt(0)
	v_mul_f64 v[110:111], s[6:7], v[110:111]
	v_cvt_f32_f64_e32 v108, v[110:111]
	v_min_f32_e32 v108, v108, v109
	v_cvt_f64_f32_e32 v[108:109], v108
	flat_store_dwordx2 v[112:113], v[108:109]
	v_lshl_add_u64 v[108:109], v[128:129], 3, v[106:107]
	flat_load_dwordx2 v[108:109], v[108:109]
	s_waitcnt vmcnt(0) lgkmcnt(0)
	v_mul_f64 v[108:109], s[6:7], v[108:109]
	v_cvt_f32_f64_e32 v108, v[108:109]
.LBB124_63:
	v_add_f64 v[110:111], v[62:63], v[102:103]
	v_add_f64 v[112:113], v[60:61], v[100:101]
	v_cvt_f32_f64_e32 v109, v[112:113]
	v_cvt_f32_f64_e32 v110, v[110:111]
	v_min3_f32 v109, v109, v110, v192
	v_add_f64 v[110:111], v[58:59], v[102:103]
	v_add_f64 v[112:113], v[56:57], v[100:101]
	v_cvt_f32_f64_e32 v112, v[112:113]
	v_cvt_f32_f64_e32 v110, v[110:111]
	v_min3_f32 v114, v112, v110, v193
	v_add_f64 v[110:111], v[54:55], v[98:99]
	v_add_f64 v[112:113], v[52:53], v[96:97]
	v_cvt_f32_f64_e32 v112, v[112:113]
	v_cvt_f32_f64_e32 v110, v[110:111]
	v_min_f32_e32 v115, v112, v110
	v_add_f64 v[110:111], v[50:51], v[98:99]
	v_add_f64 v[112:113], v[48:49], v[96:97]
	v_cvt_f32_f64_e32 v112, v[112:113]
	v_cvt_f32_f64_e32 v110, v[110:111]
	v_min3_f32 v108, v108, v115, v109
	v_min3_f32 v112, v112, v110, v114
	v_cvt_f64_f32_e32 v[108:109], v108
	v_lshl_add_u64 v[110:111], v[128:129], 3, v[104:105]
	flat_store_dwordx2 v[110:111], v[108:109]
	s_mov_b64 s[2:3], -1
	v_max_f32_e32 v109, v112, v112
	s_mov_b64 vcc, s[4:5]
	s_cbranch_vccz .LBB124_65
; %bb.64:
	v_min_f32_e32 v108, 0, v109
	v_cvt_f64_f32_e32 v[110:111], v108
	v_lshl_add_u64 v[112:113], v[138:139], 3, v[104:105]
	flat_store_dwordx2 v[112:113], v[110:111]
	s_mov_b64 s[2:3], 0
.LBB124_65:
	s_andn2_b64 vcc, exec, s[2:3]
	v_mov_b32_e32 v108, 0
	s_cbranch_vccnz .LBB124_67
; %bb.66:
	v_lshl_add_u64 v[110:111], v[106:107], 0, v[144:145]
	flat_load_dwordx2 v[110:111], v[110:111]
	v_lshl_add_u64 v[112:113], v[104:105], 0, v[144:145]
	s_waitcnt vmcnt(0) lgkmcnt(0)
	v_mul_f64 v[110:111], s[6:7], v[110:111]
	v_cvt_f32_f64_e32 v108, v[110:111]
	v_min_f32_e32 v108, v108, v109
	v_cvt_f64_f32_e32 v[108:109], v108
	flat_store_dwordx2 v[112:113], v[108:109]
	v_lshl_add_u64 v[108:109], v[130:131], 3, v[106:107]
	flat_load_dwordx2 v[108:109], v[108:109]
	s_waitcnt vmcnt(0) lgkmcnt(0)
	v_mul_f64 v[108:109], s[6:7], v[108:109]
	v_cvt_f32_f64_e32 v108, v[108:109]
.LBB124_67:
	v_add_f64 v[110:111], v[46:47], v[102:103]
	v_add_f64 v[112:113], v[44:45], v[100:101]
	v_cvt_f32_f64_e32 v109, v[112:113]
	v_cvt_f32_f64_e32 v110, v[110:111]
	v_min3_f32 v109, v109, v110, v190
	v_add_f64 v[110:111], v[42:43], v[102:103]
	v_add_f64 v[112:113], v[40:41], v[100:101]
	v_cvt_f32_f64_e32 v112, v[112:113]
	v_cvt_f32_f64_e32 v110, v[110:111]
	v_min3_f32 v114, v112, v110, v191
	v_add_f64 v[110:111], v[38:39], v[98:99]
	v_add_f64 v[112:113], v[36:37], v[96:97]
	v_cvt_f32_f64_e32 v112, v[112:113]
	v_cvt_f32_f64_e32 v110, v[110:111]
	v_min_f32_e32 v115, v112, v110
	v_add_f64 v[110:111], v[34:35], v[98:99]
	v_add_f64 v[112:113], v[32:33], v[96:97]
	v_cvt_f32_f64_e32 v112, v[112:113]
	v_cvt_f32_f64_e32 v110, v[110:111]
	v_min3_f32 v108, v108, v115, v109
	v_min3_f32 v112, v112, v110, v114
	v_cvt_f64_f32_e32 v[108:109], v108
	v_lshl_add_u64 v[110:111], v[130:131], 3, v[104:105]
	flat_store_dwordx2 v[110:111], v[108:109]
	s_mov_b64 s[2:3], -1
	v_max_f32_e32 v109, v112, v112
	s_mov_b64 vcc, s[4:5]
	s_cbranch_vccz .LBB124_69
; %bb.68:
	v_min_f32_e32 v108, 0, v109
	v_cvt_f64_f32_e32 v[110:111], v108
	v_lshl_add_u64 v[112:113], v[142:143], 3, v[104:105]
	flat_store_dwordx2 v[112:113], v[110:111]
	s_mov_b64 s[2:3], 0
.LBB124_69:
	;; [unrolled: 54-line block ×3, first 2 shown]
	s_andn2_b64 vcc, exec, s[2:3]
	v_mov_b32_e32 v108, 0
	s_cbranch_vccnz .LBB124_75
; %bb.74:
	v_lshl_add_u64 v[110:111], v[106:107], 0, v[150:151]
	flat_load_dwordx2 v[110:111], v[110:111]
	v_lshl_add_u64 v[112:113], v[104:105], 0, v[150:151]
	v_lshl_add_u64 v[106:107], v[134:135], 3, v[106:107]
	s_waitcnt vmcnt(0) lgkmcnt(0)
	v_mul_f64 v[110:111], s[6:7], v[110:111]
	v_cvt_f32_f64_e32 v108, v[110:111]
	v_min_f32_e32 v108, v108, v109
	v_cvt_f64_f32_e32 v[108:109], v108
	flat_store_dwordx2 v[112:113], v[108:109]
	flat_load_dwordx2 v[106:107], v[106:107]
	s_waitcnt vmcnt(0) lgkmcnt(0)
	v_mul_f64 v[106:107], s[6:7], v[106:107]
	v_cvt_f32_f64_e32 v108, v[106:107]
.LBB124_75:
	v_add_f64 v[102:103], v[2:3], v[102:103]
	v_add_f64 v[100:101], v[0:1], v[100:101]
	v_cvt_f32_f64_e32 v100, v[100:101]
	v_cvt_f32_f64_e32 v101, v[102:103]
	v_add_f64 v[98:99], v[10:11], v[98:99]
	v_add_f64 v[96:97], v[8:9], v[96:97]
	v_min3_f32 v106, v100, v101, v186
	v_add_f64 v[100:101], v[70:71], v[94:95]
	v_add_f64 v[102:103], v[68:69], v[92:93]
	v_cvt_f32_f64_e32 v96, v[96:97]
	v_cvt_f32_f64_e32 v97, v[98:99]
	;; [unrolled: 1-line block ×4, first 2 shown]
	v_min_f32_e32 v101, v96, v97
	v_add_f64 v[96:97], v[66:67], v[90:91]
	v_add_f64 v[98:99], v[64:65], v[88:89]
	v_min3_f32 v100, v102, v100, v188
	v_cvt_f32_f64_e32 v98, v[98:99]
	v_cvt_f32_f64_e32 v96, v[96:97]
	v_min3_f32 v100, v98, v96, v100
	v_min3_f32 v96, v108, v101, v106
	v_cvt_f64_f32_e32 v[96:97], v96
	v_lshl_add_u64 v[98:99], v[134:135], 3, v[104:105]
	flat_store_dwordx2 v[98:99], v[96:97]
	v_add_u32_e32 v98, 0x80, v213
	v_mad_i64_i32 v[96:97], s[2:3], v98, s9, 0
	v_mad_i64_i32 v[98:99], s[2:3], v98, s8, 0
	v_lshl_add_u64 v[96:97], v[96:97], 3, s[0:1]
	s_mov_b64 s[2:3], -1
	v_max_f32_e32 v101, v100, v100
	s_mov_b64 vcc, s[4:5]
	s_cbranch_vccz .LBB124_77
; %bb.76:
	v_min_f32_e32 v100, 0, v101
	v_cvt_f64_f32_e32 v[102:103], v100
	v_lshl_add_u64 v[104:105], v[136:137], 3, v[96:97]
	flat_store_dwordx2 v[104:105], v[102:103]
	s_mov_b64 s[2:3], 0
.LBB124_77:
	v_lshl_add_u64 v[98:99], v[98:99], 3, s[12:13]
	s_andn2_b64 vcc, exec, s[2:3]
	v_mov_b32_e32 v100, 0
	s_cbranch_vccnz .LBB124_79
; %bb.78:
	v_lshl_add_u64 v[102:103], v[98:99], 0, v[140:141]
	flat_load_dwordx2 v[102:103], v[102:103]
	v_lshl_add_u64 v[104:105], v[96:97], 0, v[140:141]
	s_waitcnt vmcnt(0) lgkmcnt(0)
	v_mul_f64 v[102:103], s[6:7], v[102:103]
	v_cvt_f32_f64_e32 v100, v[102:103]
	v_min_f32_e32 v100, v100, v101
	v_cvt_f64_f32_e32 v[100:101], v100
	flat_store_dwordx2 v[104:105], v[100:101]
	v_lshl_add_u64 v[100:101], v[128:129], 3, v[98:99]
	flat_load_dwordx2 v[100:101], v[100:101]
	s_waitcnt vmcnt(0) lgkmcnt(0)
	v_mul_f64 v[100:101], s[6:7], v[100:101]
	v_cvt_f32_f64_e32 v100, v[100:101]
.LBB124_79:
	v_add_f64 v[102:103], v[62:63], v[94:95]
	v_add_f64 v[104:105], v[60:61], v[92:93]
	v_cvt_f32_f64_e32 v101, v[104:105]
	v_cvt_f32_f64_e32 v102, v[102:103]
	v_min3_f32 v101, v101, v102, v184
	v_add_f64 v[102:103], v[58:59], v[94:95]
	v_add_f64 v[104:105], v[56:57], v[92:93]
	v_cvt_f32_f64_e32 v104, v[104:105]
	v_cvt_f32_f64_e32 v102, v[102:103]
	v_min3_f32 v106, v104, v102, v185
	v_add_f64 v[102:103], v[54:55], v[90:91]
	v_add_f64 v[104:105], v[52:53], v[88:89]
	v_cvt_f32_f64_e32 v104, v[104:105]
	v_cvt_f32_f64_e32 v102, v[102:103]
	v_min_f32_e32 v107, v104, v102
	v_add_f64 v[102:103], v[50:51], v[90:91]
	v_add_f64 v[104:105], v[48:49], v[88:89]
	v_cvt_f32_f64_e32 v104, v[104:105]
	v_cvt_f32_f64_e32 v102, v[102:103]
	v_min3_f32 v100, v100, v107, v101
	v_min3_f32 v104, v104, v102, v106
	v_cvt_f64_f32_e32 v[100:101], v100
	v_lshl_add_u64 v[102:103], v[128:129], 3, v[96:97]
	flat_store_dwordx2 v[102:103], v[100:101]
	s_mov_b64 s[2:3], -1
	v_max_f32_e32 v101, v104, v104
	s_mov_b64 vcc, s[4:5]
	s_cbranch_vccz .LBB124_81
; %bb.80:
	v_min_f32_e32 v100, 0, v101
	v_cvt_f64_f32_e32 v[102:103], v100
	v_lshl_add_u64 v[104:105], v[138:139], 3, v[96:97]
	flat_store_dwordx2 v[104:105], v[102:103]
	s_mov_b64 s[2:3], 0
.LBB124_81:
	s_andn2_b64 vcc, exec, s[2:3]
	v_mov_b32_e32 v100, 0
	s_cbranch_vccnz .LBB124_83
; %bb.82:
	v_lshl_add_u64 v[102:103], v[98:99], 0, v[144:145]
	flat_load_dwordx2 v[102:103], v[102:103]
	v_lshl_add_u64 v[104:105], v[96:97], 0, v[144:145]
	s_waitcnt vmcnt(0) lgkmcnt(0)
	v_mul_f64 v[102:103], s[6:7], v[102:103]
	v_cvt_f32_f64_e32 v100, v[102:103]
	v_min_f32_e32 v100, v100, v101
	v_cvt_f64_f32_e32 v[100:101], v100
	flat_store_dwordx2 v[104:105], v[100:101]
	v_lshl_add_u64 v[100:101], v[130:131], 3, v[98:99]
	flat_load_dwordx2 v[100:101], v[100:101]
	s_waitcnt vmcnt(0) lgkmcnt(0)
	v_mul_f64 v[100:101], s[6:7], v[100:101]
	v_cvt_f32_f64_e32 v100, v[100:101]
.LBB124_83:
	v_add_f64 v[102:103], v[46:47], v[94:95]
	v_add_f64 v[104:105], v[44:45], v[92:93]
	v_cvt_f32_f64_e32 v101, v[104:105]
	v_cvt_f32_f64_e32 v102, v[102:103]
	v_min3_f32 v101, v101, v102, v182
	v_add_f64 v[102:103], v[42:43], v[94:95]
	v_add_f64 v[104:105], v[40:41], v[92:93]
	v_cvt_f32_f64_e32 v104, v[104:105]
	v_cvt_f32_f64_e32 v102, v[102:103]
	v_min3_f32 v106, v104, v102, v183
	v_add_f64 v[102:103], v[38:39], v[90:91]
	v_add_f64 v[104:105], v[36:37], v[88:89]
	v_cvt_f32_f64_e32 v104, v[104:105]
	v_cvt_f32_f64_e32 v102, v[102:103]
	v_min_f32_e32 v107, v104, v102
	v_add_f64 v[102:103], v[34:35], v[90:91]
	v_add_f64 v[104:105], v[32:33], v[88:89]
	v_cvt_f32_f64_e32 v104, v[104:105]
	v_cvt_f32_f64_e32 v102, v[102:103]
	v_min3_f32 v100, v100, v107, v101
	v_min3_f32 v104, v104, v102, v106
	v_cvt_f64_f32_e32 v[100:101], v100
	v_lshl_add_u64 v[102:103], v[130:131], 3, v[96:97]
	flat_store_dwordx2 v[102:103], v[100:101]
	s_mov_b64 s[2:3], -1
	v_max_f32_e32 v101, v104, v104
	s_mov_b64 vcc, s[4:5]
	s_cbranch_vccz .LBB124_85
; %bb.84:
	v_min_f32_e32 v100, 0, v101
	v_cvt_f64_f32_e32 v[102:103], v100
	v_lshl_add_u64 v[104:105], v[142:143], 3, v[96:97]
	flat_store_dwordx2 v[104:105], v[102:103]
	s_mov_b64 s[2:3], 0
.LBB124_85:
	;; [unrolled: 54-line block ×3, first 2 shown]
	s_andn2_b64 vcc, exec, s[2:3]
	v_mov_b32_e32 v100, 0
	s_cbranch_vccnz .LBB124_91
; %bb.90:
	v_lshl_add_u64 v[102:103], v[98:99], 0, v[150:151]
	flat_load_dwordx2 v[102:103], v[102:103]
	v_lshl_add_u64 v[104:105], v[96:97], 0, v[150:151]
	v_lshl_add_u64 v[98:99], v[134:135], 3, v[98:99]
	s_waitcnt vmcnt(0) lgkmcnt(0)
	v_mul_f64 v[102:103], s[6:7], v[102:103]
	v_cvt_f32_f64_e32 v100, v[102:103]
	v_min_f32_e32 v100, v100, v101
	v_cvt_f64_f32_e32 v[100:101], v100
	flat_store_dwordx2 v[104:105], v[100:101]
	flat_load_dwordx2 v[98:99], v[98:99]
	s_waitcnt vmcnt(0) lgkmcnt(0)
	v_mul_f64 v[98:99], s[6:7], v[98:99]
	v_cvt_f32_f64_e32 v100, v[98:99]
.LBB124_91:
	v_add_f64 v[94:95], v[2:3], v[94:95]
	v_add_f64 v[92:93], v[0:1], v[92:93]
	v_cvt_f32_f64_e32 v92, v[92:93]
	v_cvt_f32_f64_e32 v93, v[94:95]
	v_add_f64 v[90:91], v[10:11], v[90:91]
	v_add_f64 v[88:89], v[8:9], v[88:89]
	v_min3_f32 v98, v92, v93, v178
	v_add_f64 v[92:93], v[70:71], v[86:87]
	v_add_f64 v[94:95], v[68:69], v[84:85]
	v_cvt_f32_f64_e32 v88, v[88:89]
	v_cvt_f32_f64_e32 v89, v[90:91]
	;; [unrolled: 1-line block ×4, first 2 shown]
	v_min_f32_e32 v93, v88, v89
	v_add_f64 v[88:89], v[66:67], v[82:83]
	v_add_f64 v[90:91], v[64:65], v[80:81]
	v_min3_f32 v92, v94, v92, v180
	v_cvt_f32_f64_e32 v90, v[90:91]
	v_cvt_f32_f64_e32 v88, v[88:89]
	v_min3_f32 v92, v90, v88, v92
	v_min3_f32 v88, v100, v93, v98
	v_cvt_f64_f32_e32 v[88:89], v88
	v_lshl_add_u64 v[90:91], v[134:135], 3, v[96:97]
	flat_store_dwordx2 v[90:91], v[88:89]
	v_add_u32_e32 v90, 0xa0, v213
	v_mad_i64_i32 v[88:89], s[2:3], v90, s9, 0
	v_mad_i64_i32 v[90:91], s[2:3], v90, s8, 0
	v_lshl_add_u64 v[88:89], v[88:89], 3, s[0:1]
	s_mov_b64 s[2:3], -1
	v_max_f32_e32 v93, v92, v92
	s_mov_b64 vcc, s[4:5]
	s_cbranch_vccz .LBB124_93
; %bb.92:
	v_min_f32_e32 v92, 0, v93
	v_cvt_f64_f32_e32 v[94:95], v92
	v_lshl_add_u64 v[96:97], v[136:137], 3, v[88:89]
	flat_store_dwordx2 v[96:97], v[94:95]
	s_mov_b64 s[2:3], 0
.LBB124_93:
	v_lshl_add_u64 v[90:91], v[90:91], 3, s[12:13]
	s_andn2_b64 vcc, exec, s[2:3]
	v_mov_b32_e32 v92, 0
	s_cbranch_vccnz .LBB124_95
; %bb.94:
	v_lshl_add_u64 v[94:95], v[90:91], 0, v[140:141]
	flat_load_dwordx2 v[94:95], v[94:95]
	v_lshl_add_u64 v[96:97], v[88:89], 0, v[140:141]
	s_waitcnt vmcnt(0) lgkmcnt(0)
	v_mul_f64 v[94:95], s[6:7], v[94:95]
	v_cvt_f32_f64_e32 v92, v[94:95]
	v_min_f32_e32 v92, v92, v93
	v_cvt_f64_f32_e32 v[92:93], v92
	flat_store_dwordx2 v[96:97], v[92:93]
	v_lshl_add_u64 v[92:93], v[128:129], 3, v[90:91]
	flat_load_dwordx2 v[92:93], v[92:93]
	s_waitcnt vmcnt(0) lgkmcnt(0)
	v_mul_f64 v[92:93], s[6:7], v[92:93]
	v_cvt_f32_f64_e32 v92, v[92:93]
.LBB124_95:
	v_add_f64 v[94:95], v[62:63], v[86:87]
	v_add_f64 v[96:97], v[60:61], v[84:85]
	v_cvt_f32_f64_e32 v93, v[96:97]
	v_cvt_f32_f64_e32 v94, v[94:95]
	v_min3_f32 v93, v93, v94, v176
	v_add_f64 v[94:95], v[58:59], v[86:87]
	v_add_f64 v[96:97], v[56:57], v[84:85]
	v_cvt_f32_f64_e32 v96, v[96:97]
	v_cvt_f32_f64_e32 v94, v[94:95]
	v_min3_f32 v98, v96, v94, v177
	v_add_f64 v[94:95], v[54:55], v[82:83]
	v_add_f64 v[96:97], v[52:53], v[80:81]
	v_cvt_f32_f64_e32 v96, v[96:97]
	v_cvt_f32_f64_e32 v94, v[94:95]
	v_min_f32_e32 v99, v96, v94
	v_add_f64 v[94:95], v[50:51], v[82:83]
	v_add_f64 v[96:97], v[48:49], v[80:81]
	v_cvt_f32_f64_e32 v96, v[96:97]
	v_cvt_f32_f64_e32 v94, v[94:95]
	v_min3_f32 v92, v92, v99, v93
	v_min3_f32 v96, v96, v94, v98
	v_cvt_f64_f32_e32 v[92:93], v92
	v_lshl_add_u64 v[94:95], v[128:129], 3, v[88:89]
	flat_store_dwordx2 v[94:95], v[92:93]
	s_mov_b64 s[2:3], -1
	v_max_f32_e32 v93, v96, v96
	s_mov_b64 vcc, s[4:5]
	s_cbranch_vccz .LBB124_97
; %bb.96:
	v_min_f32_e32 v92, 0, v93
	v_cvt_f64_f32_e32 v[94:95], v92
	v_lshl_add_u64 v[96:97], v[138:139], 3, v[88:89]
	flat_store_dwordx2 v[96:97], v[94:95]
	s_mov_b64 s[2:3], 0
.LBB124_97:
	s_andn2_b64 vcc, exec, s[2:3]
	v_mov_b32_e32 v92, 0
	s_cbranch_vccnz .LBB124_99
; %bb.98:
	v_lshl_add_u64 v[94:95], v[90:91], 0, v[144:145]
	flat_load_dwordx2 v[94:95], v[94:95]
	v_lshl_add_u64 v[96:97], v[88:89], 0, v[144:145]
	s_waitcnt vmcnt(0) lgkmcnt(0)
	v_mul_f64 v[94:95], s[6:7], v[94:95]
	v_cvt_f32_f64_e32 v92, v[94:95]
	v_min_f32_e32 v92, v92, v93
	v_cvt_f64_f32_e32 v[92:93], v92
	flat_store_dwordx2 v[96:97], v[92:93]
	v_lshl_add_u64 v[92:93], v[130:131], 3, v[90:91]
	flat_load_dwordx2 v[92:93], v[92:93]
	s_waitcnt vmcnt(0) lgkmcnt(0)
	v_mul_f64 v[92:93], s[6:7], v[92:93]
	v_cvt_f32_f64_e32 v92, v[92:93]
.LBB124_99:
	v_add_f64 v[94:95], v[46:47], v[86:87]
	v_add_f64 v[96:97], v[44:45], v[84:85]
	v_cvt_f32_f64_e32 v93, v[96:97]
	v_cvt_f32_f64_e32 v94, v[94:95]
	v_min3_f32 v93, v93, v94, v174
	v_add_f64 v[94:95], v[42:43], v[86:87]
	v_add_f64 v[96:97], v[40:41], v[84:85]
	v_cvt_f32_f64_e32 v96, v[96:97]
	v_cvt_f32_f64_e32 v94, v[94:95]
	v_min3_f32 v98, v96, v94, v175
	v_add_f64 v[94:95], v[38:39], v[82:83]
	v_add_f64 v[96:97], v[36:37], v[80:81]
	v_cvt_f32_f64_e32 v96, v[96:97]
	v_cvt_f32_f64_e32 v94, v[94:95]
	v_min_f32_e32 v99, v96, v94
	v_add_f64 v[94:95], v[34:35], v[82:83]
	v_add_f64 v[96:97], v[32:33], v[80:81]
	v_cvt_f32_f64_e32 v96, v[96:97]
	v_cvt_f32_f64_e32 v94, v[94:95]
	v_min3_f32 v92, v92, v99, v93
	v_min3_f32 v96, v96, v94, v98
	v_cvt_f64_f32_e32 v[92:93], v92
	v_lshl_add_u64 v[94:95], v[130:131], 3, v[88:89]
	flat_store_dwordx2 v[94:95], v[92:93]
	s_mov_b64 s[2:3], -1
	v_max_f32_e32 v93, v96, v96
	s_mov_b64 vcc, s[4:5]
	s_cbranch_vccz .LBB124_101
; %bb.100:
	v_min_f32_e32 v92, 0, v93
	v_cvt_f64_f32_e32 v[94:95], v92
	v_lshl_add_u64 v[96:97], v[142:143], 3, v[88:89]
	flat_store_dwordx2 v[96:97], v[94:95]
	s_mov_b64 s[2:3], 0
.LBB124_101:
	;; [unrolled: 54-line block ×3, first 2 shown]
	s_andn2_b64 vcc, exec, s[2:3]
	v_mov_b32_e32 v92, 0
	s_cbranch_vccnz .LBB124_107
; %bb.106:
	v_lshl_add_u64 v[94:95], v[90:91], 0, v[150:151]
	flat_load_dwordx2 v[94:95], v[94:95]
	v_lshl_add_u64 v[96:97], v[88:89], 0, v[150:151]
	v_lshl_add_u64 v[90:91], v[134:135], 3, v[90:91]
	s_waitcnt vmcnt(0) lgkmcnt(0)
	v_mul_f64 v[94:95], s[6:7], v[94:95]
	v_cvt_f32_f64_e32 v92, v[94:95]
	v_min_f32_e32 v92, v92, v93
	v_cvt_f64_f32_e32 v[92:93], v92
	flat_store_dwordx2 v[96:97], v[92:93]
	flat_load_dwordx2 v[90:91], v[90:91]
	s_waitcnt vmcnt(0) lgkmcnt(0)
	v_mul_f64 v[90:91], s[6:7], v[90:91]
	v_cvt_f32_f64_e32 v92, v[90:91]
.LBB124_107:
	v_add_f64 v[86:87], v[2:3], v[86:87]
	v_add_f64 v[84:85], v[0:1], v[84:85]
	v_cvt_f32_f64_e32 v84, v[84:85]
	v_cvt_f32_f64_e32 v85, v[86:87]
	v_add_f64 v[82:83], v[10:11], v[82:83]
	v_add_f64 v[80:81], v[8:9], v[80:81]
	v_min3_f32 v90, v84, v85, v170
	v_add_f64 v[84:85], v[70:71], v[78:79]
	v_add_f64 v[86:87], v[68:69], v[76:77]
	v_cvt_f32_f64_e32 v80, v[80:81]
	v_cvt_f32_f64_e32 v81, v[82:83]
	v_cvt_f32_f64_e32 v86, v[86:87]
	v_cvt_f32_f64_e32 v84, v[84:85]
	v_min_f32_e32 v85, v80, v81
	v_add_f64 v[80:81], v[66:67], v[74:75]
	v_add_f64 v[82:83], v[64:65], v[72:73]
	v_min3_f32 v84, v86, v84, v172
	v_cvt_f32_f64_e32 v82, v[82:83]
	v_cvt_f32_f64_e32 v80, v[80:81]
	v_min3_f32 v84, v82, v80, v84
	v_min3_f32 v80, v92, v85, v90
	v_cvt_f64_f32_e32 v[80:81], v80
	v_lshl_add_u64 v[82:83], v[134:135], 3, v[88:89]
	flat_store_dwordx2 v[82:83], v[80:81]
	v_add_u32_e32 v82, 0xc0, v213
	v_mad_i64_i32 v[80:81], s[2:3], v82, s9, 0
	v_mad_i64_i32 v[82:83], s[2:3], v82, s8, 0
	v_lshl_add_u64 v[80:81], v[80:81], 3, s[0:1]
	s_mov_b64 s[2:3], -1
	v_max_f32_e32 v85, v84, v84
	s_mov_b64 vcc, s[4:5]
	s_cbranch_vccz .LBB124_109
; %bb.108:
	v_min_f32_e32 v84, 0, v85
	v_cvt_f64_f32_e32 v[86:87], v84
	v_lshl_add_u64 v[88:89], v[136:137], 3, v[80:81]
	flat_store_dwordx2 v[88:89], v[86:87]
	s_mov_b64 s[2:3], 0
.LBB124_109:
	v_lshl_add_u64 v[82:83], v[82:83], 3, s[12:13]
	s_andn2_b64 vcc, exec, s[2:3]
	v_mov_b32_e32 v84, 0
	s_cbranch_vccnz .LBB124_111
; %bb.110:
	v_lshl_add_u64 v[86:87], v[82:83], 0, v[140:141]
	flat_load_dwordx2 v[86:87], v[86:87]
	v_lshl_add_u64 v[88:89], v[80:81], 0, v[140:141]
	s_waitcnt vmcnt(0) lgkmcnt(0)
	v_mul_f64 v[86:87], s[6:7], v[86:87]
	v_cvt_f32_f64_e32 v84, v[86:87]
	v_min_f32_e32 v84, v84, v85
	v_cvt_f64_f32_e32 v[84:85], v84
	flat_store_dwordx2 v[88:89], v[84:85]
	v_lshl_add_u64 v[84:85], v[128:129], 3, v[82:83]
	flat_load_dwordx2 v[84:85], v[84:85]
	s_waitcnt vmcnt(0) lgkmcnt(0)
	v_mul_f64 v[84:85], s[6:7], v[84:85]
	v_cvt_f32_f64_e32 v84, v[84:85]
.LBB124_111:
	v_add_f64 v[86:87], v[62:63], v[78:79]
	v_add_f64 v[88:89], v[60:61], v[76:77]
	v_cvt_f32_f64_e32 v85, v[88:89]
	v_cvt_f32_f64_e32 v86, v[86:87]
	v_min3_f32 v85, v85, v86, v168
	v_add_f64 v[86:87], v[58:59], v[78:79]
	v_add_f64 v[88:89], v[56:57], v[76:77]
	v_cvt_f32_f64_e32 v88, v[88:89]
	v_cvt_f32_f64_e32 v86, v[86:87]
	v_min3_f32 v90, v88, v86, v169
	v_add_f64 v[86:87], v[54:55], v[74:75]
	v_add_f64 v[88:89], v[52:53], v[72:73]
	v_cvt_f32_f64_e32 v88, v[88:89]
	v_cvt_f32_f64_e32 v86, v[86:87]
	v_min_f32_e32 v91, v88, v86
	v_add_f64 v[86:87], v[50:51], v[74:75]
	v_add_f64 v[88:89], v[48:49], v[72:73]
	v_cvt_f32_f64_e32 v88, v[88:89]
	v_cvt_f32_f64_e32 v86, v[86:87]
	v_min3_f32 v84, v84, v91, v85
	v_min3_f32 v88, v88, v86, v90
	v_cvt_f64_f32_e32 v[84:85], v84
	v_lshl_add_u64 v[86:87], v[128:129], 3, v[80:81]
	flat_store_dwordx2 v[86:87], v[84:85]
	s_mov_b64 s[2:3], -1
	v_max_f32_e32 v85, v88, v88
	s_mov_b64 vcc, s[4:5]
	s_cbranch_vccz .LBB124_113
; %bb.112:
	v_min_f32_e32 v84, 0, v85
	v_cvt_f64_f32_e32 v[86:87], v84
	v_lshl_add_u64 v[88:89], v[138:139], 3, v[80:81]
	flat_store_dwordx2 v[88:89], v[86:87]
	s_mov_b64 s[2:3], 0
.LBB124_113:
	s_andn2_b64 vcc, exec, s[2:3]
	v_mov_b32_e32 v84, 0
	s_cbranch_vccnz .LBB124_115
; %bb.114:
	v_lshl_add_u64 v[86:87], v[82:83], 0, v[144:145]
	flat_load_dwordx2 v[86:87], v[86:87]
	v_lshl_add_u64 v[88:89], v[80:81], 0, v[144:145]
	s_waitcnt vmcnt(0) lgkmcnt(0)
	v_mul_f64 v[86:87], s[6:7], v[86:87]
	v_cvt_f32_f64_e32 v84, v[86:87]
	v_min_f32_e32 v84, v84, v85
	v_cvt_f64_f32_e32 v[84:85], v84
	flat_store_dwordx2 v[88:89], v[84:85]
	v_lshl_add_u64 v[84:85], v[130:131], 3, v[82:83]
	flat_load_dwordx2 v[84:85], v[84:85]
	s_waitcnt vmcnt(0) lgkmcnt(0)
	v_mul_f64 v[84:85], s[6:7], v[84:85]
	v_cvt_f32_f64_e32 v84, v[84:85]
.LBB124_115:
	v_add_f64 v[86:87], v[46:47], v[78:79]
	v_add_f64 v[88:89], v[44:45], v[76:77]
	v_cvt_f32_f64_e32 v85, v[88:89]
	v_cvt_f32_f64_e32 v86, v[86:87]
	v_min3_f32 v85, v85, v86, v166
	v_add_f64 v[86:87], v[42:43], v[78:79]
	v_add_f64 v[88:89], v[40:41], v[76:77]
	v_cvt_f32_f64_e32 v88, v[88:89]
	v_cvt_f32_f64_e32 v86, v[86:87]
	v_min3_f32 v90, v88, v86, v167
	v_add_f64 v[86:87], v[38:39], v[74:75]
	v_add_f64 v[88:89], v[36:37], v[72:73]
	v_cvt_f32_f64_e32 v88, v[88:89]
	v_cvt_f32_f64_e32 v86, v[86:87]
	v_min_f32_e32 v91, v88, v86
	v_add_f64 v[86:87], v[34:35], v[74:75]
	v_add_f64 v[88:89], v[32:33], v[72:73]
	v_cvt_f32_f64_e32 v88, v[88:89]
	v_cvt_f32_f64_e32 v86, v[86:87]
	v_min3_f32 v84, v84, v91, v85
	v_min3_f32 v88, v88, v86, v90
	v_cvt_f64_f32_e32 v[84:85], v84
	v_lshl_add_u64 v[86:87], v[130:131], 3, v[80:81]
	flat_store_dwordx2 v[86:87], v[84:85]
	s_mov_b64 s[2:3], -1
	v_max_f32_e32 v85, v88, v88
	s_mov_b64 vcc, s[4:5]
	s_cbranch_vccz .LBB124_117
; %bb.116:
	v_min_f32_e32 v84, 0, v85
	v_cvt_f64_f32_e32 v[86:87], v84
	v_lshl_add_u64 v[88:89], v[142:143], 3, v[80:81]
	flat_store_dwordx2 v[88:89], v[86:87]
	s_mov_b64 s[2:3], 0
.LBB124_117:
	;; [unrolled: 54-line block ×3, first 2 shown]
	s_andn2_b64 vcc, exec, s[2:3]
	v_mov_b32_e32 v84, 0
	s_cbranch_vccnz .LBB124_123
; %bb.122:
	v_lshl_add_u64 v[86:87], v[82:83], 0, v[150:151]
	flat_load_dwordx2 v[86:87], v[86:87]
	v_lshl_add_u64 v[88:89], v[80:81], 0, v[150:151]
	v_lshl_add_u64 v[82:83], v[134:135], 3, v[82:83]
	s_waitcnt vmcnt(0) lgkmcnt(0)
	v_mul_f64 v[86:87], s[6:7], v[86:87]
	v_cvt_f32_f64_e32 v84, v[86:87]
	v_min_f32_e32 v84, v84, v85
	v_cvt_f64_f32_e32 v[84:85], v84
	flat_store_dwordx2 v[88:89], v[84:85]
	flat_load_dwordx2 v[82:83], v[82:83]
	s_waitcnt vmcnt(0) lgkmcnt(0)
	v_mul_f64 v[82:83], s[6:7], v[82:83]
	v_cvt_f32_f64_e32 v84, v[82:83]
.LBB124_123:
	v_add_f64 v[78:79], v[2:3], v[78:79]
	v_add_f64 v[76:77], v[0:1], v[76:77]
	v_add_f64 v[70:71], v[70:71], v[6:7]
	v_add_f64 v[68:69], v[68:69], v[4:5]
	v_cvt_f32_f64_e32 v76, v[76:77]
	v_cvt_f32_f64_e32 v77, v[78:79]
	;; [unrolled: 1-line block ×4, first 2 shown]
	v_min3_f32 v76, v76, v77, v162
	v_min3_f32 v77, v68, v69, v163
	v_add_f64 v[68:69], v[10:11], v[74:75]
	v_add_f64 v[70:71], v[8:9], v[72:73]
	v_cvt_f32_f64_e32 v70, v[70:71]
	v_cvt_f32_f64_e32 v68, v[68:69]
	v_add_f64 v[66:67], v[66:67], v[14:15]
	v_add_f64 v[64:65], v[64:65], v[12:13]
	v_min_f32_e32 v68, v70, v68
	v_cvt_f32_f64_e32 v64, v[64:65]
	v_cvt_f32_f64_e32 v65, v[66:67]
	v_min3_f32 v69, v64, v65, v77
	v_min3_f32 v64, v84, v68, v76
	v_cvt_f64_f32_e32 v[64:65], v64
	v_lshl_add_u64 v[66:67], v[134:135], 3, v[80:81]
	flat_store_dwordx2 v[66:67], v[64:65]
	v_add_u32_e32 v66, 0xe0, v213
	v_mad_i64_i32 v[64:65], s[2:3], v66, s9, 0
	v_lshl_add_u64 v[64:65], v[64:65], 3, s[0:1]
	v_mad_i64_i32 v[66:67], s[0:1], v66, s8, 0
	s_mov_b64 s[0:1], -1
	v_max_f32_e32 v69, v69, v69
	s_mov_b64 vcc, s[4:5]
	s_cbranch_vccz .LBB124_125
; %bb.124:
	v_min_f32_e32 v68, 0, v69
	v_cvt_f64_f32_e32 v[70:71], v68
	v_lshl_add_u64 v[72:73], v[136:137], 3, v[64:65]
	flat_store_dwordx2 v[72:73], v[70:71]
	s_mov_b64 s[0:1], 0
.LBB124_125:
	v_lshl_add_u64 v[66:67], v[66:67], 3, s[12:13]
	s_andn2_b64 vcc, exec, s[0:1]
	v_mov_b32_e32 v68, 0
	s_cbranch_vccnz .LBB124_127
; %bb.126:
	v_lshl_add_u64 v[70:71], v[66:67], 0, v[140:141]
	flat_load_dwordx2 v[70:71], v[70:71]
	v_lshl_add_u64 v[72:73], v[64:65], 0, v[140:141]
	s_waitcnt vmcnt(0) lgkmcnt(0)
	v_mul_f64 v[70:71], s[6:7], v[70:71]
	v_cvt_f32_f64_e32 v68, v[70:71]
	v_min_f32_e32 v68, v68, v69
	v_cvt_f64_f32_e32 v[68:69], v68
	flat_store_dwordx2 v[72:73], v[68:69]
	v_lshl_add_u64 v[68:69], v[128:129], 3, v[66:67]
	flat_load_dwordx2 v[68:69], v[68:69]
	s_waitcnt vmcnt(0) lgkmcnt(0)
	v_mul_f64 v[68:69], s[6:7], v[68:69]
	v_cvt_f32_f64_e32 v68, v[68:69]
.LBB124_127:
	v_add_f64 v[62:63], v[62:63], v[6:7]
	v_add_f64 v[60:61], v[60:61], v[4:5]
	v_add_f64 v[58:59], v[58:59], v[6:7]
	v_add_f64 v[56:57], v[56:57], v[4:5]
	v_add_f64 v[54:55], v[54:55], v[14:15]
	v_add_f64 v[52:53], v[52:53], v[12:13]
	v_cvt_f32_f64_e32 v60, v[60:61]
	v_cvt_f32_f64_e32 v61, v[62:63]
	v_cvt_f32_f64_e32 v56, v[56:57]
	v_cvt_f32_f64_e32 v57, v[58:59]
	v_cvt_f32_f64_e32 v52, v[52:53]
	v_cvt_f32_f64_e32 v53, v[54:55]
	v_add_f64 v[50:51], v[50:51], v[14:15]
	v_add_f64 v[48:49], v[48:49], v[12:13]
	v_min3_f32 v60, v60, v61, v160
	v_min3_f32 v56, v56, v57, v161
	v_min_f32_e32 v52, v52, v53
	v_cvt_f32_f64_e32 v48, v[48:49]
	v_cvt_f32_f64_e32 v49, v[50:51]
	v_min3_f32 v53, v48, v49, v56
	v_min3_f32 v48, v68, v52, v60
	v_cvt_f64_f32_e32 v[48:49], v48
	v_lshl_add_u64 v[50:51], v[128:129], 3, v[64:65]
	flat_store_dwordx2 v[50:51], v[48:49]
	s_mov_b64 s[0:1], -1
	v_max_f32_e32 v49, v53, v53
	s_mov_b64 vcc, s[4:5]
	s_cbranch_vccz .LBB124_129
; %bb.128:
	v_min_f32_e32 v48, 0, v49
	v_cvt_f64_f32_e32 v[50:51], v48
	v_lshl_add_u64 v[52:53], v[138:139], 3, v[64:65]
	flat_store_dwordx2 v[52:53], v[50:51]
	s_mov_b64 s[0:1], 0
.LBB124_129:
	s_andn2_b64 vcc, exec, s[0:1]
	v_mov_b32_e32 v48, 0
	s_cbranch_vccnz .LBB124_131
; %bb.130:
	v_lshl_add_u64 v[50:51], v[66:67], 0, v[144:145]
	flat_load_dwordx2 v[50:51], v[50:51]
	v_lshl_add_u64 v[52:53], v[64:65], 0, v[144:145]
	s_waitcnt vmcnt(0) lgkmcnt(0)
	v_mul_f64 v[50:51], s[6:7], v[50:51]
	v_cvt_f32_f64_e32 v48, v[50:51]
	v_min_f32_e32 v48, v48, v49
	v_cvt_f64_f32_e32 v[48:49], v48
	flat_store_dwordx2 v[52:53], v[48:49]
	v_lshl_add_u64 v[48:49], v[130:131], 3, v[66:67]
	flat_load_dwordx2 v[48:49], v[48:49]
	s_waitcnt vmcnt(0) lgkmcnt(0)
	v_mul_f64 v[48:49], s[6:7], v[48:49]
	v_cvt_f32_f64_e32 v48, v[48:49]
.LBB124_131:
	v_add_f64 v[46:47], v[46:47], v[6:7]
	v_add_f64 v[44:45], v[44:45], v[4:5]
	v_add_f64 v[42:43], v[42:43], v[6:7]
	v_add_f64 v[40:41], v[40:41], v[4:5]
	v_add_f64 v[38:39], v[38:39], v[14:15]
	v_add_f64 v[36:37], v[36:37], v[12:13]
	v_cvt_f32_f64_e32 v44, v[44:45]
	v_cvt_f32_f64_e32 v45, v[46:47]
	v_cvt_f32_f64_e32 v40, v[40:41]
	v_cvt_f32_f64_e32 v41, v[42:43]
	v_cvt_f32_f64_e32 v36, v[36:37]
	v_cvt_f32_f64_e32 v37, v[38:39]
	v_add_f64 v[34:35], v[34:35], v[14:15]
	v_add_f64 v[32:33], v[32:33], v[12:13]
	v_min3_f32 v44, v44, v45, v158
	v_min3_f32 v40, v40, v41, v159
	v_min_f32_e32 v36, v36, v37
	v_cvt_f32_f64_e32 v32, v[32:33]
	v_cvt_f32_f64_e32 v33, v[34:35]
	v_min3_f32 v37, v32, v33, v40
	v_min3_f32 v32, v48, v36, v44
	v_cvt_f64_f32_e32 v[32:33], v32
	v_lshl_add_u64 v[34:35], v[130:131], 3, v[64:65]
	flat_store_dwordx2 v[34:35], v[32:33]
	s_mov_b64 s[0:1], -1
	v_max_f32_e32 v33, v37, v37
	s_mov_b64 vcc, s[4:5]
	s_cbranch_vccz .LBB124_133
; %bb.132:
	v_min_f32_e32 v32, 0, v33
	v_cvt_f64_f32_e32 v[34:35], v32
	v_lshl_add_u64 v[36:37], v[142:143], 3, v[64:65]
	flat_store_dwordx2 v[36:37], v[34:35]
	s_mov_b64 s[0:1], 0
.LBB124_133:
	;; [unrolled: 54-line block ×3, first 2 shown]
	s_andn2_b64 vcc, exec, s[0:1]
	v_mov_b32_e32 v16, 0
	s_cbranch_vccnz .LBB124_139
; %bb.138:
	v_lshl_add_u64 v[18:19], v[66:67], 0, v[150:151]
	flat_load_dwordx2 v[18:19], v[18:19]
	v_lshl_add_u64 v[20:21], v[64:65], 0, v[150:151]
	s_waitcnt vmcnt(0) lgkmcnt(0)
	v_mul_f64 v[18:19], s[6:7], v[18:19]
	v_cvt_f32_f64_e32 v16, v[18:19]
	v_min_f32_e32 v16, v16, v17
	v_cvt_f64_f32_e32 v[16:17], v16
	flat_store_dwordx2 v[20:21], v[16:17]
	v_lshl_add_u64 v[16:17], v[134:135], 3, v[66:67]
	flat_load_dwordx2 v[16:17], v[16:17]
	s_waitcnt vmcnt(0) lgkmcnt(0)
	v_mul_f64 v[16:17], s[6:7], v[16:17]
	v_cvt_f32_f64_e32 v16, v[16:17]
.LBB124_139:
	v_add_f64 v[10:11], v[10:11], v[14:15]
	v_add_f64 v[8:9], v[8:9], v[12:13]
	;; [unrolled: 1-line block ×4, first 2 shown]
	v_cvt_f32_f64_e32 v8, v[8:9]
	v_cvt_f32_f64_e32 v9, v[10:11]
	;; [unrolled: 1-line block ×4, first 2 shown]
	v_min_f32_e32 v8, v8, v9
	v_min3_f32 v0, v0, v1, v198
	v_min3_f32 v0, v16, v8, v0
	v_cvt_f64_f32_e32 v[0:1], v0
	v_lshl_add_u64 v[2:3], v[134:135], 3, v[64:65]
	flat_store_dwordx2 v[2:3], v[0:1]
	s_endpgm
	.section	.rodata,"a",@progbits
	.p2align	6, 0x0
	.amdhsa_kernel _ZN12_GLOBAL__N_120geam_min_plus_kernelId15HIP_vector_typeIdLj2EEdLi8ELi32ELi64ELi256ELi4ELi4ELi64ELi64ELi4ELc84ELc84ELb1ELb0ELb1EdKPKdKPdEEviiiT16_PT17_ilSA_ilS8_SA_ilPT18_ili26rocblas_geam_ex_operation_
		.amdhsa_group_segment_fixed_size 20480
		.amdhsa_private_segment_fixed_size 0
		.amdhsa_kernarg_size 136
		.amdhsa_user_sgpr_count 2
		.amdhsa_user_sgpr_dispatch_ptr 0
		.amdhsa_user_sgpr_queue_ptr 0
		.amdhsa_user_sgpr_kernarg_segment_ptr 1
		.amdhsa_user_sgpr_dispatch_id 0
		.amdhsa_user_sgpr_kernarg_preload_length 0
		.amdhsa_user_sgpr_kernarg_preload_offset 0
		.amdhsa_user_sgpr_private_segment_size 0
		.amdhsa_uses_dynamic_stack 0
		.amdhsa_enable_private_segment 0
		.amdhsa_system_sgpr_workgroup_id_x 1
		.amdhsa_system_sgpr_workgroup_id_y 0
		.amdhsa_system_sgpr_workgroup_id_z 1
		.amdhsa_system_sgpr_workgroup_info 0
		.amdhsa_system_vgpr_workitem_id 1
		.amdhsa_next_free_vgpr 220
		.amdhsa_next_free_sgpr 23
		.amdhsa_accum_offset 220
		.amdhsa_reserve_vcc 1
		.amdhsa_float_round_mode_32 0
		.amdhsa_float_round_mode_16_64 0
		.amdhsa_float_denorm_mode_32 3
		.amdhsa_float_denorm_mode_16_64 3
		.amdhsa_dx10_clamp 1
		.amdhsa_ieee_mode 1
		.amdhsa_fp16_overflow 0
		.amdhsa_tg_split 0
		.amdhsa_exception_fp_ieee_invalid_op 0
		.amdhsa_exception_fp_denorm_src 0
		.amdhsa_exception_fp_ieee_div_zero 0
		.amdhsa_exception_fp_ieee_overflow 0
		.amdhsa_exception_fp_ieee_underflow 0
		.amdhsa_exception_fp_ieee_inexact 0
		.amdhsa_exception_int_div_zero 0
	.end_amdhsa_kernel
	.section	.text._ZN12_GLOBAL__N_120geam_min_plus_kernelId15HIP_vector_typeIdLj2EEdLi8ELi32ELi64ELi256ELi4ELi4ELi64ELi64ELi4ELc84ELc84ELb1ELb0ELb1EdKPKdKPdEEviiiT16_PT17_ilSA_ilS8_SA_ilPT18_ili26rocblas_geam_ex_operation_,"axG",@progbits,_ZN12_GLOBAL__N_120geam_min_plus_kernelId15HIP_vector_typeIdLj2EEdLi8ELi32ELi64ELi256ELi4ELi4ELi64ELi64ELi4ELc84ELc84ELb1ELb0ELb1EdKPKdKPdEEviiiT16_PT17_ilSA_ilS8_SA_ilPT18_ili26rocblas_geam_ex_operation_,comdat
.Lfunc_end124:
	.size	_ZN12_GLOBAL__N_120geam_min_plus_kernelId15HIP_vector_typeIdLj2EEdLi8ELi32ELi64ELi256ELi4ELi4ELi64ELi64ELi4ELc84ELc84ELb1ELb0ELb1EdKPKdKPdEEviiiT16_PT17_ilSA_ilS8_SA_ilPT18_ili26rocblas_geam_ex_operation_, .Lfunc_end124-_ZN12_GLOBAL__N_120geam_min_plus_kernelId15HIP_vector_typeIdLj2EEdLi8ELi32ELi64ELi256ELi4ELi4ELi64ELi64ELi4ELc84ELc84ELb1ELb0ELb1EdKPKdKPdEEviiiT16_PT17_ilSA_ilS8_SA_ilPT18_ili26rocblas_geam_ex_operation_
                                        ; -- End function
	.set _ZN12_GLOBAL__N_120geam_min_plus_kernelId15HIP_vector_typeIdLj2EEdLi8ELi32ELi64ELi256ELi4ELi4ELi64ELi64ELi4ELc84ELc84ELb1ELb0ELb1EdKPKdKPdEEviiiT16_PT17_ilSA_ilS8_SA_ilPT18_ili26rocblas_geam_ex_operation_.num_vgpr, 220
	.set _ZN12_GLOBAL__N_120geam_min_plus_kernelId15HIP_vector_typeIdLj2EEdLi8ELi32ELi64ELi256ELi4ELi4ELi64ELi64ELi4ELc84ELc84ELb1ELb0ELb1EdKPKdKPdEEviiiT16_PT17_ilSA_ilS8_SA_ilPT18_ili26rocblas_geam_ex_operation_.num_agpr, 0
	.set _ZN12_GLOBAL__N_120geam_min_plus_kernelId15HIP_vector_typeIdLj2EEdLi8ELi32ELi64ELi256ELi4ELi4ELi64ELi64ELi4ELc84ELc84ELb1ELb0ELb1EdKPKdKPdEEviiiT16_PT17_ilSA_ilS8_SA_ilPT18_ili26rocblas_geam_ex_operation_.numbered_sgpr, 23
	.set _ZN12_GLOBAL__N_120geam_min_plus_kernelId15HIP_vector_typeIdLj2EEdLi8ELi32ELi64ELi256ELi4ELi4ELi64ELi64ELi4ELc84ELc84ELb1ELb0ELb1EdKPKdKPdEEviiiT16_PT17_ilSA_ilS8_SA_ilPT18_ili26rocblas_geam_ex_operation_.num_named_barrier, 0
	.set _ZN12_GLOBAL__N_120geam_min_plus_kernelId15HIP_vector_typeIdLj2EEdLi8ELi32ELi64ELi256ELi4ELi4ELi64ELi64ELi4ELc84ELc84ELb1ELb0ELb1EdKPKdKPdEEviiiT16_PT17_ilSA_ilS8_SA_ilPT18_ili26rocblas_geam_ex_operation_.private_seg_size, 0
	.set _ZN12_GLOBAL__N_120geam_min_plus_kernelId15HIP_vector_typeIdLj2EEdLi8ELi32ELi64ELi256ELi4ELi4ELi64ELi64ELi4ELc84ELc84ELb1ELb0ELb1EdKPKdKPdEEviiiT16_PT17_ilSA_ilS8_SA_ilPT18_ili26rocblas_geam_ex_operation_.uses_vcc, 1
	.set _ZN12_GLOBAL__N_120geam_min_plus_kernelId15HIP_vector_typeIdLj2EEdLi8ELi32ELi64ELi256ELi4ELi4ELi64ELi64ELi4ELc84ELc84ELb1ELb0ELb1EdKPKdKPdEEviiiT16_PT17_ilSA_ilS8_SA_ilPT18_ili26rocblas_geam_ex_operation_.uses_flat_scratch, 0
	.set _ZN12_GLOBAL__N_120geam_min_plus_kernelId15HIP_vector_typeIdLj2EEdLi8ELi32ELi64ELi256ELi4ELi4ELi64ELi64ELi4ELc84ELc84ELb1ELb0ELb1EdKPKdKPdEEviiiT16_PT17_ilSA_ilS8_SA_ilPT18_ili26rocblas_geam_ex_operation_.has_dyn_sized_stack, 0
	.set _ZN12_GLOBAL__N_120geam_min_plus_kernelId15HIP_vector_typeIdLj2EEdLi8ELi32ELi64ELi256ELi4ELi4ELi64ELi64ELi4ELc84ELc84ELb1ELb0ELb1EdKPKdKPdEEviiiT16_PT17_ilSA_ilS8_SA_ilPT18_ili26rocblas_geam_ex_operation_.has_recursion, 0
	.set _ZN12_GLOBAL__N_120geam_min_plus_kernelId15HIP_vector_typeIdLj2EEdLi8ELi32ELi64ELi256ELi4ELi4ELi64ELi64ELi4ELc84ELc84ELb1ELb0ELb1EdKPKdKPdEEviiiT16_PT17_ilSA_ilS8_SA_ilPT18_ili26rocblas_geam_ex_operation_.has_indirect_call, 0
	.section	.AMDGPU.csdata,"",@progbits
; Kernel info:
; codeLenInByte = 24428
; TotalNumSgprs: 29
; NumVgprs: 220
; NumAgprs: 0
; TotalNumVgprs: 220
; ScratchSize: 0
; MemoryBound: 0
; FloatMode: 240
; IeeeMode: 1
; LDSByteSize: 20480 bytes/workgroup (compile time only)
; SGPRBlocks: 3
; VGPRBlocks: 27
; NumSGPRsForWavesPerEU: 29
; NumVGPRsForWavesPerEU: 220
; AccumOffset: 220
; Occupancy: 2
; WaveLimiterHint : 1
; COMPUTE_PGM_RSRC2:SCRATCH_EN: 0
; COMPUTE_PGM_RSRC2:USER_SGPR: 2
; COMPUTE_PGM_RSRC2:TRAP_HANDLER: 0
; COMPUTE_PGM_RSRC2:TGID_X_EN: 1
; COMPUTE_PGM_RSRC2:TGID_Y_EN: 0
; COMPUTE_PGM_RSRC2:TGID_Z_EN: 1
; COMPUTE_PGM_RSRC2:TIDIG_COMP_CNT: 1
; COMPUTE_PGM_RSRC3_GFX90A:ACCUM_OFFSET: 54
; COMPUTE_PGM_RSRC3_GFX90A:TG_SPLIT: 0
	.section	.text._ZN12_GLOBAL__N_120geam_min_plus_kernelId15HIP_vector_typeIdLj2EEdLi8ELi32ELi64ELi256ELi4ELi4ELi64ELi64ELi4ELc84ELc84ELb0ELb0ELb1EdKPKdKPdEEviiiT16_PT17_ilSA_ilS8_SA_ilPT18_ili26rocblas_geam_ex_operation_,"axG",@progbits,_ZN12_GLOBAL__N_120geam_min_plus_kernelId15HIP_vector_typeIdLj2EEdLi8ELi32ELi64ELi256ELi4ELi4ELi64ELi64ELi4ELc84ELc84ELb0ELb0ELb1EdKPKdKPdEEviiiT16_PT17_ilSA_ilS8_SA_ilPT18_ili26rocblas_geam_ex_operation_,comdat
	.globl	_ZN12_GLOBAL__N_120geam_min_plus_kernelId15HIP_vector_typeIdLj2EEdLi8ELi32ELi64ELi256ELi4ELi4ELi64ELi64ELi4ELc84ELc84ELb0ELb0ELb1EdKPKdKPdEEviiiT16_PT17_ilSA_ilS8_SA_ilPT18_ili26rocblas_geam_ex_operation_ ; -- Begin function _ZN12_GLOBAL__N_120geam_min_plus_kernelId15HIP_vector_typeIdLj2EEdLi8ELi32ELi64ELi256ELi4ELi4ELi64ELi64ELi4ELc84ELc84ELb0ELb0ELb1EdKPKdKPdEEviiiT16_PT17_ilSA_ilS8_SA_ilPT18_ili26rocblas_geam_ex_operation_
	.p2align	8
	.type	_ZN12_GLOBAL__N_120geam_min_plus_kernelId15HIP_vector_typeIdLj2EEdLi8ELi32ELi64ELi256ELi4ELi4ELi64ELi64ELi4ELc84ELc84ELb0ELb0ELb1EdKPKdKPdEEviiiT16_PT17_ilSA_ilS8_SA_ilPT18_ili26rocblas_geam_ex_operation_,@function
_ZN12_GLOBAL__N_120geam_min_plus_kernelId15HIP_vector_typeIdLj2EEdLi8ELi32ELi64ELi256ELi4ELi4ELi64ELi64ELi4ELc84ELc84ELb0ELb0ELb1EdKPKdKPdEEviiiT16_PT17_ilSA_ilS8_SA_ilPT18_ili26rocblas_geam_ex_operation_: ; @_ZN12_GLOBAL__N_120geam_min_plus_kernelId15HIP_vector_typeIdLj2EEdLi8ELi32ELi64ELi256ELi4ELi4ELi64ELi64ELi4ELc84ELc84ELb0ELb0ELb1EdKPKdKPdEEviiiT16_PT17_ilSA_ilS8_SA_ilPT18_ili26rocblas_geam_ex_operation_
; %bb.0:
	s_load_dwordx4 s[12:15], s[0:1], 0x10
	s_load_dwordx4 s[16:19], s[0:1], 0x28
	s_mov_b32 s6, s3
	s_mov_b64 s[20:21], 0
	s_waitcnt lgkmcnt(0)
	v_cmp_eq_f64_e64 s[22:23], s[12:13], 0
	s_and_b64 s[4:5], exec, s[22:23]
	s_mov_b64 vcc, s[4:5]
	s_cbranch_vccnz .LBB125_2
; %bb.1:
	s_mov_b32 s7, 0
	s_lshl_b64 s[8:9], s[6:7], 3
	s_add_u32 s8, s14, s8
	s_addc_u32 s9, s15, s9
	s_load_dwordx2 s[8:9], s[8:9], 0x0
	s_lshl_b64 s[10:11], s[16:17], 3
	s_waitcnt lgkmcnt(0)
	s_add_u32 s20, s8, s10
	s_addc_u32 s21, s9, s11
.LBB125_2:
	s_load_dwordx4 s[8:11], s[0:1], 0x40
	s_load_dwordx2 s[24:25], s[0:1], 0x50
	s_andn2_b64 vcc, exec, s[22:23]
	s_mov_b32 s7, 0
	s_cbranch_vccnz .LBB125_4
; %bb.3:
	s_mov_b64 s[14:15], 0
	s_mov_b64 s[22:23], 0
	s_cbranch_execz .LBB125_5
	s_branch .LBB125_6
.LBB125_4:
	s_mov_b64 s[14:15], 0
	s_mov_b64 s[22:23], 0
.LBB125_5:
	s_lshl_b64 s[16:17], s[6:7], 3
	s_add_u32 s16, s18, s16
	s_addc_u32 s17, s19, s17
	s_load_dwordx2 s[16:17], s[16:17], 0x0
	s_waitcnt lgkmcnt(0)
	s_lshl_b64 s[8:9], s[8:9], 3
	s_add_u32 s22, s16, s8
	s_addc_u32 s23, s17, s9
.LBB125_6:
	s_load_dwordx4 s[16:19], s[0:1], 0x60
	s_waitcnt lgkmcnt(0)
	v_cmp_eq_f64_e64 s[8:9], s[10:11], 0
	s_and_b64 s[8:9], exec, s[8:9]
	v_cmp_neq_f64_e64 s[26:27], s[12:13], 0
	s_mov_b64 vcc, s[8:9]
	s_cbranch_vccnz .LBB125_8
; %bb.7:
	s_lshl_b64 s[14:15], s[6:7], 3
	s_add_u32 s14, s24, s14
	s_addc_u32 s15, s25, s15
	s_load_dwordx2 s[14:15], s[14:15], 0x0
	s_lshl_b64 s[16:17], s[16:17], 3
	s_waitcnt lgkmcnt(0)
	s_add_u32 s14, s14, s16
	s_addc_u32 s15, s15, s17
.LBB125_8:
	s_load_dword s16, s[0:1], 0x0
	s_load_dword s3, s[0:1], 0x20
	s_lshl_b64 s[6:7], s[6:7], 3
	s_add_u32 s24, s18, s6
	s_addc_u32 s25, s19, s7
	s_waitcnt lgkmcnt(0)
	s_add_i32 s6, s16, -1
	s_ashr_i32 s7, s6, 31
	s_lshr_b32 s7, s7, 26
	s_add_i32 s6, s6, s7
	s_ashr_i32 s6, s6, 6
	s_add_i32 s7, s6, 1
	v_cvt_f32_u32_e32 v1, s7
	v_and_b32_e32 v152, 0x3ff, v0
	v_bfe_u32 v153, v0, 10, 10
	v_and_b32_e32 v2, 3, v0
	v_rcp_iflag_f32_e32 v1, v1
	s_not_b32 s6, s6
	v_lshl_add_u32 v6, v153, 3, v152
	v_lshrrev_b32_e32 v110, 2, v6
	v_mul_f32_e32 v0, 0x4f7ffffe, v1
	v_cvt_u32_f32_e32 v0, v0
	v_cndmask_b32_e64 v3, 0, 1, s[26:27]
	v_lshlrev_b32_e32 v2, 3, v2
	v_mov_b64_e32 v[4:5], 0
	v_readfirstlane_b32 s16, v0
	s_mul_i32 s6, s6, s16
	s_mul_hi_u32 s6, s16, s6
	s_add_i32 s16, s16, s6
	s_mul_hi_u32 s6, s2, s16
	s_mul_i32 s16, s6, s7
	s_sub_i32 s16, s2, s16
	s_add_i32 s17, s6, 1
	s_sub_i32 s18, s16, s7
	s_cmp_ge_u32 s16, s7
	s_cselect_b32 s6, s17, s6
	s_cselect_b32 s16, s18, s16
	s_add_i32 s17, s6, 1
	s_cmp_ge_u32 s16, s7
	s_cselect_b32 s16, s17, s6
	s_mul_i32 s29, s16, s7
	s_sub_i32 s6, s2, s29
	s_lshl_b32 s28, s6, 6
	v_mov_b64_e32 v[0:1], 0
	v_cmp_ne_u32_e64 s[6:7], 1, v3
	s_andn2_b64 vcc, exec, s[26:27]
	v_add_u32_e32 v16, s28, v110
	s_cbranch_vccnz .LBB125_10
; %bb.9:
	v_mad_i64_i32 v[4:5], s[18:19], v16, s3, 0
	v_lshl_add_u64 v[4:5], v[4:5], 3, s[20:21]
	v_mov_b32_e32 v3, 0
	v_lshl_add_u64 v[4:5], v[4:5], 0, v[2:3]
	flat_load_dwordx2 v[4:5], v[4:5]
	s_waitcnt vmcnt(0) lgkmcnt(0)
	v_mul_f64 v[4:5], s[12:13], v[4:5]
.LBB125_10:
	s_load_dword s18, s[0:1], 0x38
	v_and_b32_e32 v112, 63, v6
	v_lshrrev_b32_e32 v111, 6, v6
	s_lshl_b32 s26, s16, 8
	v_or_b32_e32 v8, s26, v112
	s_waitcnt lgkmcnt(0)
	v_mad_i64_i32 v[6:7], s[16:17], s18, v111, 0
	v_lshl_add_u64 v[14:15], v[6:7], 3, s[22:23]
	s_and_b64 vcc, exec, s[6:7]
	v_ashrrev_i32_e32 v9, 31, v8
	v_mov_b64_e32 v[6:7], 0
	s_cbranch_vccnz .LBB125_12
; %bb.11:
	v_lshl_add_u64 v[0:1], v[8:9], 3, v[14:15]
	flat_load_dwordx2 v[6:7], v[0:1]
	flat_load_dwordx2 v[10:11], v[0:1] offset:512
	s_waitcnt vmcnt(0) lgkmcnt(0)
	v_mul_f64 v[6:7], s[12:13], v[6:7]
	v_mul_f64 v[0:1], s[12:13], v[10:11]
.LBB125_12:
	s_ashr_i32 s19, s18, 31
	s_mov_b64 vcc, s[4:5]
	s_cbranch_vccz .LBB125_14
; %bb.13:
	s_mov_b32 s16, 0
	v_mov_b32_e32 v10, s16
	v_mov_b32_e32 v11, s16
	v_mov_b64_e32 v[100:101], 0
	v_mov_b64_e32 v[12:13], 0
	s_cbranch_execz .LBB125_15
	s_branch .LBB125_16
.LBB125_14:
                                        ; implicit-def: $vgpr10_vgpr11
	v_mov_b64_e32 v[100:101], 0
	v_mov_b64_e32 v[12:13], 0
.LBB125_15:
	v_lshl_add_u64 v[10:11], v[8:9], 3, v[14:15]
	flat_load_dwordx2 v[12:13], v[10:11] offset:1024
	flat_load_dwordx2 v[14:15], v[10:11] offset:1536
	s_waitcnt vmcnt(0) lgkmcnt(0)
	v_mul_f64 v[10:11], s[12:13], v[12:13]
	v_mul_f64 v[12:13], s[12:13], v[14:15]
.LBB125_16:
	s_and_b64 vcc, exec, s[6:7]
	s_cbranch_vccnz .LBB125_18
; %bb.17:
	v_mad_i64_i32 v[14:15], s[16:17], v16, s3, 0
	v_lshl_add_u64 v[14:15], v[14:15], 3, s[20:21]
	v_mov_b32_e32 v3, 0
	v_lshl_add_u64 v[14:15], v[14:15], 0, v[2:3]
	flat_load_dwordx2 v[14:15], v[14:15] offset:32
	s_waitcnt vmcnt(0) lgkmcnt(0)
	v_mul_f64 v[100:101], s[12:13], v[14:15]
.LBB125_18:
	v_add_u32_e32 v3, 4, v111
	v_mad_i64_i32 v[14:15], s[16:17], s18, v3, 0
	s_and_b64 vcc, exec, s[6:7]
	v_lshl_add_u64 v[14:15], v[14:15], 3, s[22:23]
	s_cbranch_vccnz .LBB125_21
; %bb.19:
	v_lshl_add_u64 v[16:17], v[8:9], 3, v[14:15]
	flat_load_dwordx2 v[18:19], v[16:17]
	flat_load_dwordx2 v[20:21], v[16:17] offset:512
	s_waitcnt vmcnt(0) lgkmcnt(0)
	v_mul_f64 v[104:105], s[12:13], v[18:19]
	v_mul_f64 v[102:103], s[12:13], v[20:21]
	s_mov_b64 vcc, s[4:5]
	s_cbranch_vccz .LBB125_22
.LBB125_20:
	s_mov_b32 s16, 0
	v_mov_b32_e32 v106, s16
	v_mov_b32_e32 v107, s16
	v_mov_b64_e32 v[108:109], 0
	s_cbranch_execz .LBB125_23
	s_branch .LBB125_24
.LBB125_21:
	v_mov_b64_e32 v[102:103], 0
	v_mov_b64_e32 v[104:105], v[102:103]
	s_mov_b64 vcc, s[4:5]
	s_cbranch_vccnz .LBB125_20
.LBB125_22:
                                        ; implicit-def: $vgpr106_vgpr107
	v_mov_b64_e32 v[108:109], 0
.LBB125_23:
	v_lshl_add_u64 v[8:9], v[8:9], 3, v[14:15]
	flat_load_dwordx2 v[14:15], v[8:9] offset:1024
	flat_load_dwordx2 v[16:17], v[8:9] offset:1536
	s_waitcnt vmcnt(0) lgkmcnt(0)
	v_mul_f64 v[106:107], s[12:13], v[14:15]
	v_mul_f64 v[108:109], s[12:13], v[16:17]
.LBB125_24:
	v_lshl_or_b32 v113, v110, 5, v2
	v_lshlrev_b32_e32 v2, 5, v112
	v_lshl_add_u32 v159, v111, 3, v2
	v_lshlrev_b32_e32 v155, 5, v152
	s_load_dwordx2 s[16:17], s[24:25], 0x0
	s_load_dword s27, s[0:1], 0x8
	ds_write_b64 v113, v[4:5] offset:16384
	ds_write2st64_b64 v159, v[6:7], v[0:1] offset1:4
	ds_write2st64_b64 v159, v[10:11], v[12:13] offset0:8 offset1:12
	s_waitcnt lgkmcnt(0)
	s_barrier
	v_lshlrev_b32_e32 v154, 5, v153
	ds_read_b128 v[32:35], v155 offset:16640
	ds_read_b128 v[28:31], v155 offset:16896
	;; [unrolled: 1-line block ×13, first 2 shown]
	ds_read_b128 v[96:99], v154
	ds_read_b128 v[44:47], v154 offset:6144
	ds_read_b128 v[36:39], v154 offset:7168
	;; [unrolled: 1-line block ×4, first 2 shown]
	s_waitcnt lgkmcnt(5)
	v_add_f64 v[116:117], v[42:43], v[94:95]
	v_add_f64 v[118:119], v[40:41], v[92:93]
	s_mov_b32 s24, 0x7f800000
	v_cvt_f32_f64_e32 v115, v[118:119]
	v_cvt_f32_f64_e32 v116, v[116:117]
	v_min3_f32 v177, v115, v116, s24
	v_add_f64 v[116:117], v[34:35], v[94:95]
	v_add_f64 v[118:119], v[32:33], v[92:93]
	v_cvt_f32_f64_e32 v115, v[118:119]
	v_cvt_f32_f64_e32 v116, v[116:117]
	v_min3_f32 v178, v115, v116, s24
	v_add_f64 v[116:117], v[30:31], v[94:95]
	v_add_f64 v[118:119], v[28:29], v[92:93]
	;; [unrolled: 5-line block ×34, first 2 shown]
	v_cvt_f32_f64_e32 v115, v[118:119]
	v_cvt_f32_f64_e32 v116, v[116:117]
	v_min3_f32 v121, v115, v116, s24
	s_waitcnt lgkmcnt(3)
	v_add_f64 v[116:117], v[42:43], v[46:47]
	v_add_f64 v[166:167], v[40:41], v[44:45]
	v_cvt_f32_f64_e32 v115, v[166:167]
	v_cvt_f32_f64_e32 v116, v[116:117]
	v_min3_f32 v127, v115, v116, s24
	v_add_f64 v[116:117], v[34:35], v[46:47]
	v_add_f64 v[166:167], v[32:33], v[44:45]
	v_cvt_f32_f64_e32 v115, v[166:167]
	v_cvt_f32_f64_e32 v116, v[116:117]
	v_min3_f32 v124, v115, v116, s24
	v_add_f64 v[116:117], v[30:31], v[46:47]
	v_add_f64 v[166:167], v[28:29], v[44:45]
	v_cvt_f32_f64_e32 v115, v[166:167]
	v_cvt_f32_f64_e32 v116, v[116:117]
	v_add_f64 v[56:57], v[42:43], v[98:99]
	v_add_f64 v[58:59], v[40:41], v[96:97]
	v_min3_f32 v122, v115, v116, s24
	v_add_f64 v[116:117], v[26:27], v[46:47]
	v_add_f64 v[166:167], v[24:25], v[44:45]
	v_cvt_f32_f64_e32 v58, v[58:59]
	v_cvt_f32_f64_e32 v56, v[56:57]
	;; [unrolled: 1-line block ×4, first 2 shown]
	v_min3_f32 v114, v58, v56, s24
	ds_read_b128 v[56:59], v155 offset:16656
	v_add_f64 v[60:61], v[34:35], v[98:99]
	v_add_f64 v[62:63], v[32:33], v[96:97]
	v_min3_f32 v120, v115, v116, s24
	v_add_f64 v[116:117], v[22:23], v[46:47]
	v_add_f64 v[166:167], v[20:21], v[44:45]
	v_cvt_f32_f64_e32 v62, v[62:63]
	v_cvt_f32_f64_e32 v60, v[60:61]
	;; [unrolled: 1-line block ×4, first 2 shown]
	v_add_f64 v[166:167], v[16:17], v[44:45]
	v_min3_f32 v170, v62, v60, s24
	ds_read_b128 v[60:63], v155 offset:16912
	v_add_f64 v[64:65], v[30:31], v[98:99]
	v_add_f64 v[66:67], v[28:29], v[96:97]
	;; [unrolled: 1-line block ×22, first 2 shown]
	v_min3_f32 v118, v115, v116, s24
	v_add_f64 v[116:117], v[18:19], v[46:47]
	v_cvt_f32_f64_e32 v115, v[166:167]
	v_add_f64 v[166:167], v[14:15], v[46:47]
	v_add_f64 v[168:169], v[12:13], v[44:45]
	;; [unrolled: 1-line block ×4, first 2 shown]
	s_waitcnt lgkmcnt(4)
	v_add_f64 v[14:15], v[14:15], v[38:39]
	v_add_f64 v[12:13], v[12:13], v[36:37]
	;; [unrolled: 1-line block ×4, first 2 shown]
	v_cvt_f32_f64_e32 v66, v[66:67]
	v_cvt_f32_f64_e32 v64, v[64:65]
	;; [unrolled: 1-line block ×7, first 2 shown]
	s_waitcnt lgkmcnt(2)
	v_add_f64 v[10:11], v[2:3], v[6:7]
	v_add_f64 v[14:15], v[0:1], v[4:5]
	v_min3_f32 v171, v66, v64, s24
	ds_read_b128 v[64:67], v155 offset:17168
	v_min3_f32 v117, v115, v116, s24
	v_cvt_f32_f64_e32 v115, v[168:169]
	v_cvt_f32_f64_e32 v116, v[166:167]
	;; [unrolled: 1-line block ×4, first 2 shown]
	v_min3_f32 v8, v8, v9, s24
	v_cvt_f32_f64_e32 v9, v[14:15]
	v_cvt_f32_f64_e32 v10, v[10:11]
	;; [unrolled: 1-line block ×4, first 2 shown]
	v_min3_f32 v116, v115, v116, s24
	v_min3_f32 v115, v44, v45, s24
	ds_read_b128 v[44:47], v154 offset:7184
	v_min3_f32 v226, v9, v10, v114
	s_waitcnt lgkmcnt(3)
	v_add_f64 v[10:11], v[58:59], v[6:7]
	v_add_f64 v[14:15], v[56:57], v[4:5]
	v_min3_f32 v172, v70, v68, s24
	ds_read_b128 v[68:71], v155 offset:17424
	v_cvt_f32_f64_e32 v9, v[14:15]
	v_cvt_f32_f64_e32 v10, v[10:11]
	;; [unrolled: 1-line block ×4, first 2 shown]
	v_min3_f32 v224, v9, v10, v170
	s_waitcnt lgkmcnt(3)
	v_add_f64 v[10:11], v[62:63], v[6:7]
	v_add_f64 v[14:15], v[60:61], v[4:5]
	v_min3_f32 v173, v74, v72, s24
	ds_read_b128 v[72:75], v155 offset:17680
	v_cvt_f32_f64_e32 v9, v[14:15]
	v_cvt_f32_f64_e32 v10, v[10:11]
	;; [unrolled: 1-line block ×6, first 2 shown]
	v_min3_f32 v225, v9, v10, v171
	s_waitcnt lgkmcnt(3)
	v_add_f64 v[10:11], v[66:67], v[6:7]
	v_add_f64 v[14:15], v[64:65], v[4:5]
	v_min3_f32 v174, v78, v76, s24
	ds_read_b128 v[76:79], v155 offset:17936
	v_min3_f32 v175, v82, v80, s24
	ds_read_b128 v[80:83], v155 offset:18192
	v_cvt_f32_f64_e32 v9, v[14:15]
	v_cvt_f32_f64_e32 v10, v[10:11]
	;; [unrolled: 1-line block ×4, first 2 shown]
	v_min3_f32 v222, v9, v10, v172
	s_waitcnt lgkmcnt(3)
	v_add_f64 v[10:11], v[70:71], v[6:7]
	v_add_f64 v[14:15], v[68:69], v[4:5]
	v_min3_f32 v176, v96, v97, s24
	ds_read_b128 v[96:99], v154 offset:1040
	v_cvt_f32_f64_e32 v9, v[14:15]
	v_cvt_f32_f64_e32 v10, v[10:11]
	v_min3_f32 v223, v9, v10, v173
	s_waitcnt lgkmcnt(3)
	v_add_f64 v[10:11], v[74:75], v[6:7]
	v_add_f64 v[14:15], v[72:73], v[4:5]
	v_cvt_f32_f64_e32 v9, v[14:15]
	v_cvt_f32_f64_e32 v10, v[10:11]
	v_min3_f32 v220, v9, v10, v174
	s_waitcnt lgkmcnt(2)
	v_add_f64 v[10:11], v[78:79], v[6:7]
	v_add_f64 v[14:15], v[76:77], v[4:5]
	s_waitcnt lgkmcnt(1)
	v_add_f64 v[6:7], v[82:83], v[6:7]
	v_add_f64 v[4:5], v[80:81], v[4:5]
	v_cvt_f32_f64_e32 v92, v[92:93]
	v_cvt_f32_f64_e32 v93, v[94:95]
	;; [unrolled: 1-line block ×4, first 2 shown]
	v_min3_f32 v150, v92, v93, s24
	ds_read_b128 v[92:95], v154 offset:2064
	v_min3_f32 v213, v4, v5, v176
	s_waitcnt lgkmcnt(1)
	v_add_f64 v[4:5], v[2:3], v[98:99]
	v_add_f64 v[6:7], v[0:1], v[96:97]
	v_cvt_f32_f64_e32 v6, v[6:7]
	v_cvt_f32_f64_e32 v4, v[4:5]
	v_min3_f32 v212, v6, v4, v177
	v_add_f64 v[4:5], v[58:59], v[98:99]
	v_add_f64 v[6:7], v[56:57], v[96:97]
	v_cvt_f32_f64_e32 v6, v[6:7]
	v_cvt_f32_f64_e32 v4, v[4:5]
	v_min3_f32 v211, v6, v4, v178
	;; [unrolled: 5-line block ×8, first 2 shown]
	s_waitcnt lgkmcnt(0)
	v_add_f64 v[4:5], v[2:3], v[94:95]
	v_add_f64 v[6:7], v[0:1], v[92:93]
	v_cvt_f32_f64_e32 v6, v[6:7]
	v_cvt_f32_f64_e32 v4, v[4:5]
	v_min3_f32 v204, v6, v4, v163
	v_add_f64 v[4:5], v[58:59], v[94:95]
	v_add_f64 v[6:7], v[56:57], v[92:93]
	v_cvt_f32_f64_e32 v6, v[6:7]
	v_cvt_f32_f64_e32 v4, v[4:5]
	v_min3_f32 v203, v6, v4, v161
	;; [unrolled: 5-line block ×4, first 2 shown]
	v_add_f64 v[4:5], v[70:71], v[94:95]
	v_add_f64 v[6:7], v[68:69], v[92:93]
	v_cvt_f32_f64_e32 v6, v[6:7]
	v_cvt_f32_f64_e32 v4, v[4:5]
	;; [unrolled: 1-line block ×4, first 2 shown]
	v_min3_f32 v200, v6, v4, v149
	v_add_f64 v[4:5], v[74:75], v[94:95]
	v_add_f64 v[6:7], v[72:73], v[92:93]
	v_min3_f32 v142, v88, v89, s24
	ds_read_b128 v[88:91], v154 offset:3088
	v_cvt_f32_f64_e32 v6, v[6:7]
	v_cvt_f32_f64_e32 v4, v[4:5]
	v_min3_f32 v199, v6, v4, v147
	v_add_f64 v[4:5], v[78:79], v[94:95]
	v_add_f64 v[6:7], v[76:77], v[92:93]
	v_cvt_f32_f64_e32 v6, v[6:7]
	v_cvt_f32_f64_e32 v4, v[4:5]
	v_min3_f32 v198, v6, v4, v145
	v_add_f64 v[4:5], v[82:83], v[94:95]
	v_add_f64 v[6:7], v[80:81], v[92:93]
	v_cvt_f32_f64_e32 v84, v[84:85]
	v_cvt_f32_f64_e32 v85, v[86:87]
	;; [unrolled: 1-line block ×4, first 2 shown]
	v_min3_f32 v134, v84, v85, s24
	ds_read_b128 v[84:87], v154 offset:4112
	v_min3_f32 v197, v6, v4, v142
	s_waitcnt lgkmcnt(1)
	v_add_f64 v[4:5], v[2:3], v[90:91]
	v_add_f64 v[6:7], v[0:1], v[88:89]
	v_cvt_f32_f64_e32 v6, v[6:7]
	v_cvt_f32_f64_e32 v4, v[4:5]
	v_min3_f32 v196, v6, v4, v151
	v_add_f64 v[4:5], v[58:59], v[90:91]
	v_add_f64 v[6:7], v[56:57], v[88:89]
	v_cvt_f32_f64_e32 v6, v[6:7]
	v_cvt_f32_f64_e32 v4, v[4:5]
	v_min3_f32 v195, v6, v4, v148
	v_add_f64 v[4:5], v[62:63], v[90:91]
	v_add_f64 v[6:7], v[60:61], v[88:89]
	v_cvt_f32_f64_e32 v6, v[6:7]
	v_cvt_f32_f64_e32 v4, v[4:5]
	v_min3_f32 v194, v6, v4, v146
	v_add_f64 v[4:5], v[66:67], v[90:91]
	v_add_f64 v[6:7], v[64:65], v[88:89]
	v_cvt_f32_f64_e32 v6, v[6:7]
	v_cvt_f32_f64_e32 v4, v[4:5]
	v_min3_f32 v193, v6, v4, v144
	v_add_f64 v[4:5], v[70:71], v[90:91]
	v_add_f64 v[6:7], v[68:69], v[88:89]
	v_cvt_f32_f64_e32 v6, v[6:7]
	v_cvt_f32_f64_e32 v4, v[4:5]
	v_min3_f32 v192, v6, v4, v141
	v_add_f64 v[4:5], v[74:75], v[90:91]
	v_add_f64 v[6:7], v[72:73], v[88:89]
	v_cvt_f32_f64_e32 v6, v[6:7]
	v_cvt_f32_f64_e32 v4, v[4:5]
	v_min3_f32 v191, v6, v4, v139
	v_add_f64 v[4:5], v[78:79], v[90:91]
	v_add_f64 v[6:7], v[76:77], v[88:89]
	v_cvt_f32_f64_e32 v6, v[6:7]
	v_cvt_f32_f64_e32 v4, v[4:5]
	v_min3_f32 v190, v6, v4, v137
	v_add_f64 v[4:5], v[82:83], v[90:91]
	v_add_f64 v[6:7], v[80:81], v[88:89]
	v_cvt_f32_f64_e32 v6, v[6:7]
	v_cvt_f32_f64_e32 v4, v[4:5]
	v_min3_f32 v189, v6, v4, v134
	s_waitcnt lgkmcnt(0)
	v_add_f64 v[4:5], v[2:3], v[86:87]
	v_add_f64 v[6:7], v[0:1], v[84:85]
	v_cvt_f32_f64_e32 v6, v[6:7]
	v_cvt_f32_f64_e32 v4, v[4:5]
	v_min3_f32 v188, v6, v4, v143
	v_add_f64 v[4:5], v[58:59], v[86:87]
	v_add_f64 v[6:7], v[56:57], v[84:85]
	v_cvt_f32_f64_e32 v6, v[6:7]
	v_cvt_f32_f64_e32 v4, v[4:5]
	v_min3_f32 v187, v6, v4, v140
	;; [unrolled: 5-line block ×4, first 2 shown]
	v_add_f64 v[4:5], v[70:71], v[86:87]
	v_add_f64 v[6:7], v[68:69], v[84:85]
	v_cvt_f32_f64_e32 v6, v[6:7]
	v_cvt_f32_f64_e32 v4, v[4:5]
	;; [unrolled: 1-line block ×4, first 2 shown]
	v_min3_f32 v184, v6, v4, v133
	v_add_f64 v[4:5], v[74:75], v[86:87]
	v_add_f64 v[6:7], v[72:73], v[84:85]
	v_min3_f32 v126, v52, v53, s24
	ds_read_b128 v[52:55], v154 offset:5136
	v_cvt_f32_f64_e32 v6, v[6:7]
	v_cvt_f32_f64_e32 v4, v[4:5]
	v_min3_f32 v183, v6, v4, v131
	v_add_f64 v[4:5], v[78:79], v[86:87]
	v_add_f64 v[6:7], v[76:77], v[84:85]
	v_cvt_f32_f64_e32 v6, v[6:7]
	v_cvt_f32_f64_e32 v4, v[4:5]
	v_min3_f32 v182, v6, v4, v129
	v_add_f64 v[4:5], v[82:83], v[86:87]
	v_add_f64 v[6:7], v[80:81], v[84:85]
	v_cvt_f32_f64_e32 v48, v[48:49]
	v_cvt_f32_f64_e32 v49, v[50:51]
	;; [unrolled: 1-line block ×4, first 2 shown]
	v_min3_f32 v119, v48, v49, s24
	ds_read_b128 v[48:51], v154 offset:6160
	v_min3_f32 v181, v6, v4, v126
	s_waitcnt lgkmcnt(1)
	v_add_f64 v[4:5], v[2:3], v[54:55]
	v_add_f64 v[6:7], v[0:1], v[52:53]
	v_cvt_f32_f64_e32 v6, v[6:7]
	v_cvt_f32_f64_e32 v4, v[4:5]
	v_min3_f32 v180, v6, v4, v135
	v_add_f64 v[4:5], v[58:59], v[54:55]
	v_add_f64 v[6:7], v[56:57], v[52:53]
	v_cvt_f32_f64_e32 v6, v[6:7]
	v_cvt_f32_f64_e32 v4, v[4:5]
	v_min3_f32 v179, v6, v4, v132
	;; [unrolled: 5-line block ×5, first 2 shown]
	v_add_f64 v[4:5], v[74:75], v[54:55]
	v_add_f64 v[6:7], v[72:73], v[52:53]
	v_cvt_f32_f64_e32 v9, v[14:15]
	v_cvt_f32_f64_e32 v10, v[10:11]
	;; [unrolled: 1-line block ×4, first 2 shown]
	v_min3_f32 v221, v9, v10, v175
	v_min3_f32 v175, v6, v4, v123
	v_add_f64 v[4:5], v[78:79], v[54:55]
	v_add_f64 v[6:7], v[76:77], v[52:53]
	v_cvt_f32_f64_e32 v6, v[6:7]
	v_cvt_f32_f64_e32 v4, v[4:5]
	v_min3_f32 v174, v6, v4, v121
	v_add_f64 v[4:5], v[82:83], v[54:55]
	v_add_f64 v[6:7], v[80:81], v[52:53]
	;; [unrolled: 1-line block ×4, first 2 shown]
	v_cvt_f32_f64_e32 v6, v[6:7]
	v_cvt_f32_f64_e32 v4, v[4:5]
	;; [unrolled: 1-line block ×4, first 2 shown]
	v_min3_f32 v173, v6, v4, v119
	s_waitcnt lgkmcnt(0)
	v_add_f64 v[4:5], v[2:3], v[50:51]
	v_add_f64 v[6:7], v[0:1], v[48:49]
	;; [unrolled: 1-line block ×4, first 2 shown]
	v_min3_f32 v40, v40, v41, s24
	v_add_f64 v[34:35], v[34:35], v[38:39]
	v_add_f64 v[32:33], v[32:33], v[36:37]
	v_cvt_f32_f64_e32 v6, v[6:7]
	v_cvt_f32_f64_e32 v4, v[4:5]
	v_cvt_f32_f64_e32 v0, v[0:1]
	v_cvt_f32_f64_e32 v1, v[2:3]
	v_cvt_f32_f64_e32 v32, v[32:33]
	v_cvt_f32_f64_e32 v33, v[34:35]
	v_min3_f32 v172, v6, v4, v127
	v_add_f64 v[4:5], v[58:59], v[50:51]
	v_add_f64 v[6:7], v[56:57], v[48:49]
	v_min3_f32 v164, v0, v1, v40
	v_add_f64 v[0:1], v[58:59], v[46:47]
	v_add_f64 v[2:3], v[56:57], v[44:45]
	v_min3_f32 v32, v32, v33, s24
	v_add_f64 v[30:31], v[30:31], v[38:39]
	v_add_f64 v[28:29], v[28:29], v[36:37]
	v_cvt_f32_f64_e32 v6, v[6:7]
	v_cvt_f32_f64_e32 v4, v[4:5]
	v_cvt_f32_f64_e32 v2, v[2:3]
	v_cvt_f32_f64_e32 v0, v[0:1]
	v_cvt_f32_f64_e32 v28, v[28:29]
	v_cvt_f32_f64_e32 v29, v[30:31]
	v_min3_f32 v171, v6, v4, v124
	v_add_f64 v[4:5], v[62:63], v[50:51]
	v_add_f64 v[6:7], v[60:61], v[48:49]
	v_min3_f32 v163, v2, v0, v32
	v_add_f64 v[0:1], v[62:63], v[46:47]
	v_add_f64 v[2:3], v[60:61], v[44:45]
	;; [unrolled: 15-line block ×5, first 2 shown]
	v_min3_f32 v16, v16, v17, s24
	v_cvt_f32_f64_e32 v6, v[6:7]
	v_cvt_f32_f64_e32 v4, v[4:5]
	;; [unrolled: 1-line block ×4, first 2 shown]
	v_min3_f32 v167, v6, v4, v117
	v_add_f64 v[4:5], v[78:79], v[50:51]
	v_add_f64 v[6:7], v[76:77], v[48:49]
	v_min3_f32 v158, v2, v0, v16
	v_add_f64 v[0:1], v[78:79], v[46:47]
	v_add_f64 v[2:3], v[76:77], v[44:45]
	v_min3_f32 v12, v12, v13, s24
	v_cvt_f32_f64_e32 v6, v[6:7]
	v_cvt_f32_f64_e32 v4, v[4:5]
	;; [unrolled: 1-line block ×4, first 2 shown]
	v_min3_f32 v166, v6, v4, v116
	v_add_f64 v[4:5], v[82:83], v[50:51]
	v_add_f64 v[6:7], v[80:81], v[48:49]
	v_min3_f32 v157, v2, v0, v12
	v_add_f64 v[0:1], v[82:83], v[46:47]
	v_add_f64 v[2:3], v[80:81], v[44:45]
	v_cvt_f32_f64_e32 v6, v[6:7]
	v_cvt_f32_f64_e32 v4, v[4:5]
	;; [unrolled: 1-line block ×4, first 2 shown]
	v_min3_f32 v165, v6, v4, v115
	v_min3_f32 v156, v2, v0, v8
	s_cmp_lt_i32 s27, 9
	ds_write_b64 v113, v[100:101] offset:18432
	ds_write2st64_b64 v159, v[104:105], v[102:103] offset0:16 offset1:20
	ds_write2st64_b64 v159, v[106:107], v[108:109] offset0:24 offset1:28
	s_waitcnt lgkmcnt(0)
	s_barrier
	s_cbranch_scc1 .LBB125_47
; %bb.25:
	v_mov_b32_e32 v0, 0x4800
	v_lshl_add_u32 v218, v152, 5, v0
	v_mov_b32_e32 v0, 0x2000
	v_lshl_add_u32 v219, v153, 5, v0
	v_lshl_add_u32 v0, s2, 6, v110
	s_lshl_b32 s2, s29, 6
	v_subrev_u32_e32 v0, s2, v0
	v_and_b32_e32 v2, 3, v152
	v_mad_i64_i32 v[0:1], s[2:3], s3, v0, 0
	v_lshlrev_b32_e32 v2, 3, v2
	v_mov_b32_e32 v3, 0
	v_lshl_add_u64 v[0:1], v[0:1], 3, v[2:3]
	v_lshl_add_u64 v[0:1], s[20:21], 0, v[0:1]
	;; [unrolled: 1-line block ×3, first 2 shown]
	v_add_u32_e32 v0, 8, v111
	v_mad_i64_i32 v[0:1], s[2:3], v0, s18, 0
	v_lshlrev_b64 v[138:139], 3, v[0:1]
	v_add_u32_e32 v0, s26, v112
	v_ashrrev_i32_e32 v1, 31, v0
	v_lshl_add_u64 v[140:141], v[0:1], 3, s[22:23]
	v_add_u32_e32 v0, 12, v111
	s_lshl_b64 s[2:3], s[18:19], 6
	v_mad_i64_i32 v[0:1], s[18:19], v0, s18, 0
	v_add_u32_e32 v214, 0x4000, v113
	v_add_u32_e32 v215, 0x4000, v155
	;; [unrolled: 1-line block ×3, first 2 shown]
	v_or_b32_e32 v217, 0x2000, v159
	s_add_i32 s24, s27, -8
	v_lshlrev_b64 v[142:143], 3, v[0:1]
	s_mov_b32 s20, 0
	s_mov_b32 s21, 0
	s_branch .LBB125_27
.LBB125_26:                             ;   in Loop: Header=BB125_27 Depth=1
	v_add_f64 v[2:3], v[106:107], v[134:135]
	v_add_f64 v[4:5], v[104:105], v[132:133]
	v_cvt_f32_f64_e32 v4, v[4:5]
	v_cvt_f32_f64_e32 v2, v[2:3]
	v_min3_f32 v6, v4, v2, v226
	v_add_f64 v[2:3], v[102:103], v[134:135]
	v_add_f64 v[4:5], v[100:101], v[132:133]
	v_cvt_f32_f64_e32 v4, v[4:5]
	v_cvt_f32_f64_e32 v2, v[2:3]
	v_min3_f32 v7, v4, v2, v224
	;; [unrolled: 5-line block ×128, first 2 shown]
	ds_read_b128 v[38:41], v215 offset:256
	ds_read_b128 v[34:37], v215 offset:512
	;; [unrolled: 1-line block ×12, first 2 shown]
	ds_read_b128 v[98:101], v154
	ds_read_b128 v[50:53], v215
	ds_read_b128 v[74:77], v154 offset:6144
	ds_read_b128 v[26:29], v154 offset:7168
	;; [unrolled: 1-line block ×4, first 2 shown]
	s_waitcnt lgkmcnt(5)
	v_add_f64 v[46:47], v[40:41], v[100:101]
	v_add_f64 v[48:49], v[38:39], v[98:99]
	;; [unrolled: 1-line block ×4, first 2 shown]
	v_cvt_f32_f64_e32 v48, v[48:49]
	v_cvt_f32_f64_e32 v46, v[46:47]
	;; [unrolled: 1-line block ×4, first 2 shown]
	v_min3_f32 v185, v48, v46, v72
	v_min3_f32 v186, v56, v54, v73
	v_add_f64 v[58:59], v[32:33], v[100:101]
	v_add_f64 v[60:61], v[30:31], v[98:99]
	;; [unrolled: 1-line block ×8, first 2 shown]
	v_cvt_f32_f64_e32 v60, v[60:61]
	v_cvt_f32_f64_e32 v58, v[58:59]
	;; [unrolled: 1-line block ×8, first 2 shown]
	v_min3_f32 v187, v60, v58, v102
	v_min3_f32 v188, v64, v62, v103
	;; [unrolled: 1-line block ×4, first 2 shown]
	s_waitcnt lgkmcnt(4)
	v_add_f64 v[102:103], v[52:53], v[96:97]
	v_add_f64 v[104:105], v[50:51], v[94:95]
	v_cvt_f32_f64_e32 v104, v[104:105]
	v_cvt_f32_f64_e32 v102, v[102:103]
	v_min3_f32 v107, v104, v102, v107
	v_add_f64 v[102:103], v[40:41], v[96:97]
	v_add_f64 v[104:105], v[38:39], v[94:95]
	v_cvt_f32_f64_e32 v104, v[104:105]
	v_cvt_f32_f64_e32 v102, v[102:103]
	v_min3_f32 v108, v104, v102, v108
	;; [unrolled: 5-line block ×35, first 2 shown]
	s_waitcnt lgkmcnt(3)
	v_add_f64 v[102:103], v[52:53], v[76:77]
	v_add_f64 v[104:105], v[50:51], v[74:75]
	v_cvt_f32_f64_e32 v104, v[104:105]
	v_cvt_f32_f64_e32 v102, v[102:103]
	v_min3_f32 v168, v104, v102, v168
	v_add_f64 v[102:103], v[40:41], v[76:77]
	v_add_f64 v[104:105], v[38:39], v[74:75]
	v_cvt_f32_f64_e32 v104, v[104:105]
	v_cvt_f32_f64_e32 v102, v[102:103]
	v_min3_f32 v169, v104, v102, v169
	;; [unrolled: 5-line block ×4, first 2 shown]
	v_add_f64 v[102:103], v[24:25], v[76:77]
	v_add_f64 v[104:105], v[22:23], v[74:75]
	v_add_f64 v[42:43], v[52:53], v[100:101]
	v_add_f64 v[44:45], v[50:51], v[98:99]
	v_cvt_f32_f64_e32 v104, v[104:105]
	v_cvt_f32_f64_e32 v102, v[102:103]
	;; [unrolled: 1-line block ×4, first 2 shown]
	v_min3_f32 v228, v104, v102, v172
	v_add_f64 v[102:103], v[20:21], v[76:77]
	v_add_f64 v[104:105], v[18:19], v[74:75]
	v_min3_f32 v184, v44, v42, v204
	ds_read_b128 v[42:45], v215 offset:272
	v_cvt_f32_f64_e32 v104, v[104:105]
	v_cvt_f32_f64_e32 v102, v[102:103]
	v_add_f64 v[100:101], v[12:13], v[100:101]
	v_add_f64 v[98:99], v[10:11], v[98:99]
	;; [unrolled: 1-line block ×12, first 2 shown]
	v_min3_f32 v229, v104, v102, v173
	v_add_f64 v[102:103], v[16:17], v[76:77]
	v_add_f64 v[104:105], v[14:15], v[74:75]
	;; [unrolled: 1-line block ×4, first 2 shown]
	s_waitcnt lgkmcnt(3)
	v_add_f64 v[16:17], v[16:17], v[28:29]
	v_add_f64 v[14:15], v[14:15], v[26:27]
	;; [unrolled: 1-line block ×4, first 2 shown]
	ds_read_b128 v[46:49], v215 offset:528
	ds_read_b128 v[54:57], v215 offset:784
	v_cvt_f32_f64_e32 v14, v[14:15]
	v_cvt_f32_f64_e32 v15, v[16:17]
	;; [unrolled: 1-line block ×4, first 2 shown]
	v_min3_f32 v14, v14, v15, v182
	v_min3_f32 v15, v10, v11, v183
	s_waitcnt lgkmcnt(3)
	v_add_f64 v[10:11], v[4:5], v[8:9]
	v_add_f64 v[12:13], v[2:3], v[6:7]
	v_cvt_f32_f64_e32 v74, v[74:75]
	v_cvt_f32_f64_e32 v75, v[76:77]
	;; [unrolled: 1-line block ×5, first 2 shown]
	v_min3_f32 v103, v74, v75, v175
	ds_read_b128 v[74:77], v154 offset:7184
	v_min3_f32 v226, v12, v10, v184
	s_waitcnt lgkmcnt(3)
	v_add_f64 v[10:11], v[44:45], v[8:9]
	v_add_f64 v[12:13], v[42:43], v[6:7]
	ds_read_b128 v[58:61], v215 offset:1040
	ds_read_b128 v[62:65], v215 offset:1296
	v_cvt_f32_f64_e32 v12, v[12:13]
	v_cvt_f32_f64_e32 v10, v[10:11]
	v_min3_f32 v224, v12, v10, v185
	s_waitcnt lgkmcnt(4)
	v_add_f64 v[10:11], v[48:49], v[8:9]
	v_add_f64 v[12:13], v[46:47], v[6:7]
	v_cvt_f32_f64_e32 v12, v[12:13]
	v_cvt_f32_f64_e32 v10, v[10:11]
	v_min3_f32 v225, v12, v10, v186
	s_waitcnt lgkmcnt(3)
	v_add_f64 v[10:11], v[56:57], v[8:9]
	v_add_f64 v[12:13], v[54:55], v[6:7]
	ds_read_b128 v[66:69], v215 offset:1552
	ds_read_b128 v[70:73], v215 offset:1808
	v_cvt_f32_f64_e32 v12, v[12:13]
	v_cvt_f32_f64_e32 v10, v[10:11]
	v_cvt_f32_f64_e32 v98, v[98:99]
	v_cvt_f32_f64_e32 v99, v[100:101]
	v_min3_f32 v222, v12, v10, v187
	s_waitcnt lgkmcnt(3)
	v_add_f64 v[10:11], v[60:61], v[8:9]
	v_add_f64 v[12:13], v[58:59], v[6:7]
	v_min3_f32 v106, v98, v99, v106
	ds_read_b128 v[98:101], v154 offset:1040
	v_cvt_f32_f64_e32 v12, v[12:13]
	v_cvt_f32_f64_e32 v10, v[10:11]
	v_min3_f32 v223, v12, v10, v188
	s_waitcnt lgkmcnt(3)
	v_add_f64 v[10:11], v[64:65], v[8:9]
	v_add_f64 v[12:13], v[62:63], v[6:7]
	v_cvt_f32_f64_e32 v12, v[12:13]
	v_cvt_f32_f64_e32 v10, v[10:11]
	v_min3_f32 v220, v12, v10, v189
	s_waitcnt lgkmcnt(2)
	v_add_f64 v[10:11], v[68:69], v[8:9]
	v_add_f64 v[12:13], v[66:67], v[6:7]
	s_waitcnt lgkmcnt(1)
	v_add_f64 v[8:9], v[72:73], v[8:9]
	v_add_f64 v[6:7], v[70:71], v[6:7]
	v_cvt_f32_f64_e32 v94, v[94:95]
	v_cvt_f32_f64_e32 v95, v[96:97]
	;; [unrolled: 1-line block ×4, first 2 shown]
	v_min3_f32 v114, v94, v95, v114
	ds_read_b128 v[94:97], v154 offset:2064
	v_min3_f32 v213, v6, v7, v106
	s_waitcnt lgkmcnt(1)
	v_add_f64 v[6:7], v[4:5], v[100:101]
	v_add_f64 v[8:9], v[2:3], v[98:99]
	v_cvt_f32_f64_e32 v8, v[8:9]
	v_cvt_f32_f64_e32 v6, v[6:7]
	v_min3_f32 v212, v8, v6, v107
	v_add_f64 v[6:7], v[44:45], v[100:101]
	v_add_f64 v[8:9], v[42:43], v[98:99]
	v_cvt_f32_f64_e32 v8, v[8:9]
	v_cvt_f32_f64_e32 v6, v[6:7]
	v_min3_f32 v211, v8, v6, v108
	;; [unrolled: 5-line block ×8, first 2 shown]
	s_waitcnt lgkmcnt(0)
	v_add_f64 v[6:7], v[4:5], v[96:97]
	v_add_f64 v[8:9], v[2:3], v[94:95]
	v_cvt_f32_f64_e32 v8, v[8:9]
	v_cvt_f32_f64_e32 v6, v[6:7]
	v_min3_f32 v204, v8, v6, v115
	v_add_f64 v[6:7], v[44:45], v[96:97]
	v_add_f64 v[8:9], v[42:43], v[94:95]
	v_cvt_f32_f64_e32 v8, v[8:9]
	v_cvt_f32_f64_e32 v6, v[6:7]
	v_min3_f32 v203, v8, v6, v116
	v_add_f64 v[6:7], v[48:49], v[96:97]
	v_add_f64 v[8:9], v[46:47], v[94:95]
	v_cvt_f32_f64_e32 v8, v[8:9]
	v_cvt_f32_f64_e32 v6, v[6:7]
	v_min3_f32 v202, v8, v6, v117
	v_add_f64 v[6:7], v[56:57], v[96:97]
	v_add_f64 v[8:9], v[54:55], v[94:95]
	v_cvt_f32_f64_e32 v8, v[8:9]
	v_cvt_f32_f64_e32 v6, v[6:7]
	v_min3_f32 v201, v8, v6, v118
	v_add_f64 v[6:7], v[60:61], v[96:97]
	v_add_f64 v[8:9], v[58:59], v[94:95]
	v_cvt_f32_f64_e32 v8, v[8:9]
	v_cvt_f32_f64_e32 v6, v[6:7]
	;; [unrolled: 1-line block ×4, first 2 shown]
	v_min3_f32 v200, v8, v6, v119
	v_add_f64 v[6:7], v[64:65], v[96:97]
	v_add_f64 v[8:9], v[62:63], v[94:95]
	v_min3_f32 v122, v90, v91, v122
	ds_read_b128 v[90:93], v154 offset:3088
	v_cvt_f32_f64_e32 v8, v[8:9]
	v_cvt_f32_f64_e32 v6, v[6:7]
	v_min3_f32 v199, v8, v6, v120
	v_add_f64 v[6:7], v[68:69], v[96:97]
	v_add_f64 v[8:9], v[66:67], v[94:95]
	v_cvt_f32_f64_e32 v8, v[8:9]
	v_cvt_f32_f64_e32 v6, v[6:7]
	v_min3_f32 v198, v8, v6, v121
	v_add_f64 v[6:7], v[72:73], v[96:97]
	v_add_f64 v[8:9], v[70:71], v[94:95]
	v_cvt_f32_f64_e32 v86, v[86:87]
	v_cvt_f32_f64_e32 v87, v[88:89]
	;; [unrolled: 1-line block ×4, first 2 shown]
	v_min3_f32 v130, v86, v87, v130
	ds_read_b128 v[86:89], v154 offset:4112
	v_min3_f32 v197, v8, v6, v122
	s_waitcnt lgkmcnt(1)
	v_add_f64 v[6:7], v[4:5], v[92:93]
	v_add_f64 v[8:9], v[2:3], v[90:91]
	v_cvt_f32_f64_e32 v8, v[8:9]
	v_cvt_f32_f64_e32 v6, v[6:7]
	v_min3_f32 v196, v8, v6, v123
	v_add_f64 v[6:7], v[44:45], v[92:93]
	v_add_f64 v[8:9], v[42:43], v[90:91]
	v_cvt_f32_f64_e32 v8, v[8:9]
	v_cvt_f32_f64_e32 v6, v[6:7]
	v_min3_f32 v195, v8, v6, v124
	;; [unrolled: 5-line block ×6, first 2 shown]
	v_add_f64 v[6:7], v[68:69], v[92:93]
	v_add_f64 v[8:9], v[66:67], v[90:91]
	v_cvt_f32_f64_e32 v12, v[12:13]
	v_cvt_f32_f64_e32 v10, v[10:11]
	;; [unrolled: 1-line block ×4, first 2 shown]
	v_min3_f32 v221, v12, v10, v190
	v_min3_f32 v190, v8, v6, v129
	v_add_f64 v[6:7], v[72:73], v[92:93]
	v_add_f64 v[8:9], v[70:71], v[90:91]
	v_cvt_f32_f64_e32 v8, v[8:9]
	v_cvt_f32_f64_e32 v6, v[6:7]
	v_min3_f32 v189, v8, v6, v130
	s_waitcnt lgkmcnt(0)
	v_add_f64 v[6:7], v[4:5], v[88:89]
	v_add_f64 v[8:9], v[2:3], v[86:87]
	v_cvt_f32_f64_e32 v8, v[8:9]
	v_cvt_f32_f64_e32 v6, v[6:7]
	v_min3_f32 v188, v8, v6, v131
	v_add_f64 v[6:7], v[44:45], v[88:89]
	v_add_f64 v[8:9], v[42:43], v[86:87]
	v_cvt_f32_f64_e32 v8, v[8:9]
	v_cvt_f32_f64_e32 v6, v[6:7]
	v_min3_f32 v187, v8, v6, v132
	;; [unrolled: 5-line block ×4, first 2 shown]
	v_add_f64 v[6:7], v[60:61], v[88:89]
	v_add_f64 v[8:9], v[58:59], v[86:87]
	v_cvt_f32_f64_e32 v8, v[8:9]
	v_cvt_f32_f64_e32 v6, v[6:7]
	v_cvt_f32_f64_e32 v82, v[82:83]
	v_cvt_f32_f64_e32 v83, v[84:85]
	v_min3_f32 v184, v8, v6, v135
	v_add_f64 v[6:7], v[64:65], v[88:89]
	v_add_f64 v[8:9], v[62:63], v[86:87]
	v_min3_f32 v158, v82, v83, v158
	ds_read_b128 v[82:85], v154 offset:5136
	v_cvt_f32_f64_e32 v8, v[8:9]
	v_cvt_f32_f64_e32 v6, v[6:7]
	v_min3_f32 v183, v8, v6, v156
	v_add_f64 v[6:7], v[68:69], v[88:89]
	v_add_f64 v[8:9], v[66:67], v[86:87]
	v_cvt_f32_f64_e32 v8, v[8:9]
	v_cvt_f32_f64_e32 v6, v[6:7]
	v_add_f64 v[20:21], v[20:21], v[28:29]
	v_add_f64 v[18:19], v[18:19], v[26:27]
	v_min3_f32 v182, v8, v6, v157
	v_add_f64 v[6:7], v[72:73], v[88:89]
	v_add_f64 v[8:9], v[70:71], v[86:87]
	v_cvt_f32_f64_e32 v78, v[78:79]
	v_cvt_f32_f64_e32 v79, v[80:81]
	;; [unrolled: 1-line block ×6, first 2 shown]
	v_min3_f32 v167, v78, v79, v167
	ds_read_b128 v[78:81], v154 offset:6160
	v_add_f64 v[24:25], v[24:25], v[28:29]
	v_add_f64 v[22:23], v[22:23], v[26:27]
	v_min3_f32 v18, v18, v19, v181
	v_min3_f32 v181, v8, v6, v158
	s_waitcnt lgkmcnt(1)
	v_add_f64 v[6:7], v[4:5], v[84:85]
	v_add_f64 v[8:9], v[2:3], v[82:83]
	v_cvt_f32_f64_e32 v22, v[22:23]
	v_cvt_f32_f64_e32 v23, v[24:25]
	v_cvt_f32_f64_e32 v8, v[8:9]
	v_cvt_f32_f64_e32 v6, v[6:7]
	v_add_f64 v[32:33], v[32:33], v[28:29]
	v_add_f64 v[30:31], v[30:31], v[26:27]
	v_min3_f32 v22, v22, v23, v180
	v_min3_f32 v180, v8, v6, v160
	v_add_f64 v[6:7], v[44:45], v[84:85]
	v_add_f64 v[8:9], v[42:43], v[82:83]
	v_cvt_f32_f64_e32 v30, v[30:31]
	v_cvt_f32_f64_e32 v31, v[32:33]
	v_cvt_f32_f64_e32 v8, v[8:9]
	v_cvt_f32_f64_e32 v6, v[6:7]
	v_add_f64 v[36:37], v[36:37], v[28:29]
	v_add_f64 v[34:35], v[34:35], v[26:27]
	v_min3_f32 v30, v30, v31, v179
	v_min3_f32 v179, v8, v6, v161
	;; [unrolled: 10-line block ×4, first 2 shown]
	v_add_f64 v[6:7], v[60:61], v[84:85]
	v_add_f64 v[8:9], v[58:59], v[82:83]
	v_cvt_f32_f64_e32 v50, v[50:51]
	v_cvt_f32_f64_e32 v51, v[52:53]
	;; [unrolled: 1-line block ×4, first 2 shown]
	v_min3_f32 v50, v50, v51, v176
	v_min3_f32 v176, v8, v6, v164
	v_add_f64 v[6:7], v[64:65], v[84:85]
	v_add_f64 v[8:9], v[62:63], v[82:83]
	v_cvt_f32_f64_e32 v8, v[8:9]
	v_cvt_f32_f64_e32 v6, v[6:7]
	v_min3_f32 v175, v8, v6, v165
	v_add_f64 v[6:7], v[68:69], v[84:85]
	v_add_f64 v[8:9], v[66:67], v[82:83]
	v_cvt_f32_f64_e32 v104, v[104:105]
	v_cvt_f32_f64_e32 v8, v[8:9]
	;; [unrolled: 1-line block ×3, first 2 shown]
	v_min3_f32 v102, v104, v102, v174
	v_min3_f32 v174, v8, v6, v166
	v_add_f64 v[6:7], v[72:73], v[84:85]
	v_add_f64 v[8:9], v[70:71], v[82:83]
	v_cvt_f32_f64_e32 v8, v[8:9]
	v_cvt_f32_f64_e32 v6, v[6:7]
	v_min3_f32 v173, v8, v6, v167
	s_waitcnt lgkmcnt(0)
	v_add_f64 v[6:7], v[4:5], v[80:81]
	v_add_f64 v[8:9], v[2:3], v[78:79]
	;; [unrolled: 1-line block ×4, first 2 shown]
	v_cvt_f32_f64_e32 v8, v[8:9]
	v_cvt_f32_f64_e32 v6, v[6:7]
	v_cvt_f32_f64_e32 v2, v[2:3]
	v_cvt_f32_f64_e32 v3, v[4:5]
	v_min3_f32 v172, v8, v6, v168
	v_add_f64 v[6:7], v[44:45], v[80:81]
	v_add_f64 v[8:9], v[42:43], v[78:79]
	v_min3_f32 v164, v2, v3, v50
	v_add_f64 v[2:3], v[44:45], v[76:77]
	v_add_f64 v[4:5], v[42:43], v[74:75]
	v_cvt_f32_f64_e32 v8, v[8:9]
	v_cvt_f32_f64_e32 v6, v[6:7]
	v_cvt_f32_f64_e32 v4, v[4:5]
	v_cvt_f32_f64_e32 v2, v[2:3]
	v_min3_f32 v171, v8, v6, v169
	v_add_f64 v[6:7], v[48:49], v[80:81]
	v_add_f64 v[8:9], v[46:47], v[78:79]
	v_min3_f32 v163, v4, v2, v38
	v_add_f64 v[2:3], v[48:49], v[76:77]
	v_add_f64 v[4:5], v[46:47], v[74:75]
	;; [unrolled: 10-line block ×7, first 2 shown]
	v_cvt_f32_f64_e32 v8, v[8:9]
	v_cvt_f32_f64_e32 v6, v[6:7]
	;; [unrolled: 1-line block ×4, first 2 shown]
	s_add_i32 s21, s21, 8
	v_min3_f32 v165, v8, v6, v103
	v_min3_f32 v156, v4, v2, v15
	v_lshl_add_u64 v[136:137], v[136:137], 0, 64
	s_cmp_ge_i32 s21, s24
	v_lshl_add_u64 v[140:141], v[140:141], 0, s[2:3]
	ds_write_b64 v216, v[144:145]
	ds_write2st64_b64 v217, v[0:1], v[146:147] offset1:4
	ds_write2st64_b64 v217, v[148:149], v[150:151] offset0:8 offset1:12
	s_waitcnt lgkmcnt(0)
	s_barrier
	s_cbranch_scc1 .LBB125_47
.LBB125_27:                             ; =>This Inner Loop Header: Depth=1
	s_and_b64 vcc, exec, s[6:7]
	s_cbranch_vccnz .LBB125_46
; %bb.28:                               ;   in Loop: Header=BB125_27 Depth=1
	flat_load_dwordx2 v[0:1], v[136:137]
	s_waitcnt vmcnt(0) lgkmcnt(0)
	v_mul_f64 v[146:147], s[12:13], v[0:1]
	s_mov_b64 s[18:19], -1
	s_mov_b64 vcc, s[4:5]
                                        ; implicit-def: $vgpr0_vgpr1_vgpr2_vgpr3_vgpr4_vgpr5_vgpr6_vgpr7
	s_cbranch_vccz .LBB125_30
.LBB125_29:                             ;   in Loop: Header=BB125_27 Depth=1
	v_mov_b32_e32 v0, s20
	v_mov_b32_e32 v1, s20
	s_mov_b64 s[18:19], 0
.LBB125_30:                             ;   in Loop: Header=BB125_27 Depth=1
	v_mov_b64_e32 v[2:3], 0
	s_andn2_b64 vcc, exec, s[18:19]
	v_lshl_add_u64 v[8:9], v[140:141], 0, v[138:139]
	s_cbranch_vccz .LBB125_40
; %bb.31:                               ;   in Loop: Header=BB125_27 Depth=1
	s_mov_b64 s[18:19], -1
	s_mov_b64 vcc, s[4:5]
                                        ; implicit-def: $vgpr4_vgpr5
	s_cbranch_vccnz .LBB125_41
.LBB125_32:                             ;   in Loop: Header=BB125_27 Depth=1
	v_mov_b64_e32 v[144:145], 0
	s_andn2_b64 vcc, exec, s[18:19]
	v_mov_b64_e32 v[6:7], 0
	s_cbranch_vccnz .LBB125_34
.LBB125_33:                             ;   in Loop: Header=BB125_27 Depth=1
	flat_load_dwordx2 v[4:5], v[8:9] offset:1024
	flat_load_dwordx2 v[6:7], v[8:9] offset:1536
	s_waitcnt vmcnt(0) lgkmcnt(0)
	v_mul_f64 v[4:5], s[12:13], v[4:5]
	v_mul_f64 v[6:7], s[12:13], v[6:7]
.LBB125_34:                             ;   in Loop: Header=BB125_27 Depth=1
	ds_read_b128 v[132:135], v219
	ds_read_b128 v[68:71], v219 offset:16
	ds_read_b128 v[104:107], v218
	ds_read_b128 v[40:43], v218 offset:16
	ds_read_b128 v[100:103], v218 offset:256
	;; [unrolled: 1-line block ×29, first 2 shown]
	s_and_b64 vcc, exec, s[6:7]
	ds_write_b64 v214, v[146:147]
	ds_write2st64_b64 v159, v[0:1], v[2:3] offset1:4
	ds_write2st64_b64 v159, v[4:5], v[6:7] offset0:8 offset1:12
	s_waitcnt lgkmcnt(0)
	s_barrier
	s_cbranch_vccnz .LBB125_36
; %bb.35:                               ;   in Loop: Header=BB125_27 Depth=1
	flat_load_dwordx2 v[0:1], v[136:137] offset:32
	s_waitcnt vmcnt(0) lgkmcnt(0)
	v_mul_f64 v[144:145], s[12:13], v[0:1]
.LBB125_36:                             ;   in Loop: Header=BB125_27 Depth=1
	s_mov_b64 s[18:19], -1
	s_mov_b64 vcc, s[4:5]
                                        ; implicit-def: $vgpr0_vgpr1_vgpr2_vgpr3_vgpr4_vgpr5_vgpr6_vgpr7
	s_cbranch_vccnz .LBB125_42
; %bb.37:                               ;   in Loop: Header=BB125_27 Depth=1
	v_mov_b64_e32 v[146:147], 0
	s_andn2_b64 vcc, exec, s[18:19]
	v_lshl_add_u64 v[2:3], v[140:141], 0, v[142:143]
	s_cbranch_vccz .LBB125_43
.LBB125_38:                             ;   in Loop: Header=BB125_27 Depth=1
	s_mov_b64 s[18:19], -1
	s_mov_b64 vcc, s[4:5]
                                        ; implicit-def: $vgpr148_vgpr149
	s_cbranch_vccnz .LBB125_44
.LBB125_39:                             ;   in Loop: Header=BB125_27 Depth=1
	s_andn2_b64 vcc, exec, s[18:19]
	v_mov_b64_e32 v[150:151], 0
	s_cbranch_vccnz .LBB125_26
	s_branch .LBB125_45
.LBB125_40:                             ;   in Loop: Header=BB125_27 Depth=1
	flat_load_dwordx2 v[0:1], v[8:9]
	flat_load_dwordx2 v[2:3], v[8:9] offset:512
	s_waitcnt vmcnt(0) lgkmcnt(0)
	v_mul_f64 v[0:1], s[12:13], v[0:1]
	v_mul_f64 v[2:3], s[12:13], v[2:3]
	s_mov_b64 s[18:19], -1
	s_mov_b64 vcc, s[4:5]
                                        ; implicit-def: $vgpr4_vgpr5
	s_cbranch_vccz .LBB125_32
.LBB125_41:                             ;   in Loop: Header=BB125_27 Depth=1
	v_mov_b32_e32 v4, s20
	v_mov_b32_e32 v5, s20
	v_mov_b64_e32 v[144:145], 0
	v_mov_b64_e32 v[6:7], 0
	s_cbranch_execz .LBB125_33
	s_branch .LBB125_34
.LBB125_42:                             ;   in Loop: Header=BB125_27 Depth=1
	v_mov_b32_e32 v0, s20
	v_mov_b32_e32 v1, s20
	v_mov_b64_e32 v[146:147], 0
	v_lshl_add_u64 v[2:3], v[140:141], 0, v[142:143]
	s_cbranch_execnz .LBB125_38
.LBB125_43:                             ;   in Loop: Header=BB125_27 Depth=1
	flat_load_dwordx2 v[0:1], v[2:3]
	flat_load_dwordx2 v[4:5], v[2:3] offset:512
	s_waitcnt vmcnt(0) lgkmcnt(0)
	v_mul_f64 v[0:1], s[12:13], v[0:1]
	v_mul_f64 v[146:147], s[12:13], v[4:5]
	s_mov_b64 s[18:19], -1
	s_mov_b64 vcc, s[4:5]
                                        ; implicit-def: $vgpr148_vgpr149
	s_cbranch_vccz .LBB125_39
.LBB125_44:                             ;   in Loop: Header=BB125_27 Depth=1
	v_mov_b32_e32 v148, s20
	v_mov_b32_e32 v149, s20
	v_mov_b64_e32 v[150:151], 0
	s_cbranch_execnz .LBB125_26
.LBB125_45:                             ;   in Loop: Header=BB125_27 Depth=1
	flat_load_dwordx2 v[4:5], v[2:3] offset:1024
	s_nop 0
	flat_load_dwordx2 v[2:3], v[2:3] offset:1536
	s_waitcnt vmcnt(0) lgkmcnt(0)
	v_mul_f64 v[148:149], s[12:13], v[4:5]
	v_mul_f64 v[150:151], s[12:13], v[2:3]
	s_branch .LBB125_26
.LBB125_46:                             ;   in Loop: Header=BB125_27 Depth=1
	v_mov_b64_e32 v[146:147], 0
	s_mov_b64 s[18:19], -1
	s_mov_b64 vcc, s[4:5]
                                        ; implicit-def: $vgpr0_vgpr1_vgpr2_vgpr3_vgpr4_vgpr5_vgpr6_vgpr7
	s_cbranch_vccnz .LBB125_29
	s_branch .LBB125_30
.LBB125_47:
	s_load_dwordx2 s[2:3], s[0:1], 0x78
	s_load_dword s4, s[0:1], 0x58
	s_load_dword s5, s[0:1], 0x70
	ds_read_b128 v[68:71], v155 offset:18432
	ds_read_b128 v[124:127], v154 offset:8192
	;; [unrolled: 1-line block ×4, first 2 shown]
	s_waitcnt lgkmcnt(0)
	s_lshl_b64 s[0:1], s[2:3], 3
	s_add_u32 s0, s16, s0
	v_add_u32_e32 v159, s26, v153
	v_add_f64 v[0:1], v[70:71], v[126:127]
	v_add_f64 v[2:3], v[68:69], v[124:125]
	v_cvt_f32_f64_e32 v2, v[2:3]
	v_cvt_f32_f64_e32 v0, v[0:1]
	v_min3_f32 v132, v2, v0, v226
	ds_read_b128 v[60:63], v155 offset:18688
	ds_read_b128 v[52:55], v155 offset:18704
	;; [unrolled: 1-line block ×28, first 2 shown]
	v_add_f64 v[128:129], v[66:67], v[122:123]
	v_add_f64 v[130:131], v[64:65], v[120:121]
	v_cvt_f32_f64_e32 v130, v[130:131]
	v_cvt_f32_f64_e32 v128, v[128:129]
	s_addc_u32 s1, s17, s1
	v_min3_f32 v132, v130, v128, v132
	v_add_u32_e32 v136, s28, v152
	v_mad_i64_i32 v[130:131], s[2:3], v159, s5, 0
	v_add_u32_e32 v128, 8, v136
	v_lshl_add_u64 v[152:153], v[130:131], 3, s[0:1]
	v_mad_i64_i32 v[130:131], s[2:3], v159, s4, 0
	v_ashrrev_i32_e32 v137, 31, v136
	v_ashrrev_i32_e32 v129, 31, v128
	s_mov_b64 s[2:3], -1
	v_max_f32_e32 v133, v132, v132
	s_mov_b64 vcc, s[8:9]
	s_cbranch_vccz .LBB125_49
; %bb.48:
	v_min_f32_e32 v132, 0, v133
	v_cvt_f64_f32_e32 v[134:135], v132
	v_lshl_add_u64 v[138:139], v[136:137], 3, v[152:153]
	flat_store_dwordx2 v[138:139], v[134:135]
	s_mov_b64 s[2:3], 0
.LBB125_49:
	v_lshl_add_u64 v[154:155], v[130:131], 3, s[14:15]
	v_mov_b32_e32 v132, 0
	s_andn2_b64 vcc, exec, s[2:3]
	v_lshlrev_b64 v[140:141], 3, v[136:137]
	s_cbranch_vccnz .LBB125_51
; %bb.50:
	v_lshl_add_u64 v[130:131], v[154:155], 0, v[140:141]
	flat_load_dwordx2 v[130:131], v[130:131]
	v_lshl_add_u64 v[134:135], v[152:153], 0, v[140:141]
	s_waitcnt vmcnt(0) lgkmcnt(0)
	v_mul_f64 v[130:131], s[10:11], v[130:131]
	v_cvt_f32_f64_e32 v130, v[130:131]
	v_min_f32_e32 v130, v130, v133
	v_cvt_f64_f32_e32 v[130:131], v130
	flat_store_dwordx2 v[134:135], v[130:131]
	v_lshl_add_u64 v[130:131], v[128:129], 3, v[154:155]
	flat_load_dwordx2 v[130:131], v[130:131]
	s_waitcnt vmcnt(0) lgkmcnt(0)
	v_mul_f64 v[130:131], s[10:11], v[130:131]
	v_cvt_f32_f64_e32 v132, v[130:131]
.LBB125_51:
	s_waitcnt lgkmcnt(0)
	v_add_f64 v[130:131], v[62:63], v[126:127]
	v_add_f64 v[134:135], v[60:61], v[124:125]
	v_cvt_f32_f64_e32 v133, v[134:135]
	v_cvt_f32_f64_e32 v130, v[130:131]
	v_min3_f32 v133, v133, v130, v224
	v_add_f64 v[130:131], v[58:59], v[126:127]
	v_add_f64 v[134:135], v[56:57], v[124:125]
	v_cvt_f32_f64_e32 v134, v[134:135]
	v_cvt_f32_f64_e32 v130, v[130:131]
	v_min3_f32 v138, v134, v130, v225
	v_add_f64 v[130:131], v[54:55], v[122:123]
	v_add_f64 v[134:135], v[52:53], v[120:121]
	v_cvt_f32_f64_e32 v134, v[134:135]
	v_cvt_f32_f64_e32 v130, v[130:131]
	v_min_f32_e32 v142, v134, v130
	v_add_f64 v[130:131], v[50:51], v[122:123]
	v_add_f64 v[134:135], v[48:49], v[120:121]
	v_cvt_f32_f64_e32 v134, v[134:135]
	v_cvt_f32_f64_e32 v130, v[130:131]
	v_min3_f32 v132, v132, v142, v133
	v_min3_f32 v143, v134, v130, v138
	v_add_u32_e32 v138, 16, v136
	v_add_u32_e32 v130, 24, v136
	v_cvt_f64_f32_e32 v[132:133], v132
	v_lshl_add_u64 v[134:135], v[128:129], 3, v[152:153]
	v_ashrrev_i32_e32 v139, 31, v138
	v_ashrrev_i32_e32 v131, 31, v130
	flat_store_dwordx2 v[134:135], v[132:133]
	s_mov_b64 s[2:3], -1
	v_max_f32_e32 v132, v143, v143
	s_mov_b64 vcc, s[8:9]
	s_cbranch_vccz .LBB125_53
; %bb.52:
	v_min_f32_e32 v133, 0, v132
	v_cvt_f64_f32_e32 v[134:135], v133
	v_lshl_add_u64 v[142:143], v[138:139], 3, v[152:153]
	flat_store_dwordx2 v[142:143], v[134:135]
	s_mov_b64 s[2:3], 0
.LBB125_53:
	v_mov_b32_e32 v134, 0
	s_andn2_b64 vcc, exec, s[2:3]
	v_lshlrev_b64 v[144:145], 3, v[138:139]
	s_cbranch_vccnz .LBB125_55
; %bb.54:
	v_lshl_add_u64 v[134:135], v[154:155], 0, v[144:145]
	flat_load_dwordx2 v[134:135], v[134:135]
	v_lshl_add_u64 v[142:143], v[152:153], 0, v[144:145]
	s_waitcnt vmcnt(0) lgkmcnt(0)
	v_mul_f64 v[134:135], s[10:11], v[134:135]
	v_cvt_f32_f64_e32 v133, v[134:135]
	v_min_f32_e32 v132, v133, v132
	v_cvt_f64_f32_e32 v[132:133], v132
	flat_store_dwordx2 v[142:143], v[132:133]
	v_lshl_add_u64 v[132:133], v[130:131], 3, v[154:155]
	flat_load_dwordx2 v[132:133], v[132:133]
	s_waitcnt vmcnt(0) lgkmcnt(0)
	v_mul_f64 v[132:133], s[10:11], v[132:133]
	v_cvt_f32_f64_e32 v134, v[132:133]
.LBB125_55:
	v_add_f64 v[132:133], v[46:47], v[126:127]
	v_add_f64 v[142:143], v[44:45], v[124:125]
	v_cvt_f32_f64_e32 v135, v[142:143]
	v_cvt_f32_f64_e32 v132, v[132:133]
	v_min3_f32 v135, v135, v132, v222
	v_add_f64 v[132:133], v[42:43], v[126:127]
	v_add_f64 v[142:143], v[40:41], v[124:125]
	v_cvt_f32_f64_e32 v142, v[142:143]
	v_cvt_f32_f64_e32 v132, v[132:133]
	v_min3_f32 v146, v142, v132, v223
	v_add_f64 v[132:133], v[38:39], v[122:123]
	v_add_f64 v[142:143], v[36:37], v[120:121]
	v_cvt_f32_f64_e32 v142, v[142:143]
	v_cvt_f32_f64_e32 v132, v[132:133]
	v_min_f32_e32 v147, v142, v132
	v_add_f64 v[132:133], v[34:35], v[122:123]
	v_add_f64 v[142:143], v[32:33], v[120:121]
	v_cvt_f32_f64_e32 v142, v[142:143]
	v_cvt_f32_f64_e32 v132, v[132:133]
	v_min3_f32 v134, v134, v147, v135
	v_min3_f32 v148, v142, v132, v146
	v_add_u32_e32 v142, 32, v136
	v_add_u32_e32 v132, 40, v136
	v_cvt_f64_f32_e32 v[134:135], v134
	v_lshl_add_u64 v[146:147], v[130:131], 3, v[152:153]
	v_ashrrev_i32_e32 v143, 31, v142
	v_ashrrev_i32_e32 v133, 31, v132
	flat_store_dwordx2 v[146:147], v[134:135]
	s_mov_b64 s[2:3], -1
	v_max_f32_e32 v134, v148, v148
	s_mov_b64 vcc, s[8:9]
	s_cbranch_vccz .LBB125_57
; %bb.56:
	v_min_f32_e32 v135, 0, v134
	v_cvt_f64_f32_e32 v[146:147], v135
	v_lshl_add_u64 v[148:149], v[142:143], 3, v[152:153]
	flat_store_dwordx2 v[148:149], v[146:147]
	s_mov_b64 s[2:3], 0
.LBB125_57:
	v_mov_b32_e32 v150, 0
	s_andn2_b64 vcc, exec, s[2:3]
	v_lshlrev_b64 v[148:149], 3, v[142:143]
	s_cbranch_vccnz .LBB125_59
; %bb.58:
	v_lshl_add_u64 v[146:147], v[154:155], 0, v[148:149]
	flat_load_dwordx2 v[146:147], v[146:147]
	v_lshl_add_u64 v[150:151], v[152:153], 0, v[148:149]
	s_waitcnt vmcnt(0) lgkmcnt(0)
	v_mul_f64 v[146:147], s[10:11], v[146:147]
	v_cvt_f32_f64_e32 v135, v[146:147]
	v_min_f32_e32 v134, v135, v134
	v_cvt_f64_f32_e32 v[134:135], v134
	flat_store_dwordx2 v[150:151], v[134:135]
	v_lshl_add_u64 v[134:135], v[132:133], 3, v[154:155]
	flat_load_dwordx2 v[134:135], v[134:135]
	s_waitcnt vmcnt(0) lgkmcnt(0)
	v_mul_f64 v[134:135], s[10:11], v[134:135]
	v_cvt_f32_f64_e32 v150, v[134:135]
.LBB125_59:
	v_add_f64 v[134:135], v[30:31], v[126:127]
	v_add_f64 v[146:147], v[28:29], v[124:125]
	v_cvt_f32_f64_e32 v146, v[146:147]
	v_cvt_f32_f64_e32 v134, v[134:135]
	v_min3_f32 v151, v146, v134, v220
	v_add_f64 v[134:135], v[26:27], v[126:127]
	v_add_f64 v[146:147], v[24:25], v[124:125]
	v_cvt_f32_f64_e32 v146, v[146:147]
	v_cvt_f32_f64_e32 v134, v[134:135]
	v_min3_f32 v214, v146, v134, v221
	v_add_f64 v[134:135], v[22:23], v[122:123]
	v_add_f64 v[146:147], v[20:21], v[120:121]
	v_cvt_f32_f64_e32 v146, v[146:147]
	v_cvt_f32_f64_e32 v134, v[134:135]
	v_min_f32_e32 v215, v146, v134
	v_add_f64 v[134:135], v[18:19], v[122:123]
	v_add_f64 v[146:147], v[16:17], v[120:121]
	v_cvt_f32_f64_e32 v146, v[146:147]
	v_cvt_f32_f64_e32 v134, v[134:135]
	v_min3_f32 v150, v150, v215, v151
	v_min3_f32 v216, v146, v134, v214
	v_add_u32_e32 v146, 48, v136
	v_add_u32_e32 v134, 56, v136
	v_cvt_f64_f32_e32 v[150:151], v150
	v_lshl_add_u64 v[214:215], v[132:133], 3, v[152:153]
	v_ashrrev_i32_e32 v147, 31, v146
	v_ashrrev_i32_e32 v135, 31, v134
	flat_store_dwordx2 v[214:215], v[150:151]
	s_mov_b64 s[2:3], -1
	v_max_f32_e32 v215, v216, v216
	s_mov_b64 vcc, s[8:9]
	s_cbranch_vccz .LBB125_61
; %bb.60:
	v_min_f32_e32 v150, 0, v215
	v_cvt_f64_f32_e32 v[150:151], v150
	v_lshl_add_u64 v[216:217], v[146:147], 3, v[152:153]
	flat_store_dwordx2 v[216:217], v[150:151]
	s_mov_b64 s[2:3], 0
.LBB125_61:
	v_mov_b32_e32 v214, 0
	s_andn2_b64 vcc, exec, s[2:3]
	v_lshlrev_b64 v[150:151], 3, v[146:147]
	s_cbranch_vccnz .LBB125_63
; %bb.62:
	v_lshl_add_u64 v[216:217], v[154:155], 0, v[150:151]
	flat_load_dwordx2 v[216:217], v[216:217]
	v_lshl_add_u64 v[218:219], v[152:153], 0, v[150:151]
	v_lshl_add_u64 v[154:155], v[134:135], 3, v[154:155]
	s_waitcnt vmcnt(0) lgkmcnt(0)
	v_mul_f64 v[216:217], s[10:11], v[216:217]
	v_cvt_f32_f64_e32 v214, v[216:217]
	v_min_f32_e32 v214, v214, v215
	v_cvt_f64_f32_e32 v[214:215], v214
	flat_store_dwordx2 v[218:219], v[214:215]
	flat_load_dwordx2 v[154:155], v[154:155]
	s_waitcnt vmcnt(0) lgkmcnt(0)
	v_mul_f64 v[154:155], s[10:11], v[154:155]
	v_cvt_f32_f64_e32 v214, v[154:155]
.LBB125_63:
	v_add_f64 v[126:127], v[2:3], v[126:127]
	v_add_f64 v[124:125], v[0:1], v[124:125]
	v_cvt_f32_f64_e32 v124, v[124:125]
	v_cvt_f32_f64_e32 v125, v[126:127]
	v_add_f64 v[122:123], v[10:11], v[122:123]
	v_add_f64 v[120:121], v[8:9], v[120:121]
	v_min3_f32 v154, v124, v125, v213
	v_add_f64 v[124:125], v[70:71], v[118:119]
	v_add_f64 v[126:127], v[68:69], v[116:117]
	v_cvt_f32_f64_e32 v120, v[120:121]
	v_cvt_f32_f64_e32 v121, v[122:123]
	;; [unrolled: 1-line block ×4, first 2 shown]
	v_min_f32_e32 v125, v120, v121
	v_add_f64 v[120:121], v[66:67], v[114:115]
	v_add_f64 v[122:123], v[64:65], v[112:113]
	v_min3_f32 v124, v126, v124, v212
	v_cvt_f32_f64_e32 v122, v[122:123]
	v_cvt_f32_f64_e32 v120, v[120:121]
	v_min3_f32 v124, v122, v120, v124
	v_min3_f32 v120, v214, v125, v154
	v_cvt_f64_f32_e32 v[120:121], v120
	v_lshl_add_u64 v[122:123], v[134:135], 3, v[152:153]
	flat_store_dwordx2 v[122:123], v[120:121]
	v_add_u32_e32 v122, 32, v159
	v_mad_i64_i32 v[120:121], s[2:3], v122, s5, 0
	v_mad_i64_i32 v[122:123], s[2:3], v122, s4, 0
	v_lshl_add_u64 v[120:121], v[120:121], 3, s[0:1]
	s_mov_b64 s[2:3], -1
	v_max_f32_e32 v125, v124, v124
	s_mov_b64 vcc, s[8:9]
	s_cbranch_vccz .LBB125_65
; %bb.64:
	v_min_f32_e32 v124, 0, v125
	v_cvt_f64_f32_e32 v[126:127], v124
	v_lshl_add_u64 v[152:153], v[136:137], 3, v[120:121]
	flat_store_dwordx2 v[152:153], v[126:127]
	s_mov_b64 s[2:3], 0
.LBB125_65:
	v_lshl_add_u64 v[122:123], v[122:123], 3, s[14:15]
	s_andn2_b64 vcc, exec, s[2:3]
	v_mov_b32_e32 v124, 0
	s_cbranch_vccnz .LBB125_67
; %bb.66:
	v_lshl_add_u64 v[126:127], v[122:123], 0, v[140:141]
	flat_load_dwordx2 v[126:127], v[126:127]
	v_lshl_add_u64 v[152:153], v[120:121], 0, v[140:141]
	s_waitcnt vmcnt(0) lgkmcnt(0)
	v_mul_f64 v[126:127], s[10:11], v[126:127]
	v_cvt_f32_f64_e32 v124, v[126:127]
	v_min_f32_e32 v124, v124, v125
	v_cvt_f64_f32_e32 v[124:125], v124
	flat_store_dwordx2 v[152:153], v[124:125]
	v_lshl_add_u64 v[124:125], v[128:129], 3, v[122:123]
	flat_load_dwordx2 v[124:125], v[124:125]
	s_waitcnt vmcnt(0) lgkmcnt(0)
	v_mul_f64 v[124:125], s[10:11], v[124:125]
	v_cvt_f32_f64_e32 v124, v[124:125]
.LBB125_67:
	v_add_f64 v[126:127], v[62:63], v[118:119]
	v_add_f64 v[152:153], v[60:61], v[116:117]
	v_cvt_f32_f64_e32 v125, v[152:153]
	v_cvt_f32_f64_e32 v126, v[126:127]
	v_min3_f32 v125, v125, v126, v211
	v_add_f64 v[126:127], v[58:59], v[118:119]
	v_add_f64 v[152:153], v[56:57], v[116:117]
	v_cvt_f32_f64_e32 v152, v[152:153]
	v_cvt_f32_f64_e32 v126, v[126:127]
	v_min3_f32 v154, v152, v126, v210
	v_add_f64 v[126:127], v[54:55], v[114:115]
	v_add_f64 v[152:153], v[52:53], v[112:113]
	v_cvt_f32_f64_e32 v152, v[152:153]
	v_cvt_f32_f64_e32 v126, v[126:127]
	v_min_f32_e32 v155, v152, v126
	v_add_f64 v[126:127], v[50:51], v[114:115]
	v_add_f64 v[152:153], v[48:49], v[112:113]
	v_cvt_f32_f64_e32 v152, v[152:153]
	v_cvt_f32_f64_e32 v126, v[126:127]
	v_min3_f32 v124, v124, v155, v125
	v_min3_f32 v152, v152, v126, v154
	v_cvt_f64_f32_e32 v[124:125], v124
	v_lshl_add_u64 v[126:127], v[128:129], 3, v[120:121]
	flat_store_dwordx2 v[126:127], v[124:125]
	s_mov_b64 s[2:3], -1
	v_max_f32_e32 v125, v152, v152
	s_mov_b64 vcc, s[8:9]
	s_cbranch_vccz .LBB125_69
; %bb.68:
	v_min_f32_e32 v124, 0, v125
	v_cvt_f64_f32_e32 v[126:127], v124
	v_lshl_add_u64 v[152:153], v[138:139], 3, v[120:121]
	flat_store_dwordx2 v[152:153], v[126:127]
	s_mov_b64 s[2:3], 0
.LBB125_69:
	s_andn2_b64 vcc, exec, s[2:3]
	v_mov_b32_e32 v124, 0
	s_cbranch_vccnz .LBB125_71
; %bb.70:
	v_lshl_add_u64 v[126:127], v[122:123], 0, v[144:145]
	flat_load_dwordx2 v[126:127], v[126:127]
	v_lshl_add_u64 v[152:153], v[120:121], 0, v[144:145]
	s_waitcnt vmcnt(0) lgkmcnt(0)
	v_mul_f64 v[126:127], s[10:11], v[126:127]
	v_cvt_f32_f64_e32 v124, v[126:127]
	v_min_f32_e32 v124, v124, v125
	v_cvt_f64_f32_e32 v[124:125], v124
	flat_store_dwordx2 v[152:153], v[124:125]
	v_lshl_add_u64 v[124:125], v[130:131], 3, v[122:123]
	flat_load_dwordx2 v[124:125], v[124:125]
	s_waitcnt vmcnt(0) lgkmcnt(0)
	v_mul_f64 v[124:125], s[10:11], v[124:125]
	v_cvt_f32_f64_e32 v124, v[124:125]
.LBB125_71:
	v_add_f64 v[126:127], v[46:47], v[118:119]
	v_add_f64 v[152:153], v[44:45], v[116:117]
	v_cvt_f32_f64_e32 v125, v[152:153]
	v_cvt_f32_f64_e32 v126, v[126:127]
	v_min3_f32 v125, v125, v126, v209
	v_add_f64 v[126:127], v[42:43], v[118:119]
	v_add_f64 v[152:153], v[40:41], v[116:117]
	v_cvt_f32_f64_e32 v152, v[152:153]
	v_cvt_f32_f64_e32 v126, v[126:127]
	v_min3_f32 v154, v152, v126, v208
	v_add_f64 v[126:127], v[38:39], v[114:115]
	v_add_f64 v[152:153], v[36:37], v[112:113]
	v_cvt_f32_f64_e32 v152, v[152:153]
	v_cvt_f32_f64_e32 v126, v[126:127]
	v_min_f32_e32 v155, v152, v126
	v_add_f64 v[126:127], v[34:35], v[114:115]
	v_add_f64 v[152:153], v[32:33], v[112:113]
	v_cvt_f32_f64_e32 v152, v[152:153]
	v_cvt_f32_f64_e32 v126, v[126:127]
	v_min3_f32 v124, v124, v155, v125
	v_min3_f32 v152, v152, v126, v154
	v_cvt_f64_f32_e32 v[124:125], v124
	v_lshl_add_u64 v[126:127], v[130:131], 3, v[120:121]
	flat_store_dwordx2 v[126:127], v[124:125]
	s_mov_b64 s[2:3], -1
	v_max_f32_e32 v125, v152, v152
	s_mov_b64 vcc, s[8:9]
	s_cbranch_vccz .LBB125_73
; %bb.72:
	v_min_f32_e32 v124, 0, v125
	v_cvt_f64_f32_e32 v[126:127], v124
	v_lshl_add_u64 v[152:153], v[142:143], 3, v[120:121]
	flat_store_dwordx2 v[152:153], v[126:127]
	s_mov_b64 s[2:3], 0
.LBB125_73:
	;; [unrolled: 54-line block ×3, first 2 shown]
	s_andn2_b64 vcc, exec, s[2:3]
	v_mov_b32_e32 v124, 0
	s_cbranch_vccnz .LBB125_79
; %bb.78:
	v_lshl_add_u64 v[126:127], v[122:123], 0, v[150:151]
	flat_load_dwordx2 v[126:127], v[126:127]
	v_lshl_add_u64 v[152:153], v[120:121], 0, v[150:151]
	v_lshl_add_u64 v[122:123], v[134:135], 3, v[122:123]
	s_waitcnt vmcnt(0) lgkmcnt(0)
	v_mul_f64 v[126:127], s[10:11], v[126:127]
	v_cvt_f32_f64_e32 v124, v[126:127]
	v_min_f32_e32 v124, v124, v125
	v_cvt_f64_f32_e32 v[124:125], v124
	flat_store_dwordx2 v[152:153], v[124:125]
	flat_load_dwordx2 v[122:123], v[122:123]
	s_waitcnt vmcnt(0) lgkmcnt(0)
	v_mul_f64 v[122:123], s[10:11], v[122:123]
	v_cvt_f32_f64_e32 v124, v[122:123]
.LBB125_79:
	v_add_f64 v[118:119], v[2:3], v[118:119]
	v_add_f64 v[116:117], v[0:1], v[116:117]
	v_cvt_f32_f64_e32 v116, v[116:117]
	v_cvt_f32_f64_e32 v117, v[118:119]
	v_add_f64 v[114:115], v[10:11], v[114:115]
	v_add_f64 v[112:113], v[8:9], v[112:113]
	v_min3_f32 v122, v116, v117, v205
	v_add_f64 v[116:117], v[70:71], v[110:111]
	v_add_f64 v[118:119], v[68:69], v[108:109]
	v_cvt_f32_f64_e32 v112, v[112:113]
	v_cvt_f32_f64_e32 v113, v[114:115]
	;; [unrolled: 1-line block ×4, first 2 shown]
	v_min_f32_e32 v117, v112, v113
	v_add_f64 v[112:113], v[66:67], v[106:107]
	v_add_f64 v[114:115], v[64:65], v[104:105]
	v_min3_f32 v116, v118, v116, v204
	v_cvt_f32_f64_e32 v114, v[114:115]
	v_cvt_f32_f64_e32 v112, v[112:113]
	v_min3_f32 v116, v114, v112, v116
	v_min3_f32 v112, v124, v117, v122
	v_cvt_f64_f32_e32 v[112:113], v112
	v_lshl_add_u64 v[114:115], v[134:135], 3, v[120:121]
	flat_store_dwordx2 v[114:115], v[112:113]
	v_add_u32_e32 v114, 64, v159
	v_mad_i64_i32 v[112:113], s[2:3], v114, s5, 0
	v_mad_i64_i32 v[114:115], s[2:3], v114, s4, 0
	v_lshl_add_u64 v[112:113], v[112:113], 3, s[0:1]
	s_mov_b64 s[2:3], -1
	v_max_f32_e32 v117, v116, v116
	s_mov_b64 vcc, s[8:9]
	s_cbranch_vccz .LBB125_81
; %bb.80:
	v_min_f32_e32 v116, 0, v117
	v_cvt_f64_f32_e32 v[118:119], v116
	v_lshl_add_u64 v[120:121], v[136:137], 3, v[112:113]
	flat_store_dwordx2 v[120:121], v[118:119]
	s_mov_b64 s[2:3], 0
.LBB125_81:
	v_lshl_add_u64 v[114:115], v[114:115], 3, s[14:15]
	s_andn2_b64 vcc, exec, s[2:3]
	v_mov_b32_e32 v116, 0
	s_cbranch_vccnz .LBB125_83
; %bb.82:
	v_lshl_add_u64 v[118:119], v[114:115], 0, v[140:141]
	flat_load_dwordx2 v[118:119], v[118:119]
	v_lshl_add_u64 v[120:121], v[112:113], 0, v[140:141]
	s_waitcnt vmcnt(0) lgkmcnt(0)
	v_mul_f64 v[118:119], s[10:11], v[118:119]
	v_cvt_f32_f64_e32 v116, v[118:119]
	v_min_f32_e32 v116, v116, v117
	v_cvt_f64_f32_e32 v[116:117], v116
	flat_store_dwordx2 v[120:121], v[116:117]
	v_lshl_add_u64 v[116:117], v[128:129], 3, v[114:115]
	flat_load_dwordx2 v[116:117], v[116:117]
	s_waitcnt vmcnt(0) lgkmcnt(0)
	v_mul_f64 v[116:117], s[10:11], v[116:117]
	v_cvt_f32_f64_e32 v116, v[116:117]
.LBB125_83:
	v_add_f64 v[118:119], v[62:63], v[110:111]
	v_add_f64 v[120:121], v[60:61], v[108:109]
	v_cvt_f32_f64_e32 v117, v[120:121]
	v_cvt_f32_f64_e32 v118, v[118:119]
	v_min3_f32 v117, v117, v118, v203
	v_add_f64 v[118:119], v[58:59], v[110:111]
	v_add_f64 v[120:121], v[56:57], v[108:109]
	v_cvt_f32_f64_e32 v120, v[120:121]
	v_cvt_f32_f64_e32 v118, v[118:119]
	v_min3_f32 v122, v120, v118, v202
	v_add_f64 v[118:119], v[54:55], v[106:107]
	v_add_f64 v[120:121], v[52:53], v[104:105]
	v_cvt_f32_f64_e32 v120, v[120:121]
	v_cvt_f32_f64_e32 v118, v[118:119]
	v_min_f32_e32 v123, v120, v118
	v_add_f64 v[118:119], v[50:51], v[106:107]
	v_add_f64 v[120:121], v[48:49], v[104:105]
	v_cvt_f32_f64_e32 v120, v[120:121]
	v_cvt_f32_f64_e32 v118, v[118:119]
	v_min3_f32 v116, v116, v123, v117
	v_min3_f32 v120, v120, v118, v122
	v_cvt_f64_f32_e32 v[116:117], v116
	v_lshl_add_u64 v[118:119], v[128:129], 3, v[112:113]
	flat_store_dwordx2 v[118:119], v[116:117]
	s_mov_b64 s[2:3], -1
	v_max_f32_e32 v117, v120, v120
	s_mov_b64 vcc, s[8:9]
	s_cbranch_vccz .LBB125_85
; %bb.84:
	v_min_f32_e32 v116, 0, v117
	v_cvt_f64_f32_e32 v[118:119], v116
	v_lshl_add_u64 v[120:121], v[138:139], 3, v[112:113]
	flat_store_dwordx2 v[120:121], v[118:119]
	s_mov_b64 s[2:3], 0
.LBB125_85:
	s_andn2_b64 vcc, exec, s[2:3]
	v_mov_b32_e32 v116, 0
	s_cbranch_vccnz .LBB125_87
; %bb.86:
	v_lshl_add_u64 v[118:119], v[114:115], 0, v[144:145]
	flat_load_dwordx2 v[118:119], v[118:119]
	v_lshl_add_u64 v[120:121], v[112:113], 0, v[144:145]
	s_waitcnt vmcnt(0) lgkmcnt(0)
	v_mul_f64 v[118:119], s[10:11], v[118:119]
	v_cvt_f32_f64_e32 v116, v[118:119]
	v_min_f32_e32 v116, v116, v117
	v_cvt_f64_f32_e32 v[116:117], v116
	flat_store_dwordx2 v[120:121], v[116:117]
	v_lshl_add_u64 v[116:117], v[130:131], 3, v[114:115]
	flat_load_dwordx2 v[116:117], v[116:117]
	s_waitcnt vmcnt(0) lgkmcnt(0)
	v_mul_f64 v[116:117], s[10:11], v[116:117]
	v_cvt_f32_f64_e32 v116, v[116:117]
.LBB125_87:
	v_add_f64 v[118:119], v[46:47], v[110:111]
	v_add_f64 v[120:121], v[44:45], v[108:109]
	v_cvt_f32_f64_e32 v117, v[120:121]
	v_cvt_f32_f64_e32 v118, v[118:119]
	v_min3_f32 v117, v117, v118, v201
	v_add_f64 v[118:119], v[42:43], v[110:111]
	v_add_f64 v[120:121], v[40:41], v[108:109]
	v_cvt_f32_f64_e32 v120, v[120:121]
	v_cvt_f32_f64_e32 v118, v[118:119]
	v_min3_f32 v122, v120, v118, v200
	v_add_f64 v[118:119], v[38:39], v[106:107]
	v_add_f64 v[120:121], v[36:37], v[104:105]
	v_cvt_f32_f64_e32 v120, v[120:121]
	v_cvt_f32_f64_e32 v118, v[118:119]
	v_min_f32_e32 v123, v120, v118
	v_add_f64 v[118:119], v[34:35], v[106:107]
	v_add_f64 v[120:121], v[32:33], v[104:105]
	v_cvt_f32_f64_e32 v120, v[120:121]
	v_cvt_f32_f64_e32 v118, v[118:119]
	v_min3_f32 v116, v116, v123, v117
	v_min3_f32 v120, v120, v118, v122
	v_cvt_f64_f32_e32 v[116:117], v116
	v_lshl_add_u64 v[118:119], v[130:131], 3, v[112:113]
	flat_store_dwordx2 v[118:119], v[116:117]
	s_mov_b64 s[2:3], -1
	v_max_f32_e32 v117, v120, v120
	s_mov_b64 vcc, s[8:9]
	s_cbranch_vccz .LBB125_89
; %bb.88:
	v_min_f32_e32 v116, 0, v117
	v_cvt_f64_f32_e32 v[118:119], v116
	v_lshl_add_u64 v[120:121], v[142:143], 3, v[112:113]
	flat_store_dwordx2 v[120:121], v[118:119]
	s_mov_b64 s[2:3], 0
.LBB125_89:
	;; [unrolled: 54-line block ×3, first 2 shown]
	s_andn2_b64 vcc, exec, s[2:3]
	v_mov_b32_e32 v116, 0
	s_cbranch_vccnz .LBB125_95
; %bb.94:
	v_lshl_add_u64 v[118:119], v[114:115], 0, v[150:151]
	flat_load_dwordx2 v[118:119], v[118:119]
	v_lshl_add_u64 v[120:121], v[112:113], 0, v[150:151]
	v_lshl_add_u64 v[114:115], v[134:135], 3, v[114:115]
	s_waitcnt vmcnt(0) lgkmcnt(0)
	v_mul_f64 v[118:119], s[10:11], v[118:119]
	v_cvt_f32_f64_e32 v116, v[118:119]
	v_min_f32_e32 v116, v116, v117
	v_cvt_f64_f32_e32 v[116:117], v116
	flat_store_dwordx2 v[120:121], v[116:117]
	flat_load_dwordx2 v[114:115], v[114:115]
	s_waitcnt vmcnt(0) lgkmcnt(0)
	v_mul_f64 v[114:115], s[10:11], v[114:115]
	v_cvt_f32_f64_e32 v116, v[114:115]
.LBB125_95:
	v_add_f64 v[110:111], v[2:3], v[110:111]
	v_add_f64 v[108:109], v[0:1], v[108:109]
	v_cvt_f32_f64_e32 v108, v[108:109]
	v_cvt_f32_f64_e32 v109, v[110:111]
	v_add_f64 v[106:107], v[10:11], v[106:107]
	v_add_f64 v[104:105], v[8:9], v[104:105]
	v_min3_f32 v114, v108, v109, v197
	v_add_f64 v[108:109], v[70:71], v[102:103]
	v_add_f64 v[110:111], v[68:69], v[100:101]
	v_cvt_f32_f64_e32 v104, v[104:105]
	v_cvt_f32_f64_e32 v105, v[106:107]
	v_cvt_f32_f64_e32 v110, v[110:111]
	v_cvt_f32_f64_e32 v108, v[108:109]
	v_min_f32_e32 v109, v104, v105
	v_add_f64 v[104:105], v[66:67], v[98:99]
	v_add_f64 v[106:107], v[64:65], v[96:97]
	v_min3_f32 v108, v110, v108, v196
	v_cvt_f32_f64_e32 v106, v[106:107]
	v_cvt_f32_f64_e32 v104, v[104:105]
	v_min3_f32 v108, v106, v104, v108
	v_min3_f32 v104, v116, v109, v114
	v_cvt_f64_f32_e32 v[104:105], v104
	v_lshl_add_u64 v[106:107], v[134:135], 3, v[112:113]
	flat_store_dwordx2 v[106:107], v[104:105]
	v_add_u32_e32 v106, 0x60, v159
	v_mad_i64_i32 v[104:105], s[2:3], v106, s5, 0
	v_mad_i64_i32 v[106:107], s[2:3], v106, s4, 0
	v_lshl_add_u64 v[104:105], v[104:105], 3, s[0:1]
	s_mov_b64 s[2:3], -1
	v_max_f32_e32 v109, v108, v108
	s_mov_b64 vcc, s[8:9]
	s_cbranch_vccz .LBB125_97
; %bb.96:
	v_min_f32_e32 v108, 0, v109
	v_cvt_f64_f32_e32 v[110:111], v108
	v_lshl_add_u64 v[112:113], v[136:137], 3, v[104:105]
	flat_store_dwordx2 v[112:113], v[110:111]
	s_mov_b64 s[2:3], 0
.LBB125_97:
	v_lshl_add_u64 v[106:107], v[106:107], 3, s[14:15]
	s_andn2_b64 vcc, exec, s[2:3]
	v_mov_b32_e32 v108, 0
	s_cbranch_vccnz .LBB125_99
; %bb.98:
	v_lshl_add_u64 v[110:111], v[106:107], 0, v[140:141]
	flat_load_dwordx2 v[110:111], v[110:111]
	v_lshl_add_u64 v[112:113], v[104:105], 0, v[140:141]
	s_waitcnt vmcnt(0) lgkmcnt(0)
	v_mul_f64 v[110:111], s[10:11], v[110:111]
	v_cvt_f32_f64_e32 v108, v[110:111]
	v_min_f32_e32 v108, v108, v109
	v_cvt_f64_f32_e32 v[108:109], v108
	flat_store_dwordx2 v[112:113], v[108:109]
	v_lshl_add_u64 v[108:109], v[128:129], 3, v[106:107]
	flat_load_dwordx2 v[108:109], v[108:109]
	s_waitcnt vmcnt(0) lgkmcnt(0)
	v_mul_f64 v[108:109], s[10:11], v[108:109]
	v_cvt_f32_f64_e32 v108, v[108:109]
.LBB125_99:
	v_add_f64 v[110:111], v[62:63], v[102:103]
	v_add_f64 v[112:113], v[60:61], v[100:101]
	v_cvt_f32_f64_e32 v109, v[112:113]
	v_cvt_f32_f64_e32 v110, v[110:111]
	v_min3_f32 v109, v109, v110, v195
	v_add_f64 v[110:111], v[58:59], v[102:103]
	v_add_f64 v[112:113], v[56:57], v[100:101]
	v_cvt_f32_f64_e32 v112, v[112:113]
	v_cvt_f32_f64_e32 v110, v[110:111]
	v_min3_f32 v114, v112, v110, v194
	v_add_f64 v[110:111], v[54:55], v[98:99]
	v_add_f64 v[112:113], v[52:53], v[96:97]
	v_cvt_f32_f64_e32 v112, v[112:113]
	v_cvt_f32_f64_e32 v110, v[110:111]
	v_min_f32_e32 v115, v112, v110
	v_add_f64 v[110:111], v[50:51], v[98:99]
	v_add_f64 v[112:113], v[48:49], v[96:97]
	v_cvt_f32_f64_e32 v112, v[112:113]
	v_cvt_f32_f64_e32 v110, v[110:111]
	v_min3_f32 v108, v108, v115, v109
	v_min3_f32 v112, v112, v110, v114
	v_cvt_f64_f32_e32 v[108:109], v108
	v_lshl_add_u64 v[110:111], v[128:129], 3, v[104:105]
	flat_store_dwordx2 v[110:111], v[108:109]
	s_mov_b64 s[2:3], -1
	v_max_f32_e32 v109, v112, v112
	s_mov_b64 vcc, s[8:9]
	s_cbranch_vccz .LBB125_101
; %bb.100:
	v_min_f32_e32 v108, 0, v109
	v_cvt_f64_f32_e32 v[110:111], v108
	v_lshl_add_u64 v[112:113], v[138:139], 3, v[104:105]
	flat_store_dwordx2 v[112:113], v[110:111]
	s_mov_b64 s[2:3], 0
.LBB125_101:
	s_andn2_b64 vcc, exec, s[2:3]
	v_mov_b32_e32 v108, 0
	s_cbranch_vccnz .LBB125_103
; %bb.102:
	v_lshl_add_u64 v[110:111], v[106:107], 0, v[144:145]
	flat_load_dwordx2 v[110:111], v[110:111]
	v_lshl_add_u64 v[112:113], v[104:105], 0, v[144:145]
	s_waitcnt vmcnt(0) lgkmcnt(0)
	v_mul_f64 v[110:111], s[10:11], v[110:111]
	v_cvt_f32_f64_e32 v108, v[110:111]
	v_min_f32_e32 v108, v108, v109
	v_cvt_f64_f32_e32 v[108:109], v108
	flat_store_dwordx2 v[112:113], v[108:109]
	v_lshl_add_u64 v[108:109], v[130:131], 3, v[106:107]
	flat_load_dwordx2 v[108:109], v[108:109]
	s_waitcnt vmcnt(0) lgkmcnt(0)
	v_mul_f64 v[108:109], s[10:11], v[108:109]
	v_cvt_f32_f64_e32 v108, v[108:109]
.LBB125_103:
	v_add_f64 v[110:111], v[46:47], v[102:103]
	v_add_f64 v[112:113], v[44:45], v[100:101]
	v_cvt_f32_f64_e32 v109, v[112:113]
	v_cvt_f32_f64_e32 v110, v[110:111]
	v_min3_f32 v109, v109, v110, v193
	v_add_f64 v[110:111], v[42:43], v[102:103]
	v_add_f64 v[112:113], v[40:41], v[100:101]
	v_cvt_f32_f64_e32 v112, v[112:113]
	v_cvt_f32_f64_e32 v110, v[110:111]
	v_min3_f32 v114, v112, v110, v192
	v_add_f64 v[110:111], v[38:39], v[98:99]
	v_add_f64 v[112:113], v[36:37], v[96:97]
	v_cvt_f32_f64_e32 v112, v[112:113]
	v_cvt_f32_f64_e32 v110, v[110:111]
	v_min_f32_e32 v115, v112, v110
	v_add_f64 v[110:111], v[34:35], v[98:99]
	v_add_f64 v[112:113], v[32:33], v[96:97]
	v_cvt_f32_f64_e32 v112, v[112:113]
	v_cvt_f32_f64_e32 v110, v[110:111]
	v_min3_f32 v108, v108, v115, v109
	v_min3_f32 v112, v112, v110, v114
	v_cvt_f64_f32_e32 v[108:109], v108
	v_lshl_add_u64 v[110:111], v[130:131], 3, v[104:105]
	flat_store_dwordx2 v[110:111], v[108:109]
	s_mov_b64 s[2:3], -1
	v_max_f32_e32 v109, v112, v112
	s_mov_b64 vcc, s[8:9]
	s_cbranch_vccz .LBB125_105
; %bb.104:
	v_min_f32_e32 v108, 0, v109
	v_cvt_f64_f32_e32 v[110:111], v108
	v_lshl_add_u64 v[112:113], v[142:143], 3, v[104:105]
	flat_store_dwordx2 v[112:113], v[110:111]
	s_mov_b64 s[2:3], 0
.LBB125_105:
	;; [unrolled: 54-line block ×3, first 2 shown]
	s_andn2_b64 vcc, exec, s[2:3]
	v_mov_b32_e32 v108, 0
	s_cbranch_vccnz .LBB125_111
; %bb.110:
	v_lshl_add_u64 v[110:111], v[106:107], 0, v[150:151]
	flat_load_dwordx2 v[110:111], v[110:111]
	v_lshl_add_u64 v[112:113], v[104:105], 0, v[150:151]
	v_lshl_add_u64 v[106:107], v[134:135], 3, v[106:107]
	s_waitcnt vmcnt(0) lgkmcnt(0)
	v_mul_f64 v[110:111], s[10:11], v[110:111]
	v_cvt_f32_f64_e32 v108, v[110:111]
	v_min_f32_e32 v108, v108, v109
	v_cvt_f64_f32_e32 v[108:109], v108
	flat_store_dwordx2 v[112:113], v[108:109]
	flat_load_dwordx2 v[106:107], v[106:107]
	s_waitcnt vmcnt(0) lgkmcnt(0)
	v_mul_f64 v[106:107], s[10:11], v[106:107]
	v_cvt_f32_f64_e32 v108, v[106:107]
.LBB125_111:
	v_add_f64 v[102:103], v[2:3], v[102:103]
	v_add_f64 v[100:101], v[0:1], v[100:101]
	v_cvt_f32_f64_e32 v100, v[100:101]
	v_cvt_f32_f64_e32 v101, v[102:103]
	v_add_f64 v[98:99], v[10:11], v[98:99]
	v_add_f64 v[96:97], v[8:9], v[96:97]
	v_min3_f32 v106, v100, v101, v189
	v_add_f64 v[100:101], v[70:71], v[94:95]
	v_add_f64 v[102:103], v[68:69], v[92:93]
	v_cvt_f32_f64_e32 v96, v[96:97]
	v_cvt_f32_f64_e32 v97, v[98:99]
	;; [unrolled: 1-line block ×4, first 2 shown]
	v_min_f32_e32 v101, v96, v97
	v_add_f64 v[96:97], v[66:67], v[90:91]
	v_add_f64 v[98:99], v[64:65], v[88:89]
	v_min3_f32 v100, v102, v100, v188
	v_cvt_f32_f64_e32 v98, v[98:99]
	v_cvt_f32_f64_e32 v96, v[96:97]
	v_min3_f32 v100, v98, v96, v100
	v_min3_f32 v96, v108, v101, v106
	v_cvt_f64_f32_e32 v[96:97], v96
	v_lshl_add_u64 v[98:99], v[134:135], 3, v[104:105]
	flat_store_dwordx2 v[98:99], v[96:97]
	v_add_u32_e32 v98, 0x80, v159
	v_mad_i64_i32 v[96:97], s[2:3], v98, s5, 0
	v_mad_i64_i32 v[98:99], s[2:3], v98, s4, 0
	v_lshl_add_u64 v[96:97], v[96:97], 3, s[0:1]
	s_mov_b64 s[2:3], -1
	v_max_f32_e32 v101, v100, v100
	s_mov_b64 vcc, s[8:9]
	s_cbranch_vccz .LBB125_113
; %bb.112:
	v_min_f32_e32 v100, 0, v101
	v_cvt_f64_f32_e32 v[102:103], v100
	v_lshl_add_u64 v[104:105], v[136:137], 3, v[96:97]
	flat_store_dwordx2 v[104:105], v[102:103]
	s_mov_b64 s[2:3], 0
.LBB125_113:
	v_lshl_add_u64 v[98:99], v[98:99], 3, s[14:15]
	s_andn2_b64 vcc, exec, s[2:3]
	v_mov_b32_e32 v100, 0
	s_cbranch_vccnz .LBB125_115
; %bb.114:
	v_lshl_add_u64 v[102:103], v[98:99], 0, v[140:141]
	flat_load_dwordx2 v[102:103], v[102:103]
	v_lshl_add_u64 v[104:105], v[96:97], 0, v[140:141]
	s_waitcnt vmcnt(0) lgkmcnt(0)
	v_mul_f64 v[102:103], s[10:11], v[102:103]
	v_cvt_f32_f64_e32 v100, v[102:103]
	v_min_f32_e32 v100, v100, v101
	v_cvt_f64_f32_e32 v[100:101], v100
	flat_store_dwordx2 v[104:105], v[100:101]
	v_lshl_add_u64 v[100:101], v[128:129], 3, v[98:99]
	flat_load_dwordx2 v[100:101], v[100:101]
	s_waitcnt vmcnt(0) lgkmcnt(0)
	v_mul_f64 v[100:101], s[10:11], v[100:101]
	v_cvt_f32_f64_e32 v100, v[100:101]
.LBB125_115:
	v_add_f64 v[102:103], v[62:63], v[94:95]
	v_add_f64 v[104:105], v[60:61], v[92:93]
	v_cvt_f32_f64_e32 v101, v[104:105]
	v_cvt_f32_f64_e32 v102, v[102:103]
	v_min3_f32 v101, v101, v102, v187
	v_add_f64 v[102:103], v[58:59], v[94:95]
	v_add_f64 v[104:105], v[56:57], v[92:93]
	v_cvt_f32_f64_e32 v104, v[104:105]
	v_cvt_f32_f64_e32 v102, v[102:103]
	v_min3_f32 v106, v104, v102, v186
	v_add_f64 v[102:103], v[54:55], v[90:91]
	v_add_f64 v[104:105], v[52:53], v[88:89]
	v_cvt_f32_f64_e32 v104, v[104:105]
	v_cvt_f32_f64_e32 v102, v[102:103]
	v_min_f32_e32 v107, v104, v102
	v_add_f64 v[102:103], v[50:51], v[90:91]
	v_add_f64 v[104:105], v[48:49], v[88:89]
	v_cvt_f32_f64_e32 v104, v[104:105]
	v_cvt_f32_f64_e32 v102, v[102:103]
	v_min3_f32 v100, v100, v107, v101
	v_min3_f32 v104, v104, v102, v106
	v_cvt_f64_f32_e32 v[100:101], v100
	v_lshl_add_u64 v[102:103], v[128:129], 3, v[96:97]
	flat_store_dwordx2 v[102:103], v[100:101]
	s_mov_b64 s[2:3], -1
	v_max_f32_e32 v101, v104, v104
	s_mov_b64 vcc, s[8:9]
	s_cbranch_vccz .LBB125_117
; %bb.116:
	v_min_f32_e32 v100, 0, v101
	v_cvt_f64_f32_e32 v[102:103], v100
	v_lshl_add_u64 v[104:105], v[138:139], 3, v[96:97]
	flat_store_dwordx2 v[104:105], v[102:103]
	s_mov_b64 s[2:3], 0
.LBB125_117:
	s_andn2_b64 vcc, exec, s[2:3]
	v_mov_b32_e32 v100, 0
	s_cbranch_vccnz .LBB125_119
; %bb.118:
	v_lshl_add_u64 v[102:103], v[98:99], 0, v[144:145]
	flat_load_dwordx2 v[102:103], v[102:103]
	v_lshl_add_u64 v[104:105], v[96:97], 0, v[144:145]
	s_waitcnt vmcnt(0) lgkmcnt(0)
	v_mul_f64 v[102:103], s[10:11], v[102:103]
	v_cvt_f32_f64_e32 v100, v[102:103]
	v_min_f32_e32 v100, v100, v101
	v_cvt_f64_f32_e32 v[100:101], v100
	flat_store_dwordx2 v[104:105], v[100:101]
	v_lshl_add_u64 v[100:101], v[130:131], 3, v[98:99]
	flat_load_dwordx2 v[100:101], v[100:101]
	s_waitcnt vmcnt(0) lgkmcnt(0)
	v_mul_f64 v[100:101], s[10:11], v[100:101]
	v_cvt_f32_f64_e32 v100, v[100:101]
.LBB125_119:
	v_add_f64 v[102:103], v[46:47], v[94:95]
	v_add_f64 v[104:105], v[44:45], v[92:93]
	v_cvt_f32_f64_e32 v101, v[104:105]
	v_cvt_f32_f64_e32 v102, v[102:103]
	v_min3_f32 v101, v101, v102, v185
	v_add_f64 v[102:103], v[42:43], v[94:95]
	v_add_f64 v[104:105], v[40:41], v[92:93]
	v_cvt_f32_f64_e32 v104, v[104:105]
	v_cvt_f32_f64_e32 v102, v[102:103]
	v_min3_f32 v106, v104, v102, v184
	v_add_f64 v[102:103], v[38:39], v[90:91]
	v_add_f64 v[104:105], v[36:37], v[88:89]
	v_cvt_f32_f64_e32 v104, v[104:105]
	v_cvt_f32_f64_e32 v102, v[102:103]
	v_min_f32_e32 v107, v104, v102
	v_add_f64 v[102:103], v[34:35], v[90:91]
	v_add_f64 v[104:105], v[32:33], v[88:89]
	v_cvt_f32_f64_e32 v104, v[104:105]
	v_cvt_f32_f64_e32 v102, v[102:103]
	v_min3_f32 v100, v100, v107, v101
	v_min3_f32 v104, v104, v102, v106
	v_cvt_f64_f32_e32 v[100:101], v100
	v_lshl_add_u64 v[102:103], v[130:131], 3, v[96:97]
	flat_store_dwordx2 v[102:103], v[100:101]
	s_mov_b64 s[2:3], -1
	v_max_f32_e32 v101, v104, v104
	s_mov_b64 vcc, s[8:9]
	s_cbranch_vccz .LBB125_121
; %bb.120:
	v_min_f32_e32 v100, 0, v101
	v_cvt_f64_f32_e32 v[102:103], v100
	v_lshl_add_u64 v[104:105], v[142:143], 3, v[96:97]
	flat_store_dwordx2 v[104:105], v[102:103]
	s_mov_b64 s[2:3], 0
.LBB125_121:
	;; [unrolled: 54-line block ×3, first 2 shown]
	s_andn2_b64 vcc, exec, s[2:3]
	v_mov_b32_e32 v100, 0
	s_cbranch_vccnz .LBB125_127
; %bb.126:
	v_lshl_add_u64 v[102:103], v[98:99], 0, v[150:151]
	flat_load_dwordx2 v[102:103], v[102:103]
	v_lshl_add_u64 v[104:105], v[96:97], 0, v[150:151]
	v_lshl_add_u64 v[98:99], v[134:135], 3, v[98:99]
	s_waitcnt vmcnt(0) lgkmcnt(0)
	v_mul_f64 v[102:103], s[10:11], v[102:103]
	v_cvt_f32_f64_e32 v100, v[102:103]
	v_min_f32_e32 v100, v100, v101
	v_cvt_f64_f32_e32 v[100:101], v100
	flat_store_dwordx2 v[104:105], v[100:101]
	flat_load_dwordx2 v[98:99], v[98:99]
	s_waitcnt vmcnt(0) lgkmcnt(0)
	v_mul_f64 v[98:99], s[10:11], v[98:99]
	v_cvt_f32_f64_e32 v100, v[98:99]
.LBB125_127:
	v_add_f64 v[94:95], v[2:3], v[94:95]
	v_add_f64 v[92:93], v[0:1], v[92:93]
	v_cvt_f32_f64_e32 v92, v[92:93]
	v_cvt_f32_f64_e32 v93, v[94:95]
	v_add_f64 v[90:91], v[10:11], v[90:91]
	v_add_f64 v[88:89], v[8:9], v[88:89]
	v_min3_f32 v98, v92, v93, v181
	v_add_f64 v[92:93], v[70:71], v[86:87]
	v_add_f64 v[94:95], v[68:69], v[84:85]
	v_cvt_f32_f64_e32 v88, v[88:89]
	v_cvt_f32_f64_e32 v89, v[90:91]
	v_cvt_f32_f64_e32 v94, v[94:95]
	v_cvt_f32_f64_e32 v92, v[92:93]
	v_min_f32_e32 v93, v88, v89
	v_add_f64 v[88:89], v[66:67], v[82:83]
	v_add_f64 v[90:91], v[64:65], v[80:81]
	v_min3_f32 v92, v94, v92, v180
	v_cvt_f32_f64_e32 v90, v[90:91]
	v_cvt_f32_f64_e32 v88, v[88:89]
	v_min3_f32 v92, v90, v88, v92
	v_min3_f32 v88, v100, v93, v98
	v_cvt_f64_f32_e32 v[88:89], v88
	v_lshl_add_u64 v[90:91], v[134:135], 3, v[96:97]
	flat_store_dwordx2 v[90:91], v[88:89]
	v_add_u32_e32 v90, 0xa0, v159
	v_mad_i64_i32 v[88:89], s[2:3], v90, s5, 0
	v_mad_i64_i32 v[90:91], s[2:3], v90, s4, 0
	v_lshl_add_u64 v[88:89], v[88:89], 3, s[0:1]
	s_mov_b64 s[2:3], -1
	v_max_f32_e32 v93, v92, v92
	s_mov_b64 vcc, s[8:9]
	s_cbranch_vccz .LBB125_129
; %bb.128:
	v_min_f32_e32 v92, 0, v93
	v_cvt_f64_f32_e32 v[94:95], v92
	v_lshl_add_u64 v[96:97], v[136:137], 3, v[88:89]
	flat_store_dwordx2 v[96:97], v[94:95]
	s_mov_b64 s[2:3], 0
.LBB125_129:
	v_lshl_add_u64 v[90:91], v[90:91], 3, s[14:15]
	s_andn2_b64 vcc, exec, s[2:3]
	v_mov_b32_e32 v92, 0
	s_cbranch_vccnz .LBB125_131
; %bb.130:
	v_lshl_add_u64 v[94:95], v[90:91], 0, v[140:141]
	flat_load_dwordx2 v[94:95], v[94:95]
	v_lshl_add_u64 v[96:97], v[88:89], 0, v[140:141]
	s_waitcnt vmcnt(0) lgkmcnt(0)
	v_mul_f64 v[94:95], s[10:11], v[94:95]
	v_cvt_f32_f64_e32 v92, v[94:95]
	v_min_f32_e32 v92, v92, v93
	v_cvt_f64_f32_e32 v[92:93], v92
	flat_store_dwordx2 v[96:97], v[92:93]
	v_lshl_add_u64 v[92:93], v[128:129], 3, v[90:91]
	flat_load_dwordx2 v[92:93], v[92:93]
	s_waitcnt vmcnt(0) lgkmcnt(0)
	v_mul_f64 v[92:93], s[10:11], v[92:93]
	v_cvt_f32_f64_e32 v92, v[92:93]
.LBB125_131:
	v_add_f64 v[94:95], v[62:63], v[86:87]
	v_add_f64 v[96:97], v[60:61], v[84:85]
	v_cvt_f32_f64_e32 v93, v[96:97]
	v_cvt_f32_f64_e32 v94, v[94:95]
	v_min3_f32 v93, v93, v94, v179
	v_add_f64 v[94:95], v[58:59], v[86:87]
	v_add_f64 v[96:97], v[56:57], v[84:85]
	v_cvt_f32_f64_e32 v96, v[96:97]
	v_cvt_f32_f64_e32 v94, v[94:95]
	v_min3_f32 v98, v96, v94, v178
	v_add_f64 v[94:95], v[54:55], v[82:83]
	v_add_f64 v[96:97], v[52:53], v[80:81]
	v_cvt_f32_f64_e32 v96, v[96:97]
	v_cvt_f32_f64_e32 v94, v[94:95]
	v_min_f32_e32 v99, v96, v94
	v_add_f64 v[94:95], v[50:51], v[82:83]
	v_add_f64 v[96:97], v[48:49], v[80:81]
	v_cvt_f32_f64_e32 v96, v[96:97]
	v_cvt_f32_f64_e32 v94, v[94:95]
	v_min3_f32 v92, v92, v99, v93
	v_min3_f32 v96, v96, v94, v98
	v_cvt_f64_f32_e32 v[92:93], v92
	v_lshl_add_u64 v[94:95], v[128:129], 3, v[88:89]
	flat_store_dwordx2 v[94:95], v[92:93]
	s_mov_b64 s[2:3], -1
	v_max_f32_e32 v93, v96, v96
	s_mov_b64 vcc, s[8:9]
	s_cbranch_vccz .LBB125_133
; %bb.132:
	v_min_f32_e32 v92, 0, v93
	v_cvt_f64_f32_e32 v[94:95], v92
	v_lshl_add_u64 v[96:97], v[138:139], 3, v[88:89]
	flat_store_dwordx2 v[96:97], v[94:95]
	s_mov_b64 s[2:3], 0
.LBB125_133:
	s_andn2_b64 vcc, exec, s[2:3]
	v_mov_b32_e32 v92, 0
	s_cbranch_vccnz .LBB125_135
; %bb.134:
	v_lshl_add_u64 v[94:95], v[90:91], 0, v[144:145]
	flat_load_dwordx2 v[94:95], v[94:95]
	v_lshl_add_u64 v[96:97], v[88:89], 0, v[144:145]
	s_waitcnt vmcnt(0) lgkmcnt(0)
	v_mul_f64 v[94:95], s[10:11], v[94:95]
	v_cvt_f32_f64_e32 v92, v[94:95]
	v_min_f32_e32 v92, v92, v93
	v_cvt_f64_f32_e32 v[92:93], v92
	flat_store_dwordx2 v[96:97], v[92:93]
	v_lshl_add_u64 v[92:93], v[130:131], 3, v[90:91]
	flat_load_dwordx2 v[92:93], v[92:93]
	s_waitcnt vmcnt(0) lgkmcnt(0)
	v_mul_f64 v[92:93], s[10:11], v[92:93]
	v_cvt_f32_f64_e32 v92, v[92:93]
.LBB125_135:
	v_add_f64 v[94:95], v[46:47], v[86:87]
	v_add_f64 v[96:97], v[44:45], v[84:85]
	v_cvt_f32_f64_e32 v93, v[96:97]
	v_cvt_f32_f64_e32 v94, v[94:95]
	v_min3_f32 v93, v93, v94, v177
	v_add_f64 v[94:95], v[42:43], v[86:87]
	v_add_f64 v[96:97], v[40:41], v[84:85]
	v_cvt_f32_f64_e32 v96, v[96:97]
	v_cvt_f32_f64_e32 v94, v[94:95]
	v_min3_f32 v98, v96, v94, v176
	v_add_f64 v[94:95], v[38:39], v[82:83]
	v_add_f64 v[96:97], v[36:37], v[80:81]
	v_cvt_f32_f64_e32 v96, v[96:97]
	v_cvt_f32_f64_e32 v94, v[94:95]
	v_min_f32_e32 v99, v96, v94
	v_add_f64 v[94:95], v[34:35], v[82:83]
	v_add_f64 v[96:97], v[32:33], v[80:81]
	v_cvt_f32_f64_e32 v96, v[96:97]
	v_cvt_f32_f64_e32 v94, v[94:95]
	v_min3_f32 v92, v92, v99, v93
	v_min3_f32 v96, v96, v94, v98
	v_cvt_f64_f32_e32 v[92:93], v92
	v_lshl_add_u64 v[94:95], v[130:131], 3, v[88:89]
	flat_store_dwordx2 v[94:95], v[92:93]
	s_mov_b64 s[2:3], -1
	v_max_f32_e32 v93, v96, v96
	s_mov_b64 vcc, s[8:9]
	s_cbranch_vccz .LBB125_137
; %bb.136:
	v_min_f32_e32 v92, 0, v93
	v_cvt_f64_f32_e32 v[94:95], v92
	v_lshl_add_u64 v[96:97], v[142:143], 3, v[88:89]
	flat_store_dwordx2 v[96:97], v[94:95]
	s_mov_b64 s[2:3], 0
.LBB125_137:
	s_andn2_b64 vcc, exec, s[2:3]
	v_mov_b32_e32 v92, 0
	s_cbranch_vccnz .LBB125_139
; %bb.138:
	v_lshl_add_u64 v[94:95], v[90:91], 0, v[148:149]
	flat_load_dwordx2 v[94:95], v[94:95]
	v_lshl_add_u64 v[96:97], v[88:89], 0, v[148:149]
	s_waitcnt vmcnt(0) lgkmcnt(0)
	v_mul_f64 v[94:95], s[10:11], v[94:95]
	v_cvt_f32_f64_e32 v92, v[94:95]
	v_min_f32_e32 v92, v92, v93
	v_cvt_f64_f32_e32 v[92:93], v92
	flat_store_dwordx2 v[96:97], v[92:93]
	v_lshl_add_u64 v[92:93], v[132:133], 3, v[90:91]
	flat_load_dwordx2 v[92:93], v[92:93]
	s_waitcnt vmcnt(0) lgkmcnt(0)
	v_mul_f64 v[92:93], s[10:11], v[92:93]
	v_cvt_f32_f64_e32 v92, v[92:93]
.LBB125_139:
	v_add_f64 v[94:95], v[30:31], v[86:87]
	v_add_f64 v[96:97], v[28:29], v[84:85]
	v_cvt_f32_f64_e32 v93, v[96:97]
	v_cvt_f32_f64_e32 v94, v[94:95]
	v_min3_f32 v93, v93, v94, v175
	v_add_f64 v[94:95], v[26:27], v[86:87]
	v_add_f64 v[96:97], v[24:25], v[84:85]
	v_cvt_f32_f64_e32 v96, v[96:97]
	v_cvt_f32_f64_e32 v94, v[94:95]
	v_min3_f32 v98, v96, v94, v174
	v_add_f64 v[94:95], v[22:23], v[82:83]
	v_add_f64 v[96:97], v[20:21], v[80:81]
	v_cvt_f32_f64_e32 v96, v[96:97]
	v_cvt_f32_f64_e32 v94, v[94:95]
	v_min_f32_e32 v99, v96, v94
	v_add_f64 v[94:95], v[18:19], v[82:83]
	v_add_f64 v[96:97], v[16:17], v[80:81]
	v_cvt_f32_f64_e32 v96, v[96:97]
	v_cvt_f32_f64_e32 v94, v[94:95]
	v_min3_f32 v92, v92, v99, v93
	v_min3_f32 v96, v96, v94, v98
	v_cvt_f64_f32_e32 v[92:93], v92
	v_lshl_add_u64 v[94:95], v[132:133], 3, v[88:89]
	flat_store_dwordx2 v[94:95], v[92:93]
	s_mov_b64 s[2:3], -1
	v_max_f32_e32 v93, v96, v96
	s_mov_b64 vcc, s[8:9]
	s_cbranch_vccz .LBB125_141
; %bb.140:
	v_min_f32_e32 v92, 0, v93
	v_cvt_f64_f32_e32 v[94:95], v92
	v_lshl_add_u64 v[96:97], v[146:147], 3, v[88:89]
	flat_store_dwordx2 v[96:97], v[94:95]
	s_mov_b64 s[2:3], 0
.LBB125_141:
	s_andn2_b64 vcc, exec, s[2:3]
	v_mov_b32_e32 v92, 0
	s_cbranch_vccnz .LBB125_143
; %bb.142:
	v_lshl_add_u64 v[94:95], v[90:91], 0, v[150:151]
	flat_load_dwordx2 v[94:95], v[94:95]
	v_lshl_add_u64 v[96:97], v[88:89], 0, v[150:151]
	v_lshl_add_u64 v[90:91], v[134:135], 3, v[90:91]
	s_waitcnt vmcnt(0) lgkmcnt(0)
	v_mul_f64 v[94:95], s[10:11], v[94:95]
	v_cvt_f32_f64_e32 v92, v[94:95]
	v_min_f32_e32 v92, v92, v93
	v_cvt_f64_f32_e32 v[92:93], v92
	flat_store_dwordx2 v[96:97], v[92:93]
	flat_load_dwordx2 v[90:91], v[90:91]
	s_waitcnt vmcnt(0) lgkmcnt(0)
	v_mul_f64 v[90:91], s[10:11], v[90:91]
	v_cvt_f32_f64_e32 v92, v[90:91]
.LBB125_143:
	v_add_f64 v[86:87], v[2:3], v[86:87]
	v_add_f64 v[84:85], v[0:1], v[84:85]
	v_cvt_f32_f64_e32 v84, v[84:85]
	v_cvt_f32_f64_e32 v85, v[86:87]
	v_add_f64 v[82:83], v[10:11], v[82:83]
	v_add_f64 v[80:81], v[8:9], v[80:81]
	v_min3_f32 v90, v84, v85, v173
	v_add_f64 v[84:85], v[70:71], v[78:79]
	v_add_f64 v[86:87], v[68:69], v[76:77]
	v_cvt_f32_f64_e32 v80, v[80:81]
	v_cvt_f32_f64_e32 v81, v[82:83]
	;; [unrolled: 1-line block ×4, first 2 shown]
	v_min_f32_e32 v85, v80, v81
	v_add_f64 v[80:81], v[66:67], v[74:75]
	v_add_f64 v[82:83], v[64:65], v[72:73]
	v_min3_f32 v84, v86, v84, v172
	v_cvt_f32_f64_e32 v82, v[82:83]
	v_cvt_f32_f64_e32 v80, v[80:81]
	v_min3_f32 v84, v82, v80, v84
	v_min3_f32 v80, v92, v85, v90
	v_cvt_f64_f32_e32 v[80:81], v80
	v_lshl_add_u64 v[82:83], v[134:135], 3, v[88:89]
	flat_store_dwordx2 v[82:83], v[80:81]
	v_add_u32_e32 v82, 0xc0, v159
	v_mad_i64_i32 v[80:81], s[2:3], v82, s5, 0
	v_mad_i64_i32 v[82:83], s[2:3], v82, s4, 0
	v_lshl_add_u64 v[80:81], v[80:81], 3, s[0:1]
	s_mov_b64 s[2:3], -1
	v_max_f32_e32 v85, v84, v84
	s_mov_b64 vcc, s[8:9]
	s_cbranch_vccz .LBB125_145
; %bb.144:
	v_min_f32_e32 v84, 0, v85
	v_cvt_f64_f32_e32 v[86:87], v84
	v_lshl_add_u64 v[88:89], v[136:137], 3, v[80:81]
	flat_store_dwordx2 v[88:89], v[86:87]
	s_mov_b64 s[2:3], 0
.LBB125_145:
	v_lshl_add_u64 v[82:83], v[82:83], 3, s[14:15]
	s_andn2_b64 vcc, exec, s[2:3]
	v_mov_b32_e32 v84, 0
	s_cbranch_vccnz .LBB125_147
; %bb.146:
	v_lshl_add_u64 v[86:87], v[82:83], 0, v[140:141]
	flat_load_dwordx2 v[86:87], v[86:87]
	v_lshl_add_u64 v[88:89], v[80:81], 0, v[140:141]
	s_waitcnt vmcnt(0) lgkmcnt(0)
	v_mul_f64 v[86:87], s[10:11], v[86:87]
	v_cvt_f32_f64_e32 v84, v[86:87]
	v_min_f32_e32 v84, v84, v85
	v_cvt_f64_f32_e32 v[84:85], v84
	flat_store_dwordx2 v[88:89], v[84:85]
	v_lshl_add_u64 v[84:85], v[128:129], 3, v[82:83]
	flat_load_dwordx2 v[84:85], v[84:85]
	s_waitcnt vmcnt(0) lgkmcnt(0)
	v_mul_f64 v[84:85], s[10:11], v[84:85]
	v_cvt_f32_f64_e32 v84, v[84:85]
.LBB125_147:
	v_add_f64 v[86:87], v[62:63], v[78:79]
	v_add_f64 v[88:89], v[60:61], v[76:77]
	v_cvt_f32_f64_e32 v85, v[88:89]
	v_cvt_f32_f64_e32 v86, v[86:87]
	v_min3_f32 v85, v85, v86, v171
	v_add_f64 v[86:87], v[58:59], v[78:79]
	v_add_f64 v[88:89], v[56:57], v[76:77]
	v_cvt_f32_f64_e32 v88, v[88:89]
	v_cvt_f32_f64_e32 v86, v[86:87]
	v_min3_f32 v90, v88, v86, v170
	v_add_f64 v[86:87], v[54:55], v[74:75]
	v_add_f64 v[88:89], v[52:53], v[72:73]
	v_cvt_f32_f64_e32 v88, v[88:89]
	v_cvt_f32_f64_e32 v86, v[86:87]
	v_min_f32_e32 v91, v88, v86
	v_add_f64 v[86:87], v[50:51], v[74:75]
	v_add_f64 v[88:89], v[48:49], v[72:73]
	v_cvt_f32_f64_e32 v88, v[88:89]
	v_cvt_f32_f64_e32 v86, v[86:87]
	v_min3_f32 v84, v84, v91, v85
	v_min3_f32 v88, v88, v86, v90
	v_cvt_f64_f32_e32 v[84:85], v84
	v_lshl_add_u64 v[86:87], v[128:129], 3, v[80:81]
	flat_store_dwordx2 v[86:87], v[84:85]
	s_mov_b64 s[2:3], -1
	v_max_f32_e32 v85, v88, v88
	s_mov_b64 vcc, s[8:9]
	s_cbranch_vccz .LBB125_149
; %bb.148:
	v_min_f32_e32 v84, 0, v85
	v_cvt_f64_f32_e32 v[86:87], v84
	v_lshl_add_u64 v[88:89], v[138:139], 3, v[80:81]
	flat_store_dwordx2 v[88:89], v[86:87]
	s_mov_b64 s[2:3], 0
.LBB125_149:
	s_andn2_b64 vcc, exec, s[2:3]
	v_mov_b32_e32 v84, 0
	s_cbranch_vccnz .LBB125_151
; %bb.150:
	v_lshl_add_u64 v[86:87], v[82:83], 0, v[144:145]
	flat_load_dwordx2 v[86:87], v[86:87]
	v_lshl_add_u64 v[88:89], v[80:81], 0, v[144:145]
	s_waitcnt vmcnt(0) lgkmcnt(0)
	v_mul_f64 v[86:87], s[10:11], v[86:87]
	v_cvt_f32_f64_e32 v84, v[86:87]
	v_min_f32_e32 v84, v84, v85
	v_cvt_f64_f32_e32 v[84:85], v84
	flat_store_dwordx2 v[88:89], v[84:85]
	v_lshl_add_u64 v[84:85], v[130:131], 3, v[82:83]
	flat_load_dwordx2 v[84:85], v[84:85]
	s_waitcnt vmcnt(0) lgkmcnt(0)
	v_mul_f64 v[84:85], s[10:11], v[84:85]
	v_cvt_f32_f64_e32 v84, v[84:85]
.LBB125_151:
	v_add_f64 v[86:87], v[46:47], v[78:79]
	v_add_f64 v[88:89], v[44:45], v[76:77]
	v_cvt_f32_f64_e32 v85, v[88:89]
	v_cvt_f32_f64_e32 v86, v[86:87]
	v_min3_f32 v85, v85, v86, v169
	v_add_f64 v[86:87], v[42:43], v[78:79]
	v_add_f64 v[88:89], v[40:41], v[76:77]
	v_cvt_f32_f64_e32 v88, v[88:89]
	v_cvt_f32_f64_e32 v86, v[86:87]
	v_min3_f32 v90, v88, v86, v168
	v_add_f64 v[86:87], v[38:39], v[74:75]
	v_add_f64 v[88:89], v[36:37], v[72:73]
	v_cvt_f32_f64_e32 v88, v[88:89]
	v_cvt_f32_f64_e32 v86, v[86:87]
	v_min_f32_e32 v91, v88, v86
	v_add_f64 v[86:87], v[34:35], v[74:75]
	v_add_f64 v[88:89], v[32:33], v[72:73]
	v_cvt_f32_f64_e32 v88, v[88:89]
	v_cvt_f32_f64_e32 v86, v[86:87]
	v_min3_f32 v84, v84, v91, v85
	v_min3_f32 v88, v88, v86, v90
	v_cvt_f64_f32_e32 v[84:85], v84
	v_lshl_add_u64 v[86:87], v[130:131], 3, v[80:81]
	flat_store_dwordx2 v[86:87], v[84:85]
	s_mov_b64 s[2:3], -1
	v_max_f32_e32 v85, v88, v88
	s_mov_b64 vcc, s[8:9]
	s_cbranch_vccz .LBB125_153
; %bb.152:
	v_min_f32_e32 v84, 0, v85
	v_cvt_f64_f32_e32 v[86:87], v84
	v_lshl_add_u64 v[88:89], v[142:143], 3, v[80:81]
	flat_store_dwordx2 v[88:89], v[86:87]
	s_mov_b64 s[2:3], 0
.LBB125_153:
	;; [unrolled: 54-line block ×3, first 2 shown]
	s_andn2_b64 vcc, exec, s[2:3]
	v_mov_b32_e32 v84, 0
	s_cbranch_vccnz .LBB125_159
; %bb.158:
	v_lshl_add_u64 v[86:87], v[82:83], 0, v[150:151]
	flat_load_dwordx2 v[86:87], v[86:87]
	v_lshl_add_u64 v[88:89], v[80:81], 0, v[150:151]
	v_lshl_add_u64 v[82:83], v[134:135], 3, v[82:83]
	s_waitcnt vmcnt(0) lgkmcnt(0)
	v_mul_f64 v[86:87], s[10:11], v[86:87]
	v_cvt_f32_f64_e32 v84, v[86:87]
	v_min_f32_e32 v84, v84, v85
	v_cvt_f64_f32_e32 v[84:85], v84
	flat_store_dwordx2 v[88:89], v[84:85]
	flat_load_dwordx2 v[82:83], v[82:83]
	s_waitcnt vmcnt(0) lgkmcnt(0)
	v_mul_f64 v[82:83], s[10:11], v[82:83]
	v_cvt_f32_f64_e32 v84, v[82:83]
.LBB125_159:
	v_add_f64 v[78:79], v[2:3], v[78:79]
	v_add_f64 v[76:77], v[0:1], v[76:77]
	;; [unrolled: 1-line block ×4, first 2 shown]
	v_cvt_f32_f64_e32 v76, v[76:77]
	v_cvt_f32_f64_e32 v77, v[78:79]
	;; [unrolled: 1-line block ×4, first 2 shown]
	v_min3_f32 v76, v76, v77, v165
	v_min3_f32 v77, v68, v69, v164
	v_add_f64 v[68:69], v[10:11], v[74:75]
	v_add_f64 v[70:71], v[8:9], v[72:73]
	v_cvt_f32_f64_e32 v70, v[70:71]
	v_cvt_f32_f64_e32 v68, v[68:69]
	v_add_f64 v[66:67], v[66:67], v[14:15]
	v_add_f64 v[64:65], v[64:65], v[12:13]
	v_min_f32_e32 v68, v70, v68
	v_cvt_f32_f64_e32 v64, v[64:65]
	v_cvt_f32_f64_e32 v65, v[66:67]
	v_min3_f32 v69, v64, v65, v77
	v_min3_f32 v64, v84, v68, v76
	v_cvt_f64_f32_e32 v[64:65], v64
	v_lshl_add_u64 v[66:67], v[134:135], 3, v[80:81]
	flat_store_dwordx2 v[66:67], v[64:65]
	v_add_u32_e32 v66, 0xe0, v159
	v_mad_i64_i32 v[64:65], s[2:3], v66, s5, 0
	v_lshl_add_u64 v[64:65], v[64:65], 3, s[0:1]
	v_mad_i64_i32 v[66:67], s[0:1], v66, s4, 0
	s_mov_b64 s[0:1], -1
	v_max_f32_e32 v69, v69, v69
	s_mov_b64 vcc, s[8:9]
	s_cbranch_vccz .LBB125_161
; %bb.160:
	v_min_f32_e32 v68, 0, v69
	v_cvt_f64_f32_e32 v[70:71], v68
	v_lshl_add_u64 v[72:73], v[136:137], 3, v[64:65]
	flat_store_dwordx2 v[72:73], v[70:71]
	s_mov_b64 s[0:1], 0
.LBB125_161:
	v_lshl_add_u64 v[66:67], v[66:67], 3, s[14:15]
	s_andn2_b64 vcc, exec, s[0:1]
	v_mov_b32_e32 v68, 0
	s_cbranch_vccnz .LBB125_163
; %bb.162:
	v_lshl_add_u64 v[70:71], v[66:67], 0, v[140:141]
	flat_load_dwordx2 v[70:71], v[70:71]
	v_lshl_add_u64 v[72:73], v[64:65], 0, v[140:141]
	s_waitcnt vmcnt(0) lgkmcnt(0)
	v_mul_f64 v[70:71], s[10:11], v[70:71]
	v_cvt_f32_f64_e32 v68, v[70:71]
	v_min_f32_e32 v68, v68, v69
	v_cvt_f64_f32_e32 v[68:69], v68
	flat_store_dwordx2 v[72:73], v[68:69]
	v_lshl_add_u64 v[68:69], v[128:129], 3, v[66:67]
	flat_load_dwordx2 v[68:69], v[68:69]
	s_waitcnt vmcnt(0) lgkmcnt(0)
	v_mul_f64 v[68:69], s[10:11], v[68:69]
	v_cvt_f32_f64_e32 v68, v[68:69]
.LBB125_163:
	v_add_f64 v[62:63], v[62:63], v[6:7]
	v_add_f64 v[60:61], v[60:61], v[4:5]
	v_add_f64 v[58:59], v[58:59], v[6:7]
	v_add_f64 v[56:57], v[56:57], v[4:5]
	v_add_f64 v[54:55], v[54:55], v[14:15]
	v_add_f64 v[52:53], v[52:53], v[12:13]
	v_cvt_f32_f64_e32 v60, v[60:61]
	v_cvt_f32_f64_e32 v61, v[62:63]
	v_cvt_f32_f64_e32 v56, v[56:57]
	v_cvt_f32_f64_e32 v57, v[58:59]
	v_cvt_f32_f64_e32 v52, v[52:53]
	v_cvt_f32_f64_e32 v53, v[54:55]
	v_add_f64 v[50:51], v[50:51], v[14:15]
	v_add_f64 v[48:49], v[48:49], v[12:13]
	v_min3_f32 v60, v60, v61, v163
	v_min3_f32 v56, v56, v57, v162
	v_min_f32_e32 v52, v52, v53
	v_cvt_f32_f64_e32 v48, v[48:49]
	v_cvt_f32_f64_e32 v49, v[50:51]
	v_min3_f32 v53, v48, v49, v56
	v_min3_f32 v48, v68, v52, v60
	v_cvt_f64_f32_e32 v[48:49], v48
	v_lshl_add_u64 v[50:51], v[128:129], 3, v[64:65]
	flat_store_dwordx2 v[50:51], v[48:49]
	s_mov_b64 s[0:1], -1
	v_max_f32_e32 v49, v53, v53
	s_mov_b64 vcc, s[8:9]
	s_cbranch_vccz .LBB125_165
; %bb.164:
	v_min_f32_e32 v48, 0, v49
	v_cvt_f64_f32_e32 v[50:51], v48
	v_lshl_add_u64 v[52:53], v[138:139], 3, v[64:65]
	flat_store_dwordx2 v[52:53], v[50:51]
	s_mov_b64 s[0:1], 0
.LBB125_165:
	s_andn2_b64 vcc, exec, s[0:1]
	v_mov_b32_e32 v48, 0
	s_cbranch_vccnz .LBB125_167
; %bb.166:
	v_lshl_add_u64 v[50:51], v[66:67], 0, v[144:145]
	flat_load_dwordx2 v[50:51], v[50:51]
	v_lshl_add_u64 v[52:53], v[64:65], 0, v[144:145]
	s_waitcnt vmcnt(0) lgkmcnt(0)
	v_mul_f64 v[50:51], s[10:11], v[50:51]
	v_cvt_f32_f64_e32 v48, v[50:51]
	v_min_f32_e32 v48, v48, v49
	v_cvt_f64_f32_e32 v[48:49], v48
	flat_store_dwordx2 v[52:53], v[48:49]
	v_lshl_add_u64 v[48:49], v[130:131], 3, v[66:67]
	flat_load_dwordx2 v[48:49], v[48:49]
	s_waitcnt vmcnt(0) lgkmcnt(0)
	v_mul_f64 v[48:49], s[10:11], v[48:49]
	v_cvt_f32_f64_e32 v48, v[48:49]
.LBB125_167:
	v_add_f64 v[46:47], v[46:47], v[6:7]
	v_add_f64 v[44:45], v[44:45], v[4:5]
	v_add_f64 v[42:43], v[42:43], v[6:7]
	v_add_f64 v[40:41], v[40:41], v[4:5]
	v_add_f64 v[38:39], v[38:39], v[14:15]
	v_add_f64 v[36:37], v[36:37], v[12:13]
	v_cvt_f32_f64_e32 v44, v[44:45]
	v_cvt_f32_f64_e32 v45, v[46:47]
	v_cvt_f32_f64_e32 v40, v[40:41]
	v_cvt_f32_f64_e32 v41, v[42:43]
	v_cvt_f32_f64_e32 v36, v[36:37]
	v_cvt_f32_f64_e32 v37, v[38:39]
	v_add_f64 v[34:35], v[34:35], v[14:15]
	v_add_f64 v[32:33], v[32:33], v[12:13]
	v_min3_f32 v44, v44, v45, v161
	v_min3_f32 v40, v40, v41, v160
	v_min_f32_e32 v36, v36, v37
	v_cvt_f32_f64_e32 v32, v[32:33]
	v_cvt_f32_f64_e32 v33, v[34:35]
	v_min3_f32 v37, v32, v33, v40
	v_min3_f32 v32, v48, v36, v44
	v_cvt_f64_f32_e32 v[32:33], v32
	v_lshl_add_u64 v[34:35], v[130:131], 3, v[64:65]
	flat_store_dwordx2 v[34:35], v[32:33]
	s_mov_b64 s[0:1], -1
	v_max_f32_e32 v33, v37, v37
	s_mov_b64 vcc, s[8:9]
	s_cbranch_vccz .LBB125_169
; %bb.168:
	v_min_f32_e32 v32, 0, v33
	v_cvt_f64_f32_e32 v[34:35], v32
	v_lshl_add_u64 v[36:37], v[142:143], 3, v[64:65]
	flat_store_dwordx2 v[36:37], v[34:35]
	s_mov_b64 s[0:1], 0
.LBB125_169:
	;; [unrolled: 54-line block ×3, first 2 shown]
	s_andn2_b64 vcc, exec, s[0:1]
	v_mov_b32_e32 v16, 0
	s_cbranch_vccnz .LBB125_175
; %bb.174:
	v_lshl_add_u64 v[18:19], v[66:67], 0, v[150:151]
	flat_load_dwordx2 v[18:19], v[18:19]
	v_lshl_add_u64 v[20:21], v[64:65], 0, v[150:151]
	s_waitcnt vmcnt(0) lgkmcnt(0)
	v_mul_f64 v[18:19], s[10:11], v[18:19]
	v_cvt_f32_f64_e32 v16, v[18:19]
	v_min_f32_e32 v16, v16, v17
	v_cvt_f64_f32_e32 v[16:17], v16
	flat_store_dwordx2 v[20:21], v[16:17]
	v_lshl_add_u64 v[16:17], v[134:135], 3, v[66:67]
	flat_load_dwordx2 v[16:17], v[16:17]
	s_waitcnt vmcnt(0) lgkmcnt(0)
	v_mul_f64 v[16:17], s[10:11], v[16:17]
	v_cvt_f32_f64_e32 v16, v[16:17]
.LBB125_175:
	v_add_f64 v[10:11], v[10:11], v[14:15]
	v_add_f64 v[8:9], v[8:9], v[12:13]
	;; [unrolled: 1-line block ×4, first 2 shown]
	v_cvt_f32_f64_e32 v8, v[8:9]
	v_cvt_f32_f64_e32 v9, v[10:11]
	;; [unrolled: 1-line block ×4, first 2 shown]
	v_min_f32_e32 v8, v8, v9
	v_min3_f32 v0, v0, v1, v156
	v_min3_f32 v0, v16, v8, v0
	v_cvt_f64_f32_e32 v[0:1], v0
	v_lshl_add_u64 v[2:3], v[134:135], 3, v[64:65]
	flat_store_dwordx2 v[2:3], v[0:1]
	s_endpgm
	.section	.rodata,"a",@progbits
	.p2align	6, 0x0
	.amdhsa_kernel _ZN12_GLOBAL__N_120geam_min_plus_kernelId15HIP_vector_typeIdLj2EEdLi8ELi32ELi64ELi256ELi4ELi4ELi64ELi64ELi4ELc84ELc84ELb0ELb0ELb1EdKPKdKPdEEviiiT16_PT17_ilSA_ilS8_SA_ilPT18_ili26rocblas_geam_ex_operation_
		.amdhsa_group_segment_fixed_size 20480
		.amdhsa_private_segment_fixed_size 0
		.amdhsa_kernarg_size 136
		.amdhsa_user_sgpr_count 2
		.amdhsa_user_sgpr_dispatch_ptr 0
		.amdhsa_user_sgpr_queue_ptr 0
		.amdhsa_user_sgpr_kernarg_segment_ptr 1
		.amdhsa_user_sgpr_dispatch_id 0
		.amdhsa_user_sgpr_kernarg_preload_length 0
		.amdhsa_user_sgpr_kernarg_preload_offset 0
		.amdhsa_user_sgpr_private_segment_size 0
		.amdhsa_uses_dynamic_stack 0
		.amdhsa_enable_private_segment 0
		.amdhsa_system_sgpr_workgroup_id_x 1
		.amdhsa_system_sgpr_workgroup_id_y 0
		.amdhsa_system_sgpr_workgroup_id_z 1
		.amdhsa_system_sgpr_workgroup_info 0
		.amdhsa_system_vgpr_workitem_id 1
		.amdhsa_next_free_vgpr 230
		.amdhsa_next_free_sgpr 30
		.amdhsa_accum_offset 232
		.amdhsa_reserve_vcc 1
		.amdhsa_float_round_mode_32 0
		.amdhsa_float_round_mode_16_64 0
		.amdhsa_float_denorm_mode_32 3
		.amdhsa_float_denorm_mode_16_64 3
		.amdhsa_dx10_clamp 1
		.amdhsa_ieee_mode 1
		.amdhsa_fp16_overflow 0
		.amdhsa_tg_split 0
		.amdhsa_exception_fp_ieee_invalid_op 0
		.amdhsa_exception_fp_denorm_src 0
		.amdhsa_exception_fp_ieee_div_zero 0
		.amdhsa_exception_fp_ieee_overflow 0
		.amdhsa_exception_fp_ieee_underflow 0
		.amdhsa_exception_fp_ieee_inexact 0
		.amdhsa_exception_int_div_zero 0
	.end_amdhsa_kernel
	.section	.text._ZN12_GLOBAL__N_120geam_min_plus_kernelId15HIP_vector_typeIdLj2EEdLi8ELi32ELi64ELi256ELi4ELi4ELi64ELi64ELi4ELc84ELc84ELb0ELb0ELb1EdKPKdKPdEEviiiT16_PT17_ilSA_ilS8_SA_ilPT18_ili26rocblas_geam_ex_operation_,"axG",@progbits,_ZN12_GLOBAL__N_120geam_min_plus_kernelId15HIP_vector_typeIdLj2EEdLi8ELi32ELi64ELi256ELi4ELi4ELi64ELi64ELi4ELc84ELc84ELb0ELb0ELb1EdKPKdKPdEEviiiT16_PT17_ilSA_ilS8_SA_ilPT18_ili26rocblas_geam_ex_operation_,comdat
.Lfunc_end125:
	.size	_ZN12_GLOBAL__N_120geam_min_plus_kernelId15HIP_vector_typeIdLj2EEdLi8ELi32ELi64ELi256ELi4ELi4ELi64ELi64ELi4ELc84ELc84ELb0ELb0ELb1EdKPKdKPdEEviiiT16_PT17_ilSA_ilS8_SA_ilPT18_ili26rocblas_geam_ex_operation_, .Lfunc_end125-_ZN12_GLOBAL__N_120geam_min_plus_kernelId15HIP_vector_typeIdLj2EEdLi8ELi32ELi64ELi256ELi4ELi4ELi64ELi64ELi4ELc84ELc84ELb0ELb0ELb1EdKPKdKPdEEviiiT16_PT17_ilSA_ilS8_SA_ilPT18_ili26rocblas_geam_ex_operation_
                                        ; -- End function
	.set _ZN12_GLOBAL__N_120geam_min_plus_kernelId15HIP_vector_typeIdLj2EEdLi8ELi32ELi64ELi256ELi4ELi4ELi64ELi64ELi4ELc84ELc84ELb0ELb0ELb1EdKPKdKPdEEviiiT16_PT17_ilSA_ilS8_SA_ilPT18_ili26rocblas_geam_ex_operation_.num_vgpr, 230
	.set _ZN12_GLOBAL__N_120geam_min_plus_kernelId15HIP_vector_typeIdLj2EEdLi8ELi32ELi64ELi256ELi4ELi4ELi64ELi64ELi4ELc84ELc84ELb0ELb0ELb1EdKPKdKPdEEviiiT16_PT17_ilSA_ilS8_SA_ilPT18_ili26rocblas_geam_ex_operation_.num_agpr, 0
	.set _ZN12_GLOBAL__N_120geam_min_plus_kernelId15HIP_vector_typeIdLj2EEdLi8ELi32ELi64ELi256ELi4ELi4ELi64ELi64ELi4ELc84ELc84ELb0ELb0ELb1EdKPKdKPdEEviiiT16_PT17_ilSA_ilS8_SA_ilPT18_ili26rocblas_geam_ex_operation_.numbered_sgpr, 30
	.set _ZN12_GLOBAL__N_120geam_min_plus_kernelId15HIP_vector_typeIdLj2EEdLi8ELi32ELi64ELi256ELi4ELi4ELi64ELi64ELi4ELc84ELc84ELb0ELb0ELb1EdKPKdKPdEEviiiT16_PT17_ilSA_ilS8_SA_ilPT18_ili26rocblas_geam_ex_operation_.num_named_barrier, 0
	.set _ZN12_GLOBAL__N_120geam_min_plus_kernelId15HIP_vector_typeIdLj2EEdLi8ELi32ELi64ELi256ELi4ELi4ELi64ELi64ELi4ELc84ELc84ELb0ELb0ELb1EdKPKdKPdEEviiiT16_PT17_ilSA_ilS8_SA_ilPT18_ili26rocblas_geam_ex_operation_.private_seg_size, 0
	.set _ZN12_GLOBAL__N_120geam_min_plus_kernelId15HIP_vector_typeIdLj2EEdLi8ELi32ELi64ELi256ELi4ELi4ELi64ELi64ELi4ELc84ELc84ELb0ELb0ELb1EdKPKdKPdEEviiiT16_PT17_ilSA_ilS8_SA_ilPT18_ili26rocblas_geam_ex_operation_.uses_vcc, 1
	.set _ZN12_GLOBAL__N_120geam_min_plus_kernelId15HIP_vector_typeIdLj2EEdLi8ELi32ELi64ELi256ELi4ELi4ELi64ELi64ELi4ELc84ELc84ELb0ELb0ELb1EdKPKdKPdEEviiiT16_PT17_ilSA_ilS8_SA_ilPT18_ili26rocblas_geam_ex_operation_.uses_flat_scratch, 0
	.set _ZN12_GLOBAL__N_120geam_min_plus_kernelId15HIP_vector_typeIdLj2EEdLi8ELi32ELi64ELi256ELi4ELi4ELi64ELi64ELi4ELc84ELc84ELb0ELb0ELb1EdKPKdKPdEEviiiT16_PT17_ilSA_ilS8_SA_ilPT18_ili26rocblas_geam_ex_operation_.has_dyn_sized_stack, 0
	.set _ZN12_GLOBAL__N_120geam_min_plus_kernelId15HIP_vector_typeIdLj2EEdLi8ELi32ELi64ELi256ELi4ELi4ELi64ELi64ELi4ELc84ELc84ELb0ELb0ELb1EdKPKdKPdEEviiiT16_PT17_ilSA_ilS8_SA_ilPT18_ili26rocblas_geam_ex_operation_.has_recursion, 0
	.set _ZN12_GLOBAL__N_120geam_min_plus_kernelId15HIP_vector_typeIdLj2EEdLi8ELi32ELi64ELi256ELi4ELi4ELi64ELi64ELi4ELc84ELc84ELb0ELb0ELb1EdKPKdKPdEEviiiT16_PT17_ilSA_ilS8_SA_ilPT18_ili26rocblas_geam_ex_operation_.has_indirect_call, 0
	.section	.AMDGPU.csdata,"",@progbits
; Kernel info:
; codeLenInByte = 25184
; TotalNumSgprs: 36
; NumVgprs: 230
; NumAgprs: 0
; TotalNumVgprs: 230
; ScratchSize: 0
; MemoryBound: 1
; FloatMode: 240
; IeeeMode: 1
; LDSByteSize: 20480 bytes/workgroup (compile time only)
; SGPRBlocks: 4
; VGPRBlocks: 28
; NumSGPRsForWavesPerEU: 36
; NumVGPRsForWavesPerEU: 230
; AccumOffset: 232
; Occupancy: 2
; WaveLimiterHint : 1
; COMPUTE_PGM_RSRC2:SCRATCH_EN: 0
; COMPUTE_PGM_RSRC2:USER_SGPR: 2
; COMPUTE_PGM_RSRC2:TRAP_HANDLER: 0
; COMPUTE_PGM_RSRC2:TGID_X_EN: 1
; COMPUTE_PGM_RSRC2:TGID_Y_EN: 0
; COMPUTE_PGM_RSRC2:TGID_Z_EN: 1
; COMPUTE_PGM_RSRC2:TIDIG_COMP_CNT: 1
; COMPUTE_PGM_RSRC3_GFX90A:ACCUM_OFFSET: 57
; COMPUTE_PGM_RSRC3_GFX90A:TG_SPLIT: 0
	.section	.text._ZN12_GLOBAL__N_120geam_min_plus_kernelId15HIP_vector_typeIdLj2EEdLi8ELi32ELi64ELi256ELi4ELi4ELi64ELi64ELi4ELc84ELc84ELb0ELb1ELb1EPKdKS4_KPdEEviiiT16_PT17_ilSA_ilS8_SA_ilPT18_ili26rocblas_geam_ex_operation_,"axG",@progbits,_ZN12_GLOBAL__N_120geam_min_plus_kernelId15HIP_vector_typeIdLj2EEdLi8ELi32ELi64ELi256ELi4ELi4ELi64ELi64ELi4ELc84ELc84ELb0ELb1ELb1EPKdKS4_KPdEEviiiT16_PT17_ilSA_ilS8_SA_ilPT18_ili26rocblas_geam_ex_operation_,comdat
	.globl	_ZN12_GLOBAL__N_120geam_min_plus_kernelId15HIP_vector_typeIdLj2EEdLi8ELi32ELi64ELi256ELi4ELi4ELi64ELi64ELi4ELc84ELc84ELb0ELb1ELb1EPKdKS4_KPdEEviiiT16_PT17_ilSA_ilS8_SA_ilPT18_ili26rocblas_geam_ex_operation_ ; -- Begin function _ZN12_GLOBAL__N_120geam_min_plus_kernelId15HIP_vector_typeIdLj2EEdLi8ELi32ELi64ELi256ELi4ELi4ELi64ELi64ELi4ELc84ELc84ELb0ELb1ELb1EPKdKS4_KPdEEviiiT16_PT17_ilSA_ilS8_SA_ilPT18_ili26rocblas_geam_ex_operation_
	.p2align	8
	.type	_ZN12_GLOBAL__N_120geam_min_plus_kernelId15HIP_vector_typeIdLj2EEdLi8ELi32ELi64ELi256ELi4ELi4ELi64ELi64ELi4ELc84ELc84ELb0ELb1ELb1EPKdKS4_KPdEEviiiT16_PT17_ilSA_ilS8_SA_ilPT18_ili26rocblas_geam_ex_operation_,@function
_ZN12_GLOBAL__N_120geam_min_plus_kernelId15HIP_vector_typeIdLj2EEdLi8ELi32ELi64ELi256ELi4ELi4ELi64ELi64ELi4ELc84ELc84ELb0ELb1ELb1EPKdKS4_KPdEEviiiT16_PT17_ilSA_ilS8_SA_ilPT18_ili26rocblas_geam_ex_operation_: ; @_ZN12_GLOBAL__N_120geam_min_plus_kernelId15HIP_vector_typeIdLj2EEdLi8ELi32ELi64ELi256ELi4ELi4ELi64ELi64ELi4ELc84ELc84ELb0ELb1ELb1EPKdKS4_KPdEEviiiT16_PT17_ilSA_ilS8_SA_ilPT18_ili26rocblas_geam_ex_operation_
; %bb.0:
	s_load_dwordx4 s[12:15], s[0:1], 0x10
	s_load_dwordx4 s[8:11], s[0:1], 0x28
	;; [unrolled: 1-line block ×3, first 2 shown]
	s_mov_b32 s16, s3
	s_mov_b32 s17, 0
	s_lshl_b64 s[28:29], s[16:17], 3
	s_waitcnt lgkmcnt(0)
	s_add_u32 s18, s12, s28
	s_addc_u32 s19, s13, s29
	s_load_dwordx2 s[16:17], s[18:19], 0x0
	s_load_dwordx2 s[12:13], s[0:1], 0x50
	s_add_u32 s6, s6, s28
	s_addc_u32 s7, s7, s29
	s_mov_b64 s[18:19], 0
	s_waitcnt lgkmcnt(0)
	v_cmp_eq_f64_e64 s[22:23], s[16:17], 0
	v_cmp_neq_f64_e64 s[20:21], s[16:17], 0
	s_and_b64 vcc, exec, s[22:23]
	s_mov_b64 s[34:35], 0
	s_cbranch_vccnz .LBB126_2
; %bb.1:
	s_add_u32 s14, s14, s28
	s_addc_u32 s15, s15, s29
	s_load_dwordx2 s[14:15], s[14:15], 0x0
	s_lshl_b64 s[8:9], s[8:9], 3
	s_waitcnt lgkmcnt(0)
	s_add_u32 s34, s14, s8
	s_addc_u32 s35, s15, s9
.LBB126_2:
	s_load_dwordx2 s[24:25], s[6:7], 0x0
	s_andn2_b64 vcc, exec, s[20:21]
	s_cbranch_vccnz .LBB126_4
; %bb.3:
	s_add_u32 s6, s10, s28
	s_addc_u32 s7, s11, s29
	s_load_dwordx2 s[6:7], s[6:7], 0x0
	s_lshl_b64 s[4:5], s[4:5], 3
	s_waitcnt lgkmcnt(0)
	s_add_u32 s18, s6, s4
	s_addc_u32 s19, s7, s5
.LBB126_4:
	s_load_dwordx4 s[4:7], s[0:1], 0x60
	s_waitcnt lgkmcnt(0)
	v_cmp_eq_f64_e64 s[8:9], s[24:25], 0
	s_mov_b64 s[26:27], 0
	v_cmp_neq_f64_e64 s[14:15], s[24:25], 0
	s_and_b64 vcc, exec, s[8:9]
	s_cbranch_vccnz .LBB126_6
; %bb.5:
	s_add_u32 s8, s12, s28
	s_addc_u32 s9, s13, s29
	s_load_dwordx2 s[8:9], s[8:9], 0x0
	s_lshl_b64 s[4:5], s[4:5], 3
	s_waitcnt lgkmcnt(0)
	s_add_u32 s26, s8, s4
	s_addc_u32 s27, s9, s5
.LBB126_6:
	s_load_dwordx4 s[20:23], s[0:1], 0x0
	s_load_dword s37, s[0:1], 0x20
	s_add_u32 s30, s6, s28
	s_addc_u32 s31, s7, s29
	v_and_b32_e32 v144, 0x3ff, v0
	s_waitcnt lgkmcnt(0)
	s_add_i32 s3, s20, -1
	s_ashr_i32 s4, s3, 31
	s_lshr_b32 s4, s4, 26
	s_add_i32 s3, s3, s4
	s_ashr_i32 s3, s3, 6
	s_add_i32 s4, s3, 1
	v_cvt_f32_u32_e32 v1, s4
	v_bfe_u32 v145, v0, 10, 10
	v_and_b32_e32 v146, 3, v0
	s_not_b32 s3, s3
	v_rcp_iflag_f32_e32 v1, v1
	v_lshl_add_u32 v2, v145, 3, v144
	v_lshrrev_b32_e32 v12, 2, v2
	v_cmp_le_i32_e32 vcc, s22, v146
	v_mul_f32_e32 v0, 0x4f7ffffe, v1
	v_cvt_u32_f32_e32 v0, v0
	v_cmp_eq_f64_e64 s[28:29], s[16:17], 0
	v_readfirstlane_b32 s5, v0
	s_mul_i32 s3, s3, s5
	s_mul_hi_u32 s3, s5, s3
	s_add_i32 s5, s5, s3
	s_mul_hi_u32 s3, s2, s5
	s_mul_i32 s5, s3, s4
	s_sub_i32 s5, s2, s5
	s_add_i32 s6, s3, 1
	s_sub_i32 s7, s5, s4
	s_cmp_ge_u32 s5, s4
	s_cselect_b32 s3, s6, s3
	s_cselect_b32 s5, s7, s5
	s_add_i32 s6, s3, 1
	s_cmp_ge_u32 s5, s4
	s_cselect_b32 s6, s6, s3
	s_mul_i32 s3, s6, s4
	s_sub_i32 s2, s2, s3
	s_lshl_b32 s33, s2, 6
	v_add_u32_e32 v110, s33, v12
	v_cmp_le_i32_e64 s[2:3], s20, v110
	s_or_b64 vcc, vcc, s[2:3]
	s_nor_b64 s[4:5], s[28:29], vcc
                                        ; implicit-def: $vgpr0_vgpr1
                                        ; implicit-def: $sgpr7
	s_and_saveexec_b64 s[8:9], s[4:5]
	s_xor_b64 s[4:5], exec, s[8:9]
	s_cbranch_execz .LBB126_8
; %bb.7:
	s_add_i32 s7, s22, -1
	v_mad_i64_i32 v[0:1], s[8:9], v110, s37, 0
	v_min_u32_e32 v3, s7, v146
	v_lshl_add_u64 v[0:1], v[0:1], 3, s[34:35]
	v_lshlrev_b32_e32 v4, 3, v3
	v_mov_b32_e32 v5, 0
	v_lshl_add_u64 v[0:1], v[0:1], 0, v[4:5]
	flat_load_dwordx2 v[0:1], v[0:1]
	s_waitcnt vmcnt(0) lgkmcnt(0)
	v_mul_f64 v[0:1], s[16:17], v[0:1]
.LBB126_8:
	s_or_saveexec_b64 s[4:5], s[4:5]
	v_mov_b32_e32 v3, s7
	s_xor_b64 exec, exec, s[4:5]
; %bb.9:
	v_mov_b32_e32 v0, 0x7fefffff
	s_add_i32 s7, s22, -1
	v_cndmask_b32_e32 v1, 0, v0, vcc
	v_cndmask_b32_e64 v0, 0, -1, vcc
	v_mov_b32_e32 v3, s7
; %bb.10:
	s_or_b64 exec, exec, s[4:5]
	s_load_dword s23, s[0:1], 0x38
	v_lshrrev_b32_e32 v147, 6, v2
	v_and_b32_e32 v13, 63, v2
	s_lshl_b32 s36, s6, 8
	v_min_i32_e32 v2, v147, v3
	v_or_b32_e32 v128, s36, v13
	s_waitcnt lgkmcnt(0)
	v_mad_i64_i32 v[2:3], s[4:5], v2, s23, 0
	v_cmp_le_i32_e32 vcc, s22, v147
	v_cmp_le_i32_e64 s[4:5], s21, v128
	v_mov_b32_e32 v4, 0x7fefffff
	s_or_b64 s[6:7], s[4:5], vcc
	v_lshl_add_u64 v[10:11], v[2:3], 3, s[18:19]
	v_cndmask_b32_e64 v3, 0, v4, s[6:7]
	s_nor_b64 s[8:9], s[28:29], s[6:7]
	v_cndmask_b32_e64 v2, 0, -1, s[6:7]
	v_ashrrev_i32_e32 v129, 31, v128
	s_and_saveexec_b64 s[6:7], s[8:9]
	s_cbranch_execz .LBB126_12
; %bb.11:
	v_lshl_add_u64 v[2:3], v[128:129], 3, v[10:11]
	flat_load_dwordx2 v[2:3], v[2:3]
	s_waitcnt vmcnt(0) lgkmcnt(0)
	v_mul_f64 v[2:3], s[16:17], v[2:3]
.LBB126_12:
	s_or_b64 exec, exec, s[6:7]
	v_or_b32_e32 v5, 64, v128
	v_cmp_le_i32_e64 s[6:7], s21, v5
	s_or_b64 s[8:9], s[6:7], vcc
	v_cndmask_b32_e64 v5, 0, v4, s[8:9]
	s_nor_b64 s[10:11], s[28:29], s[8:9]
	v_cndmask_b32_e64 v4, 0, -1, s[8:9]
	s_and_saveexec_b64 s[8:9], s[10:11]
	s_cbranch_execz .LBB126_14
; %bb.13:
	v_lshl_add_u64 v[4:5], v[128:129], 3, v[10:11]
	flat_load_dwordx2 v[4:5], v[4:5] offset:512
	s_waitcnt vmcnt(0) lgkmcnt(0)
	v_mul_f64 v[4:5], s[16:17], v[4:5]
.LBB126_14:
	s_or_b64 exec, exec, s[8:9]
	v_or_b32_e32 v6, 0x80, v128
	v_cmp_le_i32_e64 s[8:9], s21, v6
	v_mov_b32_e32 v8, 0x7fefffff
	s_or_b64 s[10:11], s[8:9], vcc
	v_cndmask_b32_e64 v7, 0, v8, s[10:11]
	s_nor_b64 s[12:13], s[28:29], s[10:11]
	v_cndmask_b32_e64 v6, 0, -1, s[10:11]
	s_and_saveexec_b64 s[10:11], s[12:13]
	s_cbranch_execz .LBB126_16
; %bb.15:
	v_lshl_add_u64 v[6:7], v[128:129], 3, v[10:11]
	flat_load_dwordx2 v[6:7], v[6:7] offset:1024
	s_waitcnt vmcnt(0) lgkmcnt(0)
	v_mul_f64 v[6:7], s[16:17], v[6:7]
.LBB126_16:
	s_or_b64 exec, exec, s[10:11]
	v_or_b32_e32 v9, 0xc0, v128
	v_cmp_le_i32_e64 s[10:11], s21, v9
	s_or_b64 vcc, s[10:11], vcc
	v_cndmask_b32_e32 v9, 0, v8, vcc
	s_nor_b64 s[38:39], s[28:29], vcc
	v_cndmask_b32_e64 v8, 0, -1, vcc
	s_and_saveexec_b64 s[12:13], s[38:39]
	s_cbranch_execz .LBB126_18
; %bb.17:
	v_lshl_add_u64 v[8:9], v[128:129], 3, v[10:11]
	flat_load_dwordx2 v[8:9], v[8:9] offset:1536
	s_waitcnt vmcnt(0) lgkmcnt(0)
	v_mul_f64 v[8:9], s[16:17], v[8:9]
.LBB126_18:
	s_or_b64 exec, exec, s[12:13]
	v_or_b32_e32 v10, 4, v146
	v_cmp_le_i32_e32 vcc, s22, v10
	s_or_b64 vcc, vcc, s[2:3]
	s_nor_b64 s[12:13], s[28:29], vcc
                                        ; implicit-def: $vgpr100_vgpr101
                                        ; implicit-def: $sgpr38
	s_and_saveexec_b64 s[40:41], s[12:13]
	s_xor_b64 s[12:13], exec, s[40:41]
	s_cbranch_execz .LBB126_20
; %bb.19:
	v_mad_i64_i32 v[14:15], s[38:39], v110, s37, 0
	s_add_i32 s38, s22, -1
	s_nop 0
	v_min_u32_e32 v10, s38, v10
	v_lshl_add_u64 v[14:15], v[14:15], 3, s[34:35]
	v_lshlrev_b32_e32 v10, 3, v10
	v_mov_b32_e32 v11, 0
	v_lshl_add_u64 v[10:11], v[14:15], 0, v[10:11]
	flat_load_dwordx2 v[10:11], v[10:11]
	s_waitcnt vmcnt(0) lgkmcnt(0)
	v_mul_f64 v[100:101], s[16:17], v[10:11]
.LBB126_20:
	s_or_saveexec_b64 s[12:13], s[12:13]
	v_mov_b32_e32 v10, s38
	s_xor_b64 exec, exec, s[12:13]
; %bb.21:
	v_mov_b32_e32 v10, 0x7fefffff
	s_add_i32 s38, s22, -1
	v_cndmask_b32_e32 v101, 0, v10, vcc
	v_cndmask_b32_e64 v100, 0, -1, vcc
	v_mov_b32_e32 v10, s38
; %bb.22:
	s_or_b64 exec, exec, s[12:13]
	v_add_u32_e32 v11, 4, v147
	v_min_i32_e32 v10, v11, v10
	v_cmp_le_i32_e32 vcc, s22, v11
	v_mad_i64_i32 v[10:11], s[12:13], v10, s23, 0
	v_mov_b32_e32 v14, 0x7fefffff
	s_or_b64 s[12:13], s[4:5], vcc
	v_lshl_add_u64 v[10:11], v[10:11], 3, s[18:19]
	v_cndmask_b32_e64 v103, 0, v14, s[12:13]
	s_nor_b64 s[38:39], s[28:29], s[12:13]
	v_cndmask_b32_e64 v102, 0, -1, s[12:13]
	s_and_saveexec_b64 s[12:13], s[38:39]
	s_cbranch_execz .LBB126_24
; %bb.23:
	v_lshl_add_u64 v[16:17], v[128:129], 3, v[10:11]
	flat_load_dwordx2 v[16:17], v[16:17]
	s_waitcnt vmcnt(0) lgkmcnt(0)
	v_mul_f64 v[102:103], s[16:17], v[16:17]
.LBB126_24:
	s_or_b64 exec, exec, s[12:13]
	s_or_b64 s[12:13], s[6:7], vcc
	v_cndmask_b32_e64 v105, 0, v14, s[12:13]
	s_nor_b64 s[38:39], s[28:29], s[12:13]
	v_cndmask_b32_e64 v104, 0, -1, s[12:13]
	s_and_saveexec_b64 s[12:13], s[38:39]
	s_cbranch_execz .LBB126_26
; %bb.25:
	v_lshl_add_u64 v[14:15], v[128:129], 3, v[10:11]
	flat_load_dwordx2 v[14:15], v[14:15] offset:512
	s_waitcnt vmcnt(0) lgkmcnt(0)
	v_mul_f64 v[104:105], s[16:17], v[14:15]
.LBB126_26:
	s_or_b64 exec, exec, s[12:13]
	v_mov_b32_e32 v14, 0x7fefffff
	s_or_b64 s[12:13], s[8:9], vcc
	v_cndmask_b32_e64 v107, 0, v14, s[12:13]
	s_nor_b64 s[38:39], s[28:29], s[12:13]
	v_cndmask_b32_e64 v106, 0, -1, s[12:13]
	s_and_saveexec_b64 s[12:13], s[38:39]
	s_cbranch_execz .LBB126_28
; %bb.27:
	v_lshl_add_u64 v[16:17], v[128:129], 3, v[10:11]
	flat_load_dwordx2 v[16:17], v[16:17] offset:1024
	s_waitcnt vmcnt(0) lgkmcnt(0)
	v_mul_f64 v[106:107], s[16:17], v[16:17]
.LBB126_28:
	s_or_b64 exec, exec, s[12:13]
	s_or_b64 vcc, s[10:11], vcc
	v_cndmask_b32_e32 v109, 0, v14, vcc
	s_nor_b64 s[38:39], s[28:29], vcc
	v_cndmask_b32_e64 v108, 0, -1, vcc
	s_and_saveexec_b64 s[12:13], s[38:39]
	s_cbranch_execz .LBB126_30
; %bb.29:
	v_lshl_add_u64 v[10:11], v[128:129], 3, v[10:11]
	flat_load_dwordx2 v[10:11], v[10:11] offset:1536
	s_waitcnt vmcnt(0) lgkmcnt(0)
	v_mul_f64 v[108:109], s[16:17], v[10:11]
.LBB126_30:
	s_or_b64 exec, exec, s[12:13]
	v_lshlrev_b32_e32 v10, 3, v146
	v_lshl_or_b32 v111, v12, 5, v10
	ds_write_b64 v111, v[0:1] offset:16384
	v_lshlrev_b32_e32 v0, 5, v13
	v_lshl_add_u32 v165, v147, 3, v0
	v_lshlrev_b32_e32 v159, 5, v144
	s_load_dwordx2 s[30:31], s[30:31], 0x0
	ds_write2st64_b64 v165, v[2:3], v[4:5] offset1:4
	ds_write2st64_b64 v165, v[6:7], v[8:9] offset0:8 offset1:12
	s_waitcnt lgkmcnt(0)
	s_barrier
	v_lshlrev_b32_e32 v158, 5, v145
	ds_read_b128 v[32:35], v159 offset:16640
	ds_read_b128 v[28:31], v159 offset:16896
	ds_read_b128 v[24:27], v159 offset:17152
	ds_read_b128 v[20:23], v159 offset:17408
	ds_read_b128 v[16:19], v159 offset:17664
	ds_read_b128 v[12:15], v159 offset:17920
	ds_read_b128 v[8:11], v159 offset:18176
	ds_read_b128 v[92:95], v158 offset:1024
	ds_read_b128 v[88:91], v158 offset:2048
	ds_read_b128 v[84:87], v158 offset:3072
	ds_read_b128 v[52:55], v158 offset:4096
	ds_read_b128 v[48:51], v158 offset:5120
	ds_read_b128 v[40:43], v159 offset:16384
	ds_read_b128 v[96:99], v158
	ds_read_b128 v[44:47], v158 offset:6144
	ds_read_b128 v[36:39], v158 offset:7168
	;; [unrolled: 1-line block ×4, first 2 shown]
	s_waitcnt lgkmcnt(5)
	v_add_f64 v[114:115], v[42:43], v[94:95]
	v_add_f64 v[116:117], v[40:41], v[92:93]
	s_mov_b32 s12, 0x7f800000
	v_cvt_f32_f64_e32 v113, v[116:117]
	v_cvt_f32_f64_e32 v114, v[114:115]
	v_min3_f32 v179, v113, v114, s12
	v_add_f64 v[114:115], v[34:35], v[94:95]
	v_add_f64 v[116:117], v[32:33], v[92:93]
	v_cvt_f32_f64_e32 v113, v[116:117]
	v_cvt_f32_f64_e32 v114, v[114:115]
	v_min3_f32 v180, v113, v114, s12
	v_add_f64 v[114:115], v[30:31], v[94:95]
	v_add_f64 v[116:117], v[28:29], v[92:93]
	;; [unrolled: 5-line block ×34, first 2 shown]
	v_cvt_f32_f64_e32 v113, v[116:117]
	v_cvt_f32_f64_e32 v114, v[114:115]
	v_min3_f32 v119, v113, v114, s12
	s_waitcnt lgkmcnt(3)
	v_add_f64 v[114:115], v[42:43], v[46:47]
	v_add_f64 v[168:169], v[40:41], v[44:45]
	v_cvt_f32_f64_e32 v113, v[168:169]
	v_cvt_f32_f64_e32 v114, v[114:115]
	v_min3_f32 v125, v113, v114, s12
	v_add_f64 v[114:115], v[34:35], v[46:47]
	v_add_f64 v[168:169], v[32:33], v[44:45]
	v_cvt_f32_f64_e32 v113, v[168:169]
	v_cvt_f32_f64_e32 v114, v[114:115]
	v_min3_f32 v122, v113, v114, s12
	v_add_f64 v[114:115], v[30:31], v[46:47]
	v_add_f64 v[168:169], v[28:29], v[44:45]
	v_cvt_f32_f64_e32 v113, v[168:169]
	v_cvt_f32_f64_e32 v114, v[114:115]
	v_add_f64 v[56:57], v[42:43], v[98:99]
	v_add_f64 v[58:59], v[40:41], v[96:97]
	v_min3_f32 v120, v113, v114, s12
	v_add_f64 v[114:115], v[26:27], v[46:47]
	v_add_f64 v[168:169], v[24:25], v[44:45]
	v_cvt_f32_f64_e32 v58, v[58:59]
	v_cvt_f32_f64_e32 v56, v[56:57]
	;; [unrolled: 1-line block ×4, first 2 shown]
	v_min3_f32 v112, v58, v56, s12
	ds_read_b128 v[56:59], v159 offset:16656
	v_add_f64 v[60:61], v[34:35], v[98:99]
	v_add_f64 v[62:63], v[32:33], v[96:97]
	v_min3_f32 v118, v113, v114, s12
	v_add_f64 v[114:115], v[22:23], v[46:47]
	v_add_f64 v[168:169], v[20:21], v[44:45]
	v_cvt_f32_f64_e32 v62, v[62:63]
	v_cvt_f32_f64_e32 v60, v[60:61]
	;; [unrolled: 1-line block ×4, first 2 shown]
	v_add_f64 v[168:169], v[16:17], v[44:45]
	v_min3_f32 v172, v62, v60, s12
	ds_read_b128 v[60:63], v159 offset:16912
	v_add_f64 v[64:65], v[30:31], v[98:99]
	v_add_f64 v[66:67], v[28:29], v[96:97]
	;; [unrolled: 1-line block ×22, first 2 shown]
	v_min3_f32 v116, v113, v114, s12
	v_add_f64 v[114:115], v[18:19], v[46:47]
	v_cvt_f32_f64_e32 v113, v[168:169]
	v_add_f64 v[168:169], v[14:15], v[46:47]
	v_add_f64 v[170:171], v[12:13], v[44:45]
	;; [unrolled: 1-line block ×4, first 2 shown]
	s_waitcnt lgkmcnt(4)
	v_add_f64 v[14:15], v[14:15], v[38:39]
	v_add_f64 v[12:13], v[12:13], v[36:37]
	;; [unrolled: 1-line block ×4, first 2 shown]
	v_cvt_f32_f64_e32 v66, v[66:67]
	v_cvt_f32_f64_e32 v64, v[64:65]
	;; [unrolled: 1-line block ×7, first 2 shown]
	s_waitcnt lgkmcnt(2)
	v_add_f64 v[10:11], v[2:3], v[6:7]
	v_add_f64 v[14:15], v[0:1], v[4:5]
	v_min3_f32 v173, v66, v64, s12
	ds_read_b128 v[64:67], v159 offset:17168
	v_min3_f32 v115, v113, v114, s12
	v_cvt_f32_f64_e32 v113, v[170:171]
	v_cvt_f32_f64_e32 v114, v[168:169]
	;; [unrolled: 1-line block ×4, first 2 shown]
	v_min3_f32 v8, v8, v9, s12
	v_cvt_f32_f64_e32 v9, v[14:15]
	v_cvt_f32_f64_e32 v10, v[10:11]
	;; [unrolled: 1-line block ×4, first 2 shown]
	v_min3_f32 v114, v113, v114, s12
	v_min3_f32 v113, v44, v45, s12
	ds_read_b128 v[44:47], v158 offset:7184
	v_min3_f32 v221, v9, v10, v112
	s_waitcnt lgkmcnt(3)
	v_add_f64 v[10:11], v[58:59], v[6:7]
	v_add_f64 v[14:15], v[56:57], v[4:5]
	v_min3_f32 v174, v70, v68, s12
	ds_read_b128 v[68:71], v159 offset:17424
	v_cvt_f32_f64_e32 v9, v[14:15]
	v_cvt_f32_f64_e32 v10, v[10:11]
	;; [unrolled: 1-line block ×4, first 2 shown]
	v_min3_f32 v220, v9, v10, v172
	s_waitcnt lgkmcnt(3)
	v_add_f64 v[10:11], v[62:63], v[6:7]
	v_add_f64 v[14:15], v[60:61], v[4:5]
	v_min3_f32 v175, v74, v72, s12
	ds_read_b128 v[72:75], v159 offset:17680
	v_cvt_f32_f64_e32 v9, v[14:15]
	v_cvt_f32_f64_e32 v10, v[10:11]
	;; [unrolled: 1-line block ×6, first 2 shown]
	v_min3_f32 v219, v9, v10, v173
	s_waitcnt lgkmcnt(3)
	v_add_f64 v[10:11], v[66:67], v[6:7]
	v_add_f64 v[14:15], v[64:65], v[4:5]
	v_min3_f32 v176, v78, v76, s12
	ds_read_b128 v[76:79], v159 offset:17936
	v_min3_f32 v177, v82, v80, s12
	ds_read_b128 v[80:83], v159 offset:18192
	v_cvt_f32_f64_e32 v9, v[14:15]
	v_cvt_f32_f64_e32 v10, v[10:11]
	;; [unrolled: 1-line block ×4, first 2 shown]
	v_min3_f32 v218, v9, v10, v174
	s_waitcnt lgkmcnt(3)
	v_add_f64 v[10:11], v[70:71], v[6:7]
	v_add_f64 v[14:15], v[68:69], v[4:5]
	v_min3_f32 v178, v96, v97, s12
	ds_read_b128 v[96:99], v158 offset:1040
	v_cvt_f32_f64_e32 v9, v[14:15]
	v_cvt_f32_f64_e32 v10, v[10:11]
	v_min3_f32 v217, v9, v10, v175
	s_waitcnt lgkmcnt(3)
	v_add_f64 v[10:11], v[74:75], v[6:7]
	v_add_f64 v[14:15], v[72:73], v[4:5]
	v_cvt_f32_f64_e32 v9, v[14:15]
	v_cvt_f32_f64_e32 v10, v[10:11]
	v_min3_f32 v209, v9, v10, v176
	s_waitcnt lgkmcnt(2)
	v_add_f64 v[10:11], v[78:79], v[6:7]
	v_add_f64 v[14:15], v[76:77], v[4:5]
	s_waitcnt lgkmcnt(1)
	v_add_f64 v[6:7], v[82:83], v[6:7]
	v_add_f64 v[4:5], v[80:81], v[4:5]
	v_cvt_f32_f64_e32 v92, v[92:93]
	v_cvt_f32_f64_e32 v93, v[94:95]
	;; [unrolled: 1-line block ×4, first 2 shown]
	v_min3_f32 v154, v92, v93, s12
	ds_read_b128 v[92:95], v158 offset:2064
	v_min3_f32 v207, v4, v5, v178
	s_waitcnt lgkmcnt(1)
	v_add_f64 v[4:5], v[2:3], v[98:99]
	v_add_f64 v[6:7], v[0:1], v[96:97]
	v_cvt_f32_f64_e32 v6, v[6:7]
	v_cvt_f32_f64_e32 v4, v[4:5]
	v_min3_f32 v206, v6, v4, v179
	v_add_f64 v[4:5], v[58:59], v[98:99]
	v_add_f64 v[6:7], v[56:57], v[96:97]
	v_cvt_f32_f64_e32 v6, v[6:7]
	v_cvt_f32_f64_e32 v4, v[4:5]
	v_min3_f32 v205, v6, v4, v180
	;; [unrolled: 5-line block ×8, first 2 shown]
	s_waitcnt lgkmcnt(0)
	v_add_f64 v[4:5], v[2:3], v[94:95]
	v_add_f64 v[6:7], v[0:1], v[92:93]
	v_cvt_f32_f64_e32 v6, v[6:7]
	v_cvt_f32_f64_e32 v4, v[4:5]
	v_min3_f32 v198, v6, v4, v164
	v_add_f64 v[4:5], v[58:59], v[94:95]
	v_add_f64 v[6:7], v[56:57], v[92:93]
	v_cvt_f32_f64_e32 v6, v[6:7]
	v_cvt_f32_f64_e32 v4, v[4:5]
	v_min3_f32 v197, v6, v4, v162
	;; [unrolled: 5-line block ×4, first 2 shown]
	v_add_f64 v[4:5], v[70:71], v[94:95]
	v_add_f64 v[6:7], v[68:69], v[92:93]
	v_cvt_f32_f64_e32 v6, v[6:7]
	v_cvt_f32_f64_e32 v4, v[4:5]
	;; [unrolled: 1-line block ×4, first 2 shown]
	v_min3_f32 v194, v6, v4, v153
	v_add_f64 v[4:5], v[74:75], v[94:95]
	v_add_f64 v[6:7], v[72:73], v[92:93]
	v_min3_f32 v142, v88, v89, s12
	ds_read_b128 v[88:91], v158 offset:3088
	v_cvt_f32_f64_e32 v6, v[6:7]
	v_cvt_f32_f64_e32 v4, v[4:5]
	v_min3_f32 v193, v6, v4, v151
	v_add_f64 v[4:5], v[78:79], v[94:95]
	v_add_f64 v[6:7], v[76:77], v[92:93]
	v_cvt_f32_f64_e32 v6, v[6:7]
	v_cvt_f32_f64_e32 v4, v[4:5]
	v_min3_f32 v192, v6, v4, v149
	v_add_f64 v[4:5], v[82:83], v[94:95]
	v_add_f64 v[6:7], v[80:81], v[92:93]
	v_cvt_f32_f64_e32 v84, v[84:85]
	v_cvt_f32_f64_e32 v85, v[86:87]
	;; [unrolled: 1-line block ×4, first 2 shown]
	v_min3_f32 v134, v84, v85, s12
	ds_read_b128 v[84:87], v158 offset:4112
	v_min3_f32 v191, v6, v4, v142
	s_waitcnt lgkmcnt(1)
	v_add_f64 v[4:5], v[2:3], v[90:91]
	v_add_f64 v[6:7], v[0:1], v[88:89]
	v_cvt_f32_f64_e32 v6, v[6:7]
	v_cvt_f32_f64_e32 v4, v[4:5]
	v_min3_f32 v190, v6, v4, v155
	v_add_f64 v[4:5], v[58:59], v[90:91]
	v_add_f64 v[6:7], v[56:57], v[88:89]
	v_cvt_f32_f64_e32 v6, v[6:7]
	v_cvt_f32_f64_e32 v4, v[4:5]
	v_min3_f32 v189, v6, v4, v152
	;; [unrolled: 5-line block ×8, first 2 shown]
	s_waitcnt lgkmcnt(0)
	v_add_f64 v[4:5], v[2:3], v[86:87]
	v_add_f64 v[6:7], v[0:1], v[84:85]
	v_cvt_f32_f64_e32 v6, v[6:7]
	v_cvt_f32_f64_e32 v4, v[4:5]
	v_min3_f32 v182, v6, v4, v143
	v_add_f64 v[4:5], v[58:59], v[86:87]
	v_add_f64 v[6:7], v[56:57], v[84:85]
	v_cvt_f32_f64_e32 v6, v[6:7]
	v_cvt_f32_f64_e32 v4, v[4:5]
	v_min3_f32 v181, v6, v4, v140
	;; [unrolled: 5-line block ×4, first 2 shown]
	v_add_f64 v[4:5], v[70:71], v[86:87]
	v_add_f64 v[6:7], v[68:69], v[84:85]
	v_cvt_f32_f64_e32 v6, v[6:7]
	v_cvt_f32_f64_e32 v4, v[4:5]
	;; [unrolled: 1-line block ×4, first 2 shown]
	v_min3_f32 v178, v6, v4, v133
	v_add_f64 v[4:5], v[74:75], v[86:87]
	v_add_f64 v[6:7], v[72:73], v[84:85]
	v_min3_f32 v124, v52, v53, s12
	ds_read_b128 v[52:55], v158 offset:5136
	v_cvt_f32_f64_e32 v9, v[14:15]
	v_cvt_f32_f64_e32 v10, v[10:11]
	;; [unrolled: 1-line block ×4, first 2 shown]
	v_min3_f32 v208, v9, v10, v177
	v_min3_f32 v177, v6, v4, v131
	v_add_f64 v[4:5], v[78:79], v[86:87]
	v_add_f64 v[6:7], v[76:77], v[84:85]
	v_cvt_f32_f64_e32 v6, v[6:7]
	v_cvt_f32_f64_e32 v4, v[4:5]
	v_min3_f32 v176, v6, v4, v127
	v_add_f64 v[4:5], v[82:83], v[86:87]
	v_add_f64 v[6:7], v[80:81], v[84:85]
	v_cvt_f32_f64_e32 v48, v[48:49]
	v_cvt_f32_f64_e32 v49, v[50:51]
	;; [unrolled: 1-line block ×4, first 2 shown]
	v_min3_f32 v117, v48, v49, s12
	ds_read_b128 v[48:51], v158 offset:6160
	v_min3_f32 v175, v6, v4, v124
	s_waitcnt lgkmcnt(1)
	v_add_f64 v[4:5], v[2:3], v[54:55]
	v_add_f64 v[6:7], v[0:1], v[52:53]
	v_cvt_f32_f64_e32 v6, v[6:7]
	v_cvt_f32_f64_e32 v4, v[4:5]
	v_min3_f32 v174, v6, v4, v135
	v_add_f64 v[4:5], v[58:59], v[54:55]
	v_add_f64 v[6:7], v[56:57], v[52:53]
	v_cvt_f32_f64_e32 v6, v[6:7]
	v_cvt_f32_f64_e32 v4, v[4:5]
	v_min3_f32 v173, v6, v4, v132
	;; [unrolled: 5-line block ×7, first 2 shown]
	v_add_f64 v[4:5], v[82:83], v[54:55]
	v_add_f64 v[6:7], v[80:81], v[52:53]
	v_add_f64 v[42:43], v[42:43], v[38:39]
	v_add_f64 v[40:41], v[40:41], v[36:37]
	v_cvt_f32_f64_e32 v6, v[6:7]
	v_cvt_f32_f64_e32 v4, v[4:5]
	;; [unrolled: 1-line block ×4, first 2 shown]
	v_min3_f32 v167, v6, v4, v117
	s_waitcnt lgkmcnt(0)
	v_add_f64 v[4:5], v[2:3], v[50:51]
	v_add_f64 v[6:7], v[0:1], v[48:49]
	;; [unrolled: 1-line block ×4, first 2 shown]
	v_min3_f32 v40, v40, v41, s12
	v_add_f64 v[34:35], v[34:35], v[38:39]
	v_add_f64 v[32:33], v[32:33], v[36:37]
	v_cvt_f32_f64_e32 v6, v[6:7]
	v_cvt_f32_f64_e32 v4, v[4:5]
	v_cvt_f32_f64_e32 v0, v[0:1]
	v_cvt_f32_f64_e32 v1, v[2:3]
	v_cvt_f32_f64_e32 v32, v[32:33]
	v_cvt_f32_f64_e32 v33, v[34:35]
	v_min3_f32 v166, v6, v4, v125
	v_add_f64 v[4:5], v[58:59], v[50:51]
	v_add_f64 v[6:7], v[56:57], v[48:49]
	v_min3_f32 v155, v0, v1, v40
	v_add_f64 v[0:1], v[58:59], v[46:47]
	v_add_f64 v[2:3], v[56:57], v[44:45]
	v_min3_f32 v32, v32, v33, s12
	v_add_f64 v[30:31], v[30:31], v[38:39]
	v_add_f64 v[28:29], v[28:29], v[36:37]
	v_cvt_f32_f64_e32 v6, v[6:7]
	v_cvt_f32_f64_e32 v4, v[4:5]
	v_cvt_f32_f64_e32 v2, v[2:3]
	v_cvt_f32_f64_e32 v0, v[0:1]
	v_cvt_f32_f64_e32 v28, v[28:29]
	v_cvt_f32_f64_e32 v29, v[30:31]
	v_min3_f32 v164, v6, v4, v122
	v_add_f64 v[4:5], v[62:63], v[50:51]
	v_add_f64 v[6:7], v[60:61], v[48:49]
	v_min3_f32 v154, v2, v0, v32
	v_add_f64 v[0:1], v[62:63], v[46:47]
	v_add_f64 v[2:3], v[60:61], v[44:45]
	;; [unrolled: 15-line block ×5, first 2 shown]
	v_min3_f32 v16, v16, v17, s12
	v_cvt_f32_f64_e32 v6, v[6:7]
	v_cvt_f32_f64_e32 v4, v[4:5]
	;; [unrolled: 1-line block ×4, first 2 shown]
	v_min3_f32 v160, v6, v4, v115
	v_add_f64 v[4:5], v[78:79], v[50:51]
	v_add_f64 v[6:7], v[76:77], v[48:49]
	v_min3_f32 v150, v2, v0, v16
	v_add_f64 v[0:1], v[78:79], v[46:47]
	v_add_f64 v[2:3], v[76:77], v[44:45]
	v_min3_f32 v12, v12, v13, s12
	v_cvt_f32_f64_e32 v6, v[6:7]
	v_cvt_f32_f64_e32 v4, v[4:5]
	;; [unrolled: 1-line block ×4, first 2 shown]
	v_min3_f32 v157, v6, v4, v114
	v_add_f64 v[4:5], v[82:83], v[50:51]
	v_add_f64 v[6:7], v[80:81], v[48:49]
	v_min3_f32 v149, v2, v0, v12
	v_add_f64 v[0:1], v[82:83], v[46:47]
	v_add_f64 v[2:3], v[80:81], v[44:45]
	v_cvt_f32_f64_e32 v6, v[6:7]
	v_cvt_f32_f64_e32 v4, v[4:5]
	v_cvt_f32_f64_e32 v2, v[2:3]
	v_cvt_f32_f64_e32 v0, v[0:1]
	v_min3_f32 v156, v6, v4, v113
	v_min3_f32 v148, v2, v0, v8
	s_cmp_lt_i32 s22, 9
	ds_write_b64 v111, v[100:101] offset:18432
	ds_write2st64_b64 v165, v[102:103], v[104:105] offset0:16 offset1:20
	ds_write2st64_b64 v165, v[106:107], v[108:109] offset0:24 offset1:28
	s_waitcnt lgkmcnt(0)
	s_barrier
	s_cbranch_scc1 .LBB126_57
; %bb.31:
	v_mov_b32_e32 v0, 0x4800
	v_lshl_add_u32 v214, v144, 5, v0
	v_mov_b32_e32 v0, 0x2000
	v_and_b32_e32 v2, 3, v144
	v_lshl_add_u32 v215, v145, 5, v0
	v_mad_i64_i32 v[0:1], s[12:13], s37, v110, 0
	v_lshlrev_b32_e32 v2, 3, v2
	v_mov_b32_e32 v3, 0
	v_lshl_add_u64 v[0:1], v[0:1], 3, v[2:3]
	v_lshl_add_u64 v[0:1], s[34:35], 0, v[0:1]
	s_mov_b64 s[12:13], 0x60
	v_add_u32_e32 v210, 0x4000, v111
	v_add_u32_e32 v211, 0x4000, v159
	;; [unrolled: 1-line block ×4, first 2 shown]
	s_add_i32 s38, s22, -8
	s_add_i32 s39, s22, -1
	v_lshl_add_u64 v[130:131], v[0:1], 0, s[12:13]
	s_mov_b32 s37, 0
	v_mov_b32_e32 v216, 0x7fefffff
	s_branch .LBB126_33
.LBB126_32:                             ;   in Loop: Header=BB126_33 Depth=1
	s_or_b64 exec, exec, s[12:13]
	v_add_f64 v[142:143], v[98:99], v[126:127]
	v_add_f64 v[222:223], v[96:97], v[124:125]
	v_cvt_f32_f64_e32 v222, v[222:223]
	v_cvt_f32_f64_e32 v142, v[142:143]
	v_min3_f32 v224, v222, v142, v221
	v_add_f64 v[142:143], v[94:95], v[126:127]
	v_add_f64 v[222:223], v[92:93], v[124:125]
	v_cvt_f32_f64_e32 v221, v[222:223]
	v_cvt_f32_f64_e32 v142, v[142:143]
	v_min3_f32 v222, v221, v142, v220
	;; [unrolled: 5-line block ×6, first 2 shown]
	v_add_f64 v[142:143], v[70:71], v[126:127]
	v_add_f64 v[218:219], v[68:69], v[124:125]
	;; [unrolled: 1-line block ×4, first 2 shown]
	v_cvt_f32_f64_e32 v124, v[124:125]
	v_cvt_f32_f64_e32 v125, v[126:127]
	v_cvt_f32_f64_e32 v142, v[142:143]
	v_min3_f32 v143, v124, v125, v207
	v_add_f64 v[124:125], v[98:99], v[122:123]
	v_add_f64 v[126:127], v[96:97], v[120:121]
	v_cvt_f32_f64_e32 v126, v[126:127]
	v_cvt_f32_f64_e32 v124, v[124:125]
	v_min3_f32 v206, v126, v124, v206
	v_add_f64 v[124:125], v[94:95], v[122:123]
	v_add_f64 v[126:127], v[92:93], v[120:121]
	v_cvt_f32_f64_e32 v126, v[126:127]
	v_cvt_f32_f64_e32 v124, v[124:125]
	;; [unrolled: 5-line block ×6, first 2 shown]
	v_min3_f32 v201, v126, v124, v201
	v_add_f64 v[124:125], v[70:71], v[122:123]
	v_add_f64 v[126:127], v[68:69], v[120:121]
	;; [unrolled: 1-line block ×4, first 2 shown]
	v_cvt_f32_f64_e32 v120, v[120:121]
	v_cvt_f32_f64_e32 v121, v[122:123]
	;; [unrolled: 1-line block ×3, first 2 shown]
	v_min3_f32 v125, v120, v121, v199
	v_add_f64 v[120:121], v[98:99], v[118:119]
	v_add_f64 v[122:123], v[96:97], v[116:117]
	v_cvt_f32_f64_e32 v126, v[126:127]
	v_cvt_f32_f64_e32 v122, v[122:123]
	;; [unrolled: 1-line block ×3, first 2 shown]
	v_min3_f32 v124, v126, v124, v200
	v_min3_f32 v126, v122, v120, v198
	v_add_f64 v[120:121], v[94:95], v[118:119]
	v_add_f64 v[122:123], v[92:93], v[116:117]
	v_cvt_f32_f64_e32 v122, v[122:123]
	v_cvt_f32_f64_e32 v120, v[120:121]
	v_min3_f32 v127, v122, v120, v197
	v_add_f64 v[120:121], v[90:91], v[118:119]
	v_add_f64 v[122:123], v[88:89], v[116:117]
	v_cvt_f32_f64_e32 v122, v[122:123]
	v_cvt_f32_f64_e32 v120, v[120:121]
	;; [unrolled: 5-line block ×5, first 2 shown]
	v_min3_f32 v193, v122, v120, v193
	v_add_f64 v[120:121], v[70:71], v[118:119]
	v_add_f64 v[122:123], v[68:69], v[116:117]
	;; [unrolled: 1-line block ×4, first 2 shown]
	v_cvt_f32_f64_e32 v116, v[116:117]
	v_cvt_f32_f64_e32 v117, v[118:119]
	;; [unrolled: 1-line block ×3, first 2 shown]
	v_min3_f32 v121, v116, v117, v191
	v_add_f64 v[116:117], v[98:99], v[114:115]
	v_add_f64 v[118:119], v[96:97], v[112:113]
	v_cvt_f32_f64_e32 v122, v[122:123]
	v_cvt_f32_f64_e32 v118, v[118:119]
	;; [unrolled: 1-line block ×3, first 2 shown]
	v_min3_f32 v120, v122, v120, v192
	v_min3_f32 v122, v118, v116, v190
	v_add_f64 v[116:117], v[94:95], v[114:115]
	v_add_f64 v[118:119], v[92:93], v[112:113]
	v_cvt_f32_f64_e32 v118, v[118:119]
	v_cvt_f32_f64_e32 v116, v[116:117]
	v_min3_f32 v123, v118, v116, v189
	v_add_f64 v[116:117], v[90:91], v[114:115]
	v_add_f64 v[118:119], v[88:89], v[112:113]
	v_cvt_f32_f64_e32 v118, v[118:119]
	v_cvt_f32_f64_e32 v116, v[116:117]
	v_min3_f32 v188, v118, v116, v188
	v_add_f64 v[116:117], v[82:83], v[114:115]
	v_add_f64 v[118:119], v[80:81], v[112:113]
	v_cvt_f32_f64_e32 v118, v[118:119]
	v_cvt_f32_f64_e32 v116, v[116:117]
	v_min3_f32 v187, v118, v116, v187
	v_add_f64 v[116:117], v[78:79], v[114:115]
	v_add_f64 v[118:119], v[76:77], v[112:113]
	v_cvt_f32_f64_e32 v118, v[118:119]
	v_cvt_f32_f64_e32 v116, v[116:117]
	v_min3_f32 v186, v118, v116, v186
	v_add_f64 v[116:117], v[74:75], v[114:115]
	v_add_f64 v[118:119], v[72:73], v[112:113]
	v_cvt_f32_f64_e32 v118, v[118:119]
	v_cvt_f32_f64_e32 v116, v[116:117]
	v_min3_f32 v185, v118, v116, v185
	v_add_f64 v[116:117], v[70:71], v[114:115]
	v_add_f64 v[118:119], v[68:69], v[112:113]
	v_add_f64 v[114:115], v[66:67], v[114:115]
	v_add_f64 v[112:113], v[64:65], v[112:113]
	v_cvt_f32_f64_e32 v112, v[112:113]
	v_cvt_f32_f64_e32 v113, v[114:115]
	v_min3_f32 v183, v112, v113, v183
	v_add_f64 v[112:113], v[98:99], v[110:111]
	v_add_f64 v[114:115], v[96:97], v[108:109]
	v_cvt_f32_f64_e32 v114, v[114:115]
	v_cvt_f32_f64_e32 v112, v[112:113]
	v_min3_f32 v182, v114, v112, v182
	v_add_f64 v[112:113], v[94:95], v[110:111]
	v_add_f64 v[114:115], v[92:93], v[108:109]
	v_cvt_f32_f64_e32 v114, v[114:115]
	v_cvt_f32_f64_e32 v112, v[112:113]
	v_min3_f32 v181, v114, v112, v181
	v_add_f64 v[112:113], v[90:91], v[110:111]
	v_add_f64 v[114:115], v[88:89], v[108:109]
	v_cvt_f32_f64_e32 v114, v[114:115]
	v_cvt_f32_f64_e32 v112, v[112:113]
	v_min3_f32 v180, v114, v112, v180
	v_add_f64 v[112:113], v[82:83], v[110:111]
	v_add_f64 v[114:115], v[80:81], v[108:109]
	v_cvt_f32_f64_e32 v114, v[114:115]
	v_cvt_f32_f64_e32 v112, v[112:113]
	v_min3_f32 v179, v114, v112, v179
	v_add_f64 v[112:113], v[78:79], v[110:111]
	v_add_f64 v[114:115], v[76:77], v[108:109]
	v_cvt_f32_f64_e32 v114, v[114:115]
	v_cvt_f32_f64_e32 v112, v[112:113]
	v_min3_f32 v178, v114, v112, v178
	v_add_f64 v[112:113], v[74:75], v[110:111]
	v_add_f64 v[114:115], v[72:73], v[108:109]
	v_cvt_f32_f64_e32 v114, v[114:115]
	v_cvt_f32_f64_e32 v112, v[112:113]
	v_min3_f32 v177, v114, v112, v177
	v_add_f64 v[112:113], v[70:71], v[110:111]
	v_add_f64 v[114:115], v[68:69], v[108:109]
	v_add_f64 v[110:111], v[66:67], v[110:111]
	v_add_f64 v[108:109], v[64:65], v[108:109]
	v_cvt_f32_f64_e32 v108, v[108:109]
	v_cvt_f32_f64_e32 v109, v[110:111]
	v_min3_f32 v175, v108, v109, v175
	v_add_f64 v[108:109], v[98:99], v[106:107]
	v_add_f64 v[110:111], v[96:97], v[104:105]
	v_cvt_f32_f64_e32 v110, v[110:111]
	v_cvt_f32_f64_e32 v108, v[108:109]
	;; [unrolled: 37-line block ×3, first 2 shown]
	v_min3_f32 v166, v106, v104, v166
	v_add_f64 v[104:105], v[94:95], v[102:103]
	v_add_f64 v[106:107], v[92:93], v[100:101]
	v_cvt_f32_f64_e32 v106, v[106:107]
	v_cvt_f32_f64_e32 v104, v[104:105]
	v_min3_f32 v164, v106, v104, v164
	v_add_f64 v[104:105], v[90:91], v[102:103]
	v_add_f64 v[106:107], v[88:89], v[100:101]
	v_cvt_f32_f64_e32 v106, v[106:107]
	v_cvt_f32_f64_e32 v104, v[104:105]
	;; [unrolled: 5-line block ×5, first 2 shown]
	v_min3_f32 v191, v106, v104, v160
	v_add_f64 v[104:105], v[70:71], v[102:103]
	v_add_f64 v[106:107], v[68:69], v[100:101]
	;; [unrolled: 1-line block ×8, first 2 shown]
	v_cvt_f32_f64_e32 v76, v[76:77]
	v_cvt_f32_f64_e32 v77, v[78:79]
	;; [unrolled: 1-line block ×4, first 2 shown]
	v_min3_f32 v76, v76, v77, v151
	v_min3_f32 v77, v64, v65, v148
	v_add_f64 v[64:65], v[34:35], v[62:63]
	v_add_f64 v[66:67], v[32:33], v[60:61]
	v_cvt_f32_f64_e32 v66, v[66:67]
	v_cvt_f32_f64_e32 v64, v[64:65]
	v_add_f64 v[70:71], v[70:71], v[86:87]
	v_add_f64 v[68:69], v[68:69], v[84:85]
	v_min3_f32 v198, v66, v64, v224
	v_add_f64 v[64:65], v[30:31], v[62:63]
	v_add_f64 v[66:67], v[28:29], v[60:61]
	;; [unrolled: 1-line block ×4, first 2 shown]
	v_cvt_f32_f64_e32 v68, v[68:69]
	v_cvt_f32_f64_e32 v69, v[70:71]
	;; [unrolled: 1-line block ×6, first 2 shown]
	v_min3_f32 v75, v68, v69, v149
	v_min3_f32 v64, v66, v64, v222
	v_add_f64 v[66:67], v[26:27], v[62:63]
	v_add_f64 v[68:69], v[24:25], v[60:61]
	v_cvt_f32_f64_e32 v65, v[68:69]
	v_cvt_f32_f64_e32 v66, v[66:67]
	v_min3_f32 v65, v65, v66, v223
	v_add_f64 v[66:67], v[18:19], v[62:63]
	v_add_f64 v[68:69], v[16:17], v[60:61]
	v_cvt_f32_f64_e32 v68, v[68:69]
	v_cvt_f32_f64_e32 v66, v[66:67]
	;; [unrolled: 5-line block ×4, first 2 shown]
	v_min3_f32 v74, v72, v73, v150
	v_min3_f32 v68, v70, v68, v209
	v_add_f64 v[70:71], v[6:7], v[62:63]
	v_add_f64 v[72:73], v[4:5], v[60:61]
	v_add_f64 v[62:63], v[2:3], v[62:63]
	v_add_f64 v[60:61], v[0:1], v[60:61]
	v_cvt_f32_f64_e32 v100, v[100:101]
	v_cvt_f32_f64_e32 v101, v[102:103]
	v_cvt_f32_f64_e32 v60, v[60:61]
	v_cvt_f32_f64_e32 v61, v[62:63]
	v_min3_f32 v197, v100, v101, v156
	v_min3_f32 v100, v60, v61, v143
	v_add_f64 v[60:61], v[34:35], v[58:59]
	v_add_f64 v[62:63], v[32:33], v[56:57]
	v_cvt_f32_f64_e32 v62, v[62:63]
	v_cvt_f32_f64_e32 v60, v[60:61]
	v_min3_f32 v101, v62, v60, v206
	v_add_f64 v[60:61], v[30:31], v[58:59]
	v_add_f64 v[62:63], v[28:29], v[56:57]
	v_cvt_f32_f64_e32 v62, v[62:63]
	v_cvt_f32_f64_e32 v60, v[60:61]
	v_min3_f32 v102, v62, v60, v205
	v_add_f64 v[60:61], v[26:27], v[58:59]
	v_add_f64 v[62:63], v[24:25], v[56:57]
	v_cvt_f32_f64_e32 v62, v[62:63]
	v_cvt_f32_f64_e32 v60, v[60:61]
	v_min3_f32 v103, v62, v60, v204
	v_add_f64 v[60:61], v[18:19], v[58:59]
	v_add_f64 v[62:63], v[16:17], v[56:57]
	v_cvt_f32_f64_e32 v106, v[106:107]
	v_cvt_f32_f64_e32 v104, v[104:105]
	v_cvt_f32_f64_e32 v62, v[62:63]
	v_cvt_f32_f64_e32 v60, v[60:61]
	v_min3_f32 v192, v106, v104, v157
	v_min3_f32 v104, v62, v60, v203
	v_add_f64 v[60:61], v[14:15], v[58:59]
	v_add_f64 v[62:63], v[12:13], v[56:57]
	v_cvt_f32_f64_e32 v62, v[62:63]
	v_cvt_f32_f64_e32 v60, v[60:61]
	v_min3_f32 v105, v62, v60, v202
	v_add_f64 v[60:61], v[10:11], v[58:59]
	v_add_f64 v[62:63], v[8:9], v[56:57]
	v_cvt_f32_f64_e32 v62, v[62:63]
	v_cvt_f32_f64_e32 v60, v[60:61]
	v_min3_f32 v106, v62, v60, v201
	v_add_f64 v[60:61], v[6:7], v[58:59]
	v_add_f64 v[62:63], v[4:5], v[56:57]
	v_add_f64 v[58:59], v[2:3], v[58:59]
	v_add_f64 v[56:57], v[0:1], v[56:57]
	v_cvt_f32_f64_e32 v110, v[110:111]
	v_cvt_f32_f64_e32 v108, v[108:109]
	v_cvt_f32_f64_e32 v56, v[56:57]
	v_cvt_f32_f64_e32 v57, v[58:59]
	v_min3_f32 v168, v110, v108, v168
	v_min3_f32 v108, v56, v57, v125
	v_add_f64 v[56:57], v[34:35], v[54:55]
	v_add_f64 v[58:59], v[32:33], v[52:53]
	v_cvt_f32_f64_e32 v58, v[58:59]
	v_cvt_f32_f64_e32 v56, v[56:57]
	v_min3_f32 v109, v58, v56, v126
	v_add_f64 v[56:57], v[30:31], v[54:55]
	v_add_f64 v[58:59], v[28:29], v[52:53]
	v_cvt_f32_f64_e32 v58, v[58:59]
	v_cvt_f32_f64_e32 v56, v[56:57]
	v_min3_f32 v110, v58, v56, v127
	v_add_f64 v[56:57], v[26:27], v[54:55]
	v_add_f64 v[58:59], v[24:25], v[52:53]
	v_cvt_f32_f64_e32 v58, v[58:59]
	v_cvt_f32_f64_e32 v56, v[56:57]
	v_min3_f32 v111, v58, v56, v196
	v_add_f64 v[56:57], v[18:19], v[54:55]
	v_add_f64 v[58:59], v[16:17], v[52:53]
	v_cvt_f32_f64_e32 v114, v[114:115]
	v_cvt_f32_f64_e32 v112, v[112:113]
	v_cvt_f32_f64_e32 v58, v[58:59]
	v_cvt_f32_f64_e32 v56, v[56:57]
	v_min3_f32 v176, v114, v112, v176
	v_min3_f32 v112, v58, v56, v195
	v_add_f64 v[56:57], v[14:15], v[54:55]
	v_add_f64 v[58:59], v[12:13], v[52:53]
	v_cvt_f32_f64_e32 v58, v[58:59]
	v_cvt_f32_f64_e32 v56, v[56:57]
	v_min3_f32 v113, v58, v56, v194
	v_add_f64 v[56:57], v[10:11], v[54:55]
	v_add_f64 v[58:59], v[8:9], v[52:53]
	v_cvt_f32_f64_e32 v58, v[58:59]
	v_cvt_f32_f64_e32 v56, v[56:57]
	;; [unrolled: 43-line block ×3, first 2 shown]
	v_min3_f32 v122, v54, v52, v185
	v_add_f64 v[52:53], v[6:7], v[50:51]
	v_add_f64 v[54:55], v[4:5], v[48:49]
	;; [unrolled: 1-line block ×4, first 2 shown]
	v_cvt_f32_f64_e32 v62, v[62:63]
	v_cvt_f32_f64_e32 v60, v[60:61]
	;; [unrolled: 1-line block ×4, first 2 shown]
	v_min3_f32 v107, v62, v60, v124
	v_min3_f32 v124, v48, v49, v183
	v_add_f64 v[48:49], v[34:35], v[46:47]
	v_add_f64 v[50:51], v[32:33], v[44:45]
	v_cvt_f32_f64_e32 v50, v[50:51]
	v_cvt_f32_f64_e32 v48, v[48:49]
	v_min3_f32 v125, v50, v48, v182
	v_add_f64 v[48:49], v[30:31], v[46:47]
	v_add_f64 v[50:51], v[28:29], v[44:45]
	v_cvt_f32_f64_e32 v50, v[50:51]
	v_cvt_f32_f64_e32 v48, v[48:49]
	;; [unrolled: 5-line block ×3, first 2 shown]
	v_cvt_f32_f64_e32 v218, v[218:219]
	v_min3_f32 v127, v50, v48, v180
	v_add_f64 v[48:49], v[18:19], v[46:47]
	v_add_f64 v[50:51], v[16:17], v[44:45]
	v_min3_f32 v142, v218, v142, v208
	v_cvt_f32_f64_e32 v69, v[72:73]
	v_cvt_f32_f64_e32 v70, v[70:71]
	;; [unrolled: 1-line block ×4, first 2 shown]
	v_min3_f32 v69, v69, v70, v142
	v_min3_f32 v142, v50, v48, v179
	v_add_f64 v[48:49], v[14:15], v[46:47]
	v_add_f64 v[50:51], v[12:13], v[44:45]
	v_cvt_f32_f64_e32 v50, v[50:51]
	v_cvt_f32_f64_e32 v48, v[48:49]
	v_min3_f32 v143, v50, v48, v178
	v_add_f64 v[48:49], v[10:11], v[46:47]
	v_add_f64 v[50:51], v[8:9], v[44:45]
	v_cvt_f32_f64_e32 v50, v[50:51]
	v_cvt_f32_f64_e32 v48, v[48:49]
	v_min3_f32 v148, v50, v48, v177
	v_add_f64 v[48:49], v[6:7], v[46:47]
	v_add_f64 v[50:51], v[4:5], v[44:45]
	;; [unrolled: 1-line block ×4, first 2 shown]
	v_cvt_f32_f64_e32 v44, v[44:45]
	v_cvt_f32_f64_e32 v45, v[46:47]
	v_min3_f32 v150, v44, v45, v175
	v_add_f64 v[44:45], v[34:35], v[42:43]
	v_add_f64 v[46:47], v[32:33], v[40:41]
	v_cvt_f32_f64_e32 v46, v[46:47]
	v_cvt_f32_f64_e32 v44, v[44:45]
	v_add_f64 v[82:83], v[82:83], v[86:87]
	v_add_f64 v[80:81], v[80:81], v[84:85]
	v_min3_f32 v151, v46, v44, v174
	v_add_f64 v[44:45], v[30:31], v[42:43]
	v_add_f64 v[46:47], v[28:29], v[40:41]
	v_cvt_f32_f64_e32 v80, v[80:81]
	v_cvt_f32_f64_e32 v81, v[82:83]
	v_cvt_f32_f64_e32 v46, v[46:47]
	v_cvt_f32_f64_e32 v44, v[44:45]
	v_add_f64 v[90:91], v[90:91], v[86:87]
	v_add_f64 v[88:89], v[88:89], v[84:85]
	v_min3_f32 v80, v80, v81, v152
	v_min3_f32 v152, v46, v44, v173
	v_add_f64 v[44:45], v[26:27], v[42:43]
	v_add_f64 v[46:47], v[24:25], v[40:41]
	v_cvt_f32_f64_e32 v88, v[88:89]
	v_cvt_f32_f64_e32 v89, v[90:91]
	v_cvt_f32_f64_e32 v46, v[46:47]
	v_cvt_f32_f64_e32 v44, v[44:45]
	v_add_f64 v[94:95], v[94:95], v[86:87]
	v_add_f64 v[92:93], v[92:93], v[84:85]
	v_min3_f32 v88, v88, v89, v153
	;; [unrolled: 10-line block ×3, first 2 shown]
	v_min3_f32 v154, v46, v44, v171
	v_add_f64 v[44:45], v[14:15], v[42:43]
	v_add_f64 v[46:47], v[12:13], v[40:41]
	v_cvt_f32_f64_e32 v96, v[96:97]
	v_cvt_f32_f64_e32 v97, v[98:99]
	;; [unrolled: 1-line block ×4, first 2 shown]
	v_min3_f32 v96, v96, v97, v155
	v_min3_f32 v155, v46, v44, v170
	v_add_f64 v[44:45], v[10:11], v[42:43]
	v_add_f64 v[46:47], v[8:9], v[40:41]
	v_cvt_f32_f64_e32 v46, v[46:47]
	v_cvt_f32_f64_e32 v44, v[44:45]
	v_min3_f32 v156, v46, v44, v169
	v_add_f64 v[44:45], v[6:7], v[42:43]
	v_add_f64 v[46:47], v[4:5], v[40:41]
	v_add_f64 v[42:43], v[2:3], v[42:43]
	v_add_f64 v[40:41], v[0:1], v[40:41]
	v_cvt_f32_f64_e32 v40, v[40:41]
	v_cvt_f32_f64_e32 v41, v[42:43]
	v_min3_f32 v160, v40, v41, v167
	v_add_f64 v[40:41], v[34:35], v[38:39]
	v_add_f64 v[42:43], v[32:33], v[36:37]
	v_cvt_f32_f64_e32 v42, v[42:43]
	v_cvt_f32_f64_e32 v40, v[40:41]
	v_min3_f32 v161, v42, v40, v166
	v_add_f64 v[40:41], v[30:31], v[38:39]
	v_add_f64 v[42:43], v[28:29], v[36:37]
	;; [unrolled: 5-line block ×7, first 2 shown]
	v_add_f64 v[38:39], v[2:3], v[38:39]
	v_add_f64 v[36:37], v[0:1], v[36:37]
	;; [unrolled: 1-line block ×18, first 2 shown]
	v_cvt_f32_f64_e32 v54, v[54:55]
	v_cvt_f32_f64_e32 v52, v[52:53]
	;; [unrolled: 1-line block ×24, first 2 shown]
	v_min3_f32 v123, v54, v52, v184
	v_min3_f32 v149, v50, v48, v176
	;; [unrolled: 1-line block ×12, first 2 shown]
	ds_read_b128 v[36:39], v211 offset:256
	ds_read_b128 v[32:35], v211 offset:512
	ds_read_b128 v[28:31], v211 offset:768
	ds_read_b128 v[20:23], v211 offset:1024
	ds_read_b128 v[16:19], v211 offset:1280
	ds_read_b128 v[12:15], v211 offset:1536
	ds_read_b128 v[8:11], v211 offset:1792
	ds_read_b128 v[92:95], v158 offset:1024
	ds_read_b128 v[88:91], v158 offset:2048
	ds_read_b128 v[84:87], v158 offset:3072
	ds_read_b128 v[80:83], v158 offset:4096
	ds_read_b128 v[76:79], v158 offset:5120
	ds_read_b128 v[96:99], v158
	ds_read_b128 v[48:51], v211
	ds_read_b128 v[72:75], v158 offset:6144
	ds_read_b128 v[24:27], v158 offset:7168
	;; [unrolled: 1-line block ×4, first 2 shown]
	s_waitcnt lgkmcnt(5)
	v_add_f64 v[44:45], v[38:39], v[98:99]
	v_add_f64 v[46:47], v[36:37], v[96:97]
	;; [unrolled: 1-line block ×8, first 2 shown]
	v_cvt_f32_f64_e32 v46, v[46:47]
	v_cvt_f32_f64_e32 v44, v[44:45]
	;; [unrolled: 1-line block ×10, first 2 shown]
	v_min3_f32 v179, v46, v44, v64
	v_min3_f32 v184, v54, v52, v65
	;; [unrolled: 1-line block ×4, first 2 shown]
	v_add_f64 v[64:65], v[18:19], v[98:99]
	v_add_f64 v[66:67], v[16:17], v[96:97]
	v_min3_f32 v168, v42, v40, v192
	s_waitcnt lgkmcnt(4)
	v_add_f64 v[40:41], v[50:51], v[98:99]
	v_add_f64 v[42:43], v[48:49], v[96:97]
	v_cvt_f32_f64_e32 v66, v[66:67]
	v_cvt_f32_f64_e32 v64, v[64:65]
	v_add_f64 v[70:71], v[14:15], v[98:99]
	v_add_f64 v[180:181], v[12:13], v[96:97]
	;; [unrolled: 1-line block ×4, first 2 shown]
	v_min3_f32 v187, v66, v64, v68
	v_cvt_f32_f64_e32 v68, v[180:181]
	v_cvt_f32_f64_e32 v96, v[96:97]
	;; [unrolled: 1-line block ×3, first 2 shown]
	v_add_f64 v[180:181], v[50:51], v[94:95]
	v_add_f64 v[182:183], v[48:49], v[92:93]
	v_min3_f32 v189, v96, v97, v100
	v_cvt_f32_f64_e32 v100, v[182:183]
	v_cvt_f32_f64_e32 v180, v[180:181]
	v_min3_f32 v182, v100, v180, v101
	v_add_f64 v[100:101], v[38:39], v[94:95]
	v_add_f64 v[180:181], v[36:37], v[92:93]
	v_cvt_f32_f64_e32 v180, v[180:181]
	v_cvt_f32_f64_e32 v100, v[100:101]
	v_min3_f32 v183, v180, v100, v102
	v_add_f64 v[100:101], v[34:35], v[94:95]
	v_add_f64 v[180:181], v[32:33], v[92:93]
	;; [unrolled: 5-line block ×34, first 2 shown]
	v_cvt_f32_f64_e32 v102, v[102:103]
	v_cvt_f32_f64_e32 v100, v[100:101]
	v_min3_f32 v157, v102, v100, v157
	s_waitcnt lgkmcnt(3)
	v_add_f64 v[100:101], v[50:51], v[74:75]
	v_add_f64 v[102:103], v[48:49], v[72:73]
	v_cvt_f32_f64_e32 v102, v[102:103]
	v_cvt_f32_f64_e32 v100, v[100:101]
	v_min3_f32 v161, v102, v100, v161
	v_add_f64 v[100:101], v[38:39], v[74:75]
	v_add_f64 v[102:103], v[36:37], v[72:73]
	v_cvt_f32_f64_e32 v102, v[102:103]
	v_cvt_f32_f64_e32 v100, v[100:101]
	v_min3_f32 v162, v102, v100, v162
	;; [unrolled: 5-line block ×4, first 2 shown]
	v_add_f64 v[100:101], v[22:23], v[74:75]
	v_add_f64 v[102:103], v[20:21], v[72:73]
	v_cvt_f32_f64_e32 v102, v[102:103]
	v_cvt_f32_f64_e32 v100, v[100:101]
	;; [unrolled: 1-line block ×4, first 2 shown]
	v_min3_f32 v223, v102, v100, v166
	v_add_f64 v[100:101], v[18:19], v[74:75]
	v_add_f64 v[102:103], v[16:17], v[72:73]
	v_min3_f32 v178, v42, v40, v198
	ds_read_b128 v[40:43], v211 offset:272
	v_cvt_f32_f64_e32 v102, v[102:103]
	v_cvt_f32_f64_e32 v100, v[100:101]
	v_add_f64 v[94:95], v[10:11], v[94:95]
	v_add_f64 v[92:93], v[8:9], v[92:93]
	v_add_f64 v[90:91], v[10:11], v[90:91]
	v_add_f64 v[88:89], v[8:9], v[88:89]
	v_add_f64 v[86:87], v[10:11], v[86:87]
	v_add_f64 v[84:85], v[8:9], v[84:85]
	v_add_f64 v[82:83], v[10:11], v[82:83]
	v_add_f64 v[80:81], v[8:9], v[80:81]
	v_add_f64 v[78:79], v[10:11], v[78:79]
	v_add_f64 v[76:77], v[8:9], v[76:77]
	v_min3_f32 v224, v102, v100, v167
	v_add_f64 v[100:101], v[14:15], v[74:75]
	v_add_f64 v[102:103], v[12:13], v[72:73]
	v_add_f64 v[74:75], v[10:11], v[74:75]
	v_add_f64 v[72:73], v[8:9], v[72:73]
	s_waitcnt lgkmcnt(3)
	v_add_f64 v[14:15], v[14:15], v[26:27]
	v_add_f64 v[12:13], v[12:13], v[24:25]
	;; [unrolled: 1-line block ×4, first 2 shown]
	ds_read_b128 v[44:47], v211 offset:528
	ds_read_b128 v[52:55], v211 offset:784
	v_cvt_f32_f64_e32 v12, v[12:13]
	v_cvt_f32_f64_e32 v13, v[14:15]
	v_cvt_f32_f64_e32 v8, v[8:9]
	v_cvt_f32_f64_e32 v9, v[10:11]
	v_min3_f32 v12, v12, v13, v176
	v_min3_f32 v13, v8, v9, v177
	s_waitcnt lgkmcnt(3)
	v_add_f64 v[8:9], v[2:3], v[6:7]
	v_add_f64 v[10:11], v[0:1], v[4:5]
	v_cvt_f32_f64_e32 v72, v[72:73]
	v_cvt_f32_f64_e32 v73, v[74:75]
	;; [unrolled: 1-line block ×5, first 2 shown]
	v_min3_f32 v101, v72, v73, v169
	ds_read_b128 v[72:75], v158 offset:7184
	v_min3_f32 v221, v10, v8, v178
	s_waitcnt lgkmcnt(3)
	v_add_f64 v[8:9], v[42:43], v[6:7]
	v_add_f64 v[10:11], v[40:41], v[4:5]
	ds_read_b128 v[56:59], v211 offset:1040
	ds_read_b128 v[60:63], v211 offset:1296
	v_cvt_f32_f64_e32 v10, v[10:11]
	v_cvt_f32_f64_e32 v8, v[8:9]
	v_min3_f32 v220, v10, v8, v179
	s_waitcnt lgkmcnt(4)
	v_add_f64 v[8:9], v[46:47], v[6:7]
	v_add_f64 v[10:11], v[44:45], v[4:5]
	v_cvt_f32_f64_e32 v10, v[10:11]
	v_cvt_f32_f64_e32 v8, v[8:9]
	;; [unrolled: 1-line block ×3, first 2 shown]
	v_min3_f32 v219, v10, v8, v184
	s_waitcnt lgkmcnt(3)
	v_add_f64 v[8:9], v[54:55], v[6:7]
	v_add_f64 v[10:11], v[52:53], v[4:5]
	ds_read_b128 v[64:67], v211 offset:1552
	v_min3_f32 v188, v68, v70, v69
	ds_read_b128 v[68:71], v211 offset:1808
	v_cvt_f32_f64_e32 v10, v[10:11]
	v_cvt_f32_f64_e32 v8, v[8:9]
	v_min3_f32 v218, v10, v8, v185
	s_waitcnt lgkmcnt(3)
	v_add_f64 v[8:9], v[58:59], v[6:7]
	v_add_f64 v[10:11], v[56:57], v[4:5]
	ds_read_b128 v[96:99], v158 offset:1040
	v_cvt_f32_f64_e32 v10, v[10:11]
	v_cvt_f32_f64_e32 v8, v[8:9]
	v_min3_f32 v217, v10, v8, v186
	s_waitcnt lgkmcnt(3)
	v_add_f64 v[8:9], v[62:63], v[6:7]
	v_add_f64 v[10:11], v[60:61], v[4:5]
	v_cvt_f32_f64_e32 v10, v[10:11]
	v_cvt_f32_f64_e32 v8, v[8:9]
	v_min3_f32 v209, v10, v8, v187
	s_waitcnt lgkmcnt(2)
	v_add_f64 v[8:9], v[66:67], v[6:7]
	v_add_f64 v[10:11], v[64:65], v[4:5]
	s_waitcnt lgkmcnt(1)
	v_add_f64 v[6:7], v[70:71], v[6:7]
	v_add_f64 v[4:5], v[68:69], v[4:5]
	v_cvt_f32_f64_e32 v92, v[92:93]
	v_cvt_f32_f64_e32 v93, v[94:95]
	;; [unrolled: 1-line block ×4, first 2 shown]
	v_min3_f32 v108, v92, v93, v108
	ds_read_b128 v[92:95], v158 offset:2064
	v_min3_f32 v207, v4, v5, v189
	s_waitcnt lgkmcnt(1)
	v_add_f64 v[4:5], v[2:3], v[98:99]
	v_add_f64 v[6:7], v[0:1], v[96:97]
	v_cvt_f32_f64_e32 v6, v[6:7]
	v_cvt_f32_f64_e32 v4, v[4:5]
	v_min3_f32 v206, v6, v4, v182
	v_add_f64 v[4:5], v[42:43], v[98:99]
	v_add_f64 v[6:7], v[40:41], v[96:97]
	v_cvt_f32_f64_e32 v6, v[6:7]
	v_cvt_f32_f64_e32 v4, v[4:5]
	v_min3_f32 v205, v6, v4, v183
	;; [unrolled: 5-line block ×8, first 2 shown]
	s_waitcnt lgkmcnt(0)
	v_add_f64 v[4:5], v[2:3], v[94:95]
	v_add_f64 v[6:7], v[0:1], v[92:93]
	v_cvt_f32_f64_e32 v6, v[6:7]
	v_cvt_f32_f64_e32 v4, v[4:5]
	v_min3_f32 v198, v6, v4, v109
	v_add_f64 v[4:5], v[42:43], v[94:95]
	v_add_f64 v[6:7], v[40:41], v[92:93]
	v_cvt_f32_f64_e32 v6, v[6:7]
	v_cvt_f32_f64_e32 v4, v[4:5]
	v_min3_f32 v197, v6, v4, v110
	;; [unrolled: 5-line block ×4, first 2 shown]
	v_add_f64 v[4:5], v[58:59], v[94:95]
	v_add_f64 v[6:7], v[56:57], v[92:93]
	v_cvt_f32_f64_e32 v6, v[6:7]
	v_cvt_f32_f64_e32 v4, v[4:5]
	;; [unrolled: 1-line block ×4, first 2 shown]
	v_min3_f32 v194, v6, v4, v113
	v_add_f64 v[4:5], v[62:63], v[94:95]
	v_add_f64 v[6:7], v[60:61], v[92:93]
	v_min3_f32 v116, v88, v89, v116
	ds_read_b128 v[88:91], v158 offset:3088
	v_cvt_f32_f64_e32 v6, v[6:7]
	v_cvt_f32_f64_e32 v4, v[4:5]
	v_min3_f32 v193, v6, v4, v114
	v_add_f64 v[4:5], v[66:67], v[94:95]
	v_add_f64 v[6:7], v[64:65], v[92:93]
	v_cvt_f32_f64_e32 v6, v[6:7]
	v_cvt_f32_f64_e32 v4, v[4:5]
	v_min3_f32 v192, v6, v4, v115
	v_add_f64 v[4:5], v[70:71], v[94:95]
	v_add_f64 v[6:7], v[68:69], v[92:93]
	v_cvt_f32_f64_e32 v84, v[84:85]
	v_cvt_f32_f64_e32 v85, v[86:87]
	;; [unrolled: 1-line block ×4, first 2 shown]
	v_min3_f32 v124, v84, v85, v124
	ds_read_b128 v[84:87], v158 offset:4112
	v_min3_f32 v191, v6, v4, v116
	s_waitcnt lgkmcnt(1)
	v_add_f64 v[4:5], v[2:3], v[90:91]
	v_add_f64 v[6:7], v[0:1], v[88:89]
	v_cvt_f32_f64_e32 v6, v[6:7]
	v_cvt_f32_f64_e32 v4, v[4:5]
	v_min3_f32 v190, v6, v4, v117
	v_add_f64 v[4:5], v[42:43], v[90:91]
	v_add_f64 v[6:7], v[40:41], v[88:89]
	v_cvt_f32_f64_e32 v6, v[6:7]
	v_cvt_f32_f64_e32 v4, v[4:5]
	v_min3_f32 v189, v6, v4, v118
	v_add_f64 v[4:5], v[46:47], v[90:91]
	v_add_f64 v[6:7], v[44:45], v[88:89]
	v_cvt_f32_f64_e32 v10, v[10:11]
	v_cvt_f32_f64_e32 v8, v[8:9]
	;; [unrolled: 1-line block ×4, first 2 shown]
	v_min3_f32 v208, v10, v8, v188
	v_min3_f32 v188, v6, v4, v119
	v_add_f64 v[4:5], v[54:55], v[90:91]
	v_add_f64 v[6:7], v[52:53], v[88:89]
	v_cvt_f32_f64_e32 v6, v[6:7]
	v_cvt_f32_f64_e32 v4, v[4:5]
	v_min3_f32 v187, v6, v4, v120
	v_add_f64 v[4:5], v[58:59], v[90:91]
	v_add_f64 v[6:7], v[56:57], v[88:89]
	v_cvt_f32_f64_e32 v6, v[6:7]
	v_cvt_f32_f64_e32 v4, v[4:5]
	;; [unrolled: 5-line block ×5, first 2 shown]
	v_min3_f32 v183, v6, v4, v124
	s_waitcnt lgkmcnt(0)
	v_add_f64 v[4:5], v[2:3], v[86:87]
	v_add_f64 v[6:7], v[0:1], v[84:85]
	v_cvt_f32_f64_e32 v6, v[6:7]
	v_cvt_f32_f64_e32 v4, v[4:5]
	v_min3_f32 v182, v6, v4, v125
	v_add_f64 v[4:5], v[42:43], v[86:87]
	v_add_f64 v[6:7], v[40:41], v[84:85]
	v_cvt_f32_f64_e32 v6, v[6:7]
	v_cvt_f32_f64_e32 v4, v[4:5]
	v_min3_f32 v181, v6, v4, v126
	;; [unrolled: 5-line block ×4, first 2 shown]
	v_add_f64 v[4:5], v[58:59], v[86:87]
	v_add_f64 v[6:7], v[56:57], v[84:85]
	v_cvt_f32_f64_e32 v6, v[6:7]
	v_cvt_f32_f64_e32 v4, v[4:5]
	;; [unrolled: 1-line block ×4, first 2 shown]
	v_min3_f32 v178, v6, v4, v143
	v_add_f64 v[4:5], v[62:63], v[86:87]
	v_add_f64 v[6:7], v[60:61], v[84:85]
	v_min3_f32 v150, v80, v81, v150
	ds_read_b128 v[80:83], v158 offset:5136
	v_cvt_f32_f64_e32 v6, v[6:7]
	v_cvt_f32_f64_e32 v4, v[4:5]
	v_min3_f32 v177, v6, v4, v148
	v_add_f64 v[4:5], v[66:67], v[86:87]
	v_add_f64 v[6:7], v[64:65], v[84:85]
	v_cvt_f32_f64_e32 v6, v[6:7]
	v_cvt_f32_f64_e32 v4, v[4:5]
	v_add_f64 v[18:19], v[18:19], v[26:27]
	v_add_f64 v[16:17], v[16:17], v[24:25]
	v_min3_f32 v176, v6, v4, v149
	v_add_f64 v[4:5], v[70:71], v[86:87]
	v_add_f64 v[6:7], v[68:69], v[84:85]
	v_cvt_f32_f64_e32 v76, v[76:77]
	v_cvt_f32_f64_e32 v77, v[78:79]
	;; [unrolled: 1-line block ×6, first 2 shown]
	v_min3_f32 v160, v76, v77, v160
	ds_read_b128 v[76:79], v158 offset:6160
	v_add_f64 v[22:23], v[22:23], v[26:27]
	v_add_f64 v[20:21], v[20:21], v[24:25]
	v_min3_f32 v16, v16, v17, v175
	v_min3_f32 v175, v6, v4, v150
	s_waitcnt lgkmcnt(1)
	v_add_f64 v[4:5], v[2:3], v[82:83]
	v_add_f64 v[6:7], v[0:1], v[80:81]
	v_cvt_f32_f64_e32 v20, v[20:21]
	v_cvt_f32_f64_e32 v21, v[22:23]
	v_cvt_f32_f64_e32 v6, v[6:7]
	v_cvt_f32_f64_e32 v4, v[4:5]
	v_add_f64 v[30:31], v[30:31], v[26:27]
	v_add_f64 v[28:29], v[28:29], v[24:25]
	v_min3_f32 v20, v20, v21, v174
	v_min3_f32 v174, v6, v4, v151
	v_add_f64 v[4:5], v[42:43], v[82:83]
	v_add_f64 v[6:7], v[40:41], v[80:81]
	v_cvt_f32_f64_e32 v28, v[28:29]
	v_cvt_f32_f64_e32 v29, v[30:31]
	v_cvt_f32_f64_e32 v6, v[6:7]
	v_cvt_f32_f64_e32 v4, v[4:5]
	v_add_f64 v[34:35], v[34:35], v[26:27]
	v_add_f64 v[32:33], v[32:33], v[24:25]
	v_min3_f32 v28, v28, v29, v173
	v_min3_f32 v173, v6, v4, v152
	;; [unrolled: 10-line block ×4, first 2 shown]
	v_add_f64 v[4:5], v[58:59], v[82:83]
	v_add_f64 v[6:7], v[56:57], v[80:81]
	v_cvt_f32_f64_e32 v48, v[48:49]
	v_cvt_f32_f64_e32 v49, v[50:51]
	;; [unrolled: 1-line block ×4, first 2 shown]
	v_min3_f32 v48, v48, v49, v170
	v_min3_f32 v170, v6, v4, v155
	v_add_f64 v[4:5], v[62:63], v[82:83]
	v_add_f64 v[6:7], v[60:61], v[80:81]
	v_cvt_f32_f64_e32 v6, v[6:7]
	v_cvt_f32_f64_e32 v4, v[4:5]
	v_min3_f32 v169, v6, v4, v156
	v_add_f64 v[4:5], v[66:67], v[82:83]
	v_add_f64 v[6:7], v[64:65], v[80:81]
	v_cvt_f32_f64_e32 v102, v[102:103]
	v_cvt_f32_f64_e32 v6, v[6:7]
	;; [unrolled: 1-line block ×3, first 2 shown]
	v_min3_f32 v100, v102, v100, v168
	v_min3_f32 v168, v6, v4, v157
	v_add_f64 v[4:5], v[70:71], v[82:83]
	v_add_f64 v[6:7], v[68:69], v[80:81]
	v_cvt_f32_f64_e32 v6, v[6:7]
	v_cvt_f32_f64_e32 v4, v[4:5]
	v_min3_f32 v167, v6, v4, v160
	s_waitcnt lgkmcnt(0)
	v_add_f64 v[4:5], v[2:3], v[78:79]
	v_add_f64 v[6:7], v[0:1], v[76:77]
	;; [unrolled: 1-line block ×4, first 2 shown]
	v_cvt_f32_f64_e32 v6, v[6:7]
	v_cvt_f32_f64_e32 v4, v[4:5]
	v_cvt_f32_f64_e32 v0, v[0:1]
	v_cvt_f32_f64_e32 v1, v[2:3]
	v_min3_f32 v166, v6, v4, v161
	v_add_f64 v[4:5], v[42:43], v[78:79]
	v_add_f64 v[6:7], v[40:41], v[76:77]
	v_min3_f32 v155, v0, v1, v48
	v_add_f64 v[0:1], v[42:43], v[74:75]
	v_add_f64 v[2:3], v[40:41], v[72:73]
	v_cvt_f32_f64_e32 v6, v[6:7]
	v_cvt_f32_f64_e32 v4, v[4:5]
	v_cvt_f32_f64_e32 v2, v[2:3]
	v_cvt_f32_f64_e32 v0, v[0:1]
	v_min3_f32 v164, v6, v4, v162
	v_add_f64 v[4:5], v[46:47], v[78:79]
	v_add_f64 v[6:7], v[44:45], v[76:77]
	v_min3_f32 v154, v2, v0, v36
	v_add_f64 v[0:1], v[46:47], v[74:75]
	v_add_f64 v[2:3], v[44:45], v[72:73]
	;; [unrolled: 10-line block ×7, first 2 shown]
	v_cvt_f32_f64_e32 v6, v[6:7]
	v_cvt_f32_f64_e32 v4, v[4:5]
	;; [unrolled: 1-line block ×4, first 2 shown]
	s_add_i32 s37, s37, 8
	v_min3_f32 v156, v6, v4, v101
	v_min3_f32 v148, v2, v0, v13
	s_cmp_ge_i32 s37, s38
	v_lshl_add_u64 v[130:131], v[130:131], 0, 64
	ds_write_b64 v212, v[132:133]
	ds_write2st64_b64 v213, v[134:135], v[136:137] offset1:4
	ds_write2st64_b64 v213, v[138:139], v[140:141] offset0:8 offset1:12
	s_waitcnt lgkmcnt(0)
	s_barrier
	s_cbranch_scc1 .LBB126_57
.LBB126_33:                             ; =>This Inner Loop Header: Depth=1
	v_add_u32_e32 v142, s37, v146
	v_add_u32_e32 v0, 8, v142
	v_cmp_le_i32_e32 vcc, s22, v0
	s_or_b64 s[12:13], vcc, s[2:3]
	s_nor_b64 s[34:35], s[28:29], s[12:13]
                                        ; implicit-def: $vgpr132_vgpr133
	s_and_saveexec_b64 s[40:41], s[34:35]
	s_xor_b64 s[34:35], exec, s[40:41]
	s_cbranch_execz .LBB126_35
; %bb.34:                               ;   in Loop: Header=BB126_33 Depth=1
	v_add_co_u32_e32 v0, vcc, 0xffffffe0, v130
	s_nop 1
	v_addc_co_u32_e32 v1, vcc, -1, v131, vcc
	flat_load_dwordx2 v[0:1], v[0:1]
	s_waitcnt vmcnt(0) lgkmcnt(0)
	v_mul_f64 v[132:133], s[16:17], v[0:1]
.LBB126_35:                             ;   in Loop: Header=BB126_33 Depth=1
	s_andn2_saveexec_b64 s[34:35], s[34:35]
; %bb.36:                               ;   in Loop: Header=BB126_33 Depth=1
	v_cndmask_b32_e64 v133, 0, v216, s[12:13]
	v_cndmask_b32_e64 v132, 0, -1, s[12:13]
; %bb.37:                               ;   in Loop: Header=BB126_33 Depth=1
	s_or_b64 exec, exec, s[34:35]
	v_add_u32_e32 v143, s37, v147
	v_add_u32_e32 v0, 8, v143
	v_cmp_le_i32_e32 vcc, s22, v0
	v_min_i32_e32 v0, s39, v0
	v_mad_i64_i32 v[0:1], s[12:13], v0, s23, 0
	v_lshl_add_u64 v[0:1], v[0:1], 3, s[18:19]
	s_or_b64 s[12:13], s[4:5], vcc
	v_cndmask_b32_e64 v135, 0, v216, s[12:13]
	s_nor_b64 s[34:35], s[28:29], s[12:13]
	v_cndmask_b32_e64 v134, 0, -1, s[12:13]
	v_lshl_add_u64 v[0:1], v[128:129], 3, v[0:1]
	s_and_saveexec_b64 s[12:13], s[34:35]
	s_cbranch_execz .LBB126_39
; %bb.38:                               ;   in Loop: Header=BB126_33 Depth=1
	flat_load_dwordx2 v[2:3], v[0:1]
	s_waitcnt vmcnt(0) lgkmcnt(0)
	v_mul_f64 v[134:135], s[16:17], v[2:3]
.LBB126_39:                             ;   in Loop: Header=BB126_33 Depth=1
	s_or_b64 exec, exec, s[12:13]
	s_or_b64 s[12:13], s[6:7], vcc
	v_cndmask_b32_e64 v137, 0, v216, s[12:13]
	s_nor_b64 s[34:35], s[28:29], s[12:13]
	v_cndmask_b32_e64 v136, 0, -1, s[12:13]
	s_and_saveexec_b64 s[12:13], s[34:35]
	s_cbranch_execz .LBB126_41
; %bb.40:                               ;   in Loop: Header=BB126_33 Depth=1
	flat_load_dwordx2 v[2:3], v[0:1] offset:512
	s_waitcnt vmcnt(0) lgkmcnt(0)
	v_mul_f64 v[136:137], s[16:17], v[2:3]
.LBB126_41:                             ;   in Loop: Header=BB126_33 Depth=1
	s_or_b64 exec, exec, s[12:13]
	s_or_b64 s[12:13], s[8:9], vcc
	v_cndmask_b32_e64 v139, 0, v216, s[12:13]
	s_nor_b64 s[34:35], s[28:29], s[12:13]
	v_cndmask_b32_e64 v138, 0, -1, s[12:13]
	s_and_saveexec_b64 s[12:13], s[34:35]
	s_cbranch_execz .LBB126_43
; %bb.42:                               ;   in Loop: Header=BB126_33 Depth=1
	flat_load_dwordx2 v[2:3], v[0:1] offset:1024
	s_waitcnt vmcnt(0) lgkmcnt(0)
	v_mul_f64 v[138:139], s[16:17], v[2:3]
.LBB126_43:                             ;   in Loop: Header=BB126_33 Depth=1
	s_or_b64 exec, exec, s[12:13]
	s_or_b64 vcc, s[10:11], vcc
	v_cndmask_b32_e32 v141, 0, v216, vcc
	s_nor_b64 s[34:35], s[28:29], vcc
	v_cndmask_b32_e64 v140, 0, -1, vcc
	s_and_saveexec_b64 s[12:13], s[34:35]
	s_cbranch_execz .LBB126_45
; %bb.44:                               ;   in Loop: Header=BB126_33 Depth=1
	flat_load_dwordx2 v[0:1], v[0:1] offset:1536
	s_waitcnt vmcnt(0) lgkmcnt(0)
	v_mul_f64 v[140:141], s[16:17], v[0:1]
.LBB126_45:                             ;   in Loop: Header=BB126_33 Depth=1
	s_or_b64 exec, exec, s[12:13]
	ds_read_b128 v[124:127], v215
	ds_read_b128 v[60:63], v215 offset:16
	ds_read_b128 v[96:99], v214
	ds_read_b128 v[32:35], v214 offset:16
	ds_read_b128 v[92:95], v214 offset:256
	;; [unrolled: 1-line block ×29, first 2 shown]
	ds_write_b64 v210, v[132:133]
	ds_write2st64_b64 v165, v[134:135], v[136:137] offset1:4
	ds_write2st64_b64 v165, v[138:139], v[140:141] offset0:8 offset1:12
	v_add_u32_e32 v132, 12, v142
	v_cmp_le_i32_e32 vcc, s22, v132
	s_or_b64 vcc, vcc, s[2:3]
	s_nor_b64 s[12:13], s[28:29], vcc
	s_waitcnt lgkmcnt(0)
	s_barrier
                                        ; implicit-def: $vgpr132_vgpr133
	s_and_saveexec_b64 s[34:35], s[12:13]
	s_xor_b64 s[12:13], exec, s[34:35]
	s_cbranch_execz .LBB126_47
; %bb.46:                               ;   in Loop: Header=BB126_33 Depth=1
	flat_load_dwordx2 v[132:133], v[130:131]
	s_waitcnt vmcnt(0) lgkmcnt(0)
	v_mul_f64 v[132:133], s[16:17], v[132:133]
.LBB126_47:                             ;   in Loop: Header=BB126_33 Depth=1
	s_andn2_saveexec_b64 s[12:13], s[12:13]
; %bb.48:                               ;   in Loop: Header=BB126_33 Depth=1
	v_cndmask_b32_e32 v133, 0, v216, vcc
	v_cndmask_b32_e64 v132, 0, -1, vcc
; %bb.49:                               ;   in Loop: Header=BB126_33 Depth=1
	s_or_b64 exec, exec, s[12:13]
	v_add_u32_e32 v134, 12, v143
	v_cmp_le_i32_e32 vcc, s22, v134
	v_min_i32_e32 v134, s39, v134
	v_mad_i64_i32 v[134:135], s[12:13], v134, s23, 0
	v_lshl_add_u64 v[136:137], v[134:135], 3, s[18:19]
	s_or_b64 s[12:13], s[4:5], vcc
	v_cndmask_b32_e64 v135, 0, v216, s[12:13]
	s_nor_b64 s[34:35], s[28:29], s[12:13]
	v_cndmask_b32_e64 v134, 0, -1, s[12:13]
	v_lshl_add_u64 v[142:143], v[128:129], 3, v[136:137]
	s_and_saveexec_b64 s[12:13], s[34:35]
	s_cbranch_execz .LBB126_51
; %bb.50:                               ;   in Loop: Header=BB126_33 Depth=1
	flat_load_dwordx2 v[134:135], v[142:143]
	s_waitcnt vmcnt(0) lgkmcnt(0)
	v_mul_f64 v[134:135], s[16:17], v[134:135]
.LBB126_51:                             ;   in Loop: Header=BB126_33 Depth=1
	s_or_b64 exec, exec, s[12:13]
	s_or_b64 s[12:13], s[6:7], vcc
	v_cndmask_b32_e64 v137, 0, v216, s[12:13]
	s_nor_b64 s[34:35], s[28:29], s[12:13]
	v_cndmask_b32_e64 v136, 0, -1, s[12:13]
	s_and_saveexec_b64 s[12:13], s[34:35]
	s_cbranch_execz .LBB126_53
; %bb.52:                               ;   in Loop: Header=BB126_33 Depth=1
	flat_load_dwordx2 v[136:137], v[142:143] offset:512
	s_waitcnt vmcnt(0) lgkmcnt(0)
	v_mul_f64 v[136:137], s[16:17], v[136:137]
.LBB126_53:                             ;   in Loop: Header=BB126_33 Depth=1
	s_or_b64 exec, exec, s[12:13]
	s_or_b64 s[12:13], s[8:9], vcc
	v_cndmask_b32_e64 v139, 0, v216, s[12:13]
	s_nor_b64 s[34:35], s[28:29], s[12:13]
	v_cndmask_b32_e64 v138, 0, -1, s[12:13]
	s_and_saveexec_b64 s[12:13], s[34:35]
	s_cbranch_execz .LBB126_55
; %bb.54:                               ;   in Loop: Header=BB126_33 Depth=1
	flat_load_dwordx2 v[138:139], v[142:143] offset:1024
	s_waitcnt vmcnt(0) lgkmcnt(0)
	v_mul_f64 v[138:139], s[16:17], v[138:139]
.LBB126_55:                             ;   in Loop: Header=BB126_33 Depth=1
	s_or_b64 exec, exec, s[12:13]
	s_or_b64 vcc, s[10:11], vcc
	v_cndmask_b32_e32 v141, 0, v216, vcc
	s_nor_b64 s[34:35], s[28:29], vcc
	v_cndmask_b32_e64 v140, 0, -1, vcc
	s_and_saveexec_b64 s[12:13], s[34:35]
	s_cbranch_execz .LBB126_32
; %bb.56:                               ;   in Loop: Header=BB126_33 Depth=1
	flat_load_dwordx2 v[140:141], v[142:143] offset:1536
	s_waitcnt vmcnt(0) lgkmcnt(0)
	v_mul_f64 v[140:141], s[16:17], v[140:141]
	s_branch .LBB126_32
.LBB126_57:
	s_load_dwordx2 s[2:3], s[0:1], 0x78
	s_load_dword s35, s[0:1], 0x58
	s_load_dword s34, s[0:1], 0x70
	ds_read_b128 v[68:71], v159 offset:18432
	ds_read_b128 v[64:67], v159 offset:18448
	;; [unrolled: 1-line block ×32, first 2 shown]
	s_waitcnt lgkmcnt(0)
	s_lshl_b64 s[0:1], s[2:3], 3
	s_add_u32 s22, s30, s0
	v_add_u32_e32 v158, s36, v145
	s_addc_u32 s23, s31, s1
	v_mad_i64_i32 v[130:131], s[0:1], v158, s35, 0
	v_add_u32_e32 v128, s33, v144
	v_lshl_add_u64 v[146:147], v[130:131], 3, s[26:27]
	v_mad_i64_i32 v[130:131], s[0:1], v158, s34, 0
	v_cmp_gt_i32_e64 s[2:3], s20, v128
	v_cmp_gt_i32_e64 s[18:19], s21, v158
	v_lshl_add_u64 v[144:145], v[130:131], 3, s[22:23]
	v_cndmask_b32_e64 v130, 0, 1, s[14:15]
	v_ashrrev_i32_e32 v129, 31, v128
	s_and_b64 s[6:7], s[2:3], s[18:19]
	v_cmp_ne_u32_e64 s[0:1], 1, v130
	s_and_saveexec_b64 s[4:5], s[6:7]
	s_cbranch_execz .LBB126_62
; %bb.58:
	s_and_b64 vcc, exec, s[0:1]
	s_cbranch_vccnz .LBB126_60
; %bb.59:
	v_lshl_add_u64 v[130:131], v[128:129], 3, v[146:147]
	flat_load_dwordx2 v[130:131], v[130:131]
	s_waitcnt vmcnt(0) lgkmcnt(0)
	v_mul_f64 v[130:131], s[24:25], v[130:131]
	v_cvt_f32_f64_e32 v130, v[130:131]
	s_branch .LBB126_61
.LBB126_60:
	v_mov_b32_e32 v130, 0
.LBB126_61:
	v_add_f64 v[132:133], v[70:71], v[126:127]
	v_add_f64 v[134:135], v[68:69], v[124:125]
	v_cvt_f32_f64_e32 v131, v[134:135]
	v_cvt_f32_f64_e32 v132, v[132:133]
	v_min3_f32 v131, v131, v132, v221
	v_add_f64 v[132:133], v[66:67], v[122:123]
	v_add_f64 v[134:135], v[64:65], v[120:121]
	v_cvt_f32_f64_e32 v134, v[134:135]
	v_cvt_f32_f64_e32 v132, v[132:133]
	v_min_f32_e32 v132, v134, v132
	v_min3_f32 v130, v130, v132, v131
	v_cvt_f64_f32_e32 v[130:131], v130
	v_lshl_add_u64 v[132:133], v[128:129], 3, v[144:145]
	flat_store_dwordx2 v[132:133], v[130:131]
.LBB126_62:
	s_or_b64 exec, exec, s[4:5]
	v_add_u32_e32 v130, 8, v128
	v_cmp_gt_i32_e64 s[4:5], s20, v130
	v_ashrrev_i32_e32 v131, 31, v130
	s_and_b64 s[8:9], s[4:5], s[18:19]
	s_and_saveexec_b64 s[6:7], s[8:9]
	s_cbranch_execz .LBB126_67
; %bb.63:
	s_and_b64 vcc, exec, s[0:1]
	s_cbranch_vccnz .LBB126_65
; %bb.64:
	v_lshl_add_u64 v[132:133], v[130:131], 3, v[146:147]
	flat_load_dwordx2 v[132:133], v[132:133]
	s_waitcnt vmcnt(0) lgkmcnt(0)
	v_mul_f64 v[132:133], s[24:25], v[132:133]
	v_cvt_f32_f64_e32 v132, v[132:133]
	s_branch .LBB126_66
.LBB126_65:
	v_mov_b32_e32 v132, 0
.LBB126_66:
	v_add_f64 v[134:135], v[62:63], v[126:127]
	v_add_f64 v[136:137], v[60:61], v[124:125]
	v_cvt_f32_f64_e32 v133, v[136:137]
	v_cvt_f32_f64_e32 v134, v[134:135]
	v_min3_f32 v133, v133, v134, v220
	v_add_f64 v[134:135], v[58:59], v[122:123]
	v_add_f64 v[136:137], v[56:57], v[120:121]
	v_cvt_f32_f64_e32 v136, v[136:137]
	v_cvt_f32_f64_e32 v134, v[134:135]
	v_min_f32_e32 v134, v136, v134
	v_min3_f32 v132, v132, v134, v133
	v_cvt_f64_f32_e32 v[132:133], v132
	v_lshl_add_u64 v[134:135], v[130:131], 3, v[144:145]
	flat_store_dwordx2 v[134:135], v[132:133]
.LBB126_67:
	s_or_b64 exec, exec, s[6:7]
	v_add_u32_e32 v132, 16, v128
	v_cmp_gt_i32_e64 s[6:7], s20, v132
	v_ashrrev_i32_e32 v133, 31, v132
	s_and_b64 s[10:11], s[6:7], s[18:19]
	;; [unrolled: 35-line block ×7, first 2 shown]
	s_and_saveexec_b64 s[18:19], s[28:29]
	s_cbranch_execz .LBB126_97
; %bb.93:
	s_and_b64 vcc, exec, s[0:1]
	s_cbranch_vccnz .LBB126_95
; %bb.94:
	v_lshl_add_u64 v[146:147], v[142:143], 3, v[146:147]
	flat_load_dwordx2 v[146:147], v[146:147]
	s_waitcnt vmcnt(0) lgkmcnt(0)
	v_mul_f64 v[146:147], s[24:25], v[146:147]
	v_cvt_f32_f64_e32 v146, v[146:147]
	s_branch .LBB126_96
.LBB126_95:
	v_mov_b32_e32 v146, 0
.LBB126_96:
	v_add_f64 v[126:127], v[6:7], v[126:127]
	v_add_f64 v[124:125], v[4:5], v[124:125]
	;; [unrolled: 1-line block ×4, first 2 shown]
	v_cvt_f32_f64_e32 v124, v[124:125]
	v_cvt_f32_f64_e32 v125, v[126:127]
	;; [unrolled: 1-line block ×4, first 2 shown]
	v_min3_f32 v124, v124, v125, v207
	v_min_f32_e32 v120, v120, v121
	v_min3_f32 v120, v146, v120, v124
	v_cvt_f64_f32_e32 v[120:121], v120
	v_lshl_add_u64 v[122:123], v[142:143], 3, v[144:145]
	flat_store_dwordx2 v[122:123], v[120:121]
.LBB126_97:
	s_or_b64 exec, exec, s[18:19]
	v_add_u32_e32 v124, 32, v158
	v_mad_i64_i32 v[120:121], s[28:29], v124, s35, 0
	v_cmp_gt_i32_e64 s[18:19], s21, v124
	v_lshl_add_u64 v[122:123], v[120:121], 3, s[26:27]
	v_mad_i64_i32 v[120:121], s[28:29], v124, s34, 0
	v_lshl_add_u64 v[120:121], v[120:121], 3, s[22:23]
	s_and_b64 s[30:31], s[2:3], s[18:19]
	s_and_saveexec_b64 s[28:29], s[30:31]
	s_cbranch_execnz .LBB126_105
; %bb.98:
	s_or_b64 exec, exec, s[28:29]
	s_and_b64 s[30:31], s[4:5], s[18:19]
	s_and_saveexec_b64 s[28:29], s[30:31]
	s_cbranch_execnz .LBB126_109
.LBB126_99:
	s_or_b64 exec, exec, s[28:29]
	s_and_b64 s[30:31], s[6:7], s[18:19]
	s_and_saveexec_b64 s[28:29], s[30:31]
	s_cbranch_execnz .LBB126_113
.LBB126_100:
	s_or_b64 exec, exec, s[28:29]
	s_and_b64 s[30:31], s[8:9], s[18:19]
	s_and_saveexec_b64 s[28:29], s[30:31]
	s_cbranch_execnz .LBB126_117
.LBB126_101:
	s_or_b64 exec, exec, s[28:29]
	s_and_b64 s[30:31], s[10:11], s[18:19]
	s_and_saveexec_b64 s[28:29], s[30:31]
	s_cbranch_execnz .LBB126_121
.LBB126_102:
	s_or_b64 exec, exec, s[28:29]
	s_and_b64 s[30:31], s[12:13], s[18:19]
	s_and_saveexec_b64 s[28:29], s[30:31]
	s_cbranch_execnz .LBB126_125
.LBB126_103:
	s_or_b64 exec, exec, s[28:29]
	s_and_b64 s[30:31], s[14:15], s[18:19]
	s_and_saveexec_b64 s[28:29], s[30:31]
	s_cbranch_execnz .LBB126_129
.LBB126_104:
	s_or_b64 exec, exec, s[28:29]
	s_and_b64 s[28:29], s[16:17], s[18:19]
	s_and_saveexec_b64 s[18:19], s[28:29]
	s_cbranch_execnz .LBB126_133
	s_branch .LBB126_137
.LBB126_105:
	s_and_b64 vcc, exec, s[0:1]
	s_cbranch_vccnz .LBB126_107
; %bb.106:
	v_lshl_add_u64 v[124:125], v[128:129], 3, v[122:123]
	flat_load_dwordx2 v[124:125], v[124:125]
	s_waitcnt vmcnt(0) lgkmcnt(0)
	v_mul_f64 v[124:125], s[24:25], v[124:125]
	v_cvt_f32_f64_e32 v124, v[124:125]
	s_branch .LBB126_108
.LBB126_107:
	v_mov_b32_e32 v124, 0
.LBB126_108:
	v_add_f64 v[126:127], v[70:71], v[118:119]
	v_add_f64 v[144:145], v[68:69], v[116:117]
	v_cvt_f32_f64_e32 v125, v[144:145]
	v_cvt_f32_f64_e32 v126, v[126:127]
	v_min3_f32 v125, v125, v126, v206
	v_add_f64 v[126:127], v[66:67], v[114:115]
	v_add_f64 v[144:145], v[64:65], v[112:113]
	v_cvt_f32_f64_e32 v144, v[144:145]
	v_cvt_f32_f64_e32 v126, v[126:127]
	v_min_f32_e32 v126, v144, v126
	v_min3_f32 v124, v124, v126, v125
	v_cvt_f64_f32_e32 v[124:125], v124
	v_lshl_add_u64 v[126:127], v[128:129], 3, v[120:121]
	flat_store_dwordx2 v[126:127], v[124:125]
	s_or_b64 exec, exec, s[28:29]
	s_and_b64 s[30:31], s[4:5], s[18:19]
	s_and_saveexec_b64 s[28:29], s[30:31]
	s_cbranch_execz .LBB126_99
.LBB126_109:
	s_and_b64 vcc, exec, s[0:1]
	s_cbranch_vccnz .LBB126_111
; %bb.110:
	v_lshl_add_u64 v[124:125], v[130:131], 3, v[122:123]
	flat_load_dwordx2 v[124:125], v[124:125]
	s_waitcnt vmcnt(0) lgkmcnt(0)
	v_mul_f64 v[124:125], s[24:25], v[124:125]
	v_cvt_f32_f64_e32 v124, v[124:125]
	s_branch .LBB126_112
.LBB126_111:
	v_mov_b32_e32 v124, 0
.LBB126_112:
	v_add_f64 v[126:127], v[62:63], v[118:119]
	v_add_f64 v[144:145], v[60:61], v[116:117]
	v_cvt_f32_f64_e32 v125, v[144:145]
	v_cvt_f32_f64_e32 v126, v[126:127]
	v_min3_f32 v125, v125, v126, v205
	v_add_f64 v[126:127], v[58:59], v[114:115]
	v_add_f64 v[144:145], v[56:57], v[112:113]
	v_cvt_f32_f64_e32 v144, v[144:145]
	v_cvt_f32_f64_e32 v126, v[126:127]
	v_min_f32_e32 v126, v144, v126
	v_min3_f32 v124, v124, v126, v125
	v_cvt_f64_f32_e32 v[124:125], v124
	v_lshl_add_u64 v[126:127], v[130:131], 3, v[120:121]
	flat_store_dwordx2 v[126:127], v[124:125]
	s_or_b64 exec, exec, s[28:29]
	s_and_b64 s[30:31], s[6:7], s[18:19]
	s_and_saveexec_b64 s[28:29], s[30:31]
	s_cbranch_execz .LBB126_100
.LBB126_113:
	s_and_b64 vcc, exec, s[0:1]
	s_cbranch_vccnz .LBB126_115
; %bb.114:
	v_lshl_add_u64 v[124:125], v[132:133], 3, v[122:123]
	flat_load_dwordx2 v[124:125], v[124:125]
	s_waitcnt vmcnt(0) lgkmcnt(0)
	v_mul_f64 v[124:125], s[24:25], v[124:125]
	v_cvt_f32_f64_e32 v124, v[124:125]
	s_branch .LBB126_116
.LBB126_115:
	v_mov_b32_e32 v124, 0
.LBB126_116:
	v_add_f64 v[126:127], v[54:55], v[118:119]
	v_add_f64 v[144:145], v[52:53], v[116:117]
	v_cvt_f32_f64_e32 v125, v[144:145]
	v_cvt_f32_f64_e32 v126, v[126:127]
	v_min3_f32 v125, v125, v126, v204
	v_add_f64 v[126:127], v[50:51], v[114:115]
	v_add_f64 v[144:145], v[48:49], v[112:113]
	v_cvt_f32_f64_e32 v144, v[144:145]
	v_cvt_f32_f64_e32 v126, v[126:127]
	v_min_f32_e32 v126, v144, v126
	v_min3_f32 v124, v124, v126, v125
	v_cvt_f64_f32_e32 v[124:125], v124
	v_lshl_add_u64 v[126:127], v[132:133], 3, v[120:121]
	flat_store_dwordx2 v[126:127], v[124:125]
	s_or_b64 exec, exec, s[28:29]
	s_and_b64 s[30:31], s[8:9], s[18:19]
	s_and_saveexec_b64 s[28:29], s[30:31]
	s_cbranch_execz .LBB126_101
.LBB126_117:
	s_and_b64 vcc, exec, s[0:1]
	s_cbranch_vccnz .LBB126_119
; %bb.118:
	v_lshl_add_u64 v[124:125], v[134:135], 3, v[122:123]
	flat_load_dwordx2 v[124:125], v[124:125]
	s_waitcnt vmcnt(0) lgkmcnt(0)
	v_mul_f64 v[124:125], s[24:25], v[124:125]
	v_cvt_f32_f64_e32 v124, v[124:125]
	s_branch .LBB126_120
.LBB126_119:
	v_mov_b32_e32 v124, 0
.LBB126_120:
	v_add_f64 v[126:127], v[46:47], v[118:119]
	v_add_f64 v[144:145], v[44:45], v[116:117]
	v_cvt_f32_f64_e32 v125, v[144:145]
	v_cvt_f32_f64_e32 v126, v[126:127]
	v_min3_f32 v125, v125, v126, v203
	v_add_f64 v[126:127], v[42:43], v[114:115]
	v_add_f64 v[144:145], v[40:41], v[112:113]
	v_cvt_f32_f64_e32 v144, v[144:145]
	v_cvt_f32_f64_e32 v126, v[126:127]
	v_min_f32_e32 v126, v144, v126
	v_min3_f32 v124, v124, v126, v125
	v_cvt_f64_f32_e32 v[124:125], v124
	v_lshl_add_u64 v[126:127], v[134:135], 3, v[120:121]
	flat_store_dwordx2 v[126:127], v[124:125]
	s_or_b64 exec, exec, s[28:29]
	s_and_b64 s[30:31], s[10:11], s[18:19]
	s_and_saveexec_b64 s[28:29], s[30:31]
	s_cbranch_execz .LBB126_102
.LBB126_121:
	s_and_b64 vcc, exec, s[0:1]
	s_cbranch_vccnz .LBB126_123
; %bb.122:
	v_lshl_add_u64 v[124:125], v[136:137], 3, v[122:123]
	flat_load_dwordx2 v[124:125], v[124:125]
	s_waitcnt vmcnt(0) lgkmcnt(0)
	v_mul_f64 v[124:125], s[24:25], v[124:125]
	v_cvt_f32_f64_e32 v124, v[124:125]
	s_branch .LBB126_124
.LBB126_123:
	v_mov_b32_e32 v124, 0
.LBB126_124:
	v_add_f64 v[126:127], v[38:39], v[118:119]
	v_add_f64 v[144:145], v[36:37], v[116:117]
	v_cvt_f32_f64_e32 v125, v[144:145]
	v_cvt_f32_f64_e32 v126, v[126:127]
	v_min3_f32 v125, v125, v126, v202
	v_add_f64 v[126:127], v[34:35], v[114:115]
	v_add_f64 v[144:145], v[32:33], v[112:113]
	v_cvt_f32_f64_e32 v144, v[144:145]
	v_cvt_f32_f64_e32 v126, v[126:127]
	v_min_f32_e32 v126, v144, v126
	v_min3_f32 v124, v124, v126, v125
	v_cvt_f64_f32_e32 v[124:125], v124
	v_lshl_add_u64 v[126:127], v[136:137], 3, v[120:121]
	flat_store_dwordx2 v[126:127], v[124:125]
	s_or_b64 exec, exec, s[28:29]
	s_and_b64 s[30:31], s[12:13], s[18:19]
	s_and_saveexec_b64 s[28:29], s[30:31]
	s_cbranch_execz .LBB126_103
.LBB126_125:
	s_and_b64 vcc, exec, s[0:1]
	s_cbranch_vccnz .LBB126_127
; %bb.126:
	v_lshl_add_u64 v[124:125], v[138:139], 3, v[122:123]
	flat_load_dwordx2 v[124:125], v[124:125]
	s_waitcnt vmcnt(0) lgkmcnt(0)
	v_mul_f64 v[124:125], s[24:25], v[124:125]
	v_cvt_f32_f64_e32 v124, v[124:125]
	s_branch .LBB126_128
.LBB126_127:
	v_mov_b32_e32 v124, 0
.LBB126_128:
	v_add_f64 v[126:127], v[30:31], v[118:119]
	v_add_f64 v[144:145], v[28:29], v[116:117]
	v_cvt_f32_f64_e32 v125, v[144:145]
	v_cvt_f32_f64_e32 v126, v[126:127]
	v_min3_f32 v125, v125, v126, v201
	v_add_f64 v[126:127], v[26:27], v[114:115]
	v_add_f64 v[144:145], v[24:25], v[112:113]
	v_cvt_f32_f64_e32 v144, v[144:145]
	v_cvt_f32_f64_e32 v126, v[126:127]
	v_min_f32_e32 v126, v144, v126
	v_min3_f32 v124, v124, v126, v125
	v_cvt_f64_f32_e32 v[124:125], v124
	v_lshl_add_u64 v[126:127], v[138:139], 3, v[120:121]
	flat_store_dwordx2 v[126:127], v[124:125]
	s_or_b64 exec, exec, s[28:29]
	s_and_b64 s[30:31], s[14:15], s[18:19]
	s_and_saveexec_b64 s[28:29], s[30:31]
	s_cbranch_execz .LBB126_104
.LBB126_129:
	s_and_b64 vcc, exec, s[0:1]
	s_cbranch_vccnz .LBB126_131
; %bb.130:
	v_lshl_add_u64 v[124:125], v[140:141], 3, v[122:123]
	flat_load_dwordx2 v[124:125], v[124:125]
	s_waitcnt vmcnt(0) lgkmcnt(0)
	v_mul_f64 v[124:125], s[24:25], v[124:125]
	v_cvt_f32_f64_e32 v124, v[124:125]
	s_branch .LBB126_132
.LBB126_131:
	v_mov_b32_e32 v124, 0
.LBB126_132:
	v_add_f64 v[126:127], v[22:23], v[118:119]
	v_add_f64 v[144:145], v[20:21], v[116:117]
	v_cvt_f32_f64_e32 v125, v[144:145]
	v_cvt_f32_f64_e32 v126, v[126:127]
	v_min3_f32 v125, v125, v126, v200
	v_add_f64 v[126:127], v[18:19], v[114:115]
	v_add_f64 v[144:145], v[16:17], v[112:113]
	v_cvt_f32_f64_e32 v144, v[144:145]
	v_cvt_f32_f64_e32 v126, v[126:127]
	v_min_f32_e32 v126, v144, v126
	v_min3_f32 v124, v124, v126, v125
	v_cvt_f64_f32_e32 v[124:125], v124
	v_lshl_add_u64 v[126:127], v[140:141], 3, v[120:121]
	flat_store_dwordx2 v[126:127], v[124:125]
	s_or_b64 exec, exec, s[28:29]
	s_and_b64 s[28:29], s[16:17], s[18:19]
	s_and_saveexec_b64 s[18:19], s[28:29]
	s_cbranch_execz .LBB126_137
.LBB126_133:
	s_and_b64 vcc, exec, s[0:1]
	s_cbranch_vccnz .LBB126_135
; %bb.134:
	v_lshl_add_u64 v[122:123], v[142:143], 3, v[122:123]
	flat_load_dwordx2 v[122:123], v[122:123]
	s_waitcnt vmcnt(0) lgkmcnt(0)
	v_mul_f64 v[122:123], s[24:25], v[122:123]
	v_cvt_f32_f64_e32 v122, v[122:123]
	s_branch .LBB126_136
.LBB126_135:
	v_mov_b32_e32 v122, 0
.LBB126_136:
	v_add_f64 v[118:119], v[6:7], v[118:119]
	v_add_f64 v[116:117], v[4:5], v[116:117]
	;; [unrolled: 1-line block ×4, first 2 shown]
	v_cvt_f32_f64_e32 v116, v[116:117]
	v_cvt_f32_f64_e32 v117, v[118:119]
	;; [unrolled: 1-line block ×4, first 2 shown]
	v_min3_f32 v116, v116, v117, v199
	v_min_f32_e32 v112, v112, v113
	v_min3_f32 v112, v122, v112, v116
	v_cvt_f64_f32_e32 v[112:113], v112
	v_lshl_add_u64 v[114:115], v[142:143], 3, v[120:121]
	flat_store_dwordx2 v[114:115], v[112:113]
.LBB126_137:
	s_or_b64 exec, exec, s[18:19]
	v_add_u32_e32 v116, 64, v158
	v_mad_i64_i32 v[112:113], s[28:29], v116, s35, 0
	v_cmp_gt_i32_e64 s[18:19], s21, v116
	v_lshl_add_u64 v[114:115], v[112:113], 3, s[26:27]
	v_mad_i64_i32 v[112:113], s[28:29], v116, s34, 0
	v_lshl_add_u64 v[112:113], v[112:113], 3, s[22:23]
	s_and_b64 s[30:31], s[2:3], s[18:19]
	s_and_saveexec_b64 s[28:29], s[30:31]
	s_cbranch_execnz .LBB126_145
; %bb.138:
	s_or_b64 exec, exec, s[28:29]
	s_and_b64 s[30:31], s[4:5], s[18:19]
	s_and_saveexec_b64 s[28:29], s[30:31]
	s_cbranch_execnz .LBB126_149
.LBB126_139:
	s_or_b64 exec, exec, s[28:29]
	s_and_b64 s[30:31], s[6:7], s[18:19]
	s_and_saveexec_b64 s[28:29], s[30:31]
	s_cbranch_execnz .LBB126_153
.LBB126_140:
	s_or_b64 exec, exec, s[28:29]
	s_and_b64 s[30:31], s[8:9], s[18:19]
	s_and_saveexec_b64 s[28:29], s[30:31]
	s_cbranch_execnz .LBB126_157
.LBB126_141:
	s_or_b64 exec, exec, s[28:29]
	s_and_b64 s[30:31], s[10:11], s[18:19]
	s_and_saveexec_b64 s[28:29], s[30:31]
	s_cbranch_execnz .LBB126_161
.LBB126_142:
	s_or_b64 exec, exec, s[28:29]
	s_and_b64 s[30:31], s[12:13], s[18:19]
	s_and_saveexec_b64 s[28:29], s[30:31]
	s_cbranch_execnz .LBB126_165
.LBB126_143:
	s_or_b64 exec, exec, s[28:29]
	s_and_b64 s[30:31], s[14:15], s[18:19]
	s_and_saveexec_b64 s[28:29], s[30:31]
	s_cbranch_execnz .LBB126_169
.LBB126_144:
	s_or_b64 exec, exec, s[28:29]
	s_and_b64 s[28:29], s[16:17], s[18:19]
	s_and_saveexec_b64 s[18:19], s[28:29]
	s_cbranch_execnz .LBB126_173
	s_branch .LBB126_177
.LBB126_145:
	s_and_b64 vcc, exec, s[0:1]
	s_cbranch_vccnz .LBB126_147
; %bb.146:
	v_lshl_add_u64 v[116:117], v[128:129], 3, v[114:115]
	flat_load_dwordx2 v[116:117], v[116:117]
	s_waitcnt vmcnt(0) lgkmcnt(0)
	v_mul_f64 v[116:117], s[24:25], v[116:117]
	v_cvt_f32_f64_e32 v116, v[116:117]
	s_branch .LBB126_148
.LBB126_147:
	v_mov_b32_e32 v116, 0
.LBB126_148:
	v_add_f64 v[118:119], v[70:71], v[110:111]
	v_add_f64 v[120:121], v[68:69], v[108:109]
	v_cvt_f32_f64_e32 v117, v[120:121]
	v_cvt_f32_f64_e32 v118, v[118:119]
	v_min3_f32 v117, v117, v118, v198
	v_add_f64 v[118:119], v[66:67], v[106:107]
	v_add_f64 v[120:121], v[64:65], v[104:105]
	v_cvt_f32_f64_e32 v120, v[120:121]
	v_cvt_f32_f64_e32 v118, v[118:119]
	v_min_f32_e32 v118, v120, v118
	v_min3_f32 v116, v116, v118, v117
	v_cvt_f64_f32_e32 v[116:117], v116
	v_lshl_add_u64 v[118:119], v[128:129], 3, v[112:113]
	flat_store_dwordx2 v[118:119], v[116:117]
	s_or_b64 exec, exec, s[28:29]
	s_and_b64 s[30:31], s[4:5], s[18:19]
	s_and_saveexec_b64 s[28:29], s[30:31]
	s_cbranch_execz .LBB126_139
.LBB126_149:
	s_and_b64 vcc, exec, s[0:1]
	s_cbranch_vccnz .LBB126_151
; %bb.150:
	v_lshl_add_u64 v[116:117], v[130:131], 3, v[114:115]
	flat_load_dwordx2 v[116:117], v[116:117]
	s_waitcnt vmcnt(0) lgkmcnt(0)
	v_mul_f64 v[116:117], s[24:25], v[116:117]
	v_cvt_f32_f64_e32 v116, v[116:117]
	s_branch .LBB126_152
.LBB126_151:
	v_mov_b32_e32 v116, 0
.LBB126_152:
	v_add_f64 v[118:119], v[62:63], v[110:111]
	v_add_f64 v[120:121], v[60:61], v[108:109]
	v_cvt_f32_f64_e32 v117, v[120:121]
	v_cvt_f32_f64_e32 v118, v[118:119]
	v_min3_f32 v117, v117, v118, v197
	v_add_f64 v[118:119], v[58:59], v[106:107]
	v_add_f64 v[120:121], v[56:57], v[104:105]
	v_cvt_f32_f64_e32 v120, v[120:121]
	v_cvt_f32_f64_e32 v118, v[118:119]
	v_min_f32_e32 v118, v120, v118
	v_min3_f32 v116, v116, v118, v117
	v_cvt_f64_f32_e32 v[116:117], v116
	v_lshl_add_u64 v[118:119], v[130:131], 3, v[112:113]
	flat_store_dwordx2 v[118:119], v[116:117]
	s_or_b64 exec, exec, s[28:29]
	s_and_b64 s[30:31], s[6:7], s[18:19]
	s_and_saveexec_b64 s[28:29], s[30:31]
	s_cbranch_execz .LBB126_140
.LBB126_153:
	s_and_b64 vcc, exec, s[0:1]
	s_cbranch_vccnz .LBB126_155
; %bb.154:
	v_lshl_add_u64 v[116:117], v[132:133], 3, v[114:115]
	flat_load_dwordx2 v[116:117], v[116:117]
	s_waitcnt vmcnt(0) lgkmcnt(0)
	v_mul_f64 v[116:117], s[24:25], v[116:117]
	v_cvt_f32_f64_e32 v116, v[116:117]
	s_branch .LBB126_156
.LBB126_155:
	v_mov_b32_e32 v116, 0
.LBB126_156:
	v_add_f64 v[118:119], v[54:55], v[110:111]
	v_add_f64 v[120:121], v[52:53], v[108:109]
	v_cvt_f32_f64_e32 v117, v[120:121]
	v_cvt_f32_f64_e32 v118, v[118:119]
	v_min3_f32 v117, v117, v118, v196
	v_add_f64 v[118:119], v[50:51], v[106:107]
	v_add_f64 v[120:121], v[48:49], v[104:105]
	v_cvt_f32_f64_e32 v120, v[120:121]
	v_cvt_f32_f64_e32 v118, v[118:119]
	v_min_f32_e32 v118, v120, v118
	v_min3_f32 v116, v116, v118, v117
	v_cvt_f64_f32_e32 v[116:117], v116
	v_lshl_add_u64 v[118:119], v[132:133], 3, v[112:113]
	flat_store_dwordx2 v[118:119], v[116:117]
	s_or_b64 exec, exec, s[28:29]
	s_and_b64 s[30:31], s[8:9], s[18:19]
	s_and_saveexec_b64 s[28:29], s[30:31]
	s_cbranch_execz .LBB126_141
.LBB126_157:
	s_and_b64 vcc, exec, s[0:1]
	s_cbranch_vccnz .LBB126_159
; %bb.158:
	v_lshl_add_u64 v[116:117], v[134:135], 3, v[114:115]
	flat_load_dwordx2 v[116:117], v[116:117]
	s_waitcnt vmcnt(0) lgkmcnt(0)
	v_mul_f64 v[116:117], s[24:25], v[116:117]
	v_cvt_f32_f64_e32 v116, v[116:117]
	s_branch .LBB126_160
.LBB126_159:
	v_mov_b32_e32 v116, 0
.LBB126_160:
	v_add_f64 v[118:119], v[46:47], v[110:111]
	v_add_f64 v[120:121], v[44:45], v[108:109]
	v_cvt_f32_f64_e32 v117, v[120:121]
	v_cvt_f32_f64_e32 v118, v[118:119]
	v_min3_f32 v117, v117, v118, v195
	v_add_f64 v[118:119], v[42:43], v[106:107]
	v_add_f64 v[120:121], v[40:41], v[104:105]
	v_cvt_f32_f64_e32 v120, v[120:121]
	v_cvt_f32_f64_e32 v118, v[118:119]
	v_min_f32_e32 v118, v120, v118
	v_min3_f32 v116, v116, v118, v117
	v_cvt_f64_f32_e32 v[116:117], v116
	v_lshl_add_u64 v[118:119], v[134:135], 3, v[112:113]
	flat_store_dwordx2 v[118:119], v[116:117]
	s_or_b64 exec, exec, s[28:29]
	s_and_b64 s[30:31], s[10:11], s[18:19]
	s_and_saveexec_b64 s[28:29], s[30:31]
	s_cbranch_execz .LBB126_142
.LBB126_161:
	s_and_b64 vcc, exec, s[0:1]
	s_cbranch_vccnz .LBB126_163
; %bb.162:
	v_lshl_add_u64 v[116:117], v[136:137], 3, v[114:115]
	flat_load_dwordx2 v[116:117], v[116:117]
	s_waitcnt vmcnt(0) lgkmcnt(0)
	v_mul_f64 v[116:117], s[24:25], v[116:117]
	v_cvt_f32_f64_e32 v116, v[116:117]
	s_branch .LBB126_164
.LBB126_163:
	v_mov_b32_e32 v116, 0
.LBB126_164:
	v_add_f64 v[118:119], v[38:39], v[110:111]
	v_add_f64 v[120:121], v[36:37], v[108:109]
	v_cvt_f32_f64_e32 v117, v[120:121]
	v_cvt_f32_f64_e32 v118, v[118:119]
	v_min3_f32 v117, v117, v118, v194
	v_add_f64 v[118:119], v[34:35], v[106:107]
	v_add_f64 v[120:121], v[32:33], v[104:105]
	v_cvt_f32_f64_e32 v120, v[120:121]
	v_cvt_f32_f64_e32 v118, v[118:119]
	v_min_f32_e32 v118, v120, v118
	v_min3_f32 v116, v116, v118, v117
	v_cvt_f64_f32_e32 v[116:117], v116
	v_lshl_add_u64 v[118:119], v[136:137], 3, v[112:113]
	flat_store_dwordx2 v[118:119], v[116:117]
	s_or_b64 exec, exec, s[28:29]
	s_and_b64 s[30:31], s[12:13], s[18:19]
	s_and_saveexec_b64 s[28:29], s[30:31]
	s_cbranch_execz .LBB126_143
.LBB126_165:
	s_and_b64 vcc, exec, s[0:1]
	s_cbranch_vccnz .LBB126_167
; %bb.166:
	v_lshl_add_u64 v[116:117], v[138:139], 3, v[114:115]
	flat_load_dwordx2 v[116:117], v[116:117]
	s_waitcnt vmcnt(0) lgkmcnt(0)
	v_mul_f64 v[116:117], s[24:25], v[116:117]
	v_cvt_f32_f64_e32 v116, v[116:117]
	s_branch .LBB126_168
.LBB126_167:
	v_mov_b32_e32 v116, 0
.LBB126_168:
	v_add_f64 v[118:119], v[30:31], v[110:111]
	v_add_f64 v[120:121], v[28:29], v[108:109]
	v_cvt_f32_f64_e32 v117, v[120:121]
	v_cvt_f32_f64_e32 v118, v[118:119]
	v_min3_f32 v117, v117, v118, v193
	v_add_f64 v[118:119], v[26:27], v[106:107]
	v_add_f64 v[120:121], v[24:25], v[104:105]
	v_cvt_f32_f64_e32 v120, v[120:121]
	v_cvt_f32_f64_e32 v118, v[118:119]
	v_min_f32_e32 v118, v120, v118
	v_min3_f32 v116, v116, v118, v117
	v_cvt_f64_f32_e32 v[116:117], v116
	v_lshl_add_u64 v[118:119], v[138:139], 3, v[112:113]
	flat_store_dwordx2 v[118:119], v[116:117]
	s_or_b64 exec, exec, s[28:29]
	s_and_b64 s[30:31], s[14:15], s[18:19]
	s_and_saveexec_b64 s[28:29], s[30:31]
	s_cbranch_execz .LBB126_144
.LBB126_169:
	s_and_b64 vcc, exec, s[0:1]
	s_cbranch_vccnz .LBB126_171
; %bb.170:
	v_lshl_add_u64 v[116:117], v[140:141], 3, v[114:115]
	flat_load_dwordx2 v[116:117], v[116:117]
	s_waitcnt vmcnt(0) lgkmcnt(0)
	v_mul_f64 v[116:117], s[24:25], v[116:117]
	v_cvt_f32_f64_e32 v116, v[116:117]
	s_branch .LBB126_172
.LBB126_171:
	v_mov_b32_e32 v116, 0
.LBB126_172:
	v_add_f64 v[118:119], v[22:23], v[110:111]
	v_add_f64 v[120:121], v[20:21], v[108:109]
	v_cvt_f32_f64_e32 v117, v[120:121]
	v_cvt_f32_f64_e32 v118, v[118:119]
	v_min3_f32 v117, v117, v118, v192
	v_add_f64 v[118:119], v[18:19], v[106:107]
	v_add_f64 v[120:121], v[16:17], v[104:105]
	v_cvt_f32_f64_e32 v120, v[120:121]
	v_cvt_f32_f64_e32 v118, v[118:119]
	v_min_f32_e32 v118, v120, v118
	v_min3_f32 v116, v116, v118, v117
	v_cvt_f64_f32_e32 v[116:117], v116
	v_lshl_add_u64 v[118:119], v[140:141], 3, v[112:113]
	flat_store_dwordx2 v[118:119], v[116:117]
	s_or_b64 exec, exec, s[28:29]
	s_and_b64 s[28:29], s[16:17], s[18:19]
	s_and_saveexec_b64 s[18:19], s[28:29]
	s_cbranch_execz .LBB126_177
.LBB126_173:
	s_and_b64 vcc, exec, s[0:1]
	s_cbranch_vccnz .LBB126_175
; %bb.174:
	v_lshl_add_u64 v[114:115], v[142:143], 3, v[114:115]
	flat_load_dwordx2 v[114:115], v[114:115]
	s_waitcnt vmcnt(0) lgkmcnt(0)
	v_mul_f64 v[114:115], s[24:25], v[114:115]
	v_cvt_f32_f64_e32 v114, v[114:115]
	s_branch .LBB126_176
.LBB126_175:
	v_mov_b32_e32 v114, 0
.LBB126_176:
	v_add_f64 v[110:111], v[6:7], v[110:111]
	v_add_f64 v[108:109], v[4:5], v[108:109]
	;; [unrolled: 1-line block ×4, first 2 shown]
	v_cvt_f32_f64_e32 v108, v[108:109]
	v_cvt_f32_f64_e32 v109, v[110:111]
	;; [unrolled: 1-line block ×4, first 2 shown]
	v_min3_f32 v108, v108, v109, v191
	v_min_f32_e32 v104, v104, v105
	v_min3_f32 v104, v114, v104, v108
	v_cvt_f64_f32_e32 v[104:105], v104
	v_lshl_add_u64 v[106:107], v[142:143], 3, v[112:113]
	flat_store_dwordx2 v[106:107], v[104:105]
.LBB126_177:
	s_or_b64 exec, exec, s[18:19]
	v_add_u32_e32 v108, 0x60, v158
	v_mad_i64_i32 v[104:105], s[28:29], v108, s35, 0
	v_cmp_gt_i32_e64 s[18:19], s21, v108
	v_lshl_add_u64 v[106:107], v[104:105], 3, s[26:27]
	v_mad_i64_i32 v[104:105], s[28:29], v108, s34, 0
	v_lshl_add_u64 v[104:105], v[104:105], 3, s[22:23]
	s_and_b64 s[30:31], s[2:3], s[18:19]
	s_and_saveexec_b64 s[28:29], s[30:31]
	s_cbranch_execnz .LBB126_185
; %bb.178:
	s_or_b64 exec, exec, s[28:29]
	s_and_b64 s[30:31], s[4:5], s[18:19]
	s_and_saveexec_b64 s[28:29], s[30:31]
	s_cbranch_execnz .LBB126_189
.LBB126_179:
	s_or_b64 exec, exec, s[28:29]
	s_and_b64 s[30:31], s[6:7], s[18:19]
	s_and_saveexec_b64 s[28:29], s[30:31]
	s_cbranch_execnz .LBB126_193
.LBB126_180:
	s_or_b64 exec, exec, s[28:29]
	s_and_b64 s[30:31], s[8:9], s[18:19]
	s_and_saveexec_b64 s[28:29], s[30:31]
	s_cbranch_execnz .LBB126_197
.LBB126_181:
	s_or_b64 exec, exec, s[28:29]
	s_and_b64 s[30:31], s[10:11], s[18:19]
	s_and_saveexec_b64 s[28:29], s[30:31]
	s_cbranch_execnz .LBB126_201
.LBB126_182:
	s_or_b64 exec, exec, s[28:29]
	s_and_b64 s[30:31], s[12:13], s[18:19]
	s_and_saveexec_b64 s[28:29], s[30:31]
	s_cbranch_execnz .LBB126_205
.LBB126_183:
	s_or_b64 exec, exec, s[28:29]
	s_and_b64 s[30:31], s[14:15], s[18:19]
	s_and_saveexec_b64 s[28:29], s[30:31]
	s_cbranch_execnz .LBB126_209
.LBB126_184:
	s_or_b64 exec, exec, s[28:29]
	s_and_b64 s[28:29], s[16:17], s[18:19]
	s_and_saveexec_b64 s[18:19], s[28:29]
	s_cbranch_execnz .LBB126_213
	s_branch .LBB126_217
.LBB126_185:
	s_and_b64 vcc, exec, s[0:1]
	s_cbranch_vccnz .LBB126_187
; %bb.186:
	v_lshl_add_u64 v[108:109], v[128:129], 3, v[106:107]
	flat_load_dwordx2 v[108:109], v[108:109]
	s_waitcnt vmcnt(0) lgkmcnt(0)
	v_mul_f64 v[108:109], s[24:25], v[108:109]
	v_cvt_f32_f64_e32 v108, v[108:109]
	s_branch .LBB126_188
.LBB126_187:
	v_mov_b32_e32 v108, 0
.LBB126_188:
	v_add_f64 v[110:111], v[70:71], v[102:103]
	v_add_f64 v[112:113], v[68:69], v[100:101]
	v_cvt_f32_f64_e32 v109, v[112:113]
	v_cvt_f32_f64_e32 v110, v[110:111]
	v_min3_f32 v109, v109, v110, v190
	v_add_f64 v[110:111], v[66:67], v[98:99]
	v_add_f64 v[112:113], v[64:65], v[96:97]
	v_cvt_f32_f64_e32 v112, v[112:113]
	v_cvt_f32_f64_e32 v110, v[110:111]
	v_min_f32_e32 v110, v112, v110
	v_min3_f32 v108, v108, v110, v109
	v_cvt_f64_f32_e32 v[108:109], v108
	v_lshl_add_u64 v[110:111], v[128:129], 3, v[104:105]
	flat_store_dwordx2 v[110:111], v[108:109]
	s_or_b64 exec, exec, s[28:29]
	s_and_b64 s[30:31], s[4:5], s[18:19]
	s_and_saveexec_b64 s[28:29], s[30:31]
	s_cbranch_execz .LBB126_179
.LBB126_189:
	s_and_b64 vcc, exec, s[0:1]
	s_cbranch_vccnz .LBB126_191
; %bb.190:
	v_lshl_add_u64 v[108:109], v[130:131], 3, v[106:107]
	flat_load_dwordx2 v[108:109], v[108:109]
	s_waitcnt vmcnt(0) lgkmcnt(0)
	v_mul_f64 v[108:109], s[24:25], v[108:109]
	v_cvt_f32_f64_e32 v108, v[108:109]
	s_branch .LBB126_192
.LBB126_191:
	v_mov_b32_e32 v108, 0
.LBB126_192:
	v_add_f64 v[110:111], v[62:63], v[102:103]
	v_add_f64 v[112:113], v[60:61], v[100:101]
	v_cvt_f32_f64_e32 v109, v[112:113]
	v_cvt_f32_f64_e32 v110, v[110:111]
	v_min3_f32 v109, v109, v110, v189
	v_add_f64 v[110:111], v[58:59], v[98:99]
	v_add_f64 v[112:113], v[56:57], v[96:97]
	v_cvt_f32_f64_e32 v112, v[112:113]
	v_cvt_f32_f64_e32 v110, v[110:111]
	v_min_f32_e32 v110, v112, v110
	v_min3_f32 v108, v108, v110, v109
	v_cvt_f64_f32_e32 v[108:109], v108
	v_lshl_add_u64 v[110:111], v[130:131], 3, v[104:105]
	flat_store_dwordx2 v[110:111], v[108:109]
	s_or_b64 exec, exec, s[28:29]
	s_and_b64 s[30:31], s[6:7], s[18:19]
	s_and_saveexec_b64 s[28:29], s[30:31]
	s_cbranch_execz .LBB126_180
.LBB126_193:
	s_and_b64 vcc, exec, s[0:1]
	s_cbranch_vccnz .LBB126_195
; %bb.194:
	v_lshl_add_u64 v[108:109], v[132:133], 3, v[106:107]
	flat_load_dwordx2 v[108:109], v[108:109]
	s_waitcnt vmcnt(0) lgkmcnt(0)
	v_mul_f64 v[108:109], s[24:25], v[108:109]
	v_cvt_f32_f64_e32 v108, v[108:109]
	s_branch .LBB126_196
.LBB126_195:
	v_mov_b32_e32 v108, 0
.LBB126_196:
	v_add_f64 v[110:111], v[54:55], v[102:103]
	v_add_f64 v[112:113], v[52:53], v[100:101]
	v_cvt_f32_f64_e32 v109, v[112:113]
	v_cvt_f32_f64_e32 v110, v[110:111]
	v_min3_f32 v109, v109, v110, v188
	v_add_f64 v[110:111], v[50:51], v[98:99]
	v_add_f64 v[112:113], v[48:49], v[96:97]
	v_cvt_f32_f64_e32 v112, v[112:113]
	v_cvt_f32_f64_e32 v110, v[110:111]
	v_min_f32_e32 v110, v112, v110
	v_min3_f32 v108, v108, v110, v109
	v_cvt_f64_f32_e32 v[108:109], v108
	v_lshl_add_u64 v[110:111], v[132:133], 3, v[104:105]
	flat_store_dwordx2 v[110:111], v[108:109]
	s_or_b64 exec, exec, s[28:29]
	s_and_b64 s[30:31], s[8:9], s[18:19]
	s_and_saveexec_b64 s[28:29], s[30:31]
	s_cbranch_execz .LBB126_181
.LBB126_197:
	s_and_b64 vcc, exec, s[0:1]
	s_cbranch_vccnz .LBB126_199
; %bb.198:
	v_lshl_add_u64 v[108:109], v[134:135], 3, v[106:107]
	flat_load_dwordx2 v[108:109], v[108:109]
	s_waitcnt vmcnt(0) lgkmcnt(0)
	v_mul_f64 v[108:109], s[24:25], v[108:109]
	v_cvt_f32_f64_e32 v108, v[108:109]
	s_branch .LBB126_200
.LBB126_199:
	v_mov_b32_e32 v108, 0
.LBB126_200:
	v_add_f64 v[110:111], v[46:47], v[102:103]
	v_add_f64 v[112:113], v[44:45], v[100:101]
	v_cvt_f32_f64_e32 v109, v[112:113]
	v_cvt_f32_f64_e32 v110, v[110:111]
	v_min3_f32 v109, v109, v110, v187
	v_add_f64 v[110:111], v[42:43], v[98:99]
	v_add_f64 v[112:113], v[40:41], v[96:97]
	v_cvt_f32_f64_e32 v112, v[112:113]
	v_cvt_f32_f64_e32 v110, v[110:111]
	v_min_f32_e32 v110, v112, v110
	v_min3_f32 v108, v108, v110, v109
	v_cvt_f64_f32_e32 v[108:109], v108
	v_lshl_add_u64 v[110:111], v[134:135], 3, v[104:105]
	flat_store_dwordx2 v[110:111], v[108:109]
	s_or_b64 exec, exec, s[28:29]
	s_and_b64 s[30:31], s[10:11], s[18:19]
	s_and_saveexec_b64 s[28:29], s[30:31]
	s_cbranch_execz .LBB126_182
.LBB126_201:
	s_and_b64 vcc, exec, s[0:1]
	s_cbranch_vccnz .LBB126_203
; %bb.202:
	v_lshl_add_u64 v[108:109], v[136:137], 3, v[106:107]
	flat_load_dwordx2 v[108:109], v[108:109]
	s_waitcnt vmcnt(0) lgkmcnt(0)
	v_mul_f64 v[108:109], s[24:25], v[108:109]
	v_cvt_f32_f64_e32 v108, v[108:109]
	s_branch .LBB126_204
.LBB126_203:
	v_mov_b32_e32 v108, 0
.LBB126_204:
	v_add_f64 v[110:111], v[38:39], v[102:103]
	v_add_f64 v[112:113], v[36:37], v[100:101]
	v_cvt_f32_f64_e32 v109, v[112:113]
	v_cvt_f32_f64_e32 v110, v[110:111]
	v_min3_f32 v109, v109, v110, v186
	v_add_f64 v[110:111], v[34:35], v[98:99]
	v_add_f64 v[112:113], v[32:33], v[96:97]
	v_cvt_f32_f64_e32 v112, v[112:113]
	v_cvt_f32_f64_e32 v110, v[110:111]
	v_min_f32_e32 v110, v112, v110
	v_min3_f32 v108, v108, v110, v109
	v_cvt_f64_f32_e32 v[108:109], v108
	v_lshl_add_u64 v[110:111], v[136:137], 3, v[104:105]
	flat_store_dwordx2 v[110:111], v[108:109]
	s_or_b64 exec, exec, s[28:29]
	s_and_b64 s[30:31], s[12:13], s[18:19]
	s_and_saveexec_b64 s[28:29], s[30:31]
	s_cbranch_execz .LBB126_183
.LBB126_205:
	s_and_b64 vcc, exec, s[0:1]
	s_cbranch_vccnz .LBB126_207
; %bb.206:
	v_lshl_add_u64 v[108:109], v[138:139], 3, v[106:107]
	flat_load_dwordx2 v[108:109], v[108:109]
	s_waitcnt vmcnt(0) lgkmcnt(0)
	v_mul_f64 v[108:109], s[24:25], v[108:109]
	v_cvt_f32_f64_e32 v108, v[108:109]
	s_branch .LBB126_208
.LBB126_207:
	v_mov_b32_e32 v108, 0
.LBB126_208:
	v_add_f64 v[110:111], v[30:31], v[102:103]
	v_add_f64 v[112:113], v[28:29], v[100:101]
	v_cvt_f32_f64_e32 v109, v[112:113]
	v_cvt_f32_f64_e32 v110, v[110:111]
	v_min3_f32 v109, v109, v110, v185
	v_add_f64 v[110:111], v[26:27], v[98:99]
	v_add_f64 v[112:113], v[24:25], v[96:97]
	v_cvt_f32_f64_e32 v112, v[112:113]
	v_cvt_f32_f64_e32 v110, v[110:111]
	v_min_f32_e32 v110, v112, v110
	v_min3_f32 v108, v108, v110, v109
	v_cvt_f64_f32_e32 v[108:109], v108
	v_lshl_add_u64 v[110:111], v[138:139], 3, v[104:105]
	flat_store_dwordx2 v[110:111], v[108:109]
	s_or_b64 exec, exec, s[28:29]
	s_and_b64 s[30:31], s[14:15], s[18:19]
	s_and_saveexec_b64 s[28:29], s[30:31]
	s_cbranch_execz .LBB126_184
.LBB126_209:
	s_and_b64 vcc, exec, s[0:1]
	s_cbranch_vccnz .LBB126_211
; %bb.210:
	v_lshl_add_u64 v[108:109], v[140:141], 3, v[106:107]
	flat_load_dwordx2 v[108:109], v[108:109]
	s_waitcnt vmcnt(0) lgkmcnt(0)
	v_mul_f64 v[108:109], s[24:25], v[108:109]
	v_cvt_f32_f64_e32 v108, v[108:109]
	s_branch .LBB126_212
.LBB126_211:
	v_mov_b32_e32 v108, 0
.LBB126_212:
	v_add_f64 v[110:111], v[22:23], v[102:103]
	v_add_f64 v[112:113], v[20:21], v[100:101]
	v_cvt_f32_f64_e32 v109, v[112:113]
	v_cvt_f32_f64_e32 v110, v[110:111]
	v_min3_f32 v109, v109, v110, v184
	v_add_f64 v[110:111], v[18:19], v[98:99]
	v_add_f64 v[112:113], v[16:17], v[96:97]
	v_cvt_f32_f64_e32 v112, v[112:113]
	v_cvt_f32_f64_e32 v110, v[110:111]
	v_min_f32_e32 v110, v112, v110
	v_min3_f32 v108, v108, v110, v109
	v_cvt_f64_f32_e32 v[108:109], v108
	v_lshl_add_u64 v[110:111], v[140:141], 3, v[104:105]
	flat_store_dwordx2 v[110:111], v[108:109]
	s_or_b64 exec, exec, s[28:29]
	s_and_b64 s[28:29], s[16:17], s[18:19]
	s_and_saveexec_b64 s[18:19], s[28:29]
	s_cbranch_execz .LBB126_217
.LBB126_213:
	s_and_b64 vcc, exec, s[0:1]
	s_cbranch_vccnz .LBB126_215
; %bb.214:
	v_lshl_add_u64 v[106:107], v[142:143], 3, v[106:107]
	flat_load_dwordx2 v[106:107], v[106:107]
	s_waitcnt vmcnt(0) lgkmcnt(0)
	v_mul_f64 v[106:107], s[24:25], v[106:107]
	v_cvt_f32_f64_e32 v106, v[106:107]
	s_branch .LBB126_216
.LBB126_215:
	v_mov_b32_e32 v106, 0
.LBB126_216:
	v_add_f64 v[102:103], v[6:7], v[102:103]
	v_add_f64 v[100:101], v[4:5], v[100:101]
	;; [unrolled: 1-line block ×4, first 2 shown]
	v_cvt_f32_f64_e32 v100, v[100:101]
	v_cvt_f32_f64_e32 v101, v[102:103]
	;; [unrolled: 1-line block ×4, first 2 shown]
	v_min3_f32 v100, v100, v101, v183
	v_min_f32_e32 v96, v96, v97
	v_min3_f32 v96, v106, v96, v100
	v_cvt_f64_f32_e32 v[96:97], v96
	v_lshl_add_u64 v[98:99], v[142:143], 3, v[104:105]
	flat_store_dwordx2 v[98:99], v[96:97]
.LBB126_217:
	s_or_b64 exec, exec, s[18:19]
	v_add_u32_e32 v100, 0x80, v158
	v_mad_i64_i32 v[96:97], s[28:29], v100, s35, 0
	v_cmp_gt_i32_e64 s[18:19], s21, v100
	v_lshl_add_u64 v[98:99], v[96:97], 3, s[26:27]
	v_mad_i64_i32 v[96:97], s[28:29], v100, s34, 0
	v_lshl_add_u64 v[96:97], v[96:97], 3, s[22:23]
	s_and_b64 s[30:31], s[2:3], s[18:19]
	s_and_saveexec_b64 s[28:29], s[30:31]
	s_cbranch_execnz .LBB126_225
; %bb.218:
	s_or_b64 exec, exec, s[28:29]
	s_and_b64 s[30:31], s[4:5], s[18:19]
	s_and_saveexec_b64 s[28:29], s[30:31]
	s_cbranch_execnz .LBB126_229
.LBB126_219:
	s_or_b64 exec, exec, s[28:29]
	s_and_b64 s[30:31], s[6:7], s[18:19]
	s_and_saveexec_b64 s[28:29], s[30:31]
	s_cbranch_execnz .LBB126_233
.LBB126_220:
	s_or_b64 exec, exec, s[28:29]
	s_and_b64 s[30:31], s[8:9], s[18:19]
	s_and_saveexec_b64 s[28:29], s[30:31]
	s_cbranch_execnz .LBB126_237
.LBB126_221:
	s_or_b64 exec, exec, s[28:29]
	s_and_b64 s[30:31], s[10:11], s[18:19]
	s_and_saveexec_b64 s[28:29], s[30:31]
	s_cbranch_execnz .LBB126_241
.LBB126_222:
	s_or_b64 exec, exec, s[28:29]
	s_and_b64 s[30:31], s[12:13], s[18:19]
	s_and_saveexec_b64 s[28:29], s[30:31]
	s_cbranch_execnz .LBB126_245
.LBB126_223:
	s_or_b64 exec, exec, s[28:29]
	s_and_b64 s[30:31], s[14:15], s[18:19]
	s_and_saveexec_b64 s[28:29], s[30:31]
	s_cbranch_execnz .LBB126_249
.LBB126_224:
	s_or_b64 exec, exec, s[28:29]
	s_and_b64 s[28:29], s[16:17], s[18:19]
	s_and_saveexec_b64 s[18:19], s[28:29]
	s_cbranch_execnz .LBB126_253
	s_branch .LBB126_257
.LBB126_225:
	s_and_b64 vcc, exec, s[0:1]
	s_cbranch_vccnz .LBB126_227
; %bb.226:
	v_lshl_add_u64 v[100:101], v[128:129], 3, v[98:99]
	flat_load_dwordx2 v[100:101], v[100:101]
	s_waitcnt vmcnt(0) lgkmcnt(0)
	v_mul_f64 v[100:101], s[24:25], v[100:101]
	v_cvt_f32_f64_e32 v100, v[100:101]
	s_branch .LBB126_228
.LBB126_227:
	v_mov_b32_e32 v100, 0
.LBB126_228:
	v_add_f64 v[102:103], v[70:71], v[94:95]
	v_add_f64 v[104:105], v[68:69], v[92:93]
	v_cvt_f32_f64_e32 v101, v[104:105]
	v_cvt_f32_f64_e32 v102, v[102:103]
	v_min3_f32 v101, v101, v102, v182
	v_add_f64 v[102:103], v[66:67], v[90:91]
	v_add_f64 v[104:105], v[64:65], v[88:89]
	v_cvt_f32_f64_e32 v104, v[104:105]
	v_cvt_f32_f64_e32 v102, v[102:103]
	v_min_f32_e32 v102, v104, v102
	v_min3_f32 v100, v100, v102, v101
	v_cvt_f64_f32_e32 v[100:101], v100
	v_lshl_add_u64 v[102:103], v[128:129], 3, v[96:97]
	flat_store_dwordx2 v[102:103], v[100:101]
	s_or_b64 exec, exec, s[28:29]
	s_and_b64 s[30:31], s[4:5], s[18:19]
	s_and_saveexec_b64 s[28:29], s[30:31]
	s_cbranch_execz .LBB126_219
.LBB126_229:
	s_and_b64 vcc, exec, s[0:1]
	s_cbranch_vccnz .LBB126_231
; %bb.230:
	v_lshl_add_u64 v[100:101], v[130:131], 3, v[98:99]
	flat_load_dwordx2 v[100:101], v[100:101]
	s_waitcnt vmcnt(0) lgkmcnt(0)
	v_mul_f64 v[100:101], s[24:25], v[100:101]
	v_cvt_f32_f64_e32 v100, v[100:101]
	s_branch .LBB126_232
.LBB126_231:
	v_mov_b32_e32 v100, 0
.LBB126_232:
	v_add_f64 v[102:103], v[62:63], v[94:95]
	v_add_f64 v[104:105], v[60:61], v[92:93]
	v_cvt_f32_f64_e32 v101, v[104:105]
	v_cvt_f32_f64_e32 v102, v[102:103]
	v_min3_f32 v101, v101, v102, v181
	v_add_f64 v[102:103], v[58:59], v[90:91]
	v_add_f64 v[104:105], v[56:57], v[88:89]
	v_cvt_f32_f64_e32 v104, v[104:105]
	v_cvt_f32_f64_e32 v102, v[102:103]
	v_min_f32_e32 v102, v104, v102
	v_min3_f32 v100, v100, v102, v101
	v_cvt_f64_f32_e32 v[100:101], v100
	v_lshl_add_u64 v[102:103], v[130:131], 3, v[96:97]
	flat_store_dwordx2 v[102:103], v[100:101]
	s_or_b64 exec, exec, s[28:29]
	s_and_b64 s[30:31], s[6:7], s[18:19]
	s_and_saveexec_b64 s[28:29], s[30:31]
	s_cbranch_execz .LBB126_220
.LBB126_233:
	s_and_b64 vcc, exec, s[0:1]
	s_cbranch_vccnz .LBB126_235
; %bb.234:
	v_lshl_add_u64 v[100:101], v[132:133], 3, v[98:99]
	flat_load_dwordx2 v[100:101], v[100:101]
	s_waitcnt vmcnt(0) lgkmcnt(0)
	v_mul_f64 v[100:101], s[24:25], v[100:101]
	v_cvt_f32_f64_e32 v100, v[100:101]
	s_branch .LBB126_236
.LBB126_235:
	v_mov_b32_e32 v100, 0
.LBB126_236:
	v_add_f64 v[102:103], v[54:55], v[94:95]
	v_add_f64 v[104:105], v[52:53], v[92:93]
	v_cvt_f32_f64_e32 v101, v[104:105]
	v_cvt_f32_f64_e32 v102, v[102:103]
	v_min3_f32 v101, v101, v102, v180
	v_add_f64 v[102:103], v[50:51], v[90:91]
	v_add_f64 v[104:105], v[48:49], v[88:89]
	v_cvt_f32_f64_e32 v104, v[104:105]
	v_cvt_f32_f64_e32 v102, v[102:103]
	v_min_f32_e32 v102, v104, v102
	v_min3_f32 v100, v100, v102, v101
	v_cvt_f64_f32_e32 v[100:101], v100
	v_lshl_add_u64 v[102:103], v[132:133], 3, v[96:97]
	flat_store_dwordx2 v[102:103], v[100:101]
	s_or_b64 exec, exec, s[28:29]
	s_and_b64 s[30:31], s[8:9], s[18:19]
	s_and_saveexec_b64 s[28:29], s[30:31]
	s_cbranch_execz .LBB126_221
.LBB126_237:
	s_and_b64 vcc, exec, s[0:1]
	s_cbranch_vccnz .LBB126_239
; %bb.238:
	v_lshl_add_u64 v[100:101], v[134:135], 3, v[98:99]
	flat_load_dwordx2 v[100:101], v[100:101]
	s_waitcnt vmcnt(0) lgkmcnt(0)
	v_mul_f64 v[100:101], s[24:25], v[100:101]
	v_cvt_f32_f64_e32 v100, v[100:101]
	s_branch .LBB126_240
.LBB126_239:
	v_mov_b32_e32 v100, 0
.LBB126_240:
	v_add_f64 v[102:103], v[46:47], v[94:95]
	v_add_f64 v[104:105], v[44:45], v[92:93]
	v_cvt_f32_f64_e32 v101, v[104:105]
	v_cvt_f32_f64_e32 v102, v[102:103]
	v_min3_f32 v101, v101, v102, v179
	v_add_f64 v[102:103], v[42:43], v[90:91]
	v_add_f64 v[104:105], v[40:41], v[88:89]
	v_cvt_f32_f64_e32 v104, v[104:105]
	v_cvt_f32_f64_e32 v102, v[102:103]
	v_min_f32_e32 v102, v104, v102
	v_min3_f32 v100, v100, v102, v101
	v_cvt_f64_f32_e32 v[100:101], v100
	v_lshl_add_u64 v[102:103], v[134:135], 3, v[96:97]
	flat_store_dwordx2 v[102:103], v[100:101]
	s_or_b64 exec, exec, s[28:29]
	s_and_b64 s[30:31], s[10:11], s[18:19]
	s_and_saveexec_b64 s[28:29], s[30:31]
	s_cbranch_execz .LBB126_222
.LBB126_241:
	s_and_b64 vcc, exec, s[0:1]
	s_cbranch_vccnz .LBB126_243
; %bb.242:
	v_lshl_add_u64 v[100:101], v[136:137], 3, v[98:99]
	flat_load_dwordx2 v[100:101], v[100:101]
	s_waitcnt vmcnt(0) lgkmcnt(0)
	v_mul_f64 v[100:101], s[24:25], v[100:101]
	v_cvt_f32_f64_e32 v100, v[100:101]
	s_branch .LBB126_244
.LBB126_243:
	v_mov_b32_e32 v100, 0
.LBB126_244:
	v_add_f64 v[102:103], v[38:39], v[94:95]
	v_add_f64 v[104:105], v[36:37], v[92:93]
	v_cvt_f32_f64_e32 v101, v[104:105]
	v_cvt_f32_f64_e32 v102, v[102:103]
	v_min3_f32 v101, v101, v102, v178
	v_add_f64 v[102:103], v[34:35], v[90:91]
	v_add_f64 v[104:105], v[32:33], v[88:89]
	v_cvt_f32_f64_e32 v104, v[104:105]
	v_cvt_f32_f64_e32 v102, v[102:103]
	v_min_f32_e32 v102, v104, v102
	v_min3_f32 v100, v100, v102, v101
	v_cvt_f64_f32_e32 v[100:101], v100
	v_lshl_add_u64 v[102:103], v[136:137], 3, v[96:97]
	flat_store_dwordx2 v[102:103], v[100:101]
	s_or_b64 exec, exec, s[28:29]
	s_and_b64 s[30:31], s[12:13], s[18:19]
	s_and_saveexec_b64 s[28:29], s[30:31]
	s_cbranch_execz .LBB126_223
.LBB126_245:
	s_and_b64 vcc, exec, s[0:1]
	s_cbranch_vccnz .LBB126_247
; %bb.246:
	v_lshl_add_u64 v[100:101], v[138:139], 3, v[98:99]
	flat_load_dwordx2 v[100:101], v[100:101]
	s_waitcnt vmcnt(0) lgkmcnt(0)
	v_mul_f64 v[100:101], s[24:25], v[100:101]
	v_cvt_f32_f64_e32 v100, v[100:101]
	s_branch .LBB126_248
.LBB126_247:
	v_mov_b32_e32 v100, 0
.LBB126_248:
	v_add_f64 v[102:103], v[30:31], v[94:95]
	v_add_f64 v[104:105], v[28:29], v[92:93]
	v_cvt_f32_f64_e32 v101, v[104:105]
	v_cvt_f32_f64_e32 v102, v[102:103]
	v_min3_f32 v101, v101, v102, v177
	v_add_f64 v[102:103], v[26:27], v[90:91]
	v_add_f64 v[104:105], v[24:25], v[88:89]
	v_cvt_f32_f64_e32 v104, v[104:105]
	v_cvt_f32_f64_e32 v102, v[102:103]
	v_min_f32_e32 v102, v104, v102
	v_min3_f32 v100, v100, v102, v101
	v_cvt_f64_f32_e32 v[100:101], v100
	v_lshl_add_u64 v[102:103], v[138:139], 3, v[96:97]
	flat_store_dwordx2 v[102:103], v[100:101]
	s_or_b64 exec, exec, s[28:29]
	s_and_b64 s[30:31], s[14:15], s[18:19]
	s_and_saveexec_b64 s[28:29], s[30:31]
	s_cbranch_execz .LBB126_224
.LBB126_249:
	s_and_b64 vcc, exec, s[0:1]
	s_cbranch_vccnz .LBB126_251
; %bb.250:
	v_lshl_add_u64 v[100:101], v[140:141], 3, v[98:99]
	flat_load_dwordx2 v[100:101], v[100:101]
	s_waitcnt vmcnt(0) lgkmcnt(0)
	v_mul_f64 v[100:101], s[24:25], v[100:101]
	v_cvt_f32_f64_e32 v100, v[100:101]
	s_branch .LBB126_252
.LBB126_251:
	v_mov_b32_e32 v100, 0
.LBB126_252:
	v_add_f64 v[102:103], v[22:23], v[94:95]
	v_add_f64 v[104:105], v[20:21], v[92:93]
	v_cvt_f32_f64_e32 v101, v[104:105]
	v_cvt_f32_f64_e32 v102, v[102:103]
	v_min3_f32 v101, v101, v102, v176
	v_add_f64 v[102:103], v[18:19], v[90:91]
	v_add_f64 v[104:105], v[16:17], v[88:89]
	v_cvt_f32_f64_e32 v104, v[104:105]
	v_cvt_f32_f64_e32 v102, v[102:103]
	v_min_f32_e32 v102, v104, v102
	v_min3_f32 v100, v100, v102, v101
	v_cvt_f64_f32_e32 v[100:101], v100
	v_lshl_add_u64 v[102:103], v[140:141], 3, v[96:97]
	flat_store_dwordx2 v[102:103], v[100:101]
	s_or_b64 exec, exec, s[28:29]
	s_and_b64 s[28:29], s[16:17], s[18:19]
	s_and_saveexec_b64 s[18:19], s[28:29]
	s_cbranch_execz .LBB126_257
.LBB126_253:
	s_and_b64 vcc, exec, s[0:1]
	s_cbranch_vccnz .LBB126_255
; %bb.254:
	v_lshl_add_u64 v[98:99], v[142:143], 3, v[98:99]
	flat_load_dwordx2 v[98:99], v[98:99]
	s_waitcnt vmcnt(0) lgkmcnt(0)
	v_mul_f64 v[98:99], s[24:25], v[98:99]
	v_cvt_f32_f64_e32 v98, v[98:99]
	s_branch .LBB126_256
.LBB126_255:
	v_mov_b32_e32 v98, 0
.LBB126_256:
	v_add_f64 v[94:95], v[6:7], v[94:95]
	v_add_f64 v[92:93], v[4:5], v[92:93]
	;; [unrolled: 1-line block ×4, first 2 shown]
	v_cvt_f32_f64_e32 v92, v[92:93]
	v_cvt_f32_f64_e32 v93, v[94:95]
	;; [unrolled: 1-line block ×4, first 2 shown]
	v_min3_f32 v92, v92, v93, v175
	v_min_f32_e32 v88, v88, v89
	v_min3_f32 v88, v98, v88, v92
	v_cvt_f64_f32_e32 v[88:89], v88
	v_lshl_add_u64 v[90:91], v[142:143], 3, v[96:97]
	flat_store_dwordx2 v[90:91], v[88:89]
.LBB126_257:
	s_or_b64 exec, exec, s[18:19]
	v_add_u32_e32 v92, 0xa0, v158
	v_mad_i64_i32 v[88:89], s[28:29], v92, s35, 0
	v_cmp_gt_i32_e64 s[18:19], s21, v92
	v_lshl_add_u64 v[90:91], v[88:89], 3, s[26:27]
	v_mad_i64_i32 v[88:89], s[28:29], v92, s34, 0
	v_lshl_add_u64 v[88:89], v[88:89], 3, s[22:23]
	s_and_b64 s[30:31], s[2:3], s[18:19]
	s_and_saveexec_b64 s[28:29], s[30:31]
	s_cbranch_execnz .LBB126_265
; %bb.258:
	s_or_b64 exec, exec, s[28:29]
	s_and_b64 s[30:31], s[4:5], s[18:19]
	s_and_saveexec_b64 s[28:29], s[30:31]
	s_cbranch_execnz .LBB126_269
.LBB126_259:
	s_or_b64 exec, exec, s[28:29]
	s_and_b64 s[30:31], s[6:7], s[18:19]
	s_and_saveexec_b64 s[28:29], s[30:31]
	s_cbranch_execnz .LBB126_273
.LBB126_260:
	s_or_b64 exec, exec, s[28:29]
	s_and_b64 s[30:31], s[8:9], s[18:19]
	s_and_saveexec_b64 s[28:29], s[30:31]
	s_cbranch_execnz .LBB126_277
.LBB126_261:
	s_or_b64 exec, exec, s[28:29]
	s_and_b64 s[30:31], s[10:11], s[18:19]
	s_and_saveexec_b64 s[28:29], s[30:31]
	s_cbranch_execnz .LBB126_281
.LBB126_262:
	s_or_b64 exec, exec, s[28:29]
	s_and_b64 s[30:31], s[12:13], s[18:19]
	s_and_saveexec_b64 s[28:29], s[30:31]
	s_cbranch_execnz .LBB126_285
.LBB126_263:
	s_or_b64 exec, exec, s[28:29]
	s_and_b64 s[30:31], s[14:15], s[18:19]
	s_and_saveexec_b64 s[28:29], s[30:31]
	s_cbranch_execnz .LBB126_289
.LBB126_264:
	s_or_b64 exec, exec, s[28:29]
	s_and_b64 s[28:29], s[16:17], s[18:19]
	s_and_saveexec_b64 s[18:19], s[28:29]
	s_cbranch_execnz .LBB126_293
	s_branch .LBB126_297
.LBB126_265:
	s_and_b64 vcc, exec, s[0:1]
	s_cbranch_vccnz .LBB126_267
; %bb.266:
	v_lshl_add_u64 v[92:93], v[128:129], 3, v[90:91]
	flat_load_dwordx2 v[92:93], v[92:93]
	s_waitcnt vmcnt(0) lgkmcnt(0)
	v_mul_f64 v[92:93], s[24:25], v[92:93]
	v_cvt_f32_f64_e32 v92, v[92:93]
	s_branch .LBB126_268
.LBB126_267:
	v_mov_b32_e32 v92, 0
.LBB126_268:
	v_add_f64 v[94:95], v[70:71], v[86:87]
	v_add_f64 v[96:97], v[68:69], v[84:85]
	v_cvt_f32_f64_e32 v93, v[96:97]
	v_cvt_f32_f64_e32 v94, v[94:95]
	v_min3_f32 v93, v93, v94, v174
	v_add_f64 v[94:95], v[66:67], v[82:83]
	v_add_f64 v[96:97], v[64:65], v[80:81]
	v_cvt_f32_f64_e32 v96, v[96:97]
	v_cvt_f32_f64_e32 v94, v[94:95]
	v_min_f32_e32 v94, v96, v94
	v_min3_f32 v92, v92, v94, v93
	v_cvt_f64_f32_e32 v[92:93], v92
	v_lshl_add_u64 v[94:95], v[128:129], 3, v[88:89]
	flat_store_dwordx2 v[94:95], v[92:93]
	s_or_b64 exec, exec, s[28:29]
	s_and_b64 s[30:31], s[4:5], s[18:19]
	s_and_saveexec_b64 s[28:29], s[30:31]
	s_cbranch_execz .LBB126_259
.LBB126_269:
	s_and_b64 vcc, exec, s[0:1]
	s_cbranch_vccnz .LBB126_271
; %bb.270:
	v_lshl_add_u64 v[92:93], v[130:131], 3, v[90:91]
	flat_load_dwordx2 v[92:93], v[92:93]
	s_waitcnt vmcnt(0) lgkmcnt(0)
	v_mul_f64 v[92:93], s[24:25], v[92:93]
	v_cvt_f32_f64_e32 v92, v[92:93]
	s_branch .LBB126_272
.LBB126_271:
	v_mov_b32_e32 v92, 0
.LBB126_272:
	v_add_f64 v[94:95], v[62:63], v[86:87]
	v_add_f64 v[96:97], v[60:61], v[84:85]
	v_cvt_f32_f64_e32 v93, v[96:97]
	v_cvt_f32_f64_e32 v94, v[94:95]
	v_min3_f32 v93, v93, v94, v173
	v_add_f64 v[94:95], v[58:59], v[82:83]
	v_add_f64 v[96:97], v[56:57], v[80:81]
	v_cvt_f32_f64_e32 v96, v[96:97]
	v_cvt_f32_f64_e32 v94, v[94:95]
	v_min_f32_e32 v94, v96, v94
	v_min3_f32 v92, v92, v94, v93
	v_cvt_f64_f32_e32 v[92:93], v92
	v_lshl_add_u64 v[94:95], v[130:131], 3, v[88:89]
	flat_store_dwordx2 v[94:95], v[92:93]
	s_or_b64 exec, exec, s[28:29]
	s_and_b64 s[30:31], s[6:7], s[18:19]
	s_and_saveexec_b64 s[28:29], s[30:31]
	s_cbranch_execz .LBB126_260
.LBB126_273:
	s_and_b64 vcc, exec, s[0:1]
	s_cbranch_vccnz .LBB126_275
; %bb.274:
	v_lshl_add_u64 v[92:93], v[132:133], 3, v[90:91]
	flat_load_dwordx2 v[92:93], v[92:93]
	s_waitcnt vmcnt(0) lgkmcnt(0)
	v_mul_f64 v[92:93], s[24:25], v[92:93]
	v_cvt_f32_f64_e32 v92, v[92:93]
	s_branch .LBB126_276
.LBB126_275:
	v_mov_b32_e32 v92, 0
.LBB126_276:
	v_add_f64 v[94:95], v[54:55], v[86:87]
	v_add_f64 v[96:97], v[52:53], v[84:85]
	v_cvt_f32_f64_e32 v93, v[96:97]
	v_cvt_f32_f64_e32 v94, v[94:95]
	v_min3_f32 v93, v93, v94, v172
	v_add_f64 v[94:95], v[50:51], v[82:83]
	v_add_f64 v[96:97], v[48:49], v[80:81]
	v_cvt_f32_f64_e32 v96, v[96:97]
	v_cvt_f32_f64_e32 v94, v[94:95]
	v_min_f32_e32 v94, v96, v94
	v_min3_f32 v92, v92, v94, v93
	v_cvt_f64_f32_e32 v[92:93], v92
	v_lshl_add_u64 v[94:95], v[132:133], 3, v[88:89]
	flat_store_dwordx2 v[94:95], v[92:93]
	s_or_b64 exec, exec, s[28:29]
	s_and_b64 s[30:31], s[8:9], s[18:19]
	s_and_saveexec_b64 s[28:29], s[30:31]
	s_cbranch_execz .LBB126_261
.LBB126_277:
	s_and_b64 vcc, exec, s[0:1]
	s_cbranch_vccnz .LBB126_279
; %bb.278:
	v_lshl_add_u64 v[92:93], v[134:135], 3, v[90:91]
	flat_load_dwordx2 v[92:93], v[92:93]
	s_waitcnt vmcnt(0) lgkmcnt(0)
	v_mul_f64 v[92:93], s[24:25], v[92:93]
	v_cvt_f32_f64_e32 v92, v[92:93]
	s_branch .LBB126_280
.LBB126_279:
	v_mov_b32_e32 v92, 0
.LBB126_280:
	v_add_f64 v[94:95], v[46:47], v[86:87]
	v_add_f64 v[96:97], v[44:45], v[84:85]
	v_cvt_f32_f64_e32 v93, v[96:97]
	v_cvt_f32_f64_e32 v94, v[94:95]
	v_min3_f32 v93, v93, v94, v171
	v_add_f64 v[94:95], v[42:43], v[82:83]
	v_add_f64 v[96:97], v[40:41], v[80:81]
	v_cvt_f32_f64_e32 v96, v[96:97]
	v_cvt_f32_f64_e32 v94, v[94:95]
	v_min_f32_e32 v94, v96, v94
	v_min3_f32 v92, v92, v94, v93
	v_cvt_f64_f32_e32 v[92:93], v92
	v_lshl_add_u64 v[94:95], v[134:135], 3, v[88:89]
	flat_store_dwordx2 v[94:95], v[92:93]
	s_or_b64 exec, exec, s[28:29]
	s_and_b64 s[30:31], s[10:11], s[18:19]
	s_and_saveexec_b64 s[28:29], s[30:31]
	s_cbranch_execz .LBB126_262
.LBB126_281:
	s_and_b64 vcc, exec, s[0:1]
	s_cbranch_vccnz .LBB126_283
; %bb.282:
	v_lshl_add_u64 v[92:93], v[136:137], 3, v[90:91]
	flat_load_dwordx2 v[92:93], v[92:93]
	s_waitcnt vmcnt(0) lgkmcnt(0)
	v_mul_f64 v[92:93], s[24:25], v[92:93]
	v_cvt_f32_f64_e32 v92, v[92:93]
	s_branch .LBB126_284
.LBB126_283:
	v_mov_b32_e32 v92, 0
.LBB126_284:
	v_add_f64 v[94:95], v[38:39], v[86:87]
	v_add_f64 v[96:97], v[36:37], v[84:85]
	v_cvt_f32_f64_e32 v93, v[96:97]
	v_cvt_f32_f64_e32 v94, v[94:95]
	v_min3_f32 v93, v93, v94, v170
	v_add_f64 v[94:95], v[34:35], v[82:83]
	v_add_f64 v[96:97], v[32:33], v[80:81]
	v_cvt_f32_f64_e32 v96, v[96:97]
	v_cvt_f32_f64_e32 v94, v[94:95]
	v_min_f32_e32 v94, v96, v94
	v_min3_f32 v92, v92, v94, v93
	v_cvt_f64_f32_e32 v[92:93], v92
	v_lshl_add_u64 v[94:95], v[136:137], 3, v[88:89]
	flat_store_dwordx2 v[94:95], v[92:93]
	s_or_b64 exec, exec, s[28:29]
	s_and_b64 s[30:31], s[12:13], s[18:19]
	s_and_saveexec_b64 s[28:29], s[30:31]
	s_cbranch_execz .LBB126_263
.LBB126_285:
	s_and_b64 vcc, exec, s[0:1]
	s_cbranch_vccnz .LBB126_287
; %bb.286:
	v_lshl_add_u64 v[92:93], v[138:139], 3, v[90:91]
	flat_load_dwordx2 v[92:93], v[92:93]
	s_waitcnt vmcnt(0) lgkmcnt(0)
	v_mul_f64 v[92:93], s[24:25], v[92:93]
	v_cvt_f32_f64_e32 v92, v[92:93]
	s_branch .LBB126_288
.LBB126_287:
	v_mov_b32_e32 v92, 0
.LBB126_288:
	v_add_f64 v[94:95], v[30:31], v[86:87]
	v_add_f64 v[96:97], v[28:29], v[84:85]
	v_cvt_f32_f64_e32 v93, v[96:97]
	v_cvt_f32_f64_e32 v94, v[94:95]
	v_min3_f32 v93, v93, v94, v169
	v_add_f64 v[94:95], v[26:27], v[82:83]
	v_add_f64 v[96:97], v[24:25], v[80:81]
	v_cvt_f32_f64_e32 v96, v[96:97]
	v_cvt_f32_f64_e32 v94, v[94:95]
	v_min_f32_e32 v94, v96, v94
	v_min3_f32 v92, v92, v94, v93
	v_cvt_f64_f32_e32 v[92:93], v92
	v_lshl_add_u64 v[94:95], v[138:139], 3, v[88:89]
	flat_store_dwordx2 v[94:95], v[92:93]
	s_or_b64 exec, exec, s[28:29]
	s_and_b64 s[30:31], s[14:15], s[18:19]
	s_and_saveexec_b64 s[28:29], s[30:31]
	s_cbranch_execz .LBB126_264
.LBB126_289:
	s_and_b64 vcc, exec, s[0:1]
	s_cbranch_vccnz .LBB126_291
; %bb.290:
	v_lshl_add_u64 v[92:93], v[140:141], 3, v[90:91]
	flat_load_dwordx2 v[92:93], v[92:93]
	s_waitcnt vmcnt(0) lgkmcnt(0)
	v_mul_f64 v[92:93], s[24:25], v[92:93]
	v_cvt_f32_f64_e32 v92, v[92:93]
	s_branch .LBB126_292
.LBB126_291:
	v_mov_b32_e32 v92, 0
.LBB126_292:
	v_add_f64 v[94:95], v[22:23], v[86:87]
	v_add_f64 v[96:97], v[20:21], v[84:85]
	v_cvt_f32_f64_e32 v93, v[96:97]
	v_cvt_f32_f64_e32 v94, v[94:95]
	v_min3_f32 v93, v93, v94, v168
	v_add_f64 v[94:95], v[18:19], v[82:83]
	v_add_f64 v[96:97], v[16:17], v[80:81]
	v_cvt_f32_f64_e32 v96, v[96:97]
	v_cvt_f32_f64_e32 v94, v[94:95]
	v_min_f32_e32 v94, v96, v94
	v_min3_f32 v92, v92, v94, v93
	v_cvt_f64_f32_e32 v[92:93], v92
	v_lshl_add_u64 v[94:95], v[140:141], 3, v[88:89]
	flat_store_dwordx2 v[94:95], v[92:93]
	s_or_b64 exec, exec, s[28:29]
	s_and_b64 s[28:29], s[16:17], s[18:19]
	s_and_saveexec_b64 s[18:19], s[28:29]
	s_cbranch_execz .LBB126_297
.LBB126_293:
	s_and_b64 vcc, exec, s[0:1]
	s_cbranch_vccnz .LBB126_295
; %bb.294:
	v_lshl_add_u64 v[90:91], v[142:143], 3, v[90:91]
	flat_load_dwordx2 v[90:91], v[90:91]
	s_waitcnt vmcnt(0) lgkmcnt(0)
	v_mul_f64 v[90:91], s[24:25], v[90:91]
	v_cvt_f32_f64_e32 v90, v[90:91]
	s_branch .LBB126_296
.LBB126_295:
	v_mov_b32_e32 v90, 0
.LBB126_296:
	v_add_f64 v[86:87], v[6:7], v[86:87]
	v_add_f64 v[84:85], v[4:5], v[84:85]
	;; [unrolled: 1-line block ×4, first 2 shown]
	v_cvt_f32_f64_e32 v84, v[84:85]
	v_cvt_f32_f64_e32 v85, v[86:87]
	v_cvt_f32_f64_e32 v80, v[80:81]
	v_cvt_f32_f64_e32 v81, v[82:83]
	v_min3_f32 v84, v84, v85, v167
	v_min_f32_e32 v80, v80, v81
	v_min3_f32 v80, v90, v80, v84
	v_cvt_f64_f32_e32 v[80:81], v80
	v_lshl_add_u64 v[82:83], v[142:143], 3, v[88:89]
	flat_store_dwordx2 v[82:83], v[80:81]
.LBB126_297:
	s_or_b64 exec, exec, s[18:19]
	v_add_u32_e32 v84, 0xc0, v158
	v_mad_i64_i32 v[80:81], s[28:29], v84, s35, 0
	v_cmp_gt_i32_e64 s[18:19], s21, v84
	v_lshl_add_u64 v[82:83], v[80:81], 3, s[26:27]
	v_mad_i64_i32 v[80:81], s[28:29], v84, s34, 0
	v_lshl_add_u64 v[80:81], v[80:81], 3, s[22:23]
	s_and_b64 s[30:31], s[2:3], s[18:19]
	s_and_saveexec_b64 s[28:29], s[30:31]
	s_cbranch_execnz .LBB126_305
; %bb.298:
	s_or_b64 exec, exec, s[28:29]
	s_and_b64 s[30:31], s[4:5], s[18:19]
	s_and_saveexec_b64 s[28:29], s[30:31]
	s_cbranch_execnz .LBB126_309
.LBB126_299:
	s_or_b64 exec, exec, s[28:29]
	s_and_b64 s[30:31], s[6:7], s[18:19]
	s_and_saveexec_b64 s[28:29], s[30:31]
	s_cbranch_execnz .LBB126_313
.LBB126_300:
	s_or_b64 exec, exec, s[28:29]
	s_and_b64 s[30:31], s[8:9], s[18:19]
	s_and_saveexec_b64 s[28:29], s[30:31]
	s_cbranch_execnz .LBB126_317
.LBB126_301:
	s_or_b64 exec, exec, s[28:29]
	s_and_b64 s[30:31], s[10:11], s[18:19]
	s_and_saveexec_b64 s[28:29], s[30:31]
	s_cbranch_execnz .LBB126_321
.LBB126_302:
	s_or_b64 exec, exec, s[28:29]
	s_and_b64 s[30:31], s[12:13], s[18:19]
	s_and_saveexec_b64 s[28:29], s[30:31]
	s_cbranch_execnz .LBB126_325
.LBB126_303:
	s_or_b64 exec, exec, s[28:29]
	s_and_b64 s[30:31], s[14:15], s[18:19]
	s_and_saveexec_b64 s[28:29], s[30:31]
	s_cbranch_execnz .LBB126_329
.LBB126_304:
	s_or_b64 exec, exec, s[28:29]
	s_and_b64 s[28:29], s[16:17], s[18:19]
	s_and_saveexec_b64 s[18:19], s[28:29]
	s_cbranch_execnz .LBB126_333
	s_branch .LBB126_337
.LBB126_305:
	s_and_b64 vcc, exec, s[0:1]
	s_cbranch_vccnz .LBB126_307
; %bb.306:
	v_lshl_add_u64 v[84:85], v[128:129], 3, v[82:83]
	flat_load_dwordx2 v[84:85], v[84:85]
	s_waitcnt vmcnt(0) lgkmcnt(0)
	v_mul_f64 v[84:85], s[24:25], v[84:85]
	v_cvt_f32_f64_e32 v84, v[84:85]
	s_branch .LBB126_308
.LBB126_307:
	v_mov_b32_e32 v84, 0
.LBB126_308:
	v_add_f64 v[86:87], v[70:71], v[78:79]
	v_add_f64 v[88:89], v[68:69], v[76:77]
	v_cvt_f32_f64_e32 v85, v[88:89]
	v_cvt_f32_f64_e32 v86, v[86:87]
	v_min3_f32 v85, v85, v86, v166
	v_add_f64 v[86:87], v[66:67], v[74:75]
	v_add_f64 v[88:89], v[64:65], v[72:73]
	v_cvt_f32_f64_e32 v88, v[88:89]
	v_cvt_f32_f64_e32 v86, v[86:87]
	v_min_f32_e32 v86, v88, v86
	v_min3_f32 v84, v84, v86, v85
	v_cvt_f64_f32_e32 v[84:85], v84
	v_lshl_add_u64 v[86:87], v[128:129], 3, v[80:81]
	flat_store_dwordx2 v[86:87], v[84:85]
	s_or_b64 exec, exec, s[28:29]
	s_and_b64 s[30:31], s[4:5], s[18:19]
	s_and_saveexec_b64 s[28:29], s[30:31]
	s_cbranch_execz .LBB126_299
.LBB126_309:
	s_and_b64 vcc, exec, s[0:1]
	s_cbranch_vccnz .LBB126_311
; %bb.310:
	v_lshl_add_u64 v[84:85], v[130:131], 3, v[82:83]
	flat_load_dwordx2 v[84:85], v[84:85]
	s_waitcnt vmcnt(0) lgkmcnt(0)
	v_mul_f64 v[84:85], s[24:25], v[84:85]
	v_cvt_f32_f64_e32 v84, v[84:85]
	s_branch .LBB126_312
.LBB126_311:
	v_mov_b32_e32 v84, 0
.LBB126_312:
	v_add_f64 v[86:87], v[62:63], v[78:79]
	v_add_f64 v[88:89], v[60:61], v[76:77]
	v_cvt_f32_f64_e32 v85, v[88:89]
	v_cvt_f32_f64_e32 v86, v[86:87]
	v_min3_f32 v85, v85, v86, v164
	v_add_f64 v[86:87], v[58:59], v[74:75]
	v_add_f64 v[88:89], v[56:57], v[72:73]
	v_cvt_f32_f64_e32 v88, v[88:89]
	v_cvt_f32_f64_e32 v86, v[86:87]
	v_min_f32_e32 v86, v88, v86
	v_min3_f32 v84, v84, v86, v85
	v_cvt_f64_f32_e32 v[84:85], v84
	v_lshl_add_u64 v[86:87], v[130:131], 3, v[80:81]
	flat_store_dwordx2 v[86:87], v[84:85]
	s_or_b64 exec, exec, s[28:29]
	s_and_b64 s[30:31], s[6:7], s[18:19]
	s_and_saveexec_b64 s[28:29], s[30:31]
	s_cbranch_execz .LBB126_300
.LBB126_313:
	s_and_b64 vcc, exec, s[0:1]
	s_cbranch_vccnz .LBB126_315
; %bb.314:
	v_lshl_add_u64 v[84:85], v[132:133], 3, v[82:83]
	flat_load_dwordx2 v[84:85], v[84:85]
	s_waitcnt vmcnt(0) lgkmcnt(0)
	v_mul_f64 v[84:85], s[24:25], v[84:85]
	v_cvt_f32_f64_e32 v84, v[84:85]
	s_branch .LBB126_316
.LBB126_315:
	v_mov_b32_e32 v84, 0
.LBB126_316:
	v_add_f64 v[86:87], v[54:55], v[78:79]
	v_add_f64 v[88:89], v[52:53], v[76:77]
	v_cvt_f32_f64_e32 v85, v[88:89]
	v_cvt_f32_f64_e32 v86, v[86:87]
	v_min3_f32 v85, v85, v86, v163
	v_add_f64 v[86:87], v[50:51], v[74:75]
	v_add_f64 v[88:89], v[48:49], v[72:73]
	v_cvt_f32_f64_e32 v88, v[88:89]
	v_cvt_f32_f64_e32 v86, v[86:87]
	v_min_f32_e32 v86, v88, v86
	v_min3_f32 v84, v84, v86, v85
	v_cvt_f64_f32_e32 v[84:85], v84
	v_lshl_add_u64 v[86:87], v[132:133], 3, v[80:81]
	flat_store_dwordx2 v[86:87], v[84:85]
	s_or_b64 exec, exec, s[28:29]
	s_and_b64 s[30:31], s[8:9], s[18:19]
	s_and_saveexec_b64 s[28:29], s[30:31]
	s_cbranch_execz .LBB126_301
.LBB126_317:
	s_and_b64 vcc, exec, s[0:1]
	s_cbranch_vccnz .LBB126_319
; %bb.318:
	v_lshl_add_u64 v[84:85], v[134:135], 3, v[82:83]
	flat_load_dwordx2 v[84:85], v[84:85]
	s_waitcnt vmcnt(0) lgkmcnt(0)
	v_mul_f64 v[84:85], s[24:25], v[84:85]
	v_cvt_f32_f64_e32 v84, v[84:85]
	s_branch .LBB126_320
.LBB126_319:
	v_mov_b32_e32 v84, 0
.LBB126_320:
	v_add_f64 v[86:87], v[46:47], v[78:79]
	v_add_f64 v[88:89], v[44:45], v[76:77]
	v_cvt_f32_f64_e32 v85, v[88:89]
	v_cvt_f32_f64_e32 v86, v[86:87]
	v_min3_f32 v85, v85, v86, v162
	v_add_f64 v[86:87], v[42:43], v[74:75]
	v_add_f64 v[88:89], v[40:41], v[72:73]
	v_cvt_f32_f64_e32 v88, v[88:89]
	v_cvt_f32_f64_e32 v86, v[86:87]
	v_min_f32_e32 v86, v88, v86
	v_min3_f32 v84, v84, v86, v85
	v_cvt_f64_f32_e32 v[84:85], v84
	v_lshl_add_u64 v[86:87], v[134:135], 3, v[80:81]
	flat_store_dwordx2 v[86:87], v[84:85]
	s_or_b64 exec, exec, s[28:29]
	s_and_b64 s[30:31], s[10:11], s[18:19]
	s_and_saveexec_b64 s[28:29], s[30:31]
	s_cbranch_execz .LBB126_302
.LBB126_321:
	s_and_b64 vcc, exec, s[0:1]
	s_cbranch_vccnz .LBB126_323
; %bb.322:
	v_lshl_add_u64 v[84:85], v[136:137], 3, v[82:83]
	flat_load_dwordx2 v[84:85], v[84:85]
	s_waitcnt vmcnt(0) lgkmcnt(0)
	v_mul_f64 v[84:85], s[24:25], v[84:85]
	v_cvt_f32_f64_e32 v84, v[84:85]
	s_branch .LBB126_324
.LBB126_323:
	v_mov_b32_e32 v84, 0
.LBB126_324:
	v_add_f64 v[86:87], v[38:39], v[78:79]
	v_add_f64 v[88:89], v[36:37], v[76:77]
	v_cvt_f32_f64_e32 v85, v[88:89]
	v_cvt_f32_f64_e32 v86, v[86:87]
	v_min3_f32 v85, v85, v86, v161
	v_add_f64 v[86:87], v[34:35], v[74:75]
	v_add_f64 v[88:89], v[32:33], v[72:73]
	v_cvt_f32_f64_e32 v88, v[88:89]
	v_cvt_f32_f64_e32 v86, v[86:87]
	v_min_f32_e32 v86, v88, v86
	v_min3_f32 v84, v84, v86, v85
	v_cvt_f64_f32_e32 v[84:85], v84
	v_lshl_add_u64 v[86:87], v[136:137], 3, v[80:81]
	flat_store_dwordx2 v[86:87], v[84:85]
	s_or_b64 exec, exec, s[28:29]
	s_and_b64 s[30:31], s[12:13], s[18:19]
	s_and_saveexec_b64 s[28:29], s[30:31]
	s_cbranch_execz .LBB126_303
.LBB126_325:
	s_and_b64 vcc, exec, s[0:1]
	s_cbranch_vccnz .LBB126_327
; %bb.326:
	v_lshl_add_u64 v[84:85], v[138:139], 3, v[82:83]
	flat_load_dwordx2 v[84:85], v[84:85]
	s_waitcnt vmcnt(0) lgkmcnt(0)
	v_mul_f64 v[84:85], s[24:25], v[84:85]
	v_cvt_f32_f64_e32 v84, v[84:85]
	s_branch .LBB126_328
.LBB126_327:
	v_mov_b32_e32 v84, 0
.LBB126_328:
	v_add_f64 v[86:87], v[30:31], v[78:79]
	v_add_f64 v[88:89], v[28:29], v[76:77]
	v_cvt_f32_f64_e32 v85, v[88:89]
	v_cvt_f32_f64_e32 v86, v[86:87]
	v_min3_f32 v85, v85, v86, v160
	v_add_f64 v[86:87], v[26:27], v[74:75]
	v_add_f64 v[88:89], v[24:25], v[72:73]
	v_cvt_f32_f64_e32 v88, v[88:89]
	v_cvt_f32_f64_e32 v86, v[86:87]
	v_min_f32_e32 v86, v88, v86
	v_min3_f32 v84, v84, v86, v85
	v_cvt_f64_f32_e32 v[84:85], v84
	v_lshl_add_u64 v[86:87], v[138:139], 3, v[80:81]
	flat_store_dwordx2 v[86:87], v[84:85]
	s_or_b64 exec, exec, s[28:29]
	s_and_b64 s[30:31], s[14:15], s[18:19]
	s_and_saveexec_b64 s[28:29], s[30:31]
	s_cbranch_execz .LBB126_304
.LBB126_329:
	s_and_b64 vcc, exec, s[0:1]
	s_cbranch_vccnz .LBB126_331
; %bb.330:
	v_lshl_add_u64 v[84:85], v[140:141], 3, v[82:83]
	flat_load_dwordx2 v[84:85], v[84:85]
	s_waitcnt vmcnt(0) lgkmcnt(0)
	v_mul_f64 v[84:85], s[24:25], v[84:85]
	v_cvt_f32_f64_e32 v84, v[84:85]
	s_branch .LBB126_332
.LBB126_331:
	v_mov_b32_e32 v84, 0
.LBB126_332:
	v_add_f64 v[86:87], v[22:23], v[78:79]
	v_add_f64 v[88:89], v[20:21], v[76:77]
	v_cvt_f32_f64_e32 v85, v[88:89]
	v_cvt_f32_f64_e32 v86, v[86:87]
	v_min3_f32 v85, v85, v86, v157
	v_add_f64 v[86:87], v[18:19], v[74:75]
	v_add_f64 v[88:89], v[16:17], v[72:73]
	v_cvt_f32_f64_e32 v88, v[88:89]
	v_cvt_f32_f64_e32 v86, v[86:87]
	v_min_f32_e32 v86, v88, v86
	v_min3_f32 v84, v84, v86, v85
	v_cvt_f64_f32_e32 v[84:85], v84
	v_lshl_add_u64 v[86:87], v[140:141], 3, v[80:81]
	flat_store_dwordx2 v[86:87], v[84:85]
	s_or_b64 exec, exec, s[28:29]
	s_and_b64 s[28:29], s[16:17], s[18:19]
	s_and_saveexec_b64 s[18:19], s[28:29]
	s_cbranch_execz .LBB126_337
.LBB126_333:
	s_and_b64 vcc, exec, s[0:1]
	s_cbranch_vccnz .LBB126_335
; %bb.334:
	v_lshl_add_u64 v[82:83], v[142:143], 3, v[82:83]
	flat_load_dwordx2 v[82:83], v[82:83]
	s_waitcnt vmcnt(0) lgkmcnt(0)
	v_mul_f64 v[82:83], s[24:25], v[82:83]
	v_cvt_f32_f64_e32 v82, v[82:83]
	s_branch .LBB126_336
.LBB126_335:
	v_mov_b32_e32 v82, 0
.LBB126_336:
	v_add_f64 v[78:79], v[6:7], v[78:79]
	v_add_f64 v[76:77], v[4:5], v[76:77]
	;; [unrolled: 1-line block ×4, first 2 shown]
	v_cvt_f32_f64_e32 v76, v[76:77]
	v_cvt_f32_f64_e32 v77, v[78:79]
	;; [unrolled: 1-line block ×4, first 2 shown]
	v_min3_f32 v76, v76, v77, v156
	v_min_f32_e32 v72, v72, v73
	v_min3_f32 v72, v82, v72, v76
	v_cvt_f64_f32_e32 v[72:73], v72
	v_lshl_add_u64 v[74:75], v[142:143], 3, v[80:81]
	flat_store_dwordx2 v[74:75], v[72:73]
.LBB126_337:
	s_or_b64 exec, exec, s[18:19]
	v_add_u32_e32 v76, 0xe0, v158
	v_cmp_gt_i32_e64 s[18:19], s21, v76
	v_mad_i64_i32 v[72:73], s[20:21], v76, s35, 0
	v_lshl_add_u64 v[74:75], v[72:73], 3, s[26:27]
	v_mad_i64_i32 v[72:73], s[20:21], v76, s34, 0
	v_lshl_add_u64 v[72:73], v[72:73], 3, s[22:23]
	s_and_b64 s[20:21], s[2:3], s[18:19]
	s_and_saveexec_b64 s[2:3], s[20:21]
	s_cbranch_execnz .LBB126_346
; %bb.338:
	s_or_b64 exec, exec, s[2:3]
	s_and_b64 s[4:5], s[4:5], s[18:19]
	s_and_saveexec_b64 s[2:3], s[4:5]
	s_cbranch_execnz .LBB126_350
.LBB126_339:
	s_or_b64 exec, exec, s[2:3]
	s_and_b64 s[4:5], s[6:7], s[18:19]
	s_and_saveexec_b64 s[2:3], s[4:5]
	s_cbranch_execnz .LBB126_354
.LBB126_340:
	s_or_b64 exec, exec, s[2:3]
	s_and_b64 s[4:5], s[8:9], s[18:19]
	s_and_saveexec_b64 s[2:3], s[4:5]
	s_cbranch_execnz .LBB126_358
.LBB126_341:
	s_or_b64 exec, exec, s[2:3]
	s_and_b64 s[4:5], s[10:11], s[18:19]
	s_and_saveexec_b64 s[2:3], s[4:5]
	s_cbranch_execnz .LBB126_362
.LBB126_342:
	s_or_b64 exec, exec, s[2:3]
	s_and_b64 s[4:5], s[12:13], s[18:19]
	s_and_saveexec_b64 s[2:3], s[4:5]
	s_cbranch_execnz .LBB126_366
.LBB126_343:
	s_or_b64 exec, exec, s[2:3]
	s_and_b64 s[4:5], s[14:15], s[18:19]
	s_and_saveexec_b64 s[2:3], s[4:5]
	s_cbranch_execnz .LBB126_370
.LBB126_344:
	s_or_b64 exec, exec, s[2:3]
	s_and_b64 s[2:3], s[16:17], s[18:19]
	s_and_saveexec_b64 s[4:5], s[2:3]
	s_cbranch_execnz .LBB126_374
.LBB126_345:
	s_endpgm
.LBB126_346:
	s_and_b64 vcc, exec, s[0:1]
	s_cbranch_vccnz .LBB126_348
; %bb.347:
	v_lshl_add_u64 v[76:77], v[128:129], 3, v[74:75]
	flat_load_dwordx2 v[76:77], v[76:77]
	s_waitcnt vmcnt(0) lgkmcnt(0)
	v_mul_f64 v[76:77], s[24:25], v[76:77]
	v_cvt_f32_f64_e32 v76, v[76:77]
	s_branch .LBB126_349
.LBB126_348:
	v_mov_b32_e32 v76, 0
.LBB126_349:
	v_add_f64 v[70:71], v[70:71], v[14:15]
	v_add_f64 v[68:69], v[68:69], v[12:13]
	;; [unrolled: 1-line block ×4, first 2 shown]
	v_cvt_f32_f64_e32 v68, v[68:69]
	v_cvt_f32_f64_e32 v69, v[70:71]
	;; [unrolled: 1-line block ×4, first 2 shown]
	v_min3_f32 v68, v68, v69, v155
	v_min_f32_e32 v64, v64, v65
	v_min3_f32 v64, v76, v64, v68
	v_cvt_f64_f32_e32 v[64:65], v64
	v_lshl_add_u64 v[66:67], v[128:129], 3, v[72:73]
	flat_store_dwordx2 v[66:67], v[64:65]
	s_or_b64 exec, exec, s[2:3]
	s_and_b64 s[4:5], s[4:5], s[18:19]
	s_and_saveexec_b64 s[2:3], s[4:5]
	s_cbranch_execz .LBB126_339
.LBB126_350:
	s_and_b64 vcc, exec, s[0:1]
	s_cbranch_vccnz .LBB126_352
; %bb.351:
	v_lshl_add_u64 v[64:65], v[130:131], 3, v[74:75]
	flat_load_dwordx2 v[64:65], v[64:65]
	s_waitcnt vmcnt(0) lgkmcnt(0)
	v_mul_f64 v[64:65], s[24:25], v[64:65]
	v_cvt_f32_f64_e32 v64, v[64:65]
	s_branch .LBB126_353
.LBB126_352:
	v_mov_b32_e32 v64, 0
.LBB126_353:
	v_add_f64 v[62:63], v[62:63], v[14:15]
	v_add_f64 v[60:61], v[60:61], v[12:13]
	;; [unrolled: 1-line block ×4, first 2 shown]
	v_cvt_f32_f64_e32 v60, v[60:61]
	v_cvt_f32_f64_e32 v61, v[62:63]
	;; [unrolled: 1-line block ×4, first 2 shown]
	v_min3_f32 v60, v60, v61, v154
	v_min_f32_e32 v56, v56, v57
	v_min3_f32 v56, v64, v56, v60
	v_cvt_f64_f32_e32 v[56:57], v56
	v_lshl_add_u64 v[58:59], v[130:131], 3, v[72:73]
	flat_store_dwordx2 v[58:59], v[56:57]
	s_or_b64 exec, exec, s[2:3]
	s_and_b64 s[4:5], s[6:7], s[18:19]
	s_and_saveexec_b64 s[2:3], s[4:5]
	s_cbranch_execz .LBB126_340
.LBB126_354:
	s_and_b64 vcc, exec, s[0:1]
	s_cbranch_vccnz .LBB126_356
; %bb.355:
	v_lshl_add_u64 v[56:57], v[132:133], 3, v[74:75]
	flat_load_dwordx2 v[56:57], v[56:57]
	s_waitcnt vmcnt(0) lgkmcnt(0)
	v_mul_f64 v[56:57], s[24:25], v[56:57]
	v_cvt_f32_f64_e32 v56, v[56:57]
	s_branch .LBB126_357
.LBB126_356:
	v_mov_b32_e32 v56, 0
.LBB126_357:
	v_add_f64 v[54:55], v[54:55], v[14:15]
	v_add_f64 v[52:53], v[52:53], v[12:13]
	;; [unrolled: 1-line block ×4, first 2 shown]
	v_cvt_f32_f64_e32 v52, v[52:53]
	v_cvt_f32_f64_e32 v53, v[54:55]
	;; [unrolled: 1-line block ×4, first 2 shown]
	v_min3_f32 v52, v52, v53, v153
	v_min_f32_e32 v48, v48, v49
	v_min3_f32 v48, v56, v48, v52
	v_cvt_f64_f32_e32 v[48:49], v48
	v_lshl_add_u64 v[50:51], v[132:133], 3, v[72:73]
	flat_store_dwordx2 v[50:51], v[48:49]
	s_or_b64 exec, exec, s[2:3]
	s_and_b64 s[4:5], s[8:9], s[18:19]
	s_and_saveexec_b64 s[2:3], s[4:5]
	s_cbranch_execz .LBB126_341
.LBB126_358:
	s_and_b64 vcc, exec, s[0:1]
	s_cbranch_vccnz .LBB126_360
; %bb.359:
	v_lshl_add_u64 v[48:49], v[134:135], 3, v[74:75]
	flat_load_dwordx2 v[48:49], v[48:49]
	s_waitcnt vmcnt(0) lgkmcnt(0)
	v_mul_f64 v[48:49], s[24:25], v[48:49]
	v_cvt_f32_f64_e32 v48, v[48:49]
	s_branch .LBB126_361
.LBB126_360:
	v_mov_b32_e32 v48, 0
.LBB126_361:
	v_add_f64 v[46:47], v[46:47], v[14:15]
	v_add_f64 v[44:45], v[44:45], v[12:13]
	;; [unrolled: 1-line block ×4, first 2 shown]
	v_cvt_f32_f64_e32 v44, v[44:45]
	v_cvt_f32_f64_e32 v45, v[46:47]
	;; [unrolled: 1-line block ×4, first 2 shown]
	v_min3_f32 v44, v44, v45, v152
	v_min_f32_e32 v40, v40, v41
	v_min3_f32 v40, v48, v40, v44
	v_cvt_f64_f32_e32 v[40:41], v40
	v_lshl_add_u64 v[42:43], v[134:135], 3, v[72:73]
	flat_store_dwordx2 v[42:43], v[40:41]
	s_or_b64 exec, exec, s[2:3]
	s_and_b64 s[4:5], s[10:11], s[18:19]
	s_and_saveexec_b64 s[2:3], s[4:5]
	s_cbranch_execz .LBB126_342
.LBB126_362:
	s_and_b64 vcc, exec, s[0:1]
	s_cbranch_vccnz .LBB126_364
; %bb.363:
	v_lshl_add_u64 v[40:41], v[136:137], 3, v[74:75]
	flat_load_dwordx2 v[40:41], v[40:41]
	s_waitcnt vmcnt(0) lgkmcnt(0)
	v_mul_f64 v[40:41], s[24:25], v[40:41]
	v_cvt_f32_f64_e32 v40, v[40:41]
	s_branch .LBB126_365
.LBB126_364:
	v_mov_b32_e32 v40, 0
.LBB126_365:
	v_add_f64 v[38:39], v[38:39], v[14:15]
	v_add_f64 v[36:37], v[36:37], v[12:13]
	;; [unrolled: 1-line block ×4, first 2 shown]
	v_cvt_f32_f64_e32 v36, v[36:37]
	v_cvt_f32_f64_e32 v37, v[38:39]
	;; [unrolled: 1-line block ×4, first 2 shown]
	v_min3_f32 v36, v36, v37, v151
	v_min_f32_e32 v32, v32, v33
	v_min3_f32 v32, v40, v32, v36
	v_cvt_f64_f32_e32 v[32:33], v32
	v_lshl_add_u64 v[34:35], v[136:137], 3, v[72:73]
	flat_store_dwordx2 v[34:35], v[32:33]
	s_or_b64 exec, exec, s[2:3]
	s_and_b64 s[4:5], s[12:13], s[18:19]
	s_and_saveexec_b64 s[2:3], s[4:5]
	s_cbranch_execz .LBB126_343
.LBB126_366:
	s_and_b64 vcc, exec, s[0:1]
	s_cbranch_vccnz .LBB126_368
; %bb.367:
	v_lshl_add_u64 v[32:33], v[138:139], 3, v[74:75]
	flat_load_dwordx2 v[32:33], v[32:33]
	s_waitcnt vmcnt(0) lgkmcnt(0)
	v_mul_f64 v[32:33], s[24:25], v[32:33]
	v_cvt_f32_f64_e32 v32, v[32:33]
	s_branch .LBB126_369
.LBB126_368:
	v_mov_b32_e32 v32, 0
.LBB126_369:
	v_add_f64 v[30:31], v[30:31], v[14:15]
	v_add_f64 v[28:29], v[28:29], v[12:13]
	;; [unrolled: 1-line block ×4, first 2 shown]
	v_cvt_f32_f64_e32 v28, v[28:29]
	v_cvt_f32_f64_e32 v29, v[30:31]
	;; [unrolled: 1-line block ×4, first 2 shown]
	v_min3_f32 v28, v28, v29, v150
	v_min_f32_e32 v24, v24, v25
	v_min3_f32 v24, v32, v24, v28
	v_cvt_f64_f32_e32 v[24:25], v24
	v_lshl_add_u64 v[26:27], v[138:139], 3, v[72:73]
	flat_store_dwordx2 v[26:27], v[24:25]
	s_or_b64 exec, exec, s[2:3]
	s_and_b64 s[4:5], s[14:15], s[18:19]
	s_and_saveexec_b64 s[2:3], s[4:5]
	s_cbranch_execz .LBB126_344
.LBB126_370:
	s_and_b64 vcc, exec, s[0:1]
	s_cbranch_vccnz .LBB126_372
; %bb.371:
	v_lshl_add_u64 v[24:25], v[140:141], 3, v[74:75]
	flat_load_dwordx2 v[24:25], v[24:25]
	s_waitcnt vmcnt(0) lgkmcnt(0)
	v_mul_f64 v[24:25], s[24:25], v[24:25]
	v_cvt_f32_f64_e32 v24, v[24:25]
	s_branch .LBB126_373
.LBB126_372:
	v_mov_b32_e32 v24, 0
.LBB126_373:
	v_add_f64 v[22:23], v[22:23], v[14:15]
	v_add_f64 v[20:21], v[20:21], v[12:13]
	;; [unrolled: 1-line block ×4, first 2 shown]
	v_cvt_f32_f64_e32 v20, v[20:21]
	v_cvt_f32_f64_e32 v21, v[22:23]
	;; [unrolled: 1-line block ×4, first 2 shown]
	v_min3_f32 v20, v20, v21, v149
	v_min_f32_e32 v16, v16, v17
	v_min3_f32 v16, v24, v16, v20
	v_cvt_f64_f32_e32 v[16:17], v16
	v_lshl_add_u64 v[18:19], v[140:141], 3, v[72:73]
	flat_store_dwordx2 v[18:19], v[16:17]
	s_or_b64 exec, exec, s[2:3]
	s_and_b64 s[2:3], s[16:17], s[18:19]
	s_and_saveexec_b64 s[4:5], s[2:3]
	s_cbranch_execz .LBB126_345
.LBB126_374:
	s_and_b64 vcc, exec, s[0:1]
	s_cbranch_vccnz .LBB126_376
; %bb.375:
	v_lshl_add_u64 v[16:17], v[142:143], 3, v[74:75]
	flat_load_dwordx2 v[16:17], v[16:17]
	s_waitcnt vmcnt(0) lgkmcnt(0)
	v_mul_f64 v[16:17], s[24:25], v[16:17]
	v_cvt_f32_f64_e32 v16, v[16:17]
	s_branch .LBB126_377
.LBB126_376:
	v_mov_b32_e32 v16, 0
.LBB126_377:
	v_add_f64 v[6:7], v[6:7], v[14:15]
	v_add_f64 v[4:5], v[4:5], v[12:13]
	;; [unrolled: 1-line block ×4, first 2 shown]
	v_cvt_f32_f64_e32 v4, v[4:5]
	v_cvt_f32_f64_e32 v5, v[6:7]
	;; [unrolled: 1-line block ×4, first 2 shown]
	v_min3_f32 v4, v4, v5, v148
	v_min_f32_e32 v0, v0, v1
	v_min3_f32 v0, v16, v0, v4
	v_cvt_f64_f32_e32 v[0:1], v0
	v_lshl_add_u64 v[2:3], v[142:143], 3, v[72:73]
	flat_store_dwordx2 v[2:3], v[0:1]
	s_endpgm
	.section	.rodata,"a",@progbits
	.p2align	6, 0x0
	.amdhsa_kernel _ZN12_GLOBAL__N_120geam_min_plus_kernelId15HIP_vector_typeIdLj2EEdLi8ELi32ELi64ELi256ELi4ELi4ELi64ELi64ELi4ELc84ELc84ELb0ELb1ELb1EPKdKS4_KPdEEviiiT16_PT17_ilSA_ilS8_SA_ilPT18_ili26rocblas_geam_ex_operation_
		.amdhsa_group_segment_fixed_size 20480
		.amdhsa_private_segment_fixed_size 0
		.amdhsa_kernarg_size 136
		.amdhsa_user_sgpr_count 2
		.amdhsa_user_sgpr_dispatch_ptr 0
		.amdhsa_user_sgpr_queue_ptr 0
		.amdhsa_user_sgpr_kernarg_segment_ptr 1
		.amdhsa_user_sgpr_dispatch_id 0
		.amdhsa_user_sgpr_kernarg_preload_length 0
		.amdhsa_user_sgpr_kernarg_preload_offset 0
		.amdhsa_user_sgpr_private_segment_size 0
		.amdhsa_uses_dynamic_stack 0
		.amdhsa_enable_private_segment 0
		.amdhsa_system_sgpr_workgroup_id_x 1
		.amdhsa_system_sgpr_workgroup_id_y 0
		.amdhsa_system_sgpr_workgroup_id_z 1
		.amdhsa_system_sgpr_workgroup_info 0
		.amdhsa_system_vgpr_workitem_id 1
		.amdhsa_next_free_vgpr 225
		.amdhsa_next_free_sgpr 42
		.amdhsa_accum_offset 228
		.amdhsa_reserve_vcc 1
		.amdhsa_float_round_mode_32 0
		.amdhsa_float_round_mode_16_64 0
		.amdhsa_float_denorm_mode_32 3
		.amdhsa_float_denorm_mode_16_64 3
		.amdhsa_dx10_clamp 1
		.amdhsa_ieee_mode 1
		.amdhsa_fp16_overflow 0
		.amdhsa_tg_split 0
		.amdhsa_exception_fp_ieee_invalid_op 0
		.amdhsa_exception_fp_denorm_src 0
		.amdhsa_exception_fp_ieee_div_zero 0
		.amdhsa_exception_fp_ieee_overflow 0
		.amdhsa_exception_fp_ieee_underflow 0
		.amdhsa_exception_fp_ieee_inexact 0
		.amdhsa_exception_int_div_zero 0
	.end_amdhsa_kernel
	.section	.text._ZN12_GLOBAL__N_120geam_min_plus_kernelId15HIP_vector_typeIdLj2EEdLi8ELi32ELi64ELi256ELi4ELi4ELi64ELi64ELi4ELc84ELc84ELb0ELb1ELb1EPKdKS4_KPdEEviiiT16_PT17_ilSA_ilS8_SA_ilPT18_ili26rocblas_geam_ex_operation_,"axG",@progbits,_ZN12_GLOBAL__N_120geam_min_plus_kernelId15HIP_vector_typeIdLj2EEdLi8ELi32ELi64ELi256ELi4ELi4ELi64ELi64ELi4ELc84ELc84ELb0ELb1ELb1EPKdKS4_KPdEEviiiT16_PT17_ilSA_ilS8_SA_ilPT18_ili26rocblas_geam_ex_operation_,comdat
.Lfunc_end126:
	.size	_ZN12_GLOBAL__N_120geam_min_plus_kernelId15HIP_vector_typeIdLj2EEdLi8ELi32ELi64ELi256ELi4ELi4ELi64ELi64ELi4ELc84ELc84ELb0ELb1ELb1EPKdKS4_KPdEEviiiT16_PT17_ilSA_ilS8_SA_ilPT18_ili26rocblas_geam_ex_operation_, .Lfunc_end126-_ZN12_GLOBAL__N_120geam_min_plus_kernelId15HIP_vector_typeIdLj2EEdLi8ELi32ELi64ELi256ELi4ELi4ELi64ELi64ELi4ELc84ELc84ELb0ELb1ELb1EPKdKS4_KPdEEviiiT16_PT17_ilSA_ilS8_SA_ilPT18_ili26rocblas_geam_ex_operation_
                                        ; -- End function
	.set _ZN12_GLOBAL__N_120geam_min_plus_kernelId15HIP_vector_typeIdLj2EEdLi8ELi32ELi64ELi256ELi4ELi4ELi64ELi64ELi4ELc84ELc84ELb0ELb1ELb1EPKdKS4_KPdEEviiiT16_PT17_ilSA_ilS8_SA_ilPT18_ili26rocblas_geam_ex_operation_.num_vgpr, 225
	.set _ZN12_GLOBAL__N_120geam_min_plus_kernelId15HIP_vector_typeIdLj2EEdLi8ELi32ELi64ELi256ELi4ELi4ELi64ELi64ELi4ELc84ELc84ELb0ELb1ELb1EPKdKS4_KPdEEviiiT16_PT17_ilSA_ilS8_SA_ilPT18_ili26rocblas_geam_ex_operation_.num_agpr, 0
	.set _ZN12_GLOBAL__N_120geam_min_plus_kernelId15HIP_vector_typeIdLj2EEdLi8ELi32ELi64ELi256ELi4ELi4ELi64ELi64ELi4ELc84ELc84ELb0ELb1ELb1EPKdKS4_KPdEEviiiT16_PT17_ilSA_ilS8_SA_ilPT18_ili26rocblas_geam_ex_operation_.numbered_sgpr, 42
	.set _ZN12_GLOBAL__N_120geam_min_plus_kernelId15HIP_vector_typeIdLj2EEdLi8ELi32ELi64ELi256ELi4ELi4ELi64ELi64ELi4ELc84ELc84ELb0ELb1ELb1EPKdKS4_KPdEEviiiT16_PT17_ilSA_ilS8_SA_ilPT18_ili26rocblas_geam_ex_operation_.num_named_barrier, 0
	.set _ZN12_GLOBAL__N_120geam_min_plus_kernelId15HIP_vector_typeIdLj2EEdLi8ELi32ELi64ELi256ELi4ELi4ELi64ELi64ELi4ELc84ELc84ELb0ELb1ELb1EPKdKS4_KPdEEviiiT16_PT17_ilSA_ilS8_SA_ilPT18_ili26rocblas_geam_ex_operation_.private_seg_size, 0
	.set _ZN12_GLOBAL__N_120geam_min_plus_kernelId15HIP_vector_typeIdLj2EEdLi8ELi32ELi64ELi256ELi4ELi4ELi64ELi64ELi4ELc84ELc84ELb0ELb1ELb1EPKdKS4_KPdEEviiiT16_PT17_ilSA_ilS8_SA_ilPT18_ili26rocblas_geam_ex_operation_.uses_vcc, 1
	.set _ZN12_GLOBAL__N_120geam_min_plus_kernelId15HIP_vector_typeIdLj2EEdLi8ELi32ELi64ELi256ELi4ELi4ELi64ELi64ELi4ELc84ELc84ELb0ELb1ELb1EPKdKS4_KPdEEviiiT16_PT17_ilSA_ilS8_SA_ilPT18_ili26rocblas_geam_ex_operation_.uses_flat_scratch, 0
	.set _ZN12_GLOBAL__N_120geam_min_plus_kernelId15HIP_vector_typeIdLj2EEdLi8ELi32ELi64ELi256ELi4ELi4ELi64ELi64ELi4ELc84ELc84ELb0ELb1ELb1EPKdKS4_KPdEEviiiT16_PT17_ilSA_ilS8_SA_ilPT18_ili26rocblas_geam_ex_operation_.has_dyn_sized_stack, 0
	.set _ZN12_GLOBAL__N_120geam_min_plus_kernelId15HIP_vector_typeIdLj2EEdLi8ELi32ELi64ELi256ELi4ELi4ELi64ELi64ELi4ELc84ELc84ELb0ELb1ELb1EPKdKS4_KPdEEviiiT16_PT17_ilSA_ilS8_SA_ilPT18_ili26rocblas_geam_ex_operation_.has_recursion, 0
	.set _ZN12_GLOBAL__N_120geam_min_plus_kernelId15HIP_vector_typeIdLj2EEdLi8ELi32ELi64ELi256ELi4ELi4ELi64ELi64ELi4ELc84ELc84ELb0ELb1ELb1EPKdKS4_KPdEEviiiT16_PT17_ilSA_ilS8_SA_ilPT18_ili26rocblas_geam_ex_operation_.has_indirect_call, 0
	.section	.AMDGPU.csdata,"",@progbits
; Kernel info:
; codeLenInByte = 26968
; TotalNumSgprs: 48
; NumVgprs: 225
; NumAgprs: 0
; TotalNumVgprs: 225
; ScratchSize: 0
; MemoryBound: 1
; FloatMode: 240
; IeeeMode: 1
; LDSByteSize: 20480 bytes/workgroup (compile time only)
; SGPRBlocks: 5
; VGPRBlocks: 28
; NumSGPRsForWavesPerEU: 48
; NumVGPRsForWavesPerEU: 225
; AccumOffset: 228
; Occupancy: 2
; WaveLimiterHint : 1
; COMPUTE_PGM_RSRC2:SCRATCH_EN: 0
; COMPUTE_PGM_RSRC2:USER_SGPR: 2
; COMPUTE_PGM_RSRC2:TRAP_HANDLER: 0
; COMPUTE_PGM_RSRC2:TGID_X_EN: 1
; COMPUTE_PGM_RSRC2:TGID_Y_EN: 0
; COMPUTE_PGM_RSRC2:TGID_Z_EN: 1
; COMPUTE_PGM_RSRC2:TIDIG_COMP_CNT: 1
; COMPUTE_PGM_RSRC3_GFX90A:ACCUM_OFFSET: 56
; COMPUTE_PGM_RSRC3_GFX90A:TG_SPLIT: 0
	.section	.text._ZN12_GLOBAL__N_120geam_min_plus_kernelId15HIP_vector_typeIdLj2EEdLi8ELi32ELi64ELi256ELi4ELi4ELi64ELi64ELi4ELc84ELc84ELb1ELb1ELb1EdKPKdKPdEEviiiT16_PT17_ilSA_ilS8_SA_ilPT18_ili26rocblas_geam_ex_operation_,"axG",@progbits,_ZN12_GLOBAL__N_120geam_min_plus_kernelId15HIP_vector_typeIdLj2EEdLi8ELi32ELi64ELi256ELi4ELi4ELi64ELi64ELi4ELc84ELc84ELb1ELb1ELb1EdKPKdKPdEEviiiT16_PT17_ilSA_ilS8_SA_ilPT18_ili26rocblas_geam_ex_operation_,comdat
	.globl	_ZN12_GLOBAL__N_120geam_min_plus_kernelId15HIP_vector_typeIdLj2EEdLi8ELi32ELi64ELi256ELi4ELi4ELi64ELi64ELi4ELc84ELc84ELb1ELb1ELb1EdKPKdKPdEEviiiT16_PT17_ilSA_ilS8_SA_ilPT18_ili26rocblas_geam_ex_operation_ ; -- Begin function _ZN12_GLOBAL__N_120geam_min_plus_kernelId15HIP_vector_typeIdLj2EEdLi8ELi32ELi64ELi256ELi4ELi4ELi64ELi64ELi4ELc84ELc84ELb1ELb1ELb1EdKPKdKPdEEviiiT16_PT17_ilSA_ilS8_SA_ilPT18_ili26rocblas_geam_ex_operation_
	.p2align	8
	.type	_ZN12_GLOBAL__N_120geam_min_plus_kernelId15HIP_vector_typeIdLj2EEdLi8ELi32ELi64ELi256ELi4ELi4ELi64ELi64ELi4ELc84ELc84ELb1ELb1ELb1EdKPKdKPdEEviiiT16_PT17_ilSA_ilS8_SA_ilPT18_ili26rocblas_geam_ex_operation_,@function
_ZN12_GLOBAL__N_120geam_min_plus_kernelId15HIP_vector_typeIdLj2EEdLi8ELi32ELi64ELi256ELi4ELi4ELi64ELi64ELi4ELc84ELc84ELb1ELb1ELb1EdKPKdKPdEEviiiT16_PT17_ilSA_ilS8_SA_ilPT18_ili26rocblas_geam_ex_operation_: ; @_ZN12_GLOBAL__N_120geam_min_plus_kernelId15HIP_vector_typeIdLj2EEdLi8ELi32ELi64ELi256ELi4ELi4ELi64ELi64ELi4ELc84ELc84ELb1ELb1ELb1EdKPKdKPdEEviiiT16_PT17_ilSA_ilS8_SA_ilPT18_ili26rocblas_geam_ex_operation_
; %bb.0:
	s_load_dwordx4 s[8:11], s[0:1], 0x10
	s_load_dwordx4 s[4:7], s[0:1], 0x28
	s_mov_b32 s12, s3
	s_mov_b64 s[18:19], 0
	s_waitcnt lgkmcnt(0)
	v_cmp_eq_f64_e64 s[14:15], s[8:9], 0
	s_and_b64 vcc, exec, s[14:15]
	s_cbranch_vccnz .LBB127_2
; %bb.1:
	s_mov_b32 s13, 0
	s_lshl_b64 s[8:9], s[12:13], 3
	s_add_u32 s8, s10, s8
	s_addc_u32 s9, s11, s9
	s_load_dwordx2 s[8:9], s[8:9], 0x0
	s_lshl_b64 s[4:5], s[4:5], 3
	s_waitcnt lgkmcnt(0)
	s_add_u32 s18, s8, s4
	s_addc_u32 s19, s9, s5
.LBB127_2:
	s_load_dwordx4 s[20:23], s[0:1], 0x40
	s_load_dwordx2 s[8:9], s[0:1], 0x50
	s_andn2_b64 vcc, exec, s[14:15]
	s_mov_b32 s13, 0
	s_cbranch_vccnz .LBB127_4
; %bb.3:
	s_mov_b64 s[28:29], 0
	s_mov_b64 s[30:31], 0
	s_cbranch_execz .LBB127_5
	s_branch .LBB127_6
.LBB127_4:
	s_mov_b64 s[28:29], 0
	s_mov_b64 s[30:31], 0
.LBB127_5:
	s_lshl_b64 s[4:5], s[12:13], 3
	s_add_u32 s4, s6, s4
	s_addc_u32 s5, s7, s5
	s_load_dwordx2 s[4:5], s[4:5], 0x0
	s_waitcnt lgkmcnt(0)
	s_lshl_b64 s[6:7], s[20:21], 3
	s_add_u32 s30, s4, s6
	s_addc_u32 s31, s5, s7
.LBB127_6:
	s_load_dwordx4 s[4:7], s[0:1], 0x60
	s_waitcnt lgkmcnt(0)
	v_cmp_eq_f64_e64 s[10:11], s[22:23], 0
	v_cmp_neq_f64_e64 s[14:15], s[22:23], 0
	s_and_b64 vcc, exec, s[10:11]
	s_cbranch_vccnz .LBB127_8
; %bb.7:
	s_lshl_b64 s[10:11], s[12:13], 3
	s_add_u32 s8, s8, s10
	s_addc_u32 s9, s9, s11
	s_load_dwordx2 s[8:9], s[8:9], 0x0
	s_lshl_b64 s[4:5], s[4:5], 3
	s_waitcnt lgkmcnt(0)
	s_add_u32 s28, s8, s4
	s_addc_u32 s29, s9, s5
.LBB127_8:
	s_load_dwordx4 s[24:27], s[0:1], 0x0
	s_load_dword s3, s[0:1], 0x20
	s_lshl_b64 s[4:5], s[12:13], 3
	s_add_u32 s34, s6, s4
	s_addc_u32 s35, s7, s5
	s_waitcnt lgkmcnt(0)
	s_add_i32 s4, s24, -1
	s_ashr_i32 s5, s4, 31
	s_lshr_b32 s5, s5, 26
	s_add_i32 s4, s4, s5
	s_ashr_i32 s4, s4, 6
	s_add_i32 s5, s4, 1
	v_cvt_f32_u32_e32 v1, s5
	v_and_b32_e32 v152, 0x3ff, v0
	v_bfe_u32 v153, v0, 10, 10
	v_and_b32_e32 v160, 3, v0
	v_rcp_iflag_f32_e32 v1, v1
	s_not_b32 s4, s4
	v_lshl_add_u32 v4, v153, 3, v152
	v_lshrrev_b32_e32 v112, 2, v4
	v_mul_f32_e32 v0, 0x4f7ffffe, v1
	v_cvt_u32_f32_e32 v0, v0
	v_cmp_gt_i32_e32 vcc, s26, v160
	v_mov_b32_e32 v1, 0x7fefffff
	v_lshlrev_b32_e32 v2, 3, v160
	v_readfirstlane_b32 s6, v0
	s_mul_i32 s4, s4, s6
	s_mul_hi_u32 s4, s6, s4
	s_add_i32 s6, s6, s4
	s_mul_hi_u32 s4, s2, s6
	s_mul_i32 s6, s4, s5
	s_sub_i32 s6, s2, s6
	s_add_i32 s7, s4, 1
	s_sub_i32 s8, s6, s5
	s_cmp_ge_u32 s6, s5
	s_cselect_b32 s4, s7, s4
	s_cselect_b32 s6, s8, s6
	s_add_i32 s7, s4, 1
	s_cmp_ge_u32 s6, s5
	s_cselect_b32 s6, s7, s4
	s_mul_i32 s36, s6, s5
	s_sub_i32 s4, s2, s36
	s_lshl_b32 s27, s4, 6
	v_add_u32_e32 v13, s27, v112
	v_cmp_gt_i32_e64 s[4:5], s24, v13
	v_mov_b32_e32 v0, -1
	v_cmp_le_i32_e64 s[8:9], s24, v13
	s_and_b64 s[10:11], vcc, s[4:5]
	v_mov_b64_e32 v[14:15], v[0:1]
	s_and_saveexec_b64 s[4:5], s[10:11]
	s_cbranch_execz .LBB127_10
; %bb.9:
	v_mad_i64_i32 v[6:7], s[10:11], v13, s3, 0
	v_lshl_add_u64 v[6:7], v[6:7], 3, s[18:19]
	v_mov_b32_e32 v3, 0
	v_lshl_add_u64 v[6:7], v[6:7], 0, v[2:3]
	flat_load_dwordx2 v[14:15], v[6:7]
.LBB127_10:
	s_or_b64 exec, exec, s[4:5]
	s_load_dword s20, s[0:1], 0x38
	v_and_b32_e32 v12, 63, v4
	s_lshl_b32 s33, s6, 8
	v_lshrrev_b32_e32 v164, 6, v4
	v_or_b32_e32 v100, s33, v12
	v_cmp_le_i32_e64 s[10:11], s26, v164
	s_waitcnt lgkmcnt(0)
	v_mad_i64_i32 v[4:5], s[4:5], s20, v164, 0
	v_cmp_le_i32_e32 vcc, s25, v100
	v_lshl_add_u64 v[10:11], v[4:5], 3, s[30:31]
	s_nor_b64 s[6:7], vcc, s[10:11]
	v_ashrrev_i32_e32 v101, 31, v100
	s_and_saveexec_b64 s[4:5], s[6:7]
	s_cbranch_execz .LBB127_12
; %bb.11:
	v_lshl_add_u64 v[0:1], v[100:101], 3, v[10:11]
	flat_load_dwordx2 v[0:1], v[0:1]
.LBB127_12:
	s_or_b64 exec, exec, s[4:5]
	v_or_b32_e32 v3, 64, v100
	v_cmp_le_i32_e64 s[12:13], s25, v3
	v_mov_b32_e32 v4, -1
	v_mov_b32_e32 v5, 0x7fefffff
	s_nor_b64 s[6:7], s[12:13], s[10:11]
	v_mov_b64_e32 v[6:7], v[4:5]
	s_and_saveexec_b64 s[4:5], s[6:7]
	s_cbranch_execz .LBB127_14
; %bb.13:
	v_lshl_add_u64 v[6:7], v[100:101], 3, v[10:11]
	flat_load_dwordx2 v[6:7], v[6:7] offset:512
.LBB127_14:
	s_or_b64 exec, exec, s[4:5]
	v_or_b32_e32 v3, 0x80, v100
	v_cmp_le_i32_e64 s[4:5], s25, v3
	s_ashr_i32 s21, s20, 31
	s_nor_b64 s[16:17], s[4:5], s[10:11]
	s_and_saveexec_b64 s[6:7], s[16:17]
	s_cbranch_execz .LBB127_16
; %bb.15:
	v_lshl_add_u64 v[4:5], v[100:101], 3, v[10:11]
	flat_load_dwordx2 v[4:5], v[4:5] offset:1024
.LBB127_16:
	s_or_b64 exec, exec, s[6:7]
	v_or_b32_e32 v3, 0xc0, v100
	v_cmp_le_i32_e64 s[6:7], s25, v3
	v_mov_b32_e32 v102, -1
	v_mov_b32_e32 v103, 0x7fefffff
	s_nor_b64 s[16:17], s[6:7], s[10:11]
	v_mov_b64_e32 v[8:9], v[102:103]
	s_and_saveexec_b64 s[10:11], s[16:17]
	s_cbranch_execz .LBB127_18
; %bb.17:
	v_lshl_add_u64 v[8:9], v[100:101], 3, v[10:11]
	flat_load_dwordx2 v[8:9], v[8:9] offset:1536
.LBB127_18:
	s_or_b64 exec, exec, s[10:11]
	v_or_b32_e32 v3, 4, v160
	v_cmp_gt_i32_e64 s[10:11], s26, v3
	s_xor_b64 s[16:17], s[8:9], -1
	s_and_b64 s[10:11], s[10:11], s[16:17]
	s_and_saveexec_b64 s[8:9], s[10:11]
	s_cbranch_execz .LBB127_20
; %bb.19:
	v_mad_i64_i32 v[10:11], s[10:11], v13, s3, 0
	v_lshl_add_u64 v[10:11], v[10:11], 3, s[18:19]
	v_mov_b32_e32 v3, 0
	v_lshl_add_u64 v[10:11], v[10:11], 0, v[2:3]
	flat_load_dwordx2 v[102:103], v[10:11] offset:32
.LBB127_20:
	s_or_b64 exec, exec, s[8:9]
	v_add_u32_e32 v3, 4, v164
	v_mad_u64_u32 v[10:11], s[10:11], s20, v3, 0
	v_mov_b32_e32 v16, v11
	v_mad_u64_u32 v[16:17], s[10:11], s21, v3, v[16:17]
	v_cmp_le_i32_e64 s[8:9], s26, v3
	v_mov_b32_e32 v11, v16
	v_mov_b32_e32 v104, -1
	v_mov_b32_e32 v105, 0x7fefffff
	v_lshl_add_u64 v[10:11], v[10:11], 3, s[30:31]
	s_nor_b64 s[38:39], vcc, s[8:9]
	v_mov_b64_e32 v[106:107], v[104:105]
	s_and_saveexec_b64 s[10:11], s[38:39]
	s_cbranch_execz .LBB127_22
; %bb.21:
	v_lshl_add_u64 v[16:17], v[100:101], 3, v[10:11]
	flat_load_dwordx2 v[106:107], v[16:17]
.LBB127_22:
	s_or_b64 exec, exec, s[10:11]
	s_nor_b64 s[38:39], s[12:13], s[8:9]
	s_and_saveexec_b64 s[10:11], s[38:39]
	s_cbranch_execz .LBB127_24
; %bb.23:
	v_lshl_add_u64 v[16:17], v[100:101], 3, v[10:11]
	flat_load_dwordx2 v[104:105], v[16:17] offset:512
.LBB127_24:
	s_or_b64 exec, exec, s[10:11]
	v_mov_b32_e32 v108, -1
	v_mov_b32_e32 v109, 0x7fefffff
	s_nor_b64 s[38:39], s[4:5], s[8:9]
	v_mov_b64_e32 v[110:111], v[108:109]
	s_and_saveexec_b64 s[10:11], s[38:39]
	s_cbranch_execz .LBB127_26
; %bb.25:
	v_lshl_add_u64 v[16:17], v[100:101], 3, v[10:11]
	flat_load_dwordx2 v[110:111], v[16:17] offset:1024
.LBB127_26:
	s_or_b64 exec, exec, s[10:11]
	s_nor_b64 s[10:11], s[6:7], s[8:9]
	s_and_saveexec_b64 s[8:9], s[10:11]
	s_cbranch_execz .LBB127_28
; %bb.27:
	v_lshl_add_u64 v[10:11], v[100:101], 3, v[10:11]
	flat_load_dwordx2 v[108:109], v[10:11] offset:1536
.LBB127_28:
	s_or_b64 exec, exec, s[8:9]
	v_lshl_or_b32 v113, v112, 5, v2
	v_lshlrev_b32_e32 v2, 5, v12
	v_lshl_add_u32 v169, v164, 3, v2
	v_lshlrev_b32_e32 v162, 5, v152
	s_load_dwordx2 s[10:11], s[34:35], 0x0
	s_waitcnt vmcnt(0)
	ds_write_b64 v113, v[14:15] offset:16384
	s_waitcnt lgkmcnt(0)
	ds_write2st64_b64 v169, v[0:1], v[6:7] offset1:4
	ds_write2st64_b64 v169, v[4:5], v[8:9] offset0:8 offset1:12
	s_waitcnt lgkmcnt(0)
	s_barrier
	v_lshlrev_b32_e32 v161, 5, v153
	ds_read_b128 v[32:35], v162 offset:16640
	ds_read_b128 v[28:31], v162 offset:16896
	;; [unrolled: 1-line block ×13, first 2 shown]
	ds_read_b128 v[96:99], v161
	ds_read_b128 v[44:47], v161 offset:6144
	ds_read_b128 v[36:39], v161 offset:7168
	;; [unrolled: 1-line block ×4, first 2 shown]
	s_waitcnt lgkmcnt(5)
	v_add_f64 v[116:117], v[42:43], v[94:95]
	v_add_f64 v[118:119], v[40:41], v[92:93]
	s_mov_b32 s8, 0x7f800000
	v_cvt_f32_f64_e32 v115, v[118:119]
	v_cvt_f32_f64_e32 v116, v[116:117]
	v_min3_f32 v179, v115, v116, s8
	v_add_f64 v[116:117], v[34:35], v[94:95]
	v_add_f64 v[118:119], v[32:33], v[92:93]
	v_cvt_f32_f64_e32 v115, v[118:119]
	v_cvt_f32_f64_e32 v116, v[116:117]
	v_min3_f32 v180, v115, v116, s8
	v_add_f64 v[116:117], v[30:31], v[94:95]
	v_add_f64 v[118:119], v[28:29], v[92:93]
	;; [unrolled: 5-line block ×34, first 2 shown]
	v_cvt_f32_f64_e32 v115, v[118:119]
	v_cvt_f32_f64_e32 v116, v[116:117]
	v_min3_f32 v121, v115, v116, s8
	s_waitcnt lgkmcnt(3)
	v_add_f64 v[116:117], v[42:43], v[46:47]
	v_add_f64 v[170:171], v[40:41], v[44:45]
	v_cvt_f32_f64_e32 v115, v[170:171]
	v_cvt_f32_f64_e32 v116, v[116:117]
	v_min3_f32 v127, v115, v116, s8
	v_add_f64 v[116:117], v[34:35], v[46:47]
	v_add_f64 v[170:171], v[32:33], v[44:45]
	v_cvt_f32_f64_e32 v115, v[170:171]
	v_cvt_f32_f64_e32 v116, v[116:117]
	v_min3_f32 v124, v115, v116, s8
	v_add_f64 v[116:117], v[30:31], v[46:47]
	v_add_f64 v[170:171], v[28:29], v[44:45]
	v_cvt_f32_f64_e32 v115, v[170:171]
	v_cvt_f32_f64_e32 v116, v[116:117]
	v_add_f64 v[56:57], v[42:43], v[98:99]
	v_add_f64 v[58:59], v[40:41], v[96:97]
	v_min3_f32 v122, v115, v116, s8
	v_add_f64 v[116:117], v[26:27], v[46:47]
	v_add_f64 v[170:171], v[24:25], v[44:45]
	v_cvt_f32_f64_e32 v58, v[58:59]
	v_cvt_f32_f64_e32 v56, v[56:57]
	;; [unrolled: 1-line block ×4, first 2 shown]
	v_min3_f32 v114, v58, v56, s8
	ds_read_b128 v[56:59], v162 offset:16656
	v_add_f64 v[60:61], v[34:35], v[98:99]
	v_add_f64 v[62:63], v[32:33], v[96:97]
	v_min3_f32 v120, v115, v116, s8
	v_add_f64 v[116:117], v[22:23], v[46:47]
	v_add_f64 v[170:171], v[20:21], v[44:45]
	v_cvt_f32_f64_e32 v62, v[62:63]
	v_cvt_f32_f64_e32 v60, v[60:61]
	;; [unrolled: 1-line block ×4, first 2 shown]
	v_add_f64 v[170:171], v[16:17], v[44:45]
	v_min3_f32 v167, v62, v60, s8
	ds_read_b128 v[60:63], v162 offset:16912
	v_add_f64 v[64:65], v[30:31], v[98:99]
	v_add_f64 v[66:67], v[28:29], v[96:97]
	;; [unrolled: 1-line block ×22, first 2 shown]
	v_min3_f32 v118, v115, v116, s8
	v_add_f64 v[116:117], v[18:19], v[46:47]
	v_cvt_f32_f64_e32 v115, v[170:171]
	v_add_f64 v[170:171], v[14:15], v[46:47]
	v_add_f64 v[172:173], v[12:13], v[44:45]
	;; [unrolled: 1-line block ×4, first 2 shown]
	s_waitcnt lgkmcnt(4)
	v_add_f64 v[14:15], v[14:15], v[38:39]
	v_add_f64 v[12:13], v[12:13], v[36:37]
	;; [unrolled: 1-line block ×4, first 2 shown]
	v_cvt_f32_f64_e32 v66, v[66:67]
	v_cvt_f32_f64_e32 v64, v[64:65]
	;; [unrolled: 1-line block ×7, first 2 shown]
	s_waitcnt lgkmcnt(2)
	v_add_f64 v[10:11], v[2:3], v[6:7]
	v_add_f64 v[14:15], v[0:1], v[4:5]
	v_min3_f32 v168, v66, v64, s8
	ds_read_b128 v[64:67], v162 offset:17168
	v_min3_f32 v117, v115, v116, s8
	v_cvt_f32_f64_e32 v115, v[172:173]
	v_cvt_f32_f64_e32 v116, v[170:171]
	;; [unrolled: 1-line block ×4, first 2 shown]
	v_min3_f32 v8, v8, v9, s8
	v_cvt_f32_f64_e32 v9, v[14:15]
	v_cvt_f32_f64_e32 v10, v[10:11]
	;; [unrolled: 1-line block ×4, first 2 shown]
	v_min3_f32 v116, v115, v116, s8
	v_min3_f32 v115, v44, v45, s8
	ds_read_b128 v[44:47], v161 offset:7184
	v_min3_f32 v224, v9, v10, v114
	s_waitcnt lgkmcnt(3)
	v_add_f64 v[10:11], v[58:59], v[6:7]
	v_add_f64 v[14:15], v[56:57], v[4:5]
	v_min3_f32 v174, v70, v68, s8
	ds_read_b128 v[68:71], v162 offset:17424
	v_cvt_f32_f64_e32 v9, v[14:15]
	v_cvt_f32_f64_e32 v10, v[10:11]
	;; [unrolled: 1-line block ×4, first 2 shown]
	v_min3_f32 v223, v9, v10, v167
	s_waitcnt lgkmcnt(3)
	v_add_f64 v[10:11], v[62:63], v[6:7]
	v_add_f64 v[14:15], v[60:61], v[4:5]
	v_min3_f32 v175, v74, v72, s8
	ds_read_b128 v[72:75], v162 offset:17680
	v_cvt_f32_f64_e32 v9, v[14:15]
	v_cvt_f32_f64_e32 v10, v[10:11]
	;; [unrolled: 1-line block ×6, first 2 shown]
	v_min3_f32 v222, v9, v10, v168
	s_waitcnt lgkmcnt(3)
	v_add_f64 v[10:11], v[66:67], v[6:7]
	v_add_f64 v[14:15], v[64:65], v[4:5]
	v_min3_f32 v176, v78, v76, s8
	ds_read_b128 v[76:79], v162 offset:17936
	v_min3_f32 v177, v82, v80, s8
	ds_read_b128 v[80:83], v162 offset:18192
	v_cvt_f32_f64_e32 v9, v[14:15]
	v_cvt_f32_f64_e32 v10, v[10:11]
	;; [unrolled: 1-line block ×4, first 2 shown]
	v_min3_f32 v221, v9, v10, v174
	s_waitcnt lgkmcnt(3)
	v_add_f64 v[10:11], v[70:71], v[6:7]
	v_add_f64 v[14:15], v[68:69], v[4:5]
	v_min3_f32 v178, v96, v97, s8
	ds_read_b128 v[96:99], v161 offset:1040
	v_cvt_f32_f64_e32 v9, v[14:15]
	v_cvt_f32_f64_e32 v10, v[10:11]
	v_min3_f32 v220, v9, v10, v175
	s_waitcnt lgkmcnt(3)
	v_add_f64 v[10:11], v[74:75], v[6:7]
	v_add_f64 v[14:15], v[72:73], v[4:5]
	v_cvt_f32_f64_e32 v9, v[14:15]
	v_cvt_f32_f64_e32 v10, v[10:11]
	v_min3_f32 v213, v9, v10, v176
	s_waitcnt lgkmcnt(2)
	v_add_f64 v[10:11], v[78:79], v[6:7]
	v_add_f64 v[14:15], v[76:77], v[4:5]
	s_waitcnt lgkmcnt(1)
	v_add_f64 v[6:7], v[82:83], v[6:7]
	v_add_f64 v[4:5], v[80:81], v[4:5]
	v_cvt_f32_f64_e32 v92, v[92:93]
	v_cvt_f32_f64_e32 v93, v[94:95]
	;; [unrolled: 1-line block ×4, first 2 shown]
	v_min3_f32 v150, v92, v93, s8
	ds_read_b128 v[92:95], v161 offset:2064
	v_min3_f32 v211, v4, v5, v178
	s_waitcnt lgkmcnt(1)
	v_add_f64 v[4:5], v[2:3], v[98:99]
	v_add_f64 v[6:7], v[0:1], v[96:97]
	v_cvt_f32_f64_e32 v6, v[6:7]
	v_cvt_f32_f64_e32 v4, v[4:5]
	v_min3_f32 v210, v6, v4, v179
	v_add_f64 v[4:5], v[58:59], v[98:99]
	v_add_f64 v[6:7], v[56:57], v[96:97]
	v_cvt_f32_f64_e32 v6, v[6:7]
	v_cvt_f32_f64_e32 v4, v[4:5]
	v_min3_f32 v209, v6, v4, v180
	;; [unrolled: 5-line block ×8, first 2 shown]
	s_waitcnt lgkmcnt(0)
	v_add_f64 v[4:5], v[2:3], v[94:95]
	v_add_f64 v[6:7], v[0:1], v[92:93]
	v_cvt_f32_f64_e32 v6, v[6:7]
	v_cvt_f32_f64_e32 v4, v[4:5]
	v_min3_f32 v202, v6, v4, v163
	v_add_f64 v[4:5], v[58:59], v[94:95]
	v_add_f64 v[6:7], v[56:57], v[92:93]
	v_cvt_f32_f64_e32 v6, v[6:7]
	v_cvt_f32_f64_e32 v4, v[4:5]
	v_min3_f32 v201, v6, v4, v158
	;; [unrolled: 5-line block ×4, first 2 shown]
	v_add_f64 v[4:5], v[70:71], v[94:95]
	v_add_f64 v[6:7], v[68:69], v[92:93]
	v_cvt_f32_f64_e32 v6, v[6:7]
	v_cvt_f32_f64_e32 v4, v[4:5]
	;; [unrolled: 1-line block ×4, first 2 shown]
	v_min3_f32 v198, v6, v4, v149
	v_add_f64 v[4:5], v[74:75], v[94:95]
	v_add_f64 v[6:7], v[72:73], v[92:93]
	v_min3_f32 v142, v88, v89, s8
	ds_read_b128 v[88:91], v161 offset:3088
	v_cvt_f32_f64_e32 v6, v[6:7]
	v_cvt_f32_f64_e32 v4, v[4:5]
	v_min3_f32 v197, v6, v4, v147
	v_add_f64 v[4:5], v[78:79], v[94:95]
	v_add_f64 v[6:7], v[76:77], v[92:93]
	v_cvt_f32_f64_e32 v6, v[6:7]
	v_cvt_f32_f64_e32 v4, v[4:5]
	v_min3_f32 v196, v6, v4, v145
	v_add_f64 v[4:5], v[82:83], v[94:95]
	v_add_f64 v[6:7], v[80:81], v[92:93]
	v_cvt_f32_f64_e32 v84, v[84:85]
	v_cvt_f32_f64_e32 v85, v[86:87]
	;; [unrolled: 1-line block ×4, first 2 shown]
	v_min3_f32 v134, v84, v85, s8
	ds_read_b128 v[84:87], v161 offset:4112
	v_min3_f32 v195, v6, v4, v142
	s_waitcnt lgkmcnt(1)
	v_add_f64 v[4:5], v[2:3], v[90:91]
	v_add_f64 v[6:7], v[0:1], v[88:89]
	v_cvt_f32_f64_e32 v6, v[6:7]
	v_cvt_f32_f64_e32 v4, v[4:5]
	v_min3_f32 v194, v6, v4, v151
	v_add_f64 v[4:5], v[58:59], v[90:91]
	v_add_f64 v[6:7], v[56:57], v[88:89]
	v_cvt_f32_f64_e32 v6, v[6:7]
	v_cvt_f32_f64_e32 v4, v[4:5]
	v_min3_f32 v193, v6, v4, v148
	;; [unrolled: 5-line block ×8, first 2 shown]
	s_waitcnt lgkmcnt(0)
	v_add_f64 v[4:5], v[2:3], v[86:87]
	v_add_f64 v[6:7], v[0:1], v[84:85]
	v_cvt_f32_f64_e32 v6, v[6:7]
	v_cvt_f32_f64_e32 v4, v[4:5]
	v_min3_f32 v186, v6, v4, v143
	v_add_f64 v[4:5], v[58:59], v[86:87]
	v_add_f64 v[6:7], v[56:57], v[84:85]
	v_cvt_f32_f64_e32 v6, v[6:7]
	v_cvt_f32_f64_e32 v4, v[4:5]
	v_min3_f32 v185, v6, v4, v140
	;; [unrolled: 5-line block ×4, first 2 shown]
	v_add_f64 v[4:5], v[70:71], v[86:87]
	v_add_f64 v[6:7], v[68:69], v[84:85]
	v_cvt_f32_f64_e32 v6, v[6:7]
	v_cvt_f32_f64_e32 v4, v[4:5]
	;; [unrolled: 1-line block ×4, first 2 shown]
	v_min3_f32 v182, v6, v4, v133
	v_add_f64 v[4:5], v[74:75], v[86:87]
	v_add_f64 v[6:7], v[72:73], v[84:85]
	v_min3_f32 v126, v52, v53, s8
	ds_read_b128 v[52:55], v161 offset:5136
	v_cvt_f32_f64_e32 v6, v[6:7]
	v_cvt_f32_f64_e32 v4, v[4:5]
	v_min3_f32 v181, v6, v4, v131
	v_add_f64 v[4:5], v[78:79], v[86:87]
	v_add_f64 v[6:7], v[76:77], v[84:85]
	v_cvt_f32_f64_e32 v6, v[6:7]
	v_cvt_f32_f64_e32 v4, v[4:5]
	v_min3_f32 v180, v6, v4, v129
	v_add_f64 v[4:5], v[82:83], v[86:87]
	v_add_f64 v[6:7], v[80:81], v[84:85]
	v_cvt_f32_f64_e32 v48, v[48:49]
	v_cvt_f32_f64_e32 v49, v[50:51]
	;; [unrolled: 1-line block ×4, first 2 shown]
	v_min3_f32 v119, v48, v49, s8
	ds_read_b128 v[48:51], v161 offset:6160
	v_min3_f32 v179, v6, v4, v126
	s_waitcnt lgkmcnt(1)
	v_add_f64 v[4:5], v[2:3], v[54:55]
	v_add_f64 v[6:7], v[0:1], v[52:53]
	v_cvt_f32_f64_e32 v6, v[6:7]
	v_cvt_f32_f64_e32 v4, v[4:5]
	v_min3_f32 v178, v6, v4, v135
	v_add_f64 v[4:5], v[58:59], v[54:55]
	v_add_f64 v[6:7], v[56:57], v[52:53]
	v_cvt_f32_f64_e32 v9, v[14:15]
	v_cvt_f32_f64_e32 v10, v[10:11]
	;; [unrolled: 1-line block ×4, first 2 shown]
	v_min3_f32 v212, v9, v10, v177
	v_min3_f32 v177, v6, v4, v132
	v_add_f64 v[4:5], v[62:63], v[54:55]
	v_add_f64 v[6:7], v[60:61], v[52:53]
	v_cvt_f32_f64_e32 v6, v[6:7]
	v_cvt_f32_f64_e32 v4, v[4:5]
	v_min3_f32 v176, v6, v4, v130
	v_add_f64 v[4:5], v[66:67], v[54:55]
	v_add_f64 v[6:7], v[64:65], v[52:53]
	v_cvt_f32_f64_e32 v6, v[6:7]
	v_cvt_f32_f64_e32 v4, v[4:5]
	;; [unrolled: 5-line block ×5, first 2 shown]
	v_min3_f32 v172, v6, v4, v121
	v_add_f64 v[4:5], v[82:83], v[54:55]
	v_add_f64 v[6:7], v[80:81], v[52:53]
	;; [unrolled: 1-line block ×4, first 2 shown]
	v_cvt_f32_f64_e32 v6, v[6:7]
	v_cvt_f32_f64_e32 v4, v[4:5]
	;; [unrolled: 1-line block ×4, first 2 shown]
	v_min3_f32 v171, v6, v4, v119
	s_waitcnt lgkmcnt(0)
	v_add_f64 v[4:5], v[2:3], v[50:51]
	v_add_f64 v[6:7], v[0:1], v[48:49]
	;; [unrolled: 1-line block ×4, first 2 shown]
	v_min3_f32 v40, v40, v41, s8
	v_add_f64 v[34:35], v[34:35], v[38:39]
	v_add_f64 v[32:33], v[32:33], v[36:37]
	v_cvt_f32_f64_e32 v6, v[6:7]
	v_cvt_f32_f64_e32 v4, v[4:5]
	v_cvt_f32_f64_e32 v0, v[0:1]
	v_cvt_f32_f64_e32 v1, v[2:3]
	v_cvt_f32_f64_e32 v32, v[32:33]
	v_cvt_f32_f64_e32 v33, v[34:35]
	v_min3_f32 v170, v6, v4, v127
	v_add_f64 v[4:5], v[58:59], v[50:51]
	v_add_f64 v[6:7], v[56:57], v[48:49]
	v_min3_f32 v157, v0, v1, v40
	v_add_f64 v[0:1], v[58:59], v[46:47]
	v_add_f64 v[2:3], v[56:57], v[44:45]
	v_min3_f32 v32, v32, v33, s8
	v_add_f64 v[30:31], v[30:31], v[38:39]
	v_add_f64 v[28:29], v[28:29], v[36:37]
	v_cvt_f32_f64_e32 v6, v[6:7]
	v_cvt_f32_f64_e32 v4, v[4:5]
	v_cvt_f32_f64_e32 v2, v[2:3]
	v_cvt_f32_f64_e32 v0, v[0:1]
	v_cvt_f32_f64_e32 v28, v[28:29]
	v_cvt_f32_f64_e32 v29, v[30:31]
	v_min3_f32 v168, v6, v4, v124
	v_add_f64 v[4:5], v[62:63], v[50:51]
	v_add_f64 v[6:7], v[60:61], v[48:49]
	v_min3_f32 v156, v2, v0, v32
	v_add_f64 v[0:1], v[62:63], v[46:47]
	v_add_f64 v[2:3], v[60:61], v[44:45]
	;; [unrolled: 15-line block ×5, first 2 shown]
	v_min3_f32 v16, v16, v17, s8
	v_cvt_f32_f64_e32 v6, v[6:7]
	v_cvt_f32_f64_e32 v4, v[4:5]
	;; [unrolled: 1-line block ×4, first 2 shown]
	v_min3_f32 v163, v6, v4, v117
	v_add_f64 v[4:5], v[78:79], v[50:51]
	v_add_f64 v[6:7], v[76:77], v[48:49]
	v_min3_f32 v150, v2, v0, v16
	v_add_f64 v[0:1], v[78:79], v[46:47]
	v_add_f64 v[2:3], v[76:77], v[44:45]
	v_min3_f32 v12, v12, v13, s8
	v_cvt_f32_f64_e32 v6, v[6:7]
	v_cvt_f32_f64_e32 v4, v[4:5]
	;; [unrolled: 1-line block ×4, first 2 shown]
	v_min3_f32 v159, v6, v4, v116
	v_add_f64 v[4:5], v[82:83], v[50:51]
	v_add_f64 v[6:7], v[80:81], v[48:49]
	v_min3_f32 v149, v2, v0, v12
	v_add_f64 v[0:1], v[82:83], v[46:47]
	v_add_f64 v[2:3], v[80:81], v[44:45]
	v_cvt_f32_f64_e32 v6, v[6:7]
	v_cvt_f32_f64_e32 v4, v[4:5]
	;; [unrolled: 1-line block ×4, first 2 shown]
	v_min3_f32 v158, v6, v4, v115
	v_min3_f32 v148, v2, v0, v8
	s_cmp_lt_i32 s26, 9
	ds_write_b64 v113, v[102:103] offset:18432
	ds_write2st64_b64 v169, v[106:107], v[104:105] offset0:16 offset1:20
	ds_write2st64_b64 v169, v[110:111], v[108:109] offset0:24 offset1:28
	s_waitcnt lgkmcnt(0)
	s_barrier
	s_cbranch_scc1 .LBB127_51
; %bb.29:
	v_mov_b32_e32 v0, 0x4800
	v_lshl_add_u32 v218, v152, 5, v0
	v_mov_b32_e32 v0, 0x2000
	v_lshl_add_u32 v219, v153, 5, v0
	v_lshl_add_u32 v0, s2, 6, v112
	s_lshl_b32 s2, s36, 6
	v_subrev_u32_e32 v0, s2, v0
	v_and_b32_e32 v2, 3, v152
	v_mad_i64_i32 v[0:1], s[2:3], s3, v0, 0
	v_lshlrev_b32_e32 v2, 3, v2
	v_mov_b32_e32 v3, 0
	v_lshl_add_u64 v[0:1], v[0:1], 3, v[2:3]
	v_lshl_add_u64 v[0:1], s[18:19], 0, v[0:1]
	;; [unrolled: 1-line block ×3, first 2 shown]
	v_add_u32_e32 v0, 8, v164
	v_mad_i64_i32 v[0:1], s[2:3], v0, s20, 0
	v_lshlrev_b64 v[130:131], 3, v[0:1]
	v_add_u32_e32 v0, 12, v164
	v_mad_i64_i32 v[0:1], s[2:3], v0, s20, 0
	v_add_u32_e32 v214, 0x4000, v113
	v_add_u32_e32 v215, 0x4000, v162
	;; [unrolled: 1-line block ×4, first 2 shown]
	s_add_i32 s34, s26, -8
	v_lshl_add_u64 v[132:133], v[100:101], 3, s[30:31]
	s_lshl_b64 s[18:19], s[20:21], 6
	v_lshlrev_b64 v[134:135], 3, v[0:1]
	s_mov_b32 s20, 0
	v_mov_b32_e32 v136, -1
	v_mov_b32_e32 v137, 0x7fefffff
	s_branch .LBB127_31
.LBB127_30:                             ;   in Loop: Header=BB127_31 Depth=1
	s_or_b64 exec, exec, s[2:3]
	v_add_f64 v[146:147], v[98:99], v[126:127]
	v_add_f64 v[228:229], v[96:97], v[124:125]
	v_cvt_f32_f64_e32 v225, v[228:229]
	v_cvt_f32_f64_e32 v146, v[146:147]
	v_min3_f32 v228, v225, v146, v224
	v_add_f64 v[146:147], v[94:95], v[126:127]
	v_add_f64 v[224:225], v[92:93], v[124:125]
	v_cvt_f32_f64_e32 v224, v[224:225]
	v_cvt_f32_f64_e32 v146, v[146:147]
	v_min3_f32 v229, v224, v146, v223
	;; [unrolled: 5-line block ×6, first 2 shown]
	v_add_f64 v[146:147], v[70:71], v[126:127]
	v_add_f64 v[220:221], v[68:69], v[124:125]
	;; [unrolled: 1-line block ×4, first 2 shown]
	v_cvt_f32_f64_e32 v124, v[124:125]
	v_cvt_f32_f64_e32 v125, v[126:127]
	v_cvt_f32_f64_e32 v146, v[146:147]
	v_min3_f32 v147, v124, v125, v211
	v_add_f64 v[124:125], v[98:99], v[122:123]
	v_add_f64 v[126:127], v[96:97], v[120:121]
	v_cvt_f32_f64_e32 v126, v[126:127]
	v_cvt_f32_f64_e32 v124, v[124:125]
	v_min3_f32 v210, v126, v124, v210
	v_add_f64 v[124:125], v[94:95], v[122:123]
	v_add_f64 v[126:127], v[92:93], v[120:121]
	v_cvt_f32_f64_e32 v126, v[126:127]
	v_cvt_f32_f64_e32 v124, v[124:125]
	;; [unrolled: 5-line block ×6, first 2 shown]
	v_min3_f32 v205, v126, v124, v205
	v_add_f64 v[124:125], v[70:71], v[122:123]
	v_add_f64 v[126:127], v[68:69], v[120:121]
	v_add_f64 v[122:123], v[66:67], v[122:123]
	v_add_f64 v[120:121], v[64:65], v[120:121]
	v_cvt_f32_f64_e32 v120, v[120:121]
	v_cvt_f32_f64_e32 v121, v[122:123]
	;; [unrolled: 1-line block ×3, first 2 shown]
	v_min3_f32 v125, v120, v121, v203
	v_add_f64 v[120:121], v[98:99], v[118:119]
	v_add_f64 v[122:123], v[96:97], v[116:117]
	v_cvt_f32_f64_e32 v126, v[126:127]
	v_cvt_f32_f64_e32 v122, v[122:123]
	;; [unrolled: 1-line block ×3, first 2 shown]
	v_min3_f32 v124, v126, v124, v204
	v_min3_f32 v126, v122, v120, v202
	v_add_f64 v[120:121], v[94:95], v[118:119]
	v_add_f64 v[122:123], v[92:93], v[116:117]
	v_cvt_f32_f64_e32 v122, v[122:123]
	v_cvt_f32_f64_e32 v120, v[120:121]
	v_min3_f32 v127, v122, v120, v201
	v_add_f64 v[120:121], v[90:91], v[118:119]
	v_add_f64 v[122:123], v[88:89], v[116:117]
	v_cvt_f32_f64_e32 v122, v[122:123]
	v_cvt_f32_f64_e32 v120, v[120:121]
	;; [unrolled: 5-line block ×5, first 2 shown]
	v_min3_f32 v197, v122, v120, v197
	v_add_f64 v[120:121], v[70:71], v[118:119]
	v_add_f64 v[122:123], v[68:69], v[116:117]
	v_add_f64 v[118:119], v[66:67], v[118:119]
	v_add_f64 v[116:117], v[64:65], v[116:117]
	v_cvt_f32_f64_e32 v116, v[116:117]
	v_cvt_f32_f64_e32 v117, v[118:119]
	;; [unrolled: 1-line block ×3, first 2 shown]
	v_min3_f32 v121, v116, v117, v195
	v_add_f64 v[116:117], v[98:99], v[114:115]
	v_add_f64 v[118:119], v[96:97], v[112:113]
	v_cvt_f32_f64_e32 v122, v[122:123]
	v_cvt_f32_f64_e32 v118, v[118:119]
	;; [unrolled: 1-line block ×3, first 2 shown]
	v_min3_f32 v120, v122, v120, v196
	v_min3_f32 v122, v118, v116, v194
	v_add_f64 v[116:117], v[94:95], v[114:115]
	v_add_f64 v[118:119], v[92:93], v[112:113]
	v_cvt_f32_f64_e32 v118, v[118:119]
	v_cvt_f32_f64_e32 v116, v[116:117]
	v_min3_f32 v123, v118, v116, v193
	v_add_f64 v[116:117], v[90:91], v[114:115]
	v_add_f64 v[118:119], v[88:89], v[112:113]
	v_cvt_f32_f64_e32 v118, v[118:119]
	v_cvt_f32_f64_e32 v116, v[116:117]
	v_min3_f32 v192, v118, v116, v192
	v_add_f64 v[116:117], v[82:83], v[114:115]
	v_add_f64 v[118:119], v[80:81], v[112:113]
	v_cvt_f32_f64_e32 v118, v[118:119]
	v_cvt_f32_f64_e32 v116, v[116:117]
	v_min3_f32 v191, v118, v116, v191
	v_add_f64 v[116:117], v[78:79], v[114:115]
	v_add_f64 v[118:119], v[76:77], v[112:113]
	v_cvt_f32_f64_e32 v118, v[118:119]
	v_cvt_f32_f64_e32 v116, v[116:117]
	v_min3_f32 v190, v118, v116, v190
	v_add_f64 v[116:117], v[74:75], v[114:115]
	v_add_f64 v[118:119], v[72:73], v[112:113]
	v_cvt_f32_f64_e32 v118, v[118:119]
	v_cvt_f32_f64_e32 v116, v[116:117]
	v_min3_f32 v189, v118, v116, v189
	v_add_f64 v[116:117], v[70:71], v[114:115]
	v_add_f64 v[118:119], v[68:69], v[112:113]
	v_add_f64 v[114:115], v[66:67], v[114:115]
	v_add_f64 v[112:113], v[64:65], v[112:113]
	v_cvt_f32_f64_e32 v112, v[112:113]
	v_cvt_f32_f64_e32 v113, v[114:115]
	v_min3_f32 v187, v112, v113, v187
	v_add_f64 v[112:113], v[98:99], v[110:111]
	v_add_f64 v[114:115], v[96:97], v[108:109]
	v_cvt_f32_f64_e32 v114, v[114:115]
	v_cvt_f32_f64_e32 v112, v[112:113]
	v_min3_f32 v186, v114, v112, v186
	v_add_f64 v[112:113], v[94:95], v[110:111]
	v_add_f64 v[114:115], v[92:93], v[108:109]
	v_cvt_f32_f64_e32 v114, v[114:115]
	v_cvt_f32_f64_e32 v112, v[112:113]
	v_min3_f32 v185, v114, v112, v185
	v_add_f64 v[112:113], v[90:91], v[110:111]
	v_add_f64 v[114:115], v[88:89], v[108:109]
	v_cvt_f32_f64_e32 v114, v[114:115]
	v_cvt_f32_f64_e32 v112, v[112:113]
	v_min3_f32 v184, v114, v112, v184
	v_add_f64 v[112:113], v[82:83], v[110:111]
	v_add_f64 v[114:115], v[80:81], v[108:109]
	v_cvt_f32_f64_e32 v114, v[114:115]
	v_cvt_f32_f64_e32 v112, v[112:113]
	v_min3_f32 v183, v114, v112, v183
	v_add_f64 v[112:113], v[78:79], v[110:111]
	v_add_f64 v[114:115], v[76:77], v[108:109]
	v_cvt_f32_f64_e32 v114, v[114:115]
	v_cvt_f32_f64_e32 v112, v[112:113]
	v_min3_f32 v182, v114, v112, v182
	v_add_f64 v[112:113], v[74:75], v[110:111]
	v_add_f64 v[114:115], v[72:73], v[108:109]
	v_cvt_f32_f64_e32 v114, v[114:115]
	v_cvt_f32_f64_e32 v112, v[112:113]
	v_min3_f32 v181, v114, v112, v181
	v_add_f64 v[112:113], v[70:71], v[110:111]
	v_add_f64 v[114:115], v[68:69], v[108:109]
	v_add_f64 v[110:111], v[66:67], v[110:111]
	v_add_f64 v[108:109], v[64:65], v[108:109]
	v_cvt_f32_f64_e32 v108, v[108:109]
	v_cvt_f32_f64_e32 v109, v[110:111]
	v_min3_f32 v179, v108, v109, v179
	v_add_f64 v[108:109], v[98:99], v[106:107]
	v_add_f64 v[110:111], v[96:97], v[104:105]
	v_cvt_f32_f64_e32 v110, v[110:111]
	v_cvt_f32_f64_e32 v108, v[108:109]
	;; [unrolled: 37-line block ×3, first 2 shown]
	v_min3_f32 v170, v106, v104, v170
	v_add_f64 v[104:105], v[94:95], v[102:103]
	v_add_f64 v[106:107], v[92:93], v[100:101]
	v_cvt_f32_f64_e32 v106, v[106:107]
	v_cvt_f32_f64_e32 v104, v[104:105]
	v_min3_f32 v168, v106, v104, v168
	v_add_f64 v[104:105], v[90:91], v[102:103]
	v_add_f64 v[106:107], v[88:89], v[100:101]
	v_cvt_f32_f64_e32 v106, v[106:107]
	v_cvt_f32_f64_e32 v104, v[104:105]
	;; [unrolled: 5-line block ×5, first 2 shown]
	v_min3_f32 v195, v106, v104, v163
	v_add_f64 v[104:105], v[70:71], v[102:103]
	v_add_f64 v[106:107], v[68:69], v[100:101]
	;; [unrolled: 1-line block ×8, first 2 shown]
	v_cvt_f32_f64_e32 v76, v[76:77]
	v_cvt_f32_f64_e32 v77, v[78:79]
	;; [unrolled: 1-line block ×4, first 2 shown]
	v_min3_f32 v76, v76, v77, v151
	v_min3_f32 v77, v64, v65, v148
	v_add_f64 v[64:65], v[34:35], v[62:63]
	v_add_f64 v[66:67], v[32:33], v[60:61]
	v_cvt_f32_f64_e32 v66, v[66:67]
	v_cvt_f32_f64_e32 v64, v[64:65]
	v_add_f64 v[70:71], v[70:71], v[86:87]
	v_add_f64 v[68:69], v[68:69], v[84:85]
	v_min3_f32 v202, v66, v64, v228
	v_add_f64 v[64:65], v[30:31], v[62:63]
	v_add_f64 v[66:67], v[28:29], v[60:61]
	;; [unrolled: 1-line block ×4, first 2 shown]
	v_cvt_f32_f64_e32 v68, v[68:69]
	v_cvt_f32_f64_e32 v69, v[70:71]
	;; [unrolled: 1-line block ×6, first 2 shown]
	v_min3_f32 v75, v68, v69, v149
	v_min3_f32 v64, v66, v64, v229
	v_add_f64 v[66:67], v[26:27], v[62:63]
	v_add_f64 v[68:69], v[24:25], v[60:61]
	v_cvt_f32_f64_e32 v65, v[68:69]
	v_cvt_f32_f64_e32 v66, v[66:67]
	v_min3_f32 v65, v65, v66, v224
	v_add_f64 v[66:67], v[18:19], v[62:63]
	v_add_f64 v[68:69], v[16:17], v[60:61]
	v_cvt_f32_f64_e32 v68, v[68:69]
	v_cvt_f32_f64_e32 v66, v[66:67]
	;; [unrolled: 5-line block ×4, first 2 shown]
	v_min3_f32 v74, v72, v73, v150
	v_min3_f32 v68, v70, v68, v213
	v_add_f64 v[70:71], v[6:7], v[62:63]
	v_add_f64 v[72:73], v[4:5], v[60:61]
	v_add_f64 v[62:63], v[2:3], v[62:63]
	v_add_f64 v[60:61], v[0:1], v[60:61]
	v_cvt_f32_f64_e32 v100, v[100:101]
	v_cvt_f32_f64_e32 v101, v[102:103]
	v_cvt_f32_f64_e32 v60, v[60:61]
	v_cvt_f32_f64_e32 v61, v[62:63]
	v_min3_f32 v201, v100, v101, v158
	v_min3_f32 v100, v60, v61, v147
	v_add_f64 v[60:61], v[34:35], v[58:59]
	v_add_f64 v[62:63], v[32:33], v[56:57]
	v_cvt_f32_f64_e32 v62, v[62:63]
	v_cvt_f32_f64_e32 v60, v[60:61]
	v_min3_f32 v101, v62, v60, v210
	v_add_f64 v[60:61], v[30:31], v[58:59]
	v_add_f64 v[62:63], v[28:29], v[56:57]
	v_cvt_f32_f64_e32 v62, v[62:63]
	v_cvt_f32_f64_e32 v60, v[60:61]
	v_min3_f32 v102, v62, v60, v209
	v_add_f64 v[60:61], v[26:27], v[58:59]
	v_add_f64 v[62:63], v[24:25], v[56:57]
	v_cvt_f32_f64_e32 v62, v[62:63]
	v_cvt_f32_f64_e32 v60, v[60:61]
	v_min3_f32 v103, v62, v60, v208
	v_add_f64 v[60:61], v[18:19], v[58:59]
	v_add_f64 v[62:63], v[16:17], v[56:57]
	v_cvt_f32_f64_e32 v106, v[106:107]
	v_cvt_f32_f64_e32 v104, v[104:105]
	v_cvt_f32_f64_e32 v62, v[62:63]
	v_cvt_f32_f64_e32 v60, v[60:61]
	v_min3_f32 v196, v106, v104, v159
	v_min3_f32 v104, v62, v60, v207
	v_add_f64 v[60:61], v[14:15], v[58:59]
	v_add_f64 v[62:63], v[12:13], v[56:57]
	v_cvt_f32_f64_e32 v62, v[62:63]
	v_cvt_f32_f64_e32 v60, v[60:61]
	v_min3_f32 v105, v62, v60, v206
	v_add_f64 v[60:61], v[10:11], v[58:59]
	v_add_f64 v[62:63], v[8:9], v[56:57]
	v_cvt_f32_f64_e32 v62, v[62:63]
	v_cvt_f32_f64_e32 v60, v[60:61]
	v_min3_f32 v106, v62, v60, v205
	v_add_f64 v[60:61], v[6:7], v[58:59]
	v_add_f64 v[62:63], v[4:5], v[56:57]
	v_add_f64 v[58:59], v[2:3], v[58:59]
	v_add_f64 v[56:57], v[0:1], v[56:57]
	v_cvt_f32_f64_e32 v110, v[110:111]
	v_cvt_f32_f64_e32 v108, v[108:109]
	v_cvt_f32_f64_e32 v56, v[56:57]
	v_cvt_f32_f64_e32 v57, v[58:59]
	v_min3_f32 v172, v110, v108, v172
	v_min3_f32 v108, v56, v57, v125
	v_add_f64 v[56:57], v[34:35], v[54:55]
	v_add_f64 v[58:59], v[32:33], v[52:53]
	v_cvt_f32_f64_e32 v58, v[58:59]
	v_cvt_f32_f64_e32 v56, v[56:57]
	v_min3_f32 v109, v58, v56, v126
	v_add_f64 v[56:57], v[30:31], v[54:55]
	v_add_f64 v[58:59], v[28:29], v[52:53]
	v_cvt_f32_f64_e32 v58, v[58:59]
	v_cvt_f32_f64_e32 v56, v[56:57]
	v_min3_f32 v110, v58, v56, v127
	v_add_f64 v[56:57], v[26:27], v[54:55]
	v_add_f64 v[58:59], v[24:25], v[52:53]
	v_cvt_f32_f64_e32 v58, v[58:59]
	v_cvt_f32_f64_e32 v56, v[56:57]
	v_min3_f32 v111, v58, v56, v200
	v_add_f64 v[56:57], v[18:19], v[54:55]
	v_add_f64 v[58:59], v[16:17], v[52:53]
	v_cvt_f32_f64_e32 v114, v[114:115]
	v_cvt_f32_f64_e32 v112, v[112:113]
	v_cvt_f32_f64_e32 v58, v[58:59]
	v_cvt_f32_f64_e32 v56, v[56:57]
	v_min3_f32 v180, v114, v112, v180
	v_min3_f32 v112, v58, v56, v199
	v_add_f64 v[56:57], v[14:15], v[54:55]
	v_add_f64 v[58:59], v[12:13], v[52:53]
	v_cvt_f32_f64_e32 v58, v[58:59]
	v_cvt_f32_f64_e32 v56, v[56:57]
	v_min3_f32 v113, v58, v56, v198
	v_add_f64 v[56:57], v[10:11], v[54:55]
	v_add_f64 v[58:59], v[8:9], v[52:53]
	v_cvt_f32_f64_e32 v58, v[58:59]
	v_cvt_f32_f64_e32 v56, v[56:57]
	;; [unrolled: 43-line block ×3, first 2 shown]
	v_min3_f32 v122, v54, v52, v189
	v_add_f64 v[52:53], v[6:7], v[50:51]
	v_add_f64 v[54:55], v[4:5], v[48:49]
	;; [unrolled: 1-line block ×4, first 2 shown]
	v_cvt_f32_f64_e32 v62, v[62:63]
	v_cvt_f32_f64_e32 v60, v[60:61]
	;; [unrolled: 1-line block ×4, first 2 shown]
	v_min3_f32 v107, v62, v60, v124
	v_min3_f32 v124, v48, v49, v187
	v_add_f64 v[48:49], v[34:35], v[46:47]
	v_add_f64 v[50:51], v[32:33], v[44:45]
	v_cvt_f32_f64_e32 v50, v[50:51]
	v_cvt_f32_f64_e32 v48, v[48:49]
	v_min3_f32 v125, v50, v48, v186
	v_add_f64 v[48:49], v[30:31], v[46:47]
	v_add_f64 v[50:51], v[28:29], v[44:45]
	v_cvt_f32_f64_e32 v50, v[50:51]
	v_cvt_f32_f64_e32 v48, v[48:49]
	;; [unrolled: 5-line block ×3, first 2 shown]
	v_cvt_f32_f64_e32 v220, v[220:221]
	v_min3_f32 v127, v50, v48, v184
	v_add_f64 v[48:49], v[18:19], v[46:47]
	v_add_f64 v[50:51], v[16:17], v[44:45]
	v_min3_f32 v146, v220, v146, v212
	v_cvt_f32_f64_e32 v69, v[72:73]
	v_cvt_f32_f64_e32 v70, v[70:71]
	;; [unrolled: 1-line block ×4, first 2 shown]
	v_min3_f32 v69, v69, v70, v146
	v_min3_f32 v146, v50, v48, v183
	v_add_f64 v[48:49], v[14:15], v[46:47]
	v_add_f64 v[50:51], v[12:13], v[44:45]
	v_cvt_f32_f64_e32 v50, v[50:51]
	v_cvt_f32_f64_e32 v48, v[48:49]
	v_min3_f32 v147, v50, v48, v182
	v_add_f64 v[48:49], v[10:11], v[46:47]
	v_add_f64 v[50:51], v[8:9], v[44:45]
	v_cvt_f32_f64_e32 v50, v[50:51]
	v_cvt_f32_f64_e32 v48, v[48:49]
	v_min3_f32 v148, v50, v48, v181
	v_add_f64 v[48:49], v[6:7], v[46:47]
	v_add_f64 v[50:51], v[4:5], v[44:45]
	;; [unrolled: 1-line block ×4, first 2 shown]
	v_cvt_f32_f64_e32 v44, v[44:45]
	v_cvt_f32_f64_e32 v45, v[46:47]
	v_min3_f32 v150, v44, v45, v179
	v_add_f64 v[44:45], v[34:35], v[42:43]
	v_add_f64 v[46:47], v[32:33], v[40:41]
	v_cvt_f32_f64_e32 v46, v[46:47]
	v_cvt_f32_f64_e32 v44, v[44:45]
	v_add_f64 v[82:83], v[82:83], v[86:87]
	v_add_f64 v[80:81], v[80:81], v[84:85]
	v_min3_f32 v151, v46, v44, v178
	v_add_f64 v[44:45], v[30:31], v[42:43]
	v_add_f64 v[46:47], v[28:29], v[40:41]
	v_cvt_f32_f64_e32 v80, v[80:81]
	v_cvt_f32_f64_e32 v81, v[82:83]
	v_cvt_f32_f64_e32 v46, v[46:47]
	v_cvt_f32_f64_e32 v44, v[44:45]
	v_add_f64 v[90:91], v[90:91], v[86:87]
	v_add_f64 v[88:89], v[88:89], v[84:85]
	v_min3_f32 v80, v80, v81, v154
	v_min3_f32 v154, v46, v44, v177
	v_add_f64 v[44:45], v[26:27], v[42:43]
	v_add_f64 v[46:47], v[24:25], v[40:41]
	v_cvt_f32_f64_e32 v88, v[88:89]
	v_cvt_f32_f64_e32 v89, v[90:91]
	v_cvt_f32_f64_e32 v46, v[46:47]
	v_cvt_f32_f64_e32 v44, v[44:45]
	v_add_f64 v[94:95], v[94:95], v[86:87]
	v_add_f64 v[92:93], v[92:93], v[84:85]
	v_min3_f32 v88, v88, v89, v155
	;; [unrolled: 10-line block ×3, first 2 shown]
	v_min3_f32 v156, v46, v44, v175
	v_add_f64 v[44:45], v[14:15], v[42:43]
	v_add_f64 v[46:47], v[12:13], v[40:41]
	v_cvt_f32_f64_e32 v96, v[96:97]
	v_cvt_f32_f64_e32 v97, v[98:99]
	;; [unrolled: 1-line block ×4, first 2 shown]
	v_min3_f32 v96, v96, v97, v157
	v_min3_f32 v157, v46, v44, v174
	v_add_f64 v[44:45], v[10:11], v[42:43]
	v_add_f64 v[46:47], v[8:9], v[40:41]
	v_cvt_f32_f64_e32 v46, v[46:47]
	v_cvt_f32_f64_e32 v44, v[44:45]
	v_min3_f32 v158, v46, v44, v173
	v_add_f64 v[44:45], v[6:7], v[42:43]
	v_add_f64 v[46:47], v[4:5], v[40:41]
	;; [unrolled: 1-line block ×4, first 2 shown]
	v_cvt_f32_f64_e32 v40, v[40:41]
	v_cvt_f32_f64_e32 v41, v[42:43]
	v_min3_f32 v163, v40, v41, v171
	v_add_f64 v[40:41], v[34:35], v[38:39]
	v_add_f64 v[42:43], v[32:33], v[36:37]
	v_cvt_f32_f64_e32 v42, v[42:43]
	v_cvt_f32_f64_e32 v40, v[40:41]
	v_min3_f32 v165, v42, v40, v170
	v_add_f64 v[40:41], v[30:31], v[38:39]
	v_add_f64 v[42:43], v[28:29], v[36:37]
	;; [unrolled: 5-line block ×7, first 2 shown]
	v_add_f64 v[38:39], v[2:3], v[38:39]
	v_add_f64 v[36:37], v[0:1], v[36:37]
	;; [unrolled: 1-line block ×18, first 2 shown]
	v_cvt_f32_f64_e32 v54, v[54:55]
	v_cvt_f32_f64_e32 v52, v[52:53]
	;; [unrolled: 1-line block ×24, first 2 shown]
	v_min3_f32 v123, v54, v52, v188
	v_min3_f32 v149, v50, v48, v180
	;; [unrolled: 1-line block ×12, first 2 shown]
	ds_read_b128 v[36:39], v215 offset:256
	ds_read_b128 v[32:35], v215 offset:512
	;; [unrolled: 1-line block ×12, first 2 shown]
	ds_read_b128 v[96:99], v161
	ds_read_b128 v[48:51], v215
	ds_read_b128 v[72:75], v161 offset:6144
	ds_read_b128 v[24:27], v161 offset:7168
	;; [unrolled: 1-line block ×4, first 2 shown]
	s_waitcnt lgkmcnt(0)
	v_add_f64 v[44:45], v[38:39], v[98:99]
	v_add_f64 v[46:47], v[36:37], v[96:97]
	;; [unrolled: 1-line block ×8, first 2 shown]
	v_cvt_f32_f64_e32 v46, v[46:47]
	v_cvt_f32_f64_e32 v44, v[44:45]
	;; [unrolled: 1-line block ×10, first 2 shown]
	v_min3_f32 v183, v46, v44, v64
	v_min3_f32 v188, v54, v52, v65
	;; [unrolled: 1-line block ×4, first 2 shown]
	v_add_f64 v[64:65], v[18:19], v[98:99]
	v_add_f64 v[66:67], v[16:17], v[96:97]
	v_min3_f32 v172, v42, v40, v196
	v_add_f64 v[40:41], v[50:51], v[98:99]
	v_add_f64 v[42:43], v[48:49], v[96:97]
	v_cvt_f32_f64_e32 v66, v[66:67]
	v_cvt_f32_f64_e32 v64, v[64:65]
	v_add_f64 v[70:71], v[14:15], v[98:99]
	v_add_f64 v[184:185], v[12:13], v[96:97]
	;; [unrolled: 1-line block ×4, first 2 shown]
	v_min3_f32 v191, v66, v64, v68
	v_cvt_f32_f64_e32 v68, v[184:185]
	v_cvt_f32_f64_e32 v96, v[96:97]
	;; [unrolled: 1-line block ×3, first 2 shown]
	v_add_f64 v[184:185], v[50:51], v[94:95]
	v_add_f64 v[186:187], v[48:49], v[92:93]
	v_min3_f32 v193, v96, v97, v100
	v_cvt_f32_f64_e32 v100, v[186:187]
	v_cvt_f32_f64_e32 v184, v[184:185]
	v_min3_f32 v186, v100, v184, v101
	v_add_f64 v[100:101], v[38:39], v[94:95]
	v_add_f64 v[184:185], v[36:37], v[92:93]
	v_cvt_f32_f64_e32 v184, v[184:185]
	v_cvt_f32_f64_e32 v100, v[100:101]
	v_min3_f32 v187, v184, v100, v102
	v_add_f64 v[100:101], v[34:35], v[94:95]
	v_add_f64 v[184:185], v[32:33], v[92:93]
	;; [unrolled: 5-line block ×39, first 2 shown]
	v_cvt_f32_f64_e32 v102, v[102:103]
	v_cvt_f32_f64_e32 v100, v[100:101]
	;; [unrolled: 1-line block ×4, first 2 shown]
	v_min3_f32 v228, v102, v100, v170
	v_add_f64 v[100:101], v[18:19], v[74:75]
	v_add_f64 v[102:103], v[16:17], v[72:73]
	v_min3_f32 v182, v42, v40, v202
	ds_read_b128 v[40:43], v215 offset:272
	v_cvt_f32_f64_e32 v102, v[102:103]
	v_cvt_f32_f64_e32 v100, v[100:101]
	v_add_f64 v[94:95], v[10:11], v[94:95]
	v_add_f64 v[92:93], v[8:9], v[92:93]
	;; [unrolled: 1-line block ×10, first 2 shown]
	v_min3_f32 v229, v102, v100, v171
	v_add_f64 v[100:101], v[14:15], v[74:75]
	v_add_f64 v[102:103], v[12:13], v[72:73]
	;; [unrolled: 1-line block ×8, first 2 shown]
	ds_read_b128 v[44:47], v215 offset:528
	ds_read_b128 v[52:55], v215 offset:784
	v_cvt_f32_f64_e32 v12, v[12:13]
	v_cvt_f32_f64_e32 v13, v[14:15]
	;; [unrolled: 1-line block ×4, first 2 shown]
	v_min3_f32 v12, v12, v13, v180
	v_min3_f32 v13, v8, v9, v181
	v_add_f64 v[8:9], v[2:3], v[6:7]
	v_add_f64 v[10:11], v[0:1], v[4:5]
	v_cvt_f32_f64_e32 v72, v[72:73]
	v_cvt_f32_f64_e32 v73, v[74:75]
	;; [unrolled: 1-line block ×5, first 2 shown]
	v_min3_f32 v101, v72, v73, v173
	ds_read_b128 v[72:75], v161 offset:7184
	v_min3_f32 v224, v10, v8, v182
	s_waitcnt lgkmcnt(0)
	v_add_f64 v[8:9], v[42:43], v[6:7]
	v_add_f64 v[10:11], v[40:41], v[4:5]
	ds_read_b128 v[56:59], v215 offset:1040
	ds_read_b128 v[60:63], v215 offset:1296
	v_cvt_f32_f64_e32 v10, v[10:11]
	v_cvt_f32_f64_e32 v8, v[8:9]
	v_min3_f32 v223, v10, v8, v183
	v_add_f64 v[8:9], v[46:47], v[6:7]
	v_add_f64 v[10:11], v[44:45], v[4:5]
	v_cvt_f32_f64_e32 v10, v[10:11]
	v_cvt_f32_f64_e32 v8, v[8:9]
	;; [unrolled: 1-line block ×3, first 2 shown]
	v_min3_f32 v222, v10, v8, v188
	v_add_f64 v[8:9], v[54:55], v[6:7]
	v_add_f64 v[10:11], v[52:53], v[4:5]
	ds_read_b128 v[64:67], v215 offset:1552
	v_min3_f32 v192, v68, v70, v69
	ds_read_b128 v[68:71], v215 offset:1808
	v_cvt_f32_f64_e32 v10, v[10:11]
	v_cvt_f32_f64_e32 v8, v[8:9]
	v_min3_f32 v221, v10, v8, v189
	s_waitcnt lgkmcnt(0)
	v_add_f64 v[8:9], v[58:59], v[6:7]
	v_add_f64 v[10:11], v[56:57], v[4:5]
	ds_read_b128 v[96:99], v161 offset:1040
	v_cvt_f32_f64_e32 v10, v[10:11]
	v_cvt_f32_f64_e32 v8, v[8:9]
	v_min3_f32 v220, v10, v8, v190
	v_add_f64 v[8:9], v[62:63], v[6:7]
	v_add_f64 v[10:11], v[60:61], v[4:5]
	v_cvt_f32_f64_e32 v10, v[10:11]
	v_cvt_f32_f64_e32 v8, v[8:9]
	v_min3_f32 v213, v10, v8, v191
	v_add_f64 v[8:9], v[66:67], v[6:7]
	v_add_f64 v[10:11], v[64:65], v[4:5]
	v_add_f64 v[6:7], v[70:71], v[6:7]
	v_add_f64 v[4:5], v[68:69], v[4:5]
	v_cvt_f32_f64_e32 v92, v[92:93]
	v_cvt_f32_f64_e32 v93, v[94:95]
	;; [unrolled: 1-line block ×4, first 2 shown]
	v_min3_f32 v108, v92, v93, v108
	ds_read_b128 v[92:95], v161 offset:2064
	v_min3_f32 v211, v4, v5, v193
	s_waitcnt lgkmcnt(0)
	v_add_f64 v[4:5], v[2:3], v[98:99]
	v_add_f64 v[6:7], v[0:1], v[96:97]
	v_cvt_f32_f64_e32 v6, v[6:7]
	v_cvt_f32_f64_e32 v4, v[4:5]
	v_min3_f32 v210, v6, v4, v186
	v_add_f64 v[4:5], v[42:43], v[98:99]
	v_add_f64 v[6:7], v[40:41], v[96:97]
	v_cvt_f32_f64_e32 v6, v[6:7]
	v_cvt_f32_f64_e32 v4, v[4:5]
	v_min3_f32 v209, v6, v4, v187
	;; [unrolled: 5-line block ×12, first 2 shown]
	v_add_f64 v[4:5], v[58:59], v[94:95]
	v_add_f64 v[6:7], v[56:57], v[92:93]
	v_cvt_f32_f64_e32 v6, v[6:7]
	v_cvt_f32_f64_e32 v4, v[4:5]
	;; [unrolled: 1-line block ×4, first 2 shown]
	v_min3_f32 v198, v6, v4, v113
	v_add_f64 v[4:5], v[62:63], v[94:95]
	v_add_f64 v[6:7], v[60:61], v[92:93]
	v_min3_f32 v116, v88, v89, v116
	ds_read_b128 v[88:91], v161 offset:3088
	v_cvt_f32_f64_e32 v6, v[6:7]
	v_cvt_f32_f64_e32 v4, v[4:5]
	v_min3_f32 v197, v6, v4, v114
	v_add_f64 v[4:5], v[66:67], v[94:95]
	v_add_f64 v[6:7], v[64:65], v[92:93]
	v_cvt_f32_f64_e32 v6, v[6:7]
	v_cvt_f32_f64_e32 v4, v[4:5]
	v_min3_f32 v196, v6, v4, v115
	v_add_f64 v[4:5], v[70:71], v[94:95]
	v_add_f64 v[6:7], v[68:69], v[92:93]
	v_cvt_f32_f64_e32 v84, v[84:85]
	v_cvt_f32_f64_e32 v85, v[86:87]
	;; [unrolled: 1-line block ×4, first 2 shown]
	v_min3_f32 v124, v84, v85, v124
	ds_read_b128 v[84:87], v161 offset:4112
	v_min3_f32 v195, v6, v4, v116
	s_waitcnt lgkmcnt(0)
	v_add_f64 v[4:5], v[2:3], v[90:91]
	v_add_f64 v[6:7], v[0:1], v[88:89]
	v_cvt_f32_f64_e32 v6, v[6:7]
	v_cvt_f32_f64_e32 v4, v[4:5]
	v_min3_f32 v194, v6, v4, v117
	v_add_f64 v[4:5], v[42:43], v[90:91]
	v_add_f64 v[6:7], v[40:41], v[88:89]
	v_cvt_f32_f64_e32 v6, v[6:7]
	v_cvt_f32_f64_e32 v4, v[4:5]
	v_min3_f32 v193, v6, v4, v118
	v_add_f64 v[4:5], v[46:47], v[90:91]
	v_add_f64 v[6:7], v[44:45], v[88:89]
	v_cvt_f32_f64_e32 v10, v[10:11]
	v_cvt_f32_f64_e32 v8, v[8:9]
	;; [unrolled: 1-line block ×4, first 2 shown]
	v_min3_f32 v212, v10, v8, v192
	v_min3_f32 v192, v6, v4, v119
	v_add_f64 v[4:5], v[54:55], v[90:91]
	v_add_f64 v[6:7], v[52:53], v[88:89]
	v_cvt_f32_f64_e32 v6, v[6:7]
	v_cvt_f32_f64_e32 v4, v[4:5]
	v_min3_f32 v191, v6, v4, v120
	v_add_f64 v[4:5], v[58:59], v[90:91]
	v_add_f64 v[6:7], v[56:57], v[88:89]
	v_cvt_f32_f64_e32 v6, v[6:7]
	v_cvt_f32_f64_e32 v4, v[4:5]
	v_min3_f32 v190, v6, v4, v121
	v_add_f64 v[4:5], v[62:63], v[90:91]
	v_add_f64 v[6:7], v[60:61], v[88:89]
	v_cvt_f32_f64_e32 v6, v[6:7]
	v_cvt_f32_f64_e32 v4, v[4:5]
	v_min3_f32 v189, v6, v4, v122
	v_add_f64 v[4:5], v[66:67], v[90:91]
	v_add_f64 v[6:7], v[64:65], v[88:89]
	v_cvt_f32_f64_e32 v6, v[6:7]
	v_cvt_f32_f64_e32 v4, v[4:5]
	v_min3_f32 v188, v6, v4, v123
	v_add_f64 v[4:5], v[70:71], v[90:91]
	v_add_f64 v[6:7], v[68:69], v[88:89]
	v_cvt_f32_f64_e32 v6, v[6:7]
	v_cvt_f32_f64_e32 v4, v[4:5]
	v_min3_f32 v187, v6, v4, v124
	v_add_f64 v[4:5], v[2:3], v[86:87]
	v_add_f64 v[6:7], v[0:1], v[84:85]
	v_cvt_f32_f64_e32 v6, v[6:7]
	v_cvt_f32_f64_e32 v4, v[4:5]
	v_min3_f32 v186, v6, v4, v125
	v_add_f64 v[4:5], v[42:43], v[86:87]
	v_add_f64 v[6:7], v[40:41], v[84:85]
	v_cvt_f32_f64_e32 v6, v[6:7]
	v_cvt_f32_f64_e32 v4, v[4:5]
	v_min3_f32 v185, v6, v4, v126
	v_add_f64 v[4:5], v[46:47], v[86:87]
	v_add_f64 v[6:7], v[44:45], v[84:85]
	v_cvt_f32_f64_e32 v6, v[6:7]
	v_cvt_f32_f64_e32 v4, v[4:5]
	v_min3_f32 v184, v6, v4, v127
	v_add_f64 v[4:5], v[54:55], v[86:87]
	v_add_f64 v[6:7], v[52:53], v[84:85]
	v_cvt_f32_f64_e32 v6, v[6:7]
	v_cvt_f32_f64_e32 v4, v[4:5]
	v_min3_f32 v183, v6, v4, v146
	v_add_f64 v[4:5], v[58:59], v[86:87]
	v_add_f64 v[6:7], v[56:57], v[84:85]
	v_cvt_f32_f64_e32 v6, v[6:7]
	v_cvt_f32_f64_e32 v4, v[4:5]
	v_cvt_f32_f64_e32 v80, v[80:81]
	v_cvt_f32_f64_e32 v81, v[82:83]
	v_min3_f32 v182, v6, v4, v147
	v_add_f64 v[4:5], v[62:63], v[86:87]
	v_add_f64 v[6:7], v[60:61], v[84:85]
	v_min3_f32 v150, v80, v81, v150
	ds_read_b128 v[80:83], v161 offset:5136
	v_cvt_f32_f64_e32 v6, v[6:7]
	v_cvt_f32_f64_e32 v4, v[4:5]
	v_min3_f32 v181, v6, v4, v148
	v_add_f64 v[4:5], v[66:67], v[86:87]
	v_add_f64 v[6:7], v[64:65], v[84:85]
	v_cvt_f32_f64_e32 v6, v[6:7]
	v_cvt_f32_f64_e32 v4, v[4:5]
	v_add_f64 v[18:19], v[18:19], v[26:27]
	v_add_f64 v[16:17], v[16:17], v[24:25]
	v_min3_f32 v180, v6, v4, v149
	v_add_f64 v[4:5], v[70:71], v[86:87]
	v_add_f64 v[6:7], v[68:69], v[84:85]
	v_cvt_f32_f64_e32 v76, v[76:77]
	v_cvt_f32_f64_e32 v77, v[78:79]
	;; [unrolled: 1-line block ×6, first 2 shown]
	v_min3_f32 v163, v76, v77, v163
	ds_read_b128 v[76:79], v161 offset:6160
	v_add_f64 v[22:23], v[22:23], v[26:27]
	v_add_f64 v[20:21], v[20:21], v[24:25]
	v_min3_f32 v16, v16, v17, v179
	v_min3_f32 v179, v6, v4, v150
	s_waitcnt lgkmcnt(0)
	v_add_f64 v[4:5], v[2:3], v[82:83]
	v_add_f64 v[6:7], v[0:1], v[80:81]
	v_cvt_f32_f64_e32 v20, v[20:21]
	v_cvt_f32_f64_e32 v21, v[22:23]
	v_cvt_f32_f64_e32 v6, v[6:7]
	v_cvt_f32_f64_e32 v4, v[4:5]
	v_add_f64 v[30:31], v[30:31], v[26:27]
	v_add_f64 v[28:29], v[28:29], v[24:25]
	v_min3_f32 v20, v20, v21, v178
	v_min3_f32 v178, v6, v4, v151
	v_add_f64 v[4:5], v[42:43], v[82:83]
	v_add_f64 v[6:7], v[40:41], v[80:81]
	v_cvt_f32_f64_e32 v28, v[28:29]
	v_cvt_f32_f64_e32 v29, v[30:31]
	v_cvt_f32_f64_e32 v6, v[6:7]
	v_cvt_f32_f64_e32 v4, v[4:5]
	v_add_f64 v[34:35], v[34:35], v[26:27]
	v_add_f64 v[32:33], v[32:33], v[24:25]
	v_min3_f32 v28, v28, v29, v177
	v_min3_f32 v177, v6, v4, v154
	;; [unrolled: 10-line block ×4, first 2 shown]
	v_add_f64 v[4:5], v[58:59], v[82:83]
	v_add_f64 v[6:7], v[56:57], v[80:81]
	v_cvt_f32_f64_e32 v48, v[48:49]
	v_cvt_f32_f64_e32 v49, v[50:51]
	;; [unrolled: 1-line block ×4, first 2 shown]
	v_min3_f32 v48, v48, v49, v174
	v_min3_f32 v174, v6, v4, v157
	v_add_f64 v[4:5], v[62:63], v[82:83]
	v_add_f64 v[6:7], v[60:61], v[80:81]
	v_cvt_f32_f64_e32 v6, v[6:7]
	v_cvt_f32_f64_e32 v4, v[4:5]
	v_min3_f32 v173, v6, v4, v158
	v_add_f64 v[4:5], v[66:67], v[82:83]
	v_add_f64 v[6:7], v[64:65], v[80:81]
	v_cvt_f32_f64_e32 v102, v[102:103]
	v_cvt_f32_f64_e32 v6, v[6:7]
	;; [unrolled: 1-line block ×3, first 2 shown]
	v_min3_f32 v100, v102, v100, v172
	v_min3_f32 v172, v6, v4, v159
	v_add_f64 v[4:5], v[70:71], v[82:83]
	v_add_f64 v[6:7], v[68:69], v[80:81]
	v_cvt_f32_f64_e32 v6, v[6:7]
	v_cvt_f32_f64_e32 v4, v[4:5]
	v_min3_f32 v171, v6, v4, v163
	v_add_f64 v[4:5], v[2:3], v[78:79]
	v_add_f64 v[6:7], v[0:1], v[76:77]
	;; [unrolled: 1-line block ×4, first 2 shown]
	v_cvt_f32_f64_e32 v6, v[6:7]
	v_cvt_f32_f64_e32 v4, v[4:5]
	v_cvt_f32_f64_e32 v0, v[0:1]
	v_cvt_f32_f64_e32 v1, v[2:3]
	v_min3_f32 v170, v6, v4, v165
	v_add_f64 v[4:5], v[42:43], v[78:79]
	v_add_f64 v[6:7], v[40:41], v[76:77]
	v_min3_f32 v157, v0, v1, v48
	v_add_f64 v[0:1], v[42:43], v[74:75]
	v_add_f64 v[2:3], v[40:41], v[72:73]
	v_cvt_f32_f64_e32 v6, v[6:7]
	v_cvt_f32_f64_e32 v4, v[4:5]
	v_cvt_f32_f64_e32 v2, v[2:3]
	v_cvt_f32_f64_e32 v0, v[0:1]
	v_min3_f32 v168, v6, v4, v166
	v_add_f64 v[4:5], v[46:47], v[78:79]
	v_add_f64 v[6:7], v[44:45], v[76:77]
	v_min3_f32 v156, v2, v0, v36
	v_add_f64 v[0:1], v[46:47], v[74:75]
	v_add_f64 v[2:3], v[44:45], v[72:73]
	;; [unrolled: 10-line block ×7, first 2 shown]
	v_cvt_f32_f64_e32 v6, v[6:7]
	v_cvt_f32_f64_e32 v4, v[4:5]
	;; [unrolled: 1-line block ×4, first 2 shown]
	s_add_i32 s20, s20, 8
	v_min3_f32 v158, v6, v4, v101
	v_min3_f32 v148, v2, v0, v13
	v_lshl_add_u64 v[128:129], v[128:129], 0, 64
	s_cmp_ge_i32 s20, s34
	v_lshl_add_u64 v[132:133], v[132:133], 0, s[18:19]
	s_waitcnt vmcnt(0)
	ds_write_b64 v216, v[226:227]
	ds_write2st64_b64 v217, v[138:139], v[140:141] offset1:4
	ds_write2st64_b64 v217, v[142:143], v[144:145] offset0:8 offset1:12
	s_waitcnt lgkmcnt(0)
	s_barrier
	s_cbranch_scc1 .LBB127_51
.LBB127_31:                             ; =>This Inner Loop Header: Depth=1
	v_add_u32_e32 v146, s20, v160
	v_add_u32_e32 v0, 8, v146
	v_cmp_gt_i32_e64 s[2:3], s26, v0
	s_and_b64 s[8:9], s[2:3], s[16:17]
	v_mov_b64_e32 v[226:227], v[136:137]
	s_and_saveexec_b64 s[2:3], s[8:9]
	s_cbranch_execz .LBB127_33
; %bb.32:                               ;   in Loop: Header=BB127_31 Depth=1
	flat_load_dwordx2 v[226:227], v[128:129]
.LBB127_33:                             ;   in Loop: Header=BB127_31 Depth=1
	s_or_b64 exec, exec, s[2:3]
	v_add_u32_e32 v147, s20, v164
	v_add_u32_e32 v0, 8, v147
	v_cmp_le_i32_e64 s[8:9], s26, v0
	s_nor_b64 s[30:31], vcc, s[8:9]
	v_lshl_add_u64 v[0:1], v[132:133], 0, v[130:131]
	v_mov_b64_e32 v[138:139], v[136:137]
	s_and_saveexec_b64 s[2:3], s[30:31]
	s_cbranch_execz .LBB127_35
; %bb.34:                               ;   in Loop: Header=BB127_31 Depth=1
	flat_load_dwordx2 v[138:139], v[0:1]
.LBB127_35:                             ;   in Loop: Header=BB127_31 Depth=1
	s_or_b64 exec, exec, s[2:3]
	s_nor_b64 s[30:31], s[12:13], s[8:9]
	v_mov_b64_e32 v[140:141], v[136:137]
	s_and_saveexec_b64 s[2:3], s[30:31]
	s_cbranch_execz .LBB127_37
; %bb.36:                               ;   in Loop: Header=BB127_31 Depth=1
	flat_load_dwordx2 v[140:141], v[0:1] offset:512
.LBB127_37:                             ;   in Loop: Header=BB127_31 Depth=1
	s_or_b64 exec, exec, s[2:3]
	s_nor_b64 s[30:31], s[4:5], s[8:9]
	v_mov_b64_e32 v[142:143], v[136:137]
	s_and_saveexec_b64 s[2:3], s[30:31]
	s_cbranch_execz .LBB127_39
; %bb.38:                               ;   in Loop: Header=BB127_31 Depth=1
	flat_load_dwordx2 v[142:143], v[0:1] offset:1024
.LBB127_39:                             ;   in Loop: Header=BB127_31 Depth=1
	;; [unrolled: 8-line block ×3, first 2 shown]
	s_or_b64 exec, exec, s[2:3]
	ds_read_b128 v[124:127], v219
	ds_read_b128 v[60:63], v219 offset:16
	ds_read_b128 v[96:99], v218
	ds_read_b128 v[32:35], v218 offset:16
	ds_read_b128 v[92:95], v218 offset:256
	;; [unrolled: 1-line block ×29, first 2 shown]
	s_waitcnt vmcnt(0) lgkmcnt(0)
	ds_write_b64 v214, v[226:227]
	ds_write2st64_b64 v169, v[138:139], v[140:141] offset1:4
	ds_write2st64_b64 v169, v[142:143], v[144:145] offset0:8 offset1:12
	v_add_u32_e32 v138, 12, v146
	v_cmp_gt_i32_e64 s[2:3], s26, v138
	s_and_b64 s[8:9], s[2:3], s[16:17]
	v_mov_b64_e32 v[226:227], v[136:137]
	s_waitcnt lgkmcnt(0)
	s_barrier
	s_and_saveexec_b64 s[2:3], s[8:9]
	s_cbranch_execz .LBB127_43
; %bb.42:                               ;   in Loop: Header=BB127_31 Depth=1
	flat_load_dwordx2 v[226:227], v[128:129] offset:32
.LBB127_43:                             ;   in Loop: Header=BB127_31 Depth=1
	s_or_b64 exec, exec, s[2:3]
	v_add_u32_e32 v138, 12, v147
	v_cmp_le_i32_e64 s[8:9], s26, v138
	s_nor_b64 s[30:31], vcc, s[8:9]
	v_lshl_add_u64 v[146:147], v[132:133], 0, v[134:135]
	v_mov_b64_e32 v[138:139], v[136:137]
	s_and_saveexec_b64 s[2:3], s[30:31]
	s_cbranch_execz .LBB127_45
; %bb.44:                               ;   in Loop: Header=BB127_31 Depth=1
	flat_load_dwordx2 v[138:139], v[146:147]
.LBB127_45:                             ;   in Loop: Header=BB127_31 Depth=1
	s_or_b64 exec, exec, s[2:3]
	s_nor_b64 s[30:31], s[12:13], s[8:9]
	v_mov_b64_e32 v[140:141], v[136:137]
	s_and_saveexec_b64 s[2:3], s[30:31]
	s_cbranch_execz .LBB127_47
; %bb.46:                               ;   in Loop: Header=BB127_31 Depth=1
	flat_load_dwordx2 v[140:141], v[146:147] offset:512
.LBB127_47:                             ;   in Loop: Header=BB127_31 Depth=1
	s_or_b64 exec, exec, s[2:3]
	s_nor_b64 s[30:31], s[4:5], s[8:9]
	v_mov_b64_e32 v[142:143], v[136:137]
	s_and_saveexec_b64 s[2:3], s[30:31]
	s_cbranch_execz .LBB127_49
; %bb.48:                               ;   in Loop: Header=BB127_31 Depth=1
	flat_load_dwordx2 v[142:143], v[146:147] offset:1024
.LBB127_49:                             ;   in Loop: Header=BB127_31 Depth=1
	s_or_b64 exec, exec, s[2:3]
	s_nor_b64 s[8:9], s[6:7], s[8:9]
	v_mov_b64_e32 v[144:145], v[136:137]
	s_and_saveexec_b64 s[2:3], s[8:9]
	s_cbranch_execz .LBB127_30
; %bb.50:                               ;   in Loop: Header=BB127_31 Depth=1
	flat_load_dwordx2 v[144:145], v[146:147] offset:1536
	s_branch .LBB127_30
.LBB127_51:
	s_load_dwordx2 s[2:3], s[0:1], 0x78
	s_load_dword s31, s[0:1], 0x58
	s_load_dword s30, s[0:1], 0x70
	ds_read_b128 v[68:71], v162 offset:18432
	ds_read_b128 v[64:67], v162 offset:18448
	;; [unrolled: 1-line block ×32, first 2 shown]
	s_waitcnt lgkmcnt(0)
	s_lshl_b64 s[0:1], s[2:3], 3
	s_add_u32 s20, s10, s0
	v_add_u32_e32 v128, s27, v152
	v_add_u32_e32 v152, s33, v153
	s_addc_u32 s21, s11, s1
	v_mad_i64_i32 v[130:131], s[0:1], v152, s31, 0
	v_lshl_add_u64 v[146:147], v[130:131], 3, s[28:29]
	v_mad_i64_i32 v[130:131], s[0:1], v152, s30, 0
	v_cmp_gt_i32_e64 s[2:3], s24, v128
	v_cmp_gt_i32_e64 s[18:19], s25, v152
	v_lshl_add_u64 v[144:145], v[130:131], 3, s[20:21]
	v_cndmask_b32_e64 v130, 0, 1, s[14:15]
	v_ashrrev_i32_e32 v129, 31, v128
	s_and_b64 s[6:7], s[2:3], s[18:19]
	v_cmp_ne_u32_e64 s[0:1], 1, v130
	s_and_saveexec_b64 s[4:5], s[6:7]
	s_cbranch_execz .LBB127_56
; %bb.52:
	s_and_b64 vcc, exec, s[0:1]
	s_cbranch_vccnz .LBB127_54
; %bb.53:
	v_lshl_add_u64 v[130:131], v[128:129], 3, v[146:147]
	flat_load_dwordx2 v[130:131], v[130:131]
	s_waitcnt vmcnt(0) lgkmcnt(0)
	v_mul_f64 v[130:131], s[22:23], v[130:131]
	v_cvt_f32_f64_e32 v130, v[130:131]
	s_branch .LBB127_55
.LBB127_54:
	v_mov_b32_e32 v130, 0
.LBB127_55:
	v_add_f64 v[132:133], v[70:71], v[126:127]
	v_add_f64 v[134:135], v[68:69], v[124:125]
	v_cvt_f32_f64_e32 v131, v[134:135]
	v_cvt_f32_f64_e32 v132, v[132:133]
	v_min3_f32 v131, v131, v132, v224
	v_add_f64 v[132:133], v[66:67], v[122:123]
	v_add_f64 v[134:135], v[64:65], v[120:121]
	v_cvt_f32_f64_e32 v134, v[134:135]
	v_cvt_f32_f64_e32 v132, v[132:133]
	v_min_f32_e32 v132, v134, v132
	v_min3_f32 v130, v130, v132, v131
	v_cvt_f64_f32_e32 v[130:131], v130
	v_lshl_add_u64 v[132:133], v[128:129], 3, v[144:145]
	flat_store_dwordx2 v[132:133], v[130:131]
.LBB127_56:
	s_or_b64 exec, exec, s[4:5]
	v_add_u32_e32 v130, 8, v128
	v_cmp_gt_i32_e64 s[4:5], s24, v130
	v_ashrrev_i32_e32 v131, 31, v130
	s_and_b64 s[8:9], s[4:5], s[18:19]
	s_and_saveexec_b64 s[6:7], s[8:9]
	s_cbranch_execz .LBB127_61
; %bb.57:
	s_and_b64 vcc, exec, s[0:1]
	s_cbranch_vccnz .LBB127_59
; %bb.58:
	v_lshl_add_u64 v[132:133], v[130:131], 3, v[146:147]
	flat_load_dwordx2 v[132:133], v[132:133]
	s_waitcnt vmcnt(0) lgkmcnt(0)
	v_mul_f64 v[132:133], s[22:23], v[132:133]
	v_cvt_f32_f64_e32 v132, v[132:133]
	s_branch .LBB127_60
.LBB127_59:
	v_mov_b32_e32 v132, 0
.LBB127_60:
	v_add_f64 v[134:135], v[62:63], v[126:127]
	v_add_f64 v[136:137], v[60:61], v[124:125]
	v_cvt_f32_f64_e32 v133, v[136:137]
	v_cvt_f32_f64_e32 v134, v[134:135]
	v_min3_f32 v133, v133, v134, v223
	v_add_f64 v[134:135], v[58:59], v[122:123]
	v_add_f64 v[136:137], v[56:57], v[120:121]
	v_cvt_f32_f64_e32 v136, v[136:137]
	v_cvt_f32_f64_e32 v134, v[134:135]
	v_min_f32_e32 v134, v136, v134
	v_min3_f32 v132, v132, v134, v133
	v_cvt_f64_f32_e32 v[132:133], v132
	v_lshl_add_u64 v[134:135], v[130:131], 3, v[144:145]
	flat_store_dwordx2 v[134:135], v[132:133]
.LBB127_61:
	s_or_b64 exec, exec, s[6:7]
	v_add_u32_e32 v132, 16, v128
	v_cmp_gt_i32_e64 s[6:7], s24, v132
	v_ashrrev_i32_e32 v133, 31, v132
	s_and_b64 s[10:11], s[6:7], s[18:19]
	;; [unrolled: 35-line block ×7, first 2 shown]
	s_and_saveexec_b64 s[18:19], s[26:27]
	s_cbranch_execz .LBB127_91
; %bb.87:
	s_and_b64 vcc, exec, s[0:1]
	s_cbranch_vccnz .LBB127_89
; %bb.88:
	v_lshl_add_u64 v[146:147], v[142:143], 3, v[146:147]
	flat_load_dwordx2 v[146:147], v[146:147]
	s_waitcnt vmcnt(0) lgkmcnt(0)
	v_mul_f64 v[146:147], s[22:23], v[146:147]
	v_cvt_f32_f64_e32 v146, v[146:147]
	s_branch .LBB127_90
.LBB127_89:
	v_mov_b32_e32 v146, 0
.LBB127_90:
	v_add_f64 v[126:127], v[6:7], v[126:127]
	v_add_f64 v[124:125], v[4:5], v[124:125]
	;; [unrolled: 1-line block ×4, first 2 shown]
	v_cvt_f32_f64_e32 v124, v[124:125]
	v_cvt_f32_f64_e32 v125, v[126:127]
	v_cvt_f32_f64_e32 v120, v[120:121]
	v_cvt_f32_f64_e32 v121, v[122:123]
	v_min3_f32 v124, v124, v125, v211
	v_min_f32_e32 v120, v120, v121
	v_min3_f32 v120, v146, v120, v124
	v_cvt_f64_f32_e32 v[120:121], v120
	v_lshl_add_u64 v[122:123], v[142:143], 3, v[144:145]
	flat_store_dwordx2 v[122:123], v[120:121]
.LBB127_91:
	s_or_b64 exec, exec, s[18:19]
	v_add_u32_e32 v124, 32, v152
	v_mad_i64_i32 v[120:121], s[26:27], v124, s31, 0
	v_cmp_gt_i32_e64 s[18:19], s25, v124
	v_lshl_add_u64 v[122:123], v[120:121], 3, s[28:29]
	v_mad_i64_i32 v[120:121], s[26:27], v124, s30, 0
	v_lshl_add_u64 v[120:121], v[120:121], 3, s[20:21]
	s_and_b64 s[34:35], s[2:3], s[18:19]
	s_and_saveexec_b64 s[26:27], s[34:35]
	s_cbranch_execnz .LBB127_99
; %bb.92:
	s_or_b64 exec, exec, s[26:27]
	s_and_b64 s[34:35], s[4:5], s[18:19]
	s_and_saveexec_b64 s[26:27], s[34:35]
	s_cbranch_execnz .LBB127_103
.LBB127_93:
	s_or_b64 exec, exec, s[26:27]
	s_and_b64 s[34:35], s[6:7], s[18:19]
	s_and_saveexec_b64 s[26:27], s[34:35]
	s_cbranch_execnz .LBB127_107
.LBB127_94:
	s_or_b64 exec, exec, s[26:27]
	s_and_b64 s[34:35], s[8:9], s[18:19]
	s_and_saveexec_b64 s[26:27], s[34:35]
	s_cbranch_execnz .LBB127_111
.LBB127_95:
	s_or_b64 exec, exec, s[26:27]
	s_and_b64 s[34:35], s[10:11], s[18:19]
	s_and_saveexec_b64 s[26:27], s[34:35]
	s_cbranch_execnz .LBB127_115
.LBB127_96:
	s_or_b64 exec, exec, s[26:27]
	s_and_b64 s[34:35], s[12:13], s[18:19]
	s_and_saveexec_b64 s[26:27], s[34:35]
	s_cbranch_execnz .LBB127_119
.LBB127_97:
	s_or_b64 exec, exec, s[26:27]
	s_and_b64 s[34:35], s[14:15], s[18:19]
	s_and_saveexec_b64 s[26:27], s[34:35]
	s_cbranch_execnz .LBB127_123
.LBB127_98:
	s_or_b64 exec, exec, s[26:27]
	s_and_b64 s[26:27], s[16:17], s[18:19]
	s_and_saveexec_b64 s[18:19], s[26:27]
	s_cbranch_execnz .LBB127_127
	s_branch .LBB127_131
.LBB127_99:
	s_and_b64 vcc, exec, s[0:1]
	s_cbranch_vccnz .LBB127_101
; %bb.100:
	v_lshl_add_u64 v[124:125], v[128:129], 3, v[122:123]
	flat_load_dwordx2 v[124:125], v[124:125]
	s_waitcnt vmcnt(0) lgkmcnt(0)
	v_mul_f64 v[124:125], s[22:23], v[124:125]
	v_cvt_f32_f64_e32 v124, v[124:125]
	s_branch .LBB127_102
.LBB127_101:
	v_mov_b32_e32 v124, 0
.LBB127_102:
	v_add_f64 v[126:127], v[70:71], v[118:119]
	v_add_f64 v[144:145], v[68:69], v[116:117]
	v_cvt_f32_f64_e32 v125, v[144:145]
	v_cvt_f32_f64_e32 v126, v[126:127]
	v_min3_f32 v125, v125, v126, v210
	v_add_f64 v[126:127], v[66:67], v[114:115]
	v_add_f64 v[144:145], v[64:65], v[112:113]
	v_cvt_f32_f64_e32 v144, v[144:145]
	v_cvt_f32_f64_e32 v126, v[126:127]
	v_min_f32_e32 v126, v144, v126
	v_min3_f32 v124, v124, v126, v125
	v_cvt_f64_f32_e32 v[124:125], v124
	v_lshl_add_u64 v[126:127], v[128:129], 3, v[120:121]
	flat_store_dwordx2 v[126:127], v[124:125]
	s_or_b64 exec, exec, s[26:27]
	s_and_b64 s[34:35], s[4:5], s[18:19]
	s_and_saveexec_b64 s[26:27], s[34:35]
	s_cbranch_execz .LBB127_93
.LBB127_103:
	s_and_b64 vcc, exec, s[0:1]
	s_cbranch_vccnz .LBB127_105
; %bb.104:
	v_lshl_add_u64 v[124:125], v[130:131], 3, v[122:123]
	flat_load_dwordx2 v[124:125], v[124:125]
	s_waitcnt vmcnt(0) lgkmcnt(0)
	v_mul_f64 v[124:125], s[22:23], v[124:125]
	v_cvt_f32_f64_e32 v124, v[124:125]
	s_branch .LBB127_106
.LBB127_105:
	v_mov_b32_e32 v124, 0
.LBB127_106:
	v_add_f64 v[126:127], v[62:63], v[118:119]
	v_add_f64 v[144:145], v[60:61], v[116:117]
	v_cvt_f32_f64_e32 v125, v[144:145]
	v_cvt_f32_f64_e32 v126, v[126:127]
	v_min3_f32 v125, v125, v126, v209
	v_add_f64 v[126:127], v[58:59], v[114:115]
	v_add_f64 v[144:145], v[56:57], v[112:113]
	v_cvt_f32_f64_e32 v144, v[144:145]
	v_cvt_f32_f64_e32 v126, v[126:127]
	v_min_f32_e32 v126, v144, v126
	v_min3_f32 v124, v124, v126, v125
	v_cvt_f64_f32_e32 v[124:125], v124
	v_lshl_add_u64 v[126:127], v[130:131], 3, v[120:121]
	flat_store_dwordx2 v[126:127], v[124:125]
	s_or_b64 exec, exec, s[26:27]
	s_and_b64 s[34:35], s[6:7], s[18:19]
	s_and_saveexec_b64 s[26:27], s[34:35]
	s_cbranch_execz .LBB127_94
.LBB127_107:
	s_and_b64 vcc, exec, s[0:1]
	s_cbranch_vccnz .LBB127_109
; %bb.108:
	v_lshl_add_u64 v[124:125], v[132:133], 3, v[122:123]
	flat_load_dwordx2 v[124:125], v[124:125]
	s_waitcnt vmcnt(0) lgkmcnt(0)
	v_mul_f64 v[124:125], s[22:23], v[124:125]
	v_cvt_f32_f64_e32 v124, v[124:125]
	s_branch .LBB127_110
.LBB127_109:
	v_mov_b32_e32 v124, 0
.LBB127_110:
	v_add_f64 v[126:127], v[54:55], v[118:119]
	v_add_f64 v[144:145], v[52:53], v[116:117]
	v_cvt_f32_f64_e32 v125, v[144:145]
	v_cvt_f32_f64_e32 v126, v[126:127]
	v_min3_f32 v125, v125, v126, v208
	v_add_f64 v[126:127], v[50:51], v[114:115]
	v_add_f64 v[144:145], v[48:49], v[112:113]
	v_cvt_f32_f64_e32 v144, v[144:145]
	v_cvt_f32_f64_e32 v126, v[126:127]
	v_min_f32_e32 v126, v144, v126
	v_min3_f32 v124, v124, v126, v125
	v_cvt_f64_f32_e32 v[124:125], v124
	v_lshl_add_u64 v[126:127], v[132:133], 3, v[120:121]
	flat_store_dwordx2 v[126:127], v[124:125]
	s_or_b64 exec, exec, s[26:27]
	s_and_b64 s[34:35], s[8:9], s[18:19]
	s_and_saveexec_b64 s[26:27], s[34:35]
	s_cbranch_execz .LBB127_95
.LBB127_111:
	s_and_b64 vcc, exec, s[0:1]
	s_cbranch_vccnz .LBB127_113
; %bb.112:
	v_lshl_add_u64 v[124:125], v[134:135], 3, v[122:123]
	flat_load_dwordx2 v[124:125], v[124:125]
	s_waitcnt vmcnt(0) lgkmcnt(0)
	v_mul_f64 v[124:125], s[22:23], v[124:125]
	v_cvt_f32_f64_e32 v124, v[124:125]
	s_branch .LBB127_114
.LBB127_113:
	v_mov_b32_e32 v124, 0
.LBB127_114:
	v_add_f64 v[126:127], v[46:47], v[118:119]
	v_add_f64 v[144:145], v[44:45], v[116:117]
	v_cvt_f32_f64_e32 v125, v[144:145]
	v_cvt_f32_f64_e32 v126, v[126:127]
	v_min3_f32 v125, v125, v126, v207
	v_add_f64 v[126:127], v[42:43], v[114:115]
	v_add_f64 v[144:145], v[40:41], v[112:113]
	v_cvt_f32_f64_e32 v144, v[144:145]
	v_cvt_f32_f64_e32 v126, v[126:127]
	v_min_f32_e32 v126, v144, v126
	v_min3_f32 v124, v124, v126, v125
	v_cvt_f64_f32_e32 v[124:125], v124
	v_lshl_add_u64 v[126:127], v[134:135], 3, v[120:121]
	flat_store_dwordx2 v[126:127], v[124:125]
	s_or_b64 exec, exec, s[26:27]
	s_and_b64 s[34:35], s[10:11], s[18:19]
	s_and_saveexec_b64 s[26:27], s[34:35]
	s_cbranch_execz .LBB127_96
.LBB127_115:
	s_and_b64 vcc, exec, s[0:1]
	s_cbranch_vccnz .LBB127_117
; %bb.116:
	v_lshl_add_u64 v[124:125], v[136:137], 3, v[122:123]
	flat_load_dwordx2 v[124:125], v[124:125]
	s_waitcnt vmcnt(0) lgkmcnt(0)
	v_mul_f64 v[124:125], s[22:23], v[124:125]
	v_cvt_f32_f64_e32 v124, v[124:125]
	s_branch .LBB127_118
.LBB127_117:
	v_mov_b32_e32 v124, 0
.LBB127_118:
	v_add_f64 v[126:127], v[38:39], v[118:119]
	v_add_f64 v[144:145], v[36:37], v[116:117]
	v_cvt_f32_f64_e32 v125, v[144:145]
	v_cvt_f32_f64_e32 v126, v[126:127]
	v_min3_f32 v125, v125, v126, v206
	v_add_f64 v[126:127], v[34:35], v[114:115]
	v_add_f64 v[144:145], v[32:33], v[112:113]
	v_cvt_f32_f64_e32 v144, v[144:145]
	v_cvt_f32_f64_e32 v126, v[126:127]
	v_min_f32_e32 v126, v144, v126
	v_min3_f32 v124, v124, v126, v125
	v_cvt_f64_f32_e32 v[124:125], v124
	v_lshl_add_u64 v[126:127], v[136:137], 3, v[120:121]
	flat_store_dwordx2 v[126:127], v[124:125]
	s_or_b64 exec, exec, s[26:27]
	s_and_b64 s[34:35], s[12:13], s[18:19]
	s_and_saveexec_b64 s[26:27], s[34:35]
	s_cbranch_execz .LBB127_97
.LBB127_119:
	s_and_b64 vcc, exec, s[0:1]
	s_cbranch_vccnz .LBB127_121
; %bb.120:
	v_lshl_add_u64 v[124:125], v[138:139], 3, v[122:123]
	flat_load_dwordx2 v[124:125], v[124:125]
	s_waitcnt vmcnt(0) lgkmcnt(0)
	v_mul_f64 v[124:125], s[22:23], v[124:125]
	v_cvt_f32_f64_e32 v124, v[124:125]
	s_branch .LBB127_122
.LBB127_121:
	v_mov_b32_e32 v124, 0
.LBB127_122:
	v_add_f64 v[126:127], v[30:31], v[118:119]
	v_add_f64 v[144:145], v[28:29], v[116:117]
	v_cvt_f32_f64_e32 v125, v[144:145]
	v_cvt_f32_f64_e32 v126, v[126:127]
	v_min3_f32 v125, v125, v126, v205
	v_add_f64 v[126:127], v[26:27], v[114:115]
	v_add_f64 v[144:145], v[24:25], v[112:113]
	v_cvt_f32_f64_e32 v144, v[144:145]
	v_cvt_f32_f64_e32 v126, v[126:127]
	v_min_f32_e32 v126, v144, v126
	v_min3_f32 v124, v124, v126, v125
	v_cvt_f64_f32_e32 v[124:125], v124
	v_lshl_add_u64 v[126:127], v[138:139], 3, v[120:121]
	flat_store_dwordx2 v[126:127], v[124:125]
	s_or_b64 exec, exec, s[26:27]
	s_and_b64 s[34:35], s[14:15], s[18:19]
	s_and_saveexec_b64 s[26:27], s[34:35]
	s_cbranch_execz .LBB127_98
.LBB127_123:
	s_and_b64 vcc, exec, s[0:1]
	s_cbranch_vccnz .LBB127_125
; %bb.124:
	v_lshl_add_u64 v[124:125], v[140:141], 3, v[122:123]
	flat_load_dwordx2 v[124:125], v[124:125]
	s_waitcnt vmcnt(0) lgkmcnt(0)
	v_mul_f64 v[124:125], s[22:23], v[124:125]
	v_cvt_f32_f64_e32 v124, v[124:125]
	s_branch .LBB127_126
.LBB127_125:
	v_mov_b32_e32 v124, 0
.LBB127_126:
	v_add_f64 v[126:127], v[22:23], v[118:119]
	v_add_f64 v[144:145], v[20:21], v[116:117]
	v_cvt_f32_f64_e32 v125, v[144:145]
	v_cvt_f32_f64_e32 v126, v[126:127]
	v_min3_f32 v125, v125, v126, v204
	v_add_f64 v[126:127], v[18:19], v[114:115]
	v_add_f64 v[144:145], v[16:17], v[112:113]
	v_cvt_f32_f64_e32 v144, v[144:145]
	v_cvt_f32_f64_e32 v126, v[126:127]
	v_min_f32_e32 v126, v144, v126
	v_min3_f32 v124, v124, v126, v125
	v_cvt_f64_f32_e32 v[124:125], v124
	v_lshl_add_u64 v[126:127], v[140:141], 3, v[120:121]
	flat_store_dwordx2 v[126:127], v[124:125]
	s_or_b64 exec, exec, s[26:27]
	s_and_b64 s[26:27], s[16:17], s[18:19]
	s_and_saveexec_b64 s[18:19], s[26:27]
	s_cbranch_execz .LBB127_131
.LBB127_127:
	s_and_b64 vcc, exec, s[0:1]
	s_cbranch_vccnz .LBB127_129
; %bb.128:
	v_lshl_add_u64 v[122:123], v[142:143], 3, v[122:123]
	flat_load_dwordx2 v[122:123], v[122:123]
	s_waitcnt vmcnt(0) lgkmcnt(0)
	v_mul_f64 v[122:123], s[22:23], v[122:123]
	v_cvt_f32_f64_e32 v122, v[122:123]
	s_branch .LBB127_130
.LBB127_129:
	v_mov_b32_e32 v122, 0
.LBB127_130:
	v_add_f64 v[118:119], v[6:7], v[118:119]
	v_add_f64 v[116:117], v[4:5], v[116:117]
	;; [unrolled: 1-line block ×4, first 2 shown]
	v_cvt_f32_f64_e32 v116, v[116:117]
	v_cvt_f32_f64_e32 v117, v[118:119]
	;; [unrolled: 1-line block ×4, first 2 shown]
	v_min3_f32 v116, v116, v117, v203
	v_min_f32_e32 v112, v112, v113
	v_min3_f32 v112, v122, v112, v116
	v_cvt_f64_f32_e32 v[112:113], v112
	v_lshl_add_u64 v[114:115], v[142:143], 3, v[120:121]
	flat_store_dwordx2 v[114:115], v[112:113]
.LBB127_131:
	s_or_b64 exec, exec, s[18:19]
	v_add_u32_e32 v116, 64, v152
	v_mad_i64_i32 v[112:113], s[26:27], v116, s31, 0
	v_cmp_gt_i32_e64 s[18:19], s25, v116
	v_lshl_add_u64 v[114:115], v[112:113], 3, s[28:29]
	v_mad_i64_i32 v[112:113], s[26:27], v116, s30, 0
	v_lshl_add_u64 v[112:113], v[112:113], 3, s[20:21]
	s_and_b64 s[34:35], s[2:3], s[18:19]
	s_and_saveexec_b64 s[26:27], s[34:35]
	s_cbranch_execnz .LBB127_139
; %bb.132:
	s_or_b64 exec, exec, s[26:27]
	s_and_b64 s[34:35], s[4:5], s[18:19]
	s_and_saveexec_b64 s[26:27], s[34:35]
	s_cbranch_execnz .LBB127_143
.LBB127_133:
	s_or_b64 exec, exec, s[26:27]
	s_and_b64 s[34:35], s[6:7], s[18:19]
	s_and_saveexec_b64 s[26:27], s[34:35]
	s_cbranch_execnz .LBB127_147
.LBB127_134:
	s_or_b64 exec, exec, s[26:27]
	s_and_b64 s[34:35], s[8:9], s[18:19]
	s_and_saveexec_b64 s[26:27], s[34:35]
	s_cbranch_execnz .LBB127_151
.LBB127_135:
	s_or_b64 exec, exec, s[26:27]
	s_and_b64 s[34:35], s[10:11], s[18:19]
	s_and_saveexec_b64 s[26:27], s[34:35]
	s_cbranch_execnz .LBB127_155
.LBB127_136:
	s_or_b64 exec, exec, s[26:27]
	s_and_b64 s[34:35], s[12:13], s[18:19]
	s_and_saveexec_b64 s[26:27], s[34:35]
	s_cbranch_execnz .LBB127_159
.LBB127_137:
	s_or_b64 exec, exec, s[26:27]
	s_and_b64 s[34:35], s[14:15], s[18:19]
	s_and_saveexec_b64 s[26:27], s[34:35]
	s_cbranch_execnz .LBB127_163
.LBB127_138:
	s_or_b64 exec, exec, s[26:27]
	s_and_b64 s[26:27], s[16:17], s[18:19]
	s_and_saveexec_b64 s[18:19], s[26:27]
	s_cbranch_execnz .LBB127_167
	s_branch .LBB127_171
.LBB127_139:
	s_and_b64 vcc, exec, s[0:1]
	s_cbranch_vccnz .LBB127_141
; %bb.140:
	v_lshl_add_u64 v[116:117], v[128:129], 3, v[114:115]
	flat_load_dwordx2 v[116:117], v[116:117]
	s_waitcnt vmcnt(0) lgkmcnt(0)
	v_mul_f64 v[116:117], s[22:23], v[116:117]
	v_cvt_f32_f64_e32 v116, v[116:117]
	s_branch .LBB127_142
.LBB127_141:
	v_mov_b32_e32 v116, 0
.LBB127_142:
	v_add_f64 v[118:119], v[70:71], v[110:111]
	v_add_f64 v[120:121], v[68:69], v[108:109]
	v_cvt_f32_f64_e32 v117, v[120:121]
	v_cvt_f32_f64_e32 v118, v[118:119]
	v_min3_f32 v117, v117, v118, v202
	v_add_f64 v[118:119], v[66:67], v[106:107]
	v_add_f64 v[120:121], v[64:65], v[104:105]
	v_cvt_f32_f64_e32 v120, v[120:121]
	v_cvt_f32_f64_e32 v118, v[118:119]
	v_min_f32_e32 v118, v120, v118
	v_min3_f32 v116, v116, v118, v117
	v_cvt_f64_f32_e32 v[116:117], v116
	v_lshl_add_u64 v[118:119], v[128:129], 3, v[112:113]
	flat_store_dwordx2 v[118:119], v[116:117]
	s_or_b64 exec, exec, s[26:27]
	s_and_b64 s[34:35], s[4:5], s[18:19]
	s_and_saveexec_b64 s[26:27], s[34:35]
	s_cbranch_execz .LBB127_133
.LBB127_143:
	s_and_b64 vcc, exec, s[0:1]
	s_cbranch_vccnz .LBB127_145
; %bb.144:
	v_lshl_add_u64 v[116:117], v[130:131], 3, v[114:115]
	flat_load_dwordx2 v[116:117], v[116:117]
	s_waitcnt vmcnt(0) lgkmcnt(0)
	v_mul_f64 v[116:117], s[22:23], v[116:117]
	v_cvt_f32_f64_e32 v116, v[116:117]
	s_branch .LBB127_146
.LBB127_145:
	v_mov_b32_e32 v116, 0
.LBB127_146:
	v_add_f64 v[118:119], v[62:63], v[110:111]
	v_add_f64 v[120:121], v[60:61], v[108:109]
	v_cvt_f32_f64_e32 v117, v[120:121]
	v_cvt_f32_f64_e32 v118, v[118:119]
	v_min3_f32 v117, v117, v118, v201
	v_add_f64 v[118:119], v[58:59], v[106:107]
	v_add_f64 v[120:121], v[56:57], v[104:105]
	v_cvt_f32_f64_e32 v120, v[120:121]
	v_cvt_f32_f64_e32 v118, v[118:119]
	v_min_f32_e32 v118, v120, v118
	v_min3_f32 v116, v116, v118, v117
	v_cvt_f64_f32_e32 v[116:117], v116
	v_lshl_add_u64 v[118:119], v[130:131], 3, v[112:113]
	flat_store_dwordx2 v[118:119], v[116:117]
	s_or_b64 exec, exec, s[26:27]
	s_and_b64 s[34:35], s[6:7], s[18:19]
	s_and_saveexec_b64 s[26:27], s[34:35]
	s_cbranch_execz .LBB127_134
.LBB127_147:
	s_and_b64 vcc, exec, s[0:1]
	s_cbranch_vccnz .LBB127_149
; %bb.148:
	v_lshl_add_u64 v[116:117], v[132:133], 3, v[114:115]
	flat_load_dwordx2 v[116:117], v[116:117]
	s_waitcnt vmcnt(0) lgkmcnt(0)
	v_mul_f64 v[116:117], s[22:23], v[116:117]
	v_cvt_f32_f64_e32 v116, v[116:117]
	s_branch .LBB127_150
.LBB127_149:
	v_mov_b32_e32 v116, 0
.LBB127_150:
	v_add_f64 v[118:119], v[54:55], v[110:111]
	v_add_f64 v[120:121], v[52:53], v[108:109]
	v_cvt_f32_f64_e32 v117, v[120:121]
	v_cvt_f32_f64_e32 v118, v[118:119]
	v_min3_f32 v117, v117, v118, v200
	v_add_f64 v[118:119], v[50:51], v[106:107]
	v_add_f64 v[120:121], v[48:49], v[104:105]
	v_cvt_f32_f64_e32 v120, v[120:121]
	v_cvt_f32_f64_e32 v118, v[118:119]
	v_min_f32_e32 v118, v120, v118
	v_min3_f32 v116, v116, v118, v117
	v_cvt_f64_f32_e32 v[116:117], v116
	v_lshl_add_u64 v[118:119], v[132:133], 3, v[112:113]
	flat_store_dwordx2 v[118:119], v[116:117]
	s_or_b64 exec, exec, s[26:27]
	s_and_b64 s[34:35], s[8:9], s[18:19]
	s_and_saveexec_b64 s[26:27], s[34:35]
	s_cbranch_execz .LBB127_135
.LBB127_151:
	s_and_b64 vcc, exec, s[0:1]
	s_cbranch_vccnz .LBB127_153
; %bb.152:
	v_lshl_add_u64 v[116:117], v[134:135], 3, v[114:115]
	flat_load_dwordx2 v[116:117], v[116:117]
	s_waitcnt vmcnt(0) lgkmcnt(0)
	v_mul_f64 v[116:117], s[22:23], v[116:117]
	v_cvt_f32_f64_e32 v116, v[116:117]
	s_branch .LBB127_154
.LBB127_153:
	v_mov_b32_e32 v116, 0
.LBB127_154:
	v_add_f64 v[118:119], v[46:47], v[110:111]
	v_add_f64 v[120:121], v[44:45], v[108:109]
	v_cvt_f32_f64_e32 v117, v[120:121]
	v_cvt_f32_f64_e32 v118, v[118:119]
	v_min3_f32 v117, v117, v118, v199
	v_add_f64 v[118:119], v[42:43], v[106:107]
	v_add_f64 v[120:121], v[40:41], v[104:105]
	v_cvt_f32_f64_e32 v120, v[120:121]
	v_cvt_f32_f64_e32 v118, v[118:119]
	v_min_f32_e32 v118, v120, v118
	v_min3_f32 v116, v116, v118, v117
	v_cvt_f64_f32_e32 v[116:117], v116
	v_lshl_add_u64 v[118:119], v[134:135], 3, v[112:113]
	flat_store_dwordx2 v[118:119], v[116:117]
	s_or_b64 exec, exec, s[26:27]
	s_and_b64 s[34:35], s[10:11], s[18:19]
	s_and_saveexec_b64 s[26:27], s[34:35]
	s_cbranch_execz .LBB127_136
.LBB127_155:
	s_and_b64 vcc, exec, s[0:1]
	s_cbranch_vccnz .LBB127_157
; %bb.156:
	v_lshl_add_u64 v[116:117], v[136:137], 3, v[114:115]
	flat_load_dwordx2 v[116:117], v[116:117]
	s_waitcnt vmcnt(0) lgkmcnt(0)
	v_mul_f64 v[116:117], s[22:23], v[116:117]
	v_cvt_f32_f64_e32 v116, v[116:117]
	s_branch .LBB127_158
.LBB127_157:
	v_mov_b32_e32 v116, 0
.LBB127_158:
	v_add_f64 v[118:119], v[38:39], v[110:111]
	v_add_f64 v[120:121], v[36:37], v[108:109]
	v_cvt_f32_f64_e32 v117, v[120:121]
	v_cvt_f32_f64_e32 v118, v[118:119]
	v_min3_f32 v117, v117, v118, v198
	v_add_f64 v[118:119], v[34:35], v[106:107]
	v_add_f64 v[120:121], v[32:33], v[104:105]
	v_cvt_f32_f64_e32 v120, v[120:121]
	v_cvt_f32_f64_e32 v118, v[118:119]
	v_min_f32_e32 v118, v120, v118
	v_min3_f32 v116, v116, v118, v117
	v_cvt_f64_f32_e32 v[116:117], v116
	v_lshl_add_u64 v[118:119], v[136:137], 3, v[112:113]
	flat_store_dwordx2 v[118:119], v[116:117]
	s_or_b64 exec, exec, s[26:27]
	s_and_b64 s[34:35], s[12:13], s[18:19]
	s_and_saveexec_b64 s[26:27], s[34:35]
	s_cbranch_execz .LBB127_137
.LBB127_159:
	s_and_b64 vcc, exec, s[0:1]
	s_cbranch_vccnz .LBB127_161
; %bb.160:
	v_lshl_add_u64 v[116:117], v[138:139], 3, v[114:115]
	flat_load_dwordx2 v[116:117], v[116:117]
	s_waitcnt vmcnt(0) lgkmcnt(0)
	v_mul_f64 v[116:117], s[22:23], v[116:117]
	v_cvt_f32_f64_e32 v116, v[116:117]
	s_branch .LBB127_162
.LBB127_161:
	v_mov_b32_e32 v116, 0
.LBB127_162:
	v_add_f64 v[118:119], v[30:31], v[110:111]
	v_add_f64 v[120:121], v[28:29], v[108:109]
	v_cvt_f32_f64_e32 v117, v[120:121]
	v_cvt_f32_f64_e32 v118, v[118:119]
	v_min3_f32 v117, v117, v118, v197
	v_add_f64 v[118:119], v[26:27], v[106:107]
	v_add_f64 v[120:121], v[24:25], v[104:105]
	v_cvt_f32_f64_e32 v120, v[120:121]
	v_cvt_f32_f64_e32 v118, v[118:119]
	v_min_f32_e32 v118, v120, v118
	v_min3_f32 v116, v116, v118, v117
	v_cvt_f64_f32_e32 v[116:117], v116
	v_lshl_add_u64 v[118:119], v[138:139], 3, v[112:113]
	flat_store_dwordx2 v[118:119], v[116:117]
	s_or_b64 exec, exec, s[26:27]
	s_and_b64 s[34:35], s[14:15], s[18:19]
	s_and_saveexec_b64 s[26:27], s[34:35]
	s_cbranch_execz .LBB127_138
.LBB127_163:
	s_and_b64 vcc, exec, s[0:1]
	s_cbranch_vccnz .LBB127_165
; %bb.164:
	v_lshl_add_u64 v[116:117], v[140:141], 3, v[114:115]
	flat_load_dwordx2 v[116:117], v[116:117]
	s_waitcnt vmcnt(0) lgkmcnt(0)
	v_mul_f64 v[116:117], s[22:23], v[116:117]
	v_cvt_f32_f64_e32 v116, v[116:117]
	s_branch .LBB127_166
.LBB127_165:
	v_mov_b32_e32 v116, 0
.LBB127_166:
	v_add_f64 v[118:119], v[22:23], v[110:111]
	v_add_f64 v[120:121], v[20:21], v[108:109]
	v_cvt_f32_f64_e32 v117, v[120:121]
	v_cvt_f32_f64_e32 v118, v[118:119]
	v_min3_f32 v117, v117, v118, v196
	v_add_f64 v[118:119], v[18:19], v[106:107]
	v_add_f64 v[120:121], v[16:17], v[104:105]
	v_cvt_f32_f64_e32 v120, v[120:121]
	v_cvt_f32_f64_e32 v118, v[118:119]
	v_min_f32_e32 v118, v120, v118
	v_min3_f32 v116, v116, v118, v117
	v_cvt_f64_f32_e32 v[116:117], v116
	v_lshl_add_u64 v[118:119], v[140:141], 3, v[112:113]
	flat_store_dwordx2 v[118:119], v[116:117]
	s_or_b64 exec, exec, s[26:27]
	s_and_b64 s[26:27], s[16:17], s[18:19]
	s_and_saveexec_b64 s[18:19], s[26:27]
	s_cbranch_execz .LBB127_171
.LBB127_167:
	s_and_b64 vcc, exec, s[0:1]
	s_cbranch_vccnz .LBB127_169
; %bb.168:
	v_lshl_add_u64 v[114:115], v[142:143], 3, v[114:115]
	flat_load_dwordx2 v[114:115], v[114:115]
	s_waitcnt vmcnt(0) lgkmcnt(0)
	v_mul_f64 v[114:115], s[22:23], v[114:115]
	v_cvt_f32_f64_e32 v114, v[114:115]
	s_branch .LBB127_170
.LBB127_169:
	v_mov_b32_e32 v114, 0
.LBB127_170:
	v_add_f64 v[110:111], v[6:7], v[110:111]
	v_add_f64 v[108:109], v[4:5], v[108:109]
	;; [unrolled: 1-line block ×4, first 2 shown]
	v_cvt_f32_f64_e32 v108, v[108:109]
	v_cvt_f32_f64_e32 v109, v[110:111]
	;; [unrolled: 1-line block ×4, first 2 shown]
	v_min3_f32 v108, v108, v109, v195
	v_min_f32_e32 v104, v104, v105
	v_min3_f32 v104, v114, v104, v108
	v_cvt_f64_f32_e32 v[104:105], v104
	v_lshl_add_u64 v[106:107], v[142:143], 3, v[112:113]
	flat_store_dwordx2 v[106:107], v[104:105]
.LBB127_171:
	s_or_b64 exec, exec, s[18:19]
	v_add_u32_e32 v108, 0x60, v152
	v_mad_i64_i32 v[104:105], s[26:27], v108, s31, 0
	v_cmp_gt_i32_e64 s[18:19], s25, v108
	v_lshl_add_u64 v[106:107], v[104:105], 3, s[28:29]
	v_mad_i64_i32 v[104:105], s[26:27], v108, s30, 0
	v_lshl_add_u64 v[104:105], v[104:105], 3, s[20:21]
	s_and_b64 s[34:35], s[2:3], s[18:19]
	s_and_saveexec_b64 s[26:27], s[34:35]
	s_cbranch_execnz .LBB127_179
; %bb.172:
	s_or_b64 exec, exec, s[26:27]
	s_and_b64 s[34:35], s[4:5], s[18:19]
	s_and_saveexec_b64 s[26:27], s[34:35]
	s_cbranch_execnz .LBB127_183
.LBB127_173:
	s_or_b64 exec, exec, s[26:27]
	s_and_b64 s[34:35], s[6:7], s[18:19]
	s_and_saveexec_b64 s[26:27], s[34:35]
	s_cbranch_execnz .LBB127_187
.LBB127_174:
	s_or_b64 exec, exec, s[26:27]
	s_and_b64 s[34:35], s[8:9], s[18:19]
	s_and_saveexec_b64 s[26:27], s[34:35]
	s_cbranch_execnz .LBB127_191
.LBB127_175:
	s_or_b64 exec, exec, s[26:27]
	s_and_b64 s[34:35], s[10:11], s[18:19]
	s_and_saveexec_b64 s[26:27], s[34:35]
	s_cbranch_execnz .LBB127_195
.LBB127_176:
	s_or_b64 exec, exec, s[26:27]
	s_and_b64 s[34:35], s[12:13], s[18:19]
	s_and_saveexec_b64 s[26:27], s[34:35]
	s_cbranch_execnz .LBB127_199
.LBB127_177:
	s_or_b64 exec, exec, s[26:27]
	s_and_b64 s[34:35], s[14:15], s[18:19]
	s_and_saveexec_b64 s[26:27], s[34:35]
	s_cbranch_execnz .LBB127_203
.LBB127_178:
	s_or_b64 exec, exec, s[26:27]
	s_and_b64 s[26:27], s[16:17], s[18:19]
	s_and_saveexec_b64 s[18:19], s[26:27]
	s_cbranch_execnz .LBB127_207
	s_branch .LBB127_211
.LBB127_179:
	s_and_b64 vcc, exec, s[0:1]
	s_cbranch_vccnz .LBB127_181
; %bb.180:
	v_lshl_add_u64 v[108:109], v[128:129], 3, v[106:107]
	flat_load_dwordx2 v[108:109], v[108:109]
	s_waitcnt vmcnt(0) lgkmcnt(0)
	v_mul_f64 v[108:109], s[22:23], v[108:109]
	v_cvt_f32_f64_e32 v108, v[108:109]
	s_branch .LBB127_182
.LBB127_181:
	v_mov_b32_e32 v108, 0
.LBB127_182:
	v_add_f64 v[110:111], v[70:71], v[102:103]
	v_add_f64 v[112:113], v[68:69], v[100:101]
	v_cvt_f32_f64_e32 v109, v[112:113]
	v_cvt_f32_f64_e32 v110, v[110:111]
	v_min3_f32 v109, v109, v110, v194
	v_add_f64 v[110:111], v[66:67], v[98:99]
	v_add_f64 v[112:113], v[64:65], v[96:97]
	v_cvt_f32_f64_e32 v112, v[112:113]
	v_cvt_f32_f64_e32 v110, v[110:111]
	v_min_f32_e32 v110, v112, v110
	v_min3_f32 v108, v108, v110, v109
	v_cvt_f64_f32_e32 v[108:109], v108
	v_lshl_add_u64 v[110:111], v[128:129], 3, v[104:105]
	flat_store_dwordx2 v[110:111], v[108:109]
	s_or_b64 exec, exec, s[26:27]
	s_and_b64 s[34:35], s[4:5], s[18:19]
	s_and_saveexec_b64 s[26:27], s[34:35]
	s_cbranch_execz .LBB127_173
.LBB127_183:
	s_and_b64 vcc, exec, s[0:1]
	s_cbranch_vccnz .LBB127_185
; %bb.184:
	v_lshl_add_u64 v[108:109], v[130:131], 3, v[106:107]
	flat_load_dwordx2 v[108:109], v[108:109]
	s_waitcnt vmcnt(0) lgkmcnt(0)
	v_mul_f64 v[108:109], s[22:23], v[108:109]
	v_cvt_f32_f64_e32 v108, v[108:109]
	s_branch .LBB127_186
.LBB127_185:
	v_mov_b32_e32 v108, 0
.LBB127_186:
	v_add_f64 v[110:111], v[62:63], v[102:103]
	v_add_f64 v[112:113], v[60:61], v[100:101]
	v_cvt_f32_f64_e32 v109, v[112:113]
	v_cvt_f32_f64_e32 v110, v[110:111]
	v_min3_f32 v109, v109, v110, v193
	v_add_f64 v[110:111], v[58:59], v[98:99]
	v_add_f64 v[112:113], v[56:57], v[96:97]
	v_cvt_f32_f64_e32 v112, v[112:113]
	v_cvt_f32_f64_e32 v110, v[110:111]
	v_min_f32_e32 v110, v112, v110
	v_min3_f32 v108, v108, v110, v109
	v_cvt_f64_f32_e32 v[108:109], v108
	v_lshl_add_u64 v[110:111], v[130:131], 3, v[104:105]
	flat_store_dwordx2 v[110:111], v[108:109]
	s_or_b64 exec, exec, s[26:27]
	s_and_b64 s[34:35], s[6:7], s[18:19]
	s_and_saveexec_b64 s[26:27], s[34:35]
	s_cbranch_execz .LBB127_174
.LBB127_187:
	s_and_b64 vcc, exec, s[0:1]
	s_cbranch_vccnz .LBB127_189
; %bb.188:
	v_lshl_add_u64 v[108:109], v[132:133], 3, v[106:107]
	flat_load_dwordx2 v[108:109], v[108:109]
	s_waitcnt vmcnt(0) lgkmcnt(0)
	v_mul_f64 v[108:109], s[22:23], v[108:109]
	v_cvt_f32_f64_e32 v108, v[108:109]
	s_branch .LBB127_190
.LBB127_189:
	v_mov_b32_e32 v108, 0
.LBB127_190:
	v_add_f64 v[110:111], v[54:55], v[102:103]
	v_add_f64 v[112:113], v[52:53], v[100:101]
	v_cvt_f32_f64_e32 v109, v[112:113]
	v_cvt_f32_f64_e32 v110, v[110:111]
	v_min3_f32 v109, v109, v110, v192
	v_add_f64 v[110:111], v[50:51], v[98:99]
	v_add_f64 v[112:113], v[48:49], v[96:97]
	v_cvt_f32_f64_e32 v112, v[112:113]
	v_cvt_f32_f64_e32 v110, v[110:111]
	v_min_f32_e32 v110, v112, v110
	v_min3_f32 v108, v108, v110, v109
	v_cvt_f64_f32_e32 v[108:109], v108
	v_lshl_add_u64 v[110:111], v[132:133], 3, v[104:105]
	flat_store_dwordx2 v[110:111], v[108:109]
	s_or_b64 exec, exec, s[26:27]
	s_and_b64 s[34:35], s[8:9], s[18:19]
	s_and_saveexec_b64 s[26:27], s[34:35]
	s_cbranch_execz .LBB127_175
.LBB127_191:
	s_and_b64 vcc, exec, s[0:1]
	s_cbranch_vccnz .LBB127_193
; %bb.192:
	v_lshl_add_u64 v[108:109], v[134:135], 3, v[106:107]
	flat_load_dwordx2 v[108:109], v[108:109]
	s_waitcnt vmcnt(0) lgkmcnt(0)
	v_mul_f64 v[108:109], s[22:23], v[108:109]
	v_cvt_f32_f64_e32 v108, v[108:109]
	s_branch .LBB127_194
.LBB127_193:
	v_mov_b32_e32 v108, 0
.LBB127_194:
	v_add_f64 v[110:111], v[46:47], v[102:103]
	v_add_f64 v[112:113], v[44:45], v[100:101]
	v_cvt_f32_f64_e32 v109, v[112:113]
	v_cvt_f32_f64_e32 v110, v[110:111]
	v_min3_f32 v109, v109, v110, v191
	v_add_f64 v[110:111], v[42:43], v[98:99]
	v_add_f64 v[112:113], v[40:41], v[96:97]
	v_cvt_f32_f64_e32 v112, v[112:113]
	v_cvt_f32_f64_e32 v110, v[110:111]
	v_min_f32_e32 v110, v112, v110
	v_min3_f32 v108, v108, v110, v109
	v_cvt_f64_f32_e32 v[108:109], v108
	v_lshl_add_u64 v[110:111], v[134:135], 3, v[104:105]
	flat_store_dwordx2 v[110:111], v[108:109]
	s_or_b64 exec, exec, s[26:27]
	s_and_b64 s[34:35], s[10:11], s[18:19]
	s_and_saveexec_b64 s[26:27], s[34:35]
	s_cbranch_execz .LBB127_176
.LBB127_195:
	s_and_b64 vcc, exec, s[0:1]
	s_cbranch_vccnz .LBB127_197
; %bb.196:
	v_lshl_add_u64 v[108:109], v[136:137], 3, v[106:107]
	flat_load_dwordx2 v[108:109], v[108:109]
	s_waitcnt vmcnt(0) lgkmcnt(0)
	v_mul_f64 v[108:109], s[22:23], v[108:109]
	v_cvt_f32_f64_e32 v108, v[108:109]
	s_branch .LBB127_198
.LBB127_197:
	v_mov_b32_e32 v108, 0
.LBB127_198:
	v_add_f64 v[110:111], v[38:39], v[102:103]
	v_add_f64 v[112:113], v[36:37], v[100:101]
	v_cvt_f32_f64_e32 v109, v[112:113]
	v_cvt_f32_f64_e32 v110, v[110:111]
	v_min3_f32 v109, v109, v110, v190
	v_add_f64 v[110:111], v[34:35], v[98:99]
	v_add_f64 v[112:113], v[32:33], v[96:97]
	v_cvt_f32_f64_e32 v112, v[112:113]
	v_cvt_f32_f64_e32 v110, v[110:111]
	v_min_f32_e32 v110, v112, v110
	v_min3_f32 v108, v108, v110, v109
	v_cvt_f64_f32_e32 v[108:109], v108
	v_lshl_add_u64 v[110:111], v[136:137], 3, v[104:105]
	flat_store_dwordx2 v[110:111], v[108:109]
	s_or_b64 exec, exec, s[26:27]
	s_and_b64 s[34:35], s[12:13], s[18:19]
	s_and_saveexec_b64 s[26:27], s[34:35]
	s_cbranch_execz .LBB127_177
.LBB127_199:
	s_and_b64 vcc, exec, s[0:1]
	s_cbranch_vccnz .LBB127_201
; %bb.200:
	v_lshl_add_u64 v[108:109], v[138:139], 3, v[106:107]
	flat_load_dwordx2 v[108:109], v[108:109]
	s_waitcnt vmcnt(0) lgkmcnt(0)
	v_mul_f64 v[108:109], s[22:23], v[108:109]
	v_cvt_f32_f64_e32 v108, v[108:109]
	s_branch .LBB127_202
.LBB127_201:
	v_mov_b32_e32 v108, 0
.LBB127_202:
	v_add_f64 v[110:111], v[30:31], v[102:103]
	v_add_f64 v[112:113], v[28:29], v[100:101]
	v_cvt_f32_f64_e32 v109, v[112:113]
	v_cvt_f32_f64_e32 v110, v[110:111]
	v_min3_f32 v109, v109, v110, v189
	v_add_f64 v[110:111], v[26:27], v[98:99]
	v_add_f64 v[112:113], v[24:25], v[96:97]
	v_cvt_f32_f64_e32 v112, v[112:113]
	v_cvt_f32_f64_e32 v110, v[110:111]
	v_min_f32_e32 v110, v112, v110
	v_min3_f32 v108, v108, v110, v109
	v_cvt_f64_f32_e32 v[108:109], v108
	v_lshl_add_u64 v[110:111], v[138:139], 3, v[104:105]
	flat_store_dwordx2 v[110:111], v[108:109]
	s_or_b64 exec, exec, s[26:27]
	s_and_b64 s[34:35], s[14:15], s[18:19]
	s_and_saveexec_b64 s[26:27], s[34:35]
	s_cbranch_execz .LBB127_178
.LBB127_203:
	s_and_b64 vcc, exec, s[0:1]
	s_cbranch_vccnz .LBB127_205
; %bb.204:
	v_lshl_add_u64 v[108:109], v[140:141], 3, v[106:107]
	flat_load_dwordx2 v[108:109], v[108:109]
	s_waitcnt vmcnt(0) lgkmcnt(0)
	v_mul_f64 v[108:109], s[22:23], v[108:109]
	v_cvt_f32_f64_e32 v108, v[108:109]
	s_branch .LBB127_206
.LBB127_205:
	v_mov_b32_e32 v108, 0
.LBB127_206:
	v_add_f64 v[110:111], v[22:23], v[102:103]
	v_add_f64 v[112:113], v[20:21], v[100:101]
	v_cvt_f32_f64_e32 v109, v[112:113]
	v_cvt_f32_f64_e32 v110, v[110:111]
	v_min3_f32 v109, v109, v110, v188
	v_add_f64 v[110:111], v[18:19], v[98:99]
	v_add_f64 v[112:113], v[16:17], v[96:97]
	v_cvt_f32_f64_e32 v112, v[112:113]
	v_cvt_f32_f64_e32 v110, v[110:111]
	v_min_f32_e32 v110, v112, v110
	v_min3_f32 v108, v108, v110, v109
	v_cvt_f64_f32_e32 v[108:109], v108
	v_lshl_add_u64 v[110:111], v[140:141], 3, v[104:105]
	flat_store_dwordx2 v[110:111], v[108:109]
	s_or_b64 exec, exec, s[26:27]
	s_and_b64 s[26:27], s[16:17], s[18:19]
	s_and_saveexec_b64 s[18:19], s[26:27]
	s_cbranch_execz .LBB127_211
.LBB127_207:
	s_and_b64 vcc, exec, s[0:1]
	s_cbranch_vccnz .LBB127_209
; %bb.208:
	v_lshl_add_u64 v[106:107], v[142:143], 3, v[106:107]
	flat_load_dwordx2 v[106:107], v[106:107]
	s_waitcnt vmcnt(0) lgkmcnt(0)
	v_mul_f64 v[106:107], s[22:23], v[106:107]
	v_cvt_f32_f64_e32 v106, v[106:107]
	s_branch .LBB127_210
.LBB127_209:
	v_mov_b32_e32 v106, 0
.LBB127_210:
	v_add_f64 v[102:103], v[6:7], v[102:103]
	v_add_f64 v[100:101], v[4:5], v[100:101]
	;; [unrolled: 1-line block ×4, first 2 shown]
	v_cvt_f32_f64_e32 v100, v[100:101]
	v_cvt_f32_f64_e32 v101, v[102:103]
	;; [unrolled: 1-line block ×4, first 2 shown]
	v_min3_f32 v100, v100, v101, v187
	v_min_f32_e32 v96, v96, v97
	v_min3_f32 v96, v106, v96, v100
	v_cvt_f64_f32_e32 v[96:97], v96
	v_lshl_add_u64 v[98:99], v[142:143], 3, v[104:105]
	flat_store_dwordx2 v[98:99], v[96:97]
.LBB127_211:
	s_or_b64 exec, exec, s[18:19]
	v_add_u32_e32 v100, 0x80, v152
	v_mad_i64_i32 v[96:97], s[26:27], v100, s31, 0
	v_cmp_gt_i32_e64 s[18:19], s25, v100
	v_lshl_add_u64 v[98:99], v[96:97], 3, s[28:29]
	v_mad_i64_i32 v[96:97], s[26:27], v100, s30, 0
	v_lshl_add_u64 v[96:97], v[96:97], 3, s[20:21]
	s_and_b64 s[34:35], s[2:3], s[18:19]
	s_and_saveexec_b64 s[26:27], s[34:35]
	s_cbranch_execnz .LBB127_219
; %bb.212:
	s_or_b64 exec, exec, s[26:27]
	s_and_b64 s[34:35], s[4:5], s[18:19]
	s_and_saveexec_b64 s[26:27], s[34:35]
	s_cbranch_execnz .LBB127_223
.LBB127_213:
	s_or_b64 exec, exec, s[26:27]
	s_and_b64 s[34:35], s[6:7], s[18:19]
	s_and_saveexec_b64 s[26:27], s[34:35]
	s_cbranch_execnz .LBB127_227
.LBB127_214:
	s_or_b64 exec, exec, s[26:27]
	s_and_b64 s[34:35], s[8:9], s[18:19]
	s_and_saveexec_b64 s[26:27], s[34:35]
	s_cbranch_execnz .LBB127_231
.LBB127_215:
	s_or_b64 exec, exec, s[26:27]
	s_and_b64 s[34:35], s[10:11], s[18:19]
	s_and_saveexec_b64 s[26:27], s[34:35]
	s_cbranch_execnz .LBB127_235
.LBB127_216:
	s_or_b64 exec, exec, s[26:27]
	s_and_b64 s[34:35], s[12:13], s[18:19]
	s_and_saveexec_b64 s[26:27], s[34:35]
	s_cbranch_execnz .LBB127_239
.LBB127_217:
	s_or_b64 exec, exec, s[26:27]
	s_and_b64 s[34:35], s[14:15], s[18:19]
	s_and_saveexec_b64 s[26:27], s[34:35]
	s_cbranch_execnz .LBB127_243
.LBB127_218:
	s_or_b64 exec, exec, s[26:27]
	s_and_b64 s[26:27], s[16:17], s[18:19]
	s_and_saveexec_b64 s[18:19], s[26:27]
	s_cbranch_execnz .LBB127_247
	s_branch .LBB127_251
.LBB127_219:
	s_and_b64 vcc, exec, s[0:1]
	s_cbranch_vccnz .LBB127_221
; %bb.220:
	v_lshl_add_u64 v[100:101], v[128:129], 3, v[98:99]
	flat_load_dwordx2 v[100:101], v[100:101]
	s_waitcnt vmcnt(0) lgkmcnt(0)
	v_mul_f64 v[100:101], s[22:23], v[100:101]
	v_cvt_f32_f64_e32 v100, v[100:101]
	s_branch .LBB127_222
.LBB127_221:
	v_mov_b32_e32 v100, 0
.LBB127_222:
	v_add_f64 v[102:103], v[70:71], v[94:95]
	v_add_f64 v[104:105], v[68:69], v[92:93]
	v_cvt_f32_f64_e32 v101, v[104:105]
	v_cvt_f32_f64_e32 v102, v[102:103]
	v_min3_f32 v101, v101, v102, v186
	v_add_f64 v[102:103], v[66:67], v[90:91]
	v_add_f64 v[104:105], v[64:65], v[88:89]
	v_cvt_f32_f64_e32 v104, v[104:105]
	v_cvt_f32_f64_e32 v102, v[102:103]
	v_min_f32_e32 v102, v104, v102
	v_min3_f32 v100, v100, v102, v101
	v_cvt_f64_f32_e32 v[100:101], v100
	v_lshl_add_u64 v[102:103], v[128:129], 3, v[96:97]
	flat_store_dwordx2 v[102:103], v[100:101]
	s_or_b64 exec, exec, s[26:27]
	s_and_b64 s[34:35], s[4:5], s[18:19]
	s_and_saveexec_b64 s[26:27], s[34:35]
	s_cbranch_execz .LBB127_213
.LBB127_223:
	s_and_b64 vcc, exec, s[0:1]
	s_cbranch_vccnz .LBB127_225
; %bb.224:
	v_lshl_add_u64 v[100:101], v[130:131], 3, v[98:99]
	flat_load_dwordx2 v[100:101], v[100:101]
	s_waitcnt vmcnt(0) lgkmcnt(0)
	v_mul_f64 v[100:101], s[22:23], v[100:101]
	v_cvt_f32_f64_e32 v100, v[100:101]
	s_branch .LBB127_226
.LBB127_225:
	v_mov_b32_e32 v100, 0
.LBB127_226:
	v_add_f64 v[102:103], v[62:63], v[94:95]
	v_add_f64 v[104:105], v[60:61], v[92:93]
	v_cvt_f32_f64_e32 v101, v[104:105]
	v_cvt_f32_f64_e32 v102, v[102:103]
	v_min3_f32 v101, v101, v102, v185
	v_add_f64 v[102:103], v[58:59], v[90:91]
	v_add_f64 v[104:105], v[56:57], v[88:89]
	v_cvt_f32_f64_e32 v104, v[104:105]
	v_cvt_f32_f64_e32 v102, v[102:103]
	v_min_f32_e32 v102, v104, v102
	v_min3_f32 v100, v100, v102, v101
	v_cvt_f64_f32_e32 v[100:101], v100
	v_lshl_add_u64 v[102:103], v[130:131], 3, v[96:97]
	flat_store_dwordx2 v[102:103], v[100:101]
	s_or_b64 exec, exec, s[26:27]
	s_and_b64 s[34:35], s[6:7], s[18:19]
	s_and_saveexec_b64 s[26:27], s[34:35]
	s_cbranch_execz .LBB127_214
.LBB127_227:
	s_and_b64 vcc, exec, s[0:1]
	s_cbranch_vccnz .LBB127_229
; %bb.228:
	v_lshl_add_u64 v[100:101], v[132:133], 3, v[98:99]
	flat_load_dwordx2 v[100:101], v[100:101]
	s_waitcnt vmcnt(0) lgkmcnt(0)
	v_mul_f64 v[100:101], s[22:23], v[100:101]
	v_cvt_f32_f64_e32 v100, v[100:101]
	s_branch .LBB127_230
.LBB127_229:
	v_mov_b32_e32 v100, 0
.LBB127_230:
	v_add_f64 v[102:103], v[54:55], v[94:95]
	v_add_f64 v[104:105], v[52:53], v[92:93]
	v_cvt_f32_f64_e32 v101, v[104:105]
	v_cvt_f32_f64_e32 v102, v[102:103]
	v_min3_f32 v101, v101, v102, v184
	v_add_f64 v[102:103], v[50:51], v[90:91]
	v_add_f64 v[104:105], v[48:49], v[88:89]
	v_cvt_f32_f64_e32 v104, v[104:105]
	v_cvt_f32_f64_e32 v102, v[102:103]
	v_min_f32_e32 v102, v104, v102
	v_min3_f32 v100, v100, v102, v101
	v_cvt_f64_f32_e32 v[100:101], v100
	v_lshl_add_u64 v[102:103], v[132:133], 3, v[96:97]
	flat_store_dwordx2 v[102:103], v[100:101]
	s_or_b64 exec, exec, s[26:27]
	s_and_b64 s[34:35], s[8:9], s[18:19]
	s_and_saveexec_b64 s[26:27], s[34:35]
	s_cbranch_execz .LBB127_215
.LBB127_231:
	s_and_b64 vcc, exec, s[0:1]
	s_cbranch_vccnz .LBB127_233
; %bb.232:
	v_lshl_add_u64 v[100:101], v[134:135], 3, v[98:99]
	flat_load_dwordx2 v[100:101], v[100:101]
	s_waitcnt vmcnt(0) lgkmcnt(0)
	v_mul_f64 v[100:101], s[22:23], v[100:101]
	v_cvt_f32_f64_e32 v100, v[100:101]
	s_branch .LBB127_234
.LBB127_233:
	v_mov_b32_e32 v100, 0
.LBB127_234:
	v_add_f64 v[102:103], v[46:47], v[94:95]
	v_add_f64 v[104:105], v[44:45], v[92:93]
	v_cvt_f32_f64_e32 v101, v[104:105]
	v_cvt_f32_f64_e32 v102, v[102:103]
	v_min3_f32 v101, v101, v102, v183
	v_add_f64 v[102:103], v[42:43], v[90:91]
	v_add_f64 v[104:105], v[40:41], v[88:89]
	v_cvt_f32_f64_e32 v104, v[104:105]
	v_cvt_f32_f64_e32 v102, v[102:103]
	v_min_f32_e32 v102, v104, v102
	v_min3_f32 v100, v100, v102, v101
	v_cvt_f64_f32_e32 v[100:101], v100
	v_lshl_add_u64 v[102:103], v[134:135], 3, v[96:97]
	flat_store_dwordx2 v[102:103], v[100:101]
	s_or_b64 exec, exec, s[26:27]
	s_and_b64 s[34:35], s[10:11], s[18:19]
	s_and_saveexec_b64 s[26:27], s[34:35]
	s_cbranch_execz .LBB127_216
.LBB127_235:
	s_and_b64 vcc, exec, s[0:1]
	s_cbranch_vccnz .LBB127_237
; %bb.236:
	v_lshl_add_u64 v[100:101], v[136:137], 3, v[98:99]
	flat_load_dwordx2 v[100:101], v[100:101]
	s_waitcnt vmcnt(0) lgkmcnt(0)
	v_mul_f64 v[100:101], s[22:23], v[100:101]
	v_cvt_f32_f64_e32 v100, v[100:101]
	s_branch .LBB127_238
.LBB127_237:
	v_mov_b32_e32 v100, 0
.LBB127_238:
	v_add_f64 v[102:103], v[38:39], v[94:95]
	v_add_f64 v[104:105], v[36:37], v[92:93]
	v_cvt_f32_f64_e32 v101, v[104:105]
	v_cvt_f32_f64_e32 v102, v[102:103]
	v_min3_f32 v101, v101, v102, v182
	v_add_f64 v[102:103], v[34:35], v[90:91]
	v_add_f64 v[104:105], v[32:33], v[88:89]
	v_cvt_f32_f64_e32 v104, v[104:105]
	v_cvt_f32_f64_e32 v102, v[102:103]
	v_min_f32_e32 v102, v104, v102
	v_min3_f32 v100, v100, v102, v101
	v_cvt_f64_f32_e32 v[100:101], v100
	v_lshl_add_u64 v[102:103], v[136:137], 3, v[96:97]
	flat_store_dwordx2 v[102:103], v[100:101]
	s_or_b64 exec, exec, s[26:27]
	s_and_b64 s[34:35], s[12:13], s[18:19]
	s_and_saveexec_b64 s[26:27], s[34:35]
	s_cbranch_execz .LBB127_217
.LBB127_239:
	s_and_b64 vcc, exec, s[0:1]
	s_cbranch_vccnz .LBB127_241
; %bb.240:
	v_lshl_add_u64 v[100:101], v[138:139], 3, v[98:99]
	flat_load_dwordx2 v[100:101], v[100:101]
	s_waitcnt vmcnt(0) lgkmcnt(0)
	v_mul_f64 v[100:101], s[22:23], v[100:101]
	v_cvt_f32_f64_e32 v100, v[100:101]
	s_branch .LBB127_242
.LBB127_241:
	v_mov_b32_e32 v100, 0
.LBB127_242:
	v_add_f64 v[102:103], v[30:31], v[94:95]
	v_add_f64 v[104:105], v[28:29], v[92:93]
	v_cvt_f32_f64_e32 v101, v[104:105]
	v_cvt_f32_f64_e32 v102, v[102:103]
	v_min3_f32 v101, v101, v102, v181
	v_add_f64 v[102:103], v[26:27], v[90:91]
	v_add_f64 v[104:105], v[24:25], v[88:89]
	v_cvt_f32_f64_e32 v104, v[104:105]
	v_cvt_f32_f64_e32 v102, v[102:103]
	v_min_f32_e32 v102, v104, v102
	v_min3_f32 v100, v100, v102, v101
	v_cvt_f64_f32_e32 v[100:101], v100
	v_lshl_add_u64 v[102:103], v[138:139], 3, v[96:97]
	flat_store_dwordx2 v[102:103], v[100:101]
	s_or_b64 exec, exec, s[26:27]
	s_and_b64 s[34:35], s[14:15], s[18:19]
	s_and_saveexec_b64 s[26:27], s[34:35]
	s_cbranch_execz .LBB127_218
.LBB127_243:
	s_and_b64 vcc, exec, s[0:1]
	s_cbranch_vccnz .LBB127_245
; %bb.244:
	v_lshl_add_u64 v[100:101], v[140:141], 3, v[98:99]
	flat_load_dwordx2 v[100:101], v[100:101]
	s_waitcnt vmcnt(0) lgkmcnt(0)
	v_mul_f64 v[100:101], s[22:23], v[100:101]
	v_cvt_f32_f64_e32 v100, v[100:101]
	s_branch .LBB127_246
.LBB127_245:
	v_mov_b32_e32 v100, 0
.LBB127_246:
	v_add_f64 v[102:103], v[22:23], v[94:95]
	v_add_f64 v[104:105], v[20:21], v[92:93]
	v_cvt_f32_f64_e32 v101, v[104:105]
	v_cvt_f32_f64_e32 v102, v[102:103]
	v_min3_f32 v101, v101, v102, v180
	v_add_f64 v[102:103], v[18:19], v[90:91]
	v_add_f64 v[104:105], v[16:17], v[88:89]
	v_cvt_f32_f64_e32 v104, v[104:105]
	v_cvt_f32_f64_e32 v102, v[102:103]
	v_min_f32_e32 v102, v104, v102
	v_min3_f32 v100, v100, v102, v101
	v_cvt_f64_f32_e32 v[100:101], v100
	v_lshl_add_u64 v[102:103], v[140:141], 3, v[96:97]
	flat_store_dwordx2 v[102:103], v[100:101]
	s_or_b64 exec, exec, s[26:27]
	s_and_b64 s[26:27], s[16:17], s[18:19]
	s_and_saveexec_b64 s[18:19], s[26:27]
	s_cbranch_execz .LBB127_251
.LBB127_247:
	s_and_b64 vcc, exec, s[0:1]
	s_cbranch_vccnz .LBB127_249
; %bb.248:
	v_lshl_add_u64 v[98:99], v[142:143], 3, v[98:99]
	flat_load_dwordx2 v[98:99], v[98:99]
	s_waitcnt vmcnt(0) lgkmcnt(0)
	v_mul_f64 v[98:99], s[22:23], v[98:99]
	v_cvt_f32_f64_e32 v98, v[98:99]
	s_branch .LBB127_250
.LBB127_249:
	v_mov_b32_e32 v98, 0
.LBB127_250:
	v_add_f64 v[94:95], v[6:7], v[94:95]
	v_add_f64 v[92:93], v[4:5], v[92:93]
	;; [unrolled: 1-line block ×4, first 2 shown]
	v_cvt_f32_f64_e32 v92, v[92:93]
	v_cvt_f32_f64_e32 v93, v[94:95]
	;; [unrolled: 1-line block ×4, first 2 shown]
	v_min3_f32 v92, v92, v93, v179
	v_min_f32_e32 v88, v88, v89
	v_min3_f32 v88, v98, v88, v92
	v_cvt_f64_f32_e32 v[88:89], v88
	v_lshl_add_u64 v[90:91], v[142:143], 3, v[96:97]
	flat_store_dwordx2 v[90:91], v[88:89]
.LBB127_251:
	s_or_b64 exec, exec, s[18:19]
	v_add_u32_e32 v92, 0xa0, v152
	v_mad_i64_i32 v[88:89], s[26:27], v92, s31, 0
	v_cmp_gt_i32_e64 s[18:19], s25, v92
	v_lshl_add_u64 v[90:91], v[88:89], 3, s[28:29]
	v_mad_i64_i32 v[88:89], s[26:27], v92, s30, 0
	v_lshl_add_u64 v[88:89], v[88:89], 3, s[20:21]
	s_and_b64 s[34:35], s[2:3], s[18:19]
	s_and_saveexec_b64 s[26:27], s[34:35]
	s_cbranch_execnz .LBB127_259
; %bb.252:
	s_or_b64 exec, exec, s[26:27]
	s_and_b64 s[34:35], s[4:5], s[18:19]
	s_and_saveexec_b64 s[26:27], s[34:35]
	s_cbranch_execnz .LBB127_263
.LBB127_253:
	s_or_b64 exec, exec, s[26:27]
	s_and_b64 s[34:35], s[6:7], s[18:19]
	s_and_saveexec_b64 s[26:27], s[34:35]
	s_cbranch_execnz .LBB127_267
.LBB127_254:
	s_or_b64 exec, exec, s[26:27]
	s_and_b64 s[34:35], s[8:9], s[18:19]
	s_and_saveexec_b64 s[26:27], s[34:35]
	s_cbranch_execnz .LBB127_271
.LBB127_255:
	s_or_b64 exec, exec, s[26:27]
	s_and_b64 s[34:35], s[10:11], s[18:19]
	s_and_saveexec_b64 s[26:27], s[34:35]
	s_cbranch_execnz .LBB127_275
.LBB127_256:
	s_or_b64 exec, exec, s[26:27]
	s_and_b64 s[34:35], s[12:13], s[18:19]
	s_and_saveexec_b64 s[26:27], s[34:35]
	s_cbranch_execnz .LBB127_279
.LBB127_257:
	s_or_b64 exec, exec, s[26:27]
	s_and_b64 s[34:35], s[14:15], s[18:19]
	s_and_saveexec_b64 s[26:27], s[34:35]
	s_cbranch_execnz .LBB127_283
.LBB127_258:
	s_or_b64 exec, exec, s[26:27]
	s_and_b64 s[26:27], s[16:17], s[18:19]
	s_and_saveexec_b64 s[18:19], s[26:27]
	s_cbranch_execnz .LBB127_287
	s_branch .LBB127_291
.LBB127_259:
	s_and_b64 vcc, exec, s[0:1]
	s_cbranch_vccnz .LBB127_261
; %bb.260:
	v_lshl_add_u64 v[92:93], v[128:129], 3, v[90:91]
	flat_load_dwordx2 v[92:93], v[92:93]
	s_waitcnt vmcnt(0) lgkmcnt(0)
	v_mul_f64 v[92:93], s[22:23], v[92:93]
	v_cvt_f32_f64_e32 v92, v[92:93]
	s_branch .LBB127_262
.LBB127_261:
	v_mov_b32_e32 v92, 0
.LBB127_262:
	v_add_f64 v[94:95], v[70:71], v[86:87]
	v_add_f64 v[96:97], v[68:69], v[84:85]
	v_cvt_f32_f64_e32 v93, v[96:97]
	v_cvt_f32_f64_e32 v94, v[94:95]
	v_min3_f32 v93, v93, v94, v178
	v_add_f64 v[94:95], v[66:67], v[82:83]
	v_add_f64 v[96:97], v[64:65], v[80:81]
	v_cvt_f32_f64_e32 v96, v[96:97]
	v_cvt_f32_f64_e32 v94, v[94:95]
	v_min_f32_e32 v94, v96, v94
	v_min3_f32 v92, v92, v94, v93
	v_cvt_f64_f32_e32 v[92:93], v92
	v_lshl_add_u64 v[94:95], v[128:129], 3, v[88:89]
	flat_store_dwordx2 v[94:95], v[92:93]
	s_or_b64 exec, exec, s[26:27]
	s_and_b64 s[34:35], s[4:5], s[18:19]
	s_and_saveexec_b64 s[26:27], s[34:35]
	s_cbranch_execz .LBB127_253
.LBB127_263:
	s_and_b64 vcc, exec, s[0:1]
	s_cbranch_vccnz .LBB127_265
; %bb.264:
	v_lshl_add_u64 v[92:93], v[130:131], 3, v[90:91]
	flat_load_dwordx2 v[92:93], v[92:93]
	s_waitcnt vmcnt(0) lgkmcnt(0)
	v_mul_f64 v[92:93], s[22:23], v[92:93]
	v_cvt_f32_f64_e32 v92, v[92:93]
	s_branch .LBB127_266
.LBB127_265:
	v_mov_b32_e32 v92, 0
.LBB127_266:
	v_add_f64 v[94:95], v[62:63], v[86:87]
	v_add_f64 v[96:97], v[60:61], v[84:85]
	v_cvt_f32_f64_e32 v93, v[96:97]
	v_cvt_f32_f64_e32 v94, v[94:95]
	v_min3_f32 v93, v93, v94, v177
	v_add_f64 v[94:95], v[58:59], v[82:83]
	v_add_f64 v[96:97], v[56:57], v[80:81]
	v_cvt_f32_f64_e32 v96, v[96:97]
	v_cvt_f32_f64_e32 v94, v[94:95]
	v_min_f32_e32 v94, v96, v94
	v_min3_f32 v92, v92, v94, v93
	v_cvt_f64_f32_e32 v[92:93], v92
	v_lshl_add_u64 v[94:95], v[130:131], 3, v[88:89]
	flat_store_dwordx2 v[94:95], v[92:93]
	s_or_b64 exec, exec, s[26:27]
	s_and_b64 s[34:35], s[6:7], s[18:19]
	s_and_saveexec_b64 s[26:27], s[34:35]
	s_cbranch_execz .LBB127_254
.LBB127_267:
	s_and_b64 vcc, exec, s[0:1]
	s_cbranch_vccnz .LBB127_269
; %bb.268:
	v_lshl_add_u64 v[92:93], v[132:133], 3, v[90:91]
	flat_load_dwordx2 v[92:93], v[92:93]
	s_waitcnt vmcnt(0) lgkmcnt(0)
	v_mul_f64 v[92:93], s[22:23], v[92:93]
	v_cvt_f32_f64_e32 v92, v[92:93]
	s_branch .LBB127_270
.LBB127_269:
	v_mov_b32_e32 v92, 0
.LBB127_270:
	v_add_f64 v[94:95], v[54:55], v[86:87]
	v_add_f64 v[96:97], v[52:53], v[84:85]
	v_cvt_f32_f64_e32 v93, v[96:97]
	v_cvt_f32_f64_e32 v94, v[94:95]
	v_min3_f32 v93, v93, v94, v176
	v_add_f64 v[94:95], v[50:51], v[82:83]
	v_add_f64 v[96:97], v[48:49], v[80:81]
	v_cvt_f32_f64_e32 v96, v[96:97]
	v_cvt_f32_f64_e32 v94, v[94:95]
	v_min_f32_e32 v94, v96, v94
	v_min3_f32 v92, v92, v94, v93
	v_cvt_f64_f32_e32 v[92:93], v92
	v_lshl_add_u64 v[94:95], v[132:133], 3, v[88:89]
	flat_store_dwordx2 v[94:95], v[92:93]
	s_or_b64 exec, exec, s[26:27]
	s_and_b64 s[34:35], s[8:9], s[18:19]
	s_and_saveexec_b64 s[26:27], s[34:35]
	s_cbranch_execz .LBB127_255
.LBB127_271:
	s_and_b64 vcc, exec, s[0:1]
	s_cbranch_vccnz .LBB127_273
; %bb.272:
	v_lshl_add_u64 v[92:93], v[134:135], 3, v[90:91]
	flat_load_dwordx2 v[92:93], v[92:93]
	s_waitcnt vmcnt(0) lgkmcnt(0)
	v_mul_f64 v[92:93], s[22:23], v[92:93]
	v_cvt_f32_f64_e32 v92, v[92:93]
	s_branch .LBB127_274
.LBB127_273:
	v_mov_b32_e32 v92, 0
.LBB127_274:
	v_add_f64 v[94:95], v[46:47], v[86:87]
	v_add_f64 v[96:97], v[44:45], v[84:85]
	v_cvt_f32_f64_e32 v93, v[96:97]
	v_cvt_f32_f64_e32 v94, v[94:95]
	v_min3_f32 v93, v93, v94, v175
	v_add_f64 v[94:95], v[42:43], v[82:83]
	v_add_f64 v[96:97], v[40:41], v[80:81]
	v_cvt_f32_f64_e32 v96, v[96:97]
	v_cvt_f32_f64_e32 v94, v[94:95]
	v_min_f32_e32 v94, v96, v94
	v_min3_f32 v92, v92, v94, v93
	v_cvt_f64_f32_e32 v[92:93], v92
	v_lshl_add_u64 v[94:95], v[134:135], 3, v[88:89]
	flat_store_dwordx2 v[94:95], v[92:93]
	s_or_b64 exec, exec, s[26:27]
	s_and_b64 s[34:35], s[10:11], s[18:19]
	s_and_saveexec_b64 s[26:27], s[34:35]
	s_cbranch_execz .LBB127_256
.LBB127_275:
	s_and_b64 vcc, exec, s[0:1]
	s_cbranch_vccnz .LBB127_277
; %bb.276:
	v_lshl_add_u64 v[92:93], v[136:137], 3, v[90:91]
	flat_load_dwordx2 v[92:93], v[92:93]
	s_waitcnt vmcnt(0) lgkmcnt(0)
	v_mul_f64 v[92:93], s[22:23], v[92:93]
	v_cvt_f32_f64_e32 v92, v[92:93]
	s_branch .LBB127_278
.LBB127_277:
	v_mov_b32_e32 v92, 0
.LBB127_278:
	v_add_f64 v[94:95], v[38:39], v[86:87]
	v_add_f64 v[96:97], v[36:37], v[84:85]
	v_cvt_f32_f64_e32 v93, v[96:97]
	v_cvt_f32_f64_e32 v94, v[94:95]
	v_min3_f32 v93, v93, v94, v174
	v_add_f64 v[94:95], v[34:35], v[82:83]
	v_add_f64 v[96:97], v[32:33], v[80:81]
	v_cvt_f32_f64_e32 v96, v[96:97]
	v_cvt_f32_f64_e32 v94, v[94:95]
	v_min_f32_e32 v94, v96, v94
	v_min3_f32 v92, v92, v94, v93
	v_cvt_f64_f32_e32 v[92:93], v92
	v_lshl_add_u64 v[94:95], v[136:137], 3, v[88:89]
	flat_store_dwordx2 v[94:95], v[92:93]
	s_or_b64 exec, exec, s[26:27]
	s_and_b64 s[34:35], s[12:13], s[18:19]
	s_and_saveexec_b64 s[26:27], s[34:35]
	s_cbranch_execz .LBB127_257
.LBB127_279:
	s_and_b64 vcc, exec, s[0:1]
	s_cbranch_vccnz .LBB127_281
; %bb.280:
	v_lshl_add_u64 v[92:93], v[138:139], 3, v[90:91]
	flat_load_dwordx2 v[92:93], v[92:93]
	s_waitcnt vmcnt(0) lgkmcnt(0)
	v_mul_f64 v[92:93], s[22:23], v[92:93]
	v_cvt_f32_f64_e32 v92, v[92:93]
	s_branch .LBB127_282
.LBB127_281:
	v_mov_b32_e32 v92, 0
.LBB127_282:
	v_add_f64 v[94:95], v[30:31], v[86:87]
	v_add_f64 v[96:97], v[28:29], v[84:85]
	v_cvt_f32_f64_e32 v93, v[96:97]
	v_cvt_f32_f64_e32 v94, v[94:95]
	v_min3_f32 v93, v93, v94, v173
	v_add_f64 v[94:95], v[26:27], v[82:83]
	v_add_f64 v[96:97], v[24:25], v[80:81]
	v_cvt_f32_f64_e32 v96, v[96:97]
	v_cvt_f32_f64_e32 v94, v[94:95]
	v_min_f32_e32 v94, v96, v94
	v_min3_f32 v92, v92, v94, v93
	v_cvt_f64_f32_e32 v[92:93], v92
	v_lshl_add_u64 v[94:95], v[138:139], 3, v[88:89]
	flat_store_dwordx2 v[94:95], v[92:93]
	s_or_b64 exec, exec, s[26:27]
	s_and_b64 s[34:35], s[14:15], s[18:19]
	s_and_saveexec_b64 s[26:27], s[34:35]
	s_cbranch_execz .LBB127_258
.LBB127_283:
	s_and_b64 vcc, exec, s[0:1]
	s_cbranch_vccnz .LBB127_285
; %bb.284:
	v_lshl_add_u64 v[92:93], v[140:141], 3, v[90:91]
	flat_load_dwordx2 v[92:93], v[92:93]
	s_waitcnt vmcnt(0) lgkmcnt(0)
	v_mul_f64 v[92:93], s[22:23], v[92:93]
	v_cvt_f32_f64_e32 v92, v[92:93]
	s_branch .LBB127_286
.LBB127_285:
	v_mov_b32_e32 v92, 0
.LBB127_286:
	v_add_f64 v[94:95], v[22:23], v[86:87]
	v_add_f64 v[96:97], v[20:21], v[84:85]
	v_cvt_f32_f64_e32 v93, v[96:97]
	v_cvt_f32_f64_e32 v94, v[94:95]
	v_min3_f32 v93, v93, v94, v172
	v_add_f64 v[94:95], v[18:19], v[82:83]
	v_add_f64 v[96:97], v[16:17], v[80:81]
	v_cvt_f32_f64_e32 v96, v[96:97]
	v_cvt_f32_f64_e32 v94, v[94:95]
	v_min_f32_e32 v94, v96, v94
	v_min3_f32 v92, v92, v94, v93
	v_cvt_f64_f32_e32 v[92:93], v92
	v_lshl_add_u64 v[94:95], v[140:141], 3, v[88:89]
	flat_store_dwordx2 v[94:95], v[92:93]
	s_or_b64 exec, exec, s[26:27]
	s_and_b64 s[26:27], s[16:17], s[18:19]
	s_and_saveexec_b64 s[18:19], s[26:27]
	s_cbranch_execz .LBB127_291
.LBB127_287:
	s_and_b64 vcc, exec, s[0:1]
	s_cbranch_vccnz .LBB127_289
; %bb.288:
	v_lshl_add_u64 v[90:91], v[142:143], 3, v[90:91]
	flat_load_dwordx2 v[90:91], v[90:91]
	s_waitcnt vmcnt(0) lgkmcnt(0)
	v_mul_f64 v[90:91], s[22:23], v[90:91]
	v_cvt_f32_f64_e32 v90, v[90:91]
	s_branch .LBB127_290
.LBB127_289:
	v_mov_b32_e32 v90, 0
.LBB127_290:
	v_add_f64 v[86:87], v[6:7], v[86:87]
	v_add_f64 v[84:85], v[4:5], v[84:85]
	;; [unrolled: 1-line block ×4, first 2 shown]
	v_cvt_f32_f64_e32 v84, v[84:85]
	v_cvt_f32_f64_e32 v85, v[86:87]
	;; [unrolled: 1-line block ×4, first 2 shown]
	v_min3_f32 v84, v84, v85, v171
	v_min_f32_e32 v80, v80, v81
	v_min3_f32 v80, v90, v80, v84
	v_cvt_f64_f32_e32 v[80:81], v80
	v_lshl_add_u64 v[82:83], v[142:143], 3, v[88:89]
	flat_store_dwordx2 v[82:83], v[80:81]
.LBB127_291:
	s_or_b64 exec, exec, s[18:19]
	v_add_u32_e32 v84, 0xc0, v152
	v_mad_i64_i32 v[80:81], s[26:27], v84, s31, 0
	v_cmp_gt_i32_e64 s[18:19], s25, v84
	v_lshl_add_u64 v[82:83], v[80:81], 3, s[28:29]
	v_mad_i64_i32 v[80:81], s[26:27], v84, s30, 0
	v_lshl_add_u64 v[80:81], v[80:81], 3, s[20:21]
	s_and_b64 s[34:35], s[2:3], s[18:19]
	s_and_saveexec_b64 s[26:27], s[34:35]
	s_cbranch_execnz .LBB127_299
; %bb.292:
	s_or_b64 exec, exec, s[26:27]
	s_and_b64 s[34:35], s[4:5], s[18:19]
	s_and_saveexec_b64 s[26:27], s[34:35]
	s_cbranch_execnz .LBB127_303
.LBB127_293:
	s_or_b64 exec, exec, s[26:27]
	s_and_b64 s[34:35], s[6:7], s[18:19]
	s_and_saveexec_b64 s[26:27], s[34:35]
	s_cbranch_execnz .LBB127_307
.LBB127_294:
	s_or_b64 exec, exec, s[26:27]
	s_and_b64 s[34:35], s[8:9], s[18:19]
	s_and_saveexec_b64 s[26:27], s[34:35]
	s_cbranch_execnz .LBB127_311
.LBB127_295:
	s_or_b64 exec, exec, s[26:27]
	s_and_b64 s[34:35], s[10:11], s[18:19]
	s_and_saveexec_b64 s[26:27], s[34:35]
	s_cbranch_execnz .LBB127_315
.LBB127_296:
	s_or_b64 exec, exec, s[26:27]
	s_and_b64 s[34:35], s[12:13], s[18:19]
	s_and_saveexec_b64 s[26:27], s[34:35]
	s_cbranch_execnz .LBB127_319
.LBB127_297:
	s_or_b64 exec, exec, s[26:27]
	s_and_b64 s[34:35], s[14:15], s[18:19]
	s_and_saveexec_b64 s[26:27], s[34:35]
	s_cbranch_execnz .LBB127_323
.LBB127_298:
	s_or_b64 exec, exec, s[26:27]
	s_and_b64 s[26:27], s[16:17], s[18:19]
	s_and_saveexec_b64 s[18:19], s[26:27]
	s_cbranch_execnz .LBB127_327
	s_branch .LBB127_331
.LBB127_299:
	s_and_b64 vcc, exec, s[0:1]
	s_cbranch_vccnz .LBB127_301
; %bb.300:
	v_lshl_add_u64 v[84:85], v[128:129], 3, v[82:83]
	flat_load_dwordx2 v[84:85], v[84:85]
	s_waitcnt vmcnt(0) lgkmcnt(0)
	v_mul_f64 v[84:85], s[22:23], v[84:85]
	v_cvt_f32_f64_e32 v84, v[84:85]
	s_branch .LBB127_302
.LBB127_301:
	v_mov_b32_e32 v84, 0
.LBB127_302:
	v_add_f64 v[86:87], v[70:71], v[78:79]
	v_add_f64 v[88:89], v[68:69], v[76:77]
	v_cvt_f32_f64_e32 v85, v[88:89]
	v_cvt_f32_f64_e32 v86, v[86:87]
	v_min3_f32 v85, v85, v86, v170
	v_add_f64 v[86:87], v[66:67], v[74:75]
	v_add_f64 v[88:89], v[64:65], v[72:73]
	v_cvt_f32_f64_e32 v88, v[88:89]
	v_cvt_f32_f64_e32 v86, v[86:87]
	v_min_f32_e32 v86, v88, v86
	v_min3_f32 v84, v84, v86, v85
	v_cvt_f64_f32_e32 v[84:85], v84
	v_lshl_add_u64 v[86:87], v[128:129], 3, v[80:81]
	flat_store_dwordx2 v[86:87], v[84:85]
	s_or_b64 exec, exec, s[26:27]
	s_and_b64 s[34:35], s[4:5], s[18:19]
	s_and_saveexec_b64 s[26:27], s[34:35]
	s_cbranch_execz .LBB127_293
.LBB127_303:
	s_and_b64 vcc, exec, s[0:1]
	s_cbranch_vccnz .LBB127_305
; %bb.304:
	v_lshl_add_u64 v[84:85], v[130:131], 3, v[82:83]
	flat_load_dwordx2 v[84:85], v[84:85]
	s_waitcnt vmcnt(0) lgkmcnt(0)
	v_mul_f64 v[84:85], s[22:23], v[84:85]
	v_cvt_f32_f64_e32 v84, v[84:85]
	s_branch .LBB127_306
.LBB127_305:
	v_mov_b32_e32 v84, 0
.LBB127_306:
	v_add_f64 v[86:87], v[62:63], v[78:79]
	v_add_f64 v[88:89], v[60:61], v[76:77]
	v_cvt_f32_f64_e32 v85, v[88:89]
	v_cvt_f32_f64_e32 v86, v[86:87]
	v_min3_f32 v85, v85, v86, v168
	v_add_f64 v[86:87], v[58:59], v[74:75]
	v_add_f64 v[88:89], v[56:57], v[72:73]
	v_cvt_f32_f64_e32 v88, v[88:89]
	v_cvt_f32_f64_e32 v86, v[86:87]
	v_min_f32_e32 v86, v88, v86
	v_min3_f32 v84, v84, v86, v85
	v_cvt_f64_f32_e32 v[84:85], v84
	v_lshl_add_u64 v[86:87], v[130:131], 3, v[80:81]
	flat_store_dwordx2 v[86:87], v[84:85]
	s_or_b64 exec, exec, s[26:27]
	s_and_b64 s[34:35], s[6:7], s[18:19]
	s_and_saveexec_b64 s[26:27], s[34:35]
	s_cbranch_execz .LBB127_294
.LBB127_307:
	s_and_b64 vcc, exec, s[0:1]
	s_cbranch_vccnz .LBB127_309
; %bb.308:
	v_lshl_add_u64 v[84:85], v[132:133], 3, v[82:83]
	flat_load_dwordx2 v[84:85], v[84:85]
	s_waitcnt vmcnt(0) lgkmcnt(0)
	v_mul_f64 v[84:85], s[22:23], v[84:85]
	v_cvt_f32_f64_e32 v84, v[84:85]
	s_branch .LBB127_310
.LBB127_309:
	v_mov_b32_e32 v84, 0
.LBB127_310:
	v_add_f64 v[86:87], v[54:55], v[78:79]
	v_add_f64 v[88:89], v[52:53], v[76:77]
	v_cvt_f32_f64_e32 v85, v[88:89]
	v_cvt_f32_f64_e32 v86, v[86:87]
	v_min3_f32 v85, v85, v86, v167
	v_add_f64 v[86:87], v[50:51], v[74:75]
	v_add_f64 v[88:89], v[48:49], v[72:73]
	v_cvt_f32_f64_e32 v88, v[88:89]
	v_cvt_f32_f64_e32 v86, v[86:87]
	v_min_f32_e32 v86, v88, v86
	v_min3_f32 v84, v84, v86, v85
	v_cvt_f64_f32_e32 v[84:85], v84
	v_lshl_add_u64 v[86:87], v[132:133], 3, v[80:81]
	flat_store_dwordx2 v[86:87], v[84:85]
	s_or_b64 exec, exec, s[26:27]
	s_and_b64 s[34:35], s[8:9], s[18:19]
	s_and_saveexec_b64 s[26:27], s[34:35]
	s_cbranch_execz .LBB127_295
.LBB127_311:
	s_and_b64 vcc, exec, s[0:1]
	s_cbranch_vccnz .LBB127_313
; %bb.312:
	v_lshl_add_u64 v[84:85], v[134:135], 3, v[82:83]
	flat_load_dwordx2 v[84:85], v[84:85]
	s_waitcnt vmcnt(0) lgkmcnt(0)
	v_mul_f64 v[84:85], s[22:23], v[84:85]
	v_cvt_f32_f64_e32 v84, v[84:85]
	s_branch .LBB127_314
.LBB127_313:
	v_mov_b32_e32 v84, 0
.LBB127_314:
	v_add_f64 v[86:87], v[46:47], v[78:79]
	v_add_f64 v[88:89], v[44:45], v[76:77]
	v_cvt_f32_f64_e32 v85, v[88:89]
	v_cvt_f32_f64_e32 v86, v[86:87]
	v_min3_f32 v85, v85, v86, v166
	v_add_f64 v[86:87], v[42:43], v[74:75]
	v_add_f64 v[88:89], v[40:41], v[72:73]
	v_cvt_f32_f64_e32 v88, v[88:89]
	v_cvt_f32_f64_e32 v86, v[86:87]
	v_min_f32_e32 v86, v88, v86
	v_min3_f32 v84, v84, v86, v85
	v_cvt_f64_f32_e32 v[84:85], v84
	v_lshl_add_u64 v[86:87], v[134:135], 3, v[80:81]
	flat_store_dwordx2 v[86:87], v[84:85]
	s_or_b64 exec, exec, s[26:27]
	s_and_b64 s[34:35], s[10:11], s[18:19]
	s_and_saveexec_b64 s[26:27], s[34:35]
	s_cbranch_execz .LBB127_296
.LBB127_315:
	s_and_b64 vcc, exec, s[0:1]
	s_cbranch_vccnz .LBB127_317
; %bb.316:
	v_lshl_add_u64 v[84:85], v[136:137], 3, v[82:83]
	flat_load_dwordx2 v[84:85], v[84:85]
	s_waitcnt vmcnt(0) lgkmcnt(0)
	v_mul_f64 v[84:85], s[22:23], v[84:85]
	v_cvt_f32_f64_e32 v84, v[84:85]
	s_branch .LBB127_318
.LBB127_317:
	v_mov_b32_e32 v84, 0
.LBB127_318:
	v_add_f64 v[86:87], v[38:39], v[78:79]
	v_add_f64 v[88:89], v[36:37], v[76:77]
	v_cvt_f32_f64_e32 v85, v[88:89]
	v_cvt_f32_f64_e32 v86, v[86:87]
	v_min3_f32 v85, v85, v86, v165
	v_add_f64 v[86:87], v[34:35], v[74:75]
	v_add_f64 v[88:89], v[32:33], v[72:73]
	v_cvt_f32_f64_e32 v88, v[88:89]
	v_cvt_f32_f64_e32 v86, v[86:87]
	v_min_f32_e32 v86, v88, v86
	v_min3_f32 v84, v84, v86, v85
	v_cvt_f64_f32_e32 v[84:85], v84
	v_lshl_add_u64 v[86:87], v[136:137], 3, v[80:81]
	flat_store_dwordx2 v[86:87], v[84:85]
	s_or_b64 exec, exec, s[26:27]
	s_and_b64 s[34:35], s[12:13], s[18:19]
	s_and_saveexec_b64 s[26:27], s[34:35]
	s_cbranch_execz .LBB127_297
.LBB127_319:
	s_and_b64 vcc, exec, s[0:1]
	s_cbranch_vccnz .LBB127_321
; %bb.320:
	v_lshl_add_u64 v[84:85], v[138:139], 3, v[82:83]
	flat_load_dwordx2 v[84:85], v[84:85]
	s_waitcnt vmcnt(0) lgkmcnt(0)
	v_mul_f64 v[84:85], s[22:23], v[84:85]
	v_cvt_f32_f64_e32 v84, v[84:85]
	s_branch .LBB127_322
.LBB127_321:
	v_mov_b32_e32 v84, 0
.LBB127_322:
	v_add_f64 v[86:87], v[30:31], v[78:79]
	v_add_f64 v[88:89], v[28:29], v[76:77]
	v_cvt_f32_f64_e32 v85, v[88:89]
	v_cvt_f32_f64_e32 v86, v[86:87]
	v_min3_f32 v85, v85, v86, v163
	v_add_f64 v[86:87], v[26:27], v[74:75]
	v_add_f64 v[88:89], v[24:25], v[72:73]
	v_cvt_f32_f64_e32 v88, v[88:89]
	v_cvt_f32_f64_e32 v86, v[86:87]
	v_min_f32_e32 v86, v88, v86
	v_min3_f32 v84, v84, v86, v85
	v_cvt_f64_f32_e32 v[84:85], v84
	v_lshl_add_u64 v[86:87], v[138:139], 3, v[80:81]
	flat_store_dwordx2 v[86:87], v[84:85]
	s_or_b64 exec, exec, s[26:27]
	s_and_b64 s[34:35], s[14:15], s[18:19]
	s_and_saveexec_b64 s[26:27], s[34:35]
	s_cbranch_execz .LBB127_298
.LBB127_323:
	s_and_b64 vcc, exec, s[0:1]
	s_cbranch_vccnz .LBB127_325
; %bb.324:
	v_lshl_add_u64 v[84:85], v[140:141], 3, v[82:83]
	flat_load_dwordx2 v[84:85], v[84:85]
	s_waitcnt vmcnt(0) lgkmcnt(0)
	v_mul_f64 v[84:85], s[22:23], v[84:85]
	v_cvt_f32_f64_e32 v84, v[84:85]
	s_branch .LBB127_326
.LBB127_325:
	v_mov_b32_e32 v84, 0
.LBB127_326:
	v_add_f64 v[86:87], v[22:23], v[78:79]
	v_add_f64 v[88:89], v[20:21], v[76:77]
	v_cvt_f32_f64_e32 v85, v[88:89]
	v_cvt_f32_f64_e32 v86, v[86:87]
	v_min3_f32 v85, v85, v86, v159
	v_add_f64 v[86:87], v[18:19], v[74:75]
	v_add_f64 v[88:89], v[16:17], v[72:73]
	v_cvt_f32_f64_e32 v88, v[88:89]
	v_cvt_f32_f64_e32 v86, v[86:87]
	v_min_f32_e32 v86, v88, v86
	v_min3_f32 v84, v84, v86, v85
	v_cvt_f64_f32_e32 v[84:85], v84
	v_lshl_add_u64 v[86:87], v[140:141], 3, v[80:81]
	flat_store_dwordx2 v[86:87], v[84:85]
	s_or_b64 exec, exec, s[26:27]
	s_and_b64 s[26:27], s[16:17], s[18:19]
	s_and_saveexec_b64 s[18:19], s[26:27]
	s_cbranch_execz .LBB127_331
.LBB127_327:
	s_and_b64 vcc, exec, s[0:1]
	s_cbranch_vccnz .LBB127_329
; %bb.328:
	v_lshl_add_u64 v[82:83], v[142:143], 3, v[82:83]
	flat_load_dwordx2 v[82:83], v[82:83]
	s_waitcnt vmcnt(0) lgkmcnt(0)
	v_mul_f64 v[82:83], s[22:23], v[82:83]
	v_cvt_f32_f64_e32 v82, v[82:83]
	s_branch .LBB127_330
.LBB127_329:
	v_mov_b32_e32 v82, 0
.LBB127_330:
	v_add_f64 v[78:79], v[6:7], v[78:79]
	v_add_f64 v[76:77], v[4:5], v[76:77]
	;; [unrolled: 1-line block ×4, first 2 shown]
	v_cvt_f32_f64_e32 v76, v[76:77]
	v_cvt_f32_f64_e32 v77, v[78:79]
	;; [unrolled: 1-line block ×4, first 2 shown]
	v_min3_f32 v76, v76, v77, v158
	v_min_f32_e32 v72, v72, v73
	v_min3_f32 v72, v82, v72, v76
	v_cvt_f64_f32_e32 v[72:73], v72
	v_lshl_add_u64 v[74:75], v[142:143], 3, v[80:81]
	flat_store_dwordx2 v[74:75], v[72:73]
.LBB127_331:
	s_or_b64 exec, exec, s[18:19]
	v_add_u32_e32 v76, 0xe0, v152
	v_cmp_gt_i32_e64 s[18:19], s25, v76
	v_mad_i64_i32 v[72:73], s[24:25], v76, s31, 0
	v_lshl_add_u64 v[74:75], v[72:73], 3, s[28:29]
	v_mad_i64_i32 v[72:73], s[24:25], v76, s30, 0
	v_lshl_add_u64 v[72:73], v[72:73], 3, s[20:21]
	s_and_b64 s[20:21], s[2:3], s[18:19]
	s_and_saveexec_b64 s[2:3], s[20:21]
	s_cbranch_execnz .LBB127_340
; %bb.332:
	s_or_b64 exec, exec, s[2:3]
	s_and_b64 s[4:5], s[4:5], s[18:19]
	s_and_saveexec_b64 s[2:3], s[4:5]
	s_cbranch_execnz .LBB127_344
.LBB127_333:
	s_or_b64 exec, exec, s[2:3]
	s_and_b64 s[4:5], s[6:7], s[18:19]
	s_and_saveexec_b64 s[2:3], s[4:5]
	s_cbranch_execnz .LBB127_348
.LBB127_334:
	s_or_b64 exec, exec, s[2:3]
	s_and_b64 s[4:5], s[8:9], s[18:19]
	s_and_saveexec_b64 s[2:3], s[4:5]
	s_cbranch_execnz .LBB127_352
.LBB127_335:
	s_or_b64 exec, exec, s[2:3]
	s_and_b64 s[4:5], s[10:11], s[18:19]
	s_and_saveexec_b64 s[2:3], s[4:5]
	s_cbranch_execnz .LBB127_356
.LBB127_336:
	s_or_b64 exec, exec, s[2:3]
	s_and_b64 s[4:5], s[12:13], s[18:19]
	s_and_saveexec_b64 s[2:3], s[4:5]
	s_cbranch_execnz .LBB127_360
.LBB127_337:
	s_or_b64 exec, exec, s[2:3]
	s_and_b64 s[4:5], s[14:15], s[18:19]
	s_and_saveexec_b64 s[2:3], s[4:5]
	s_cbranch_execnz .LBB127_364
.LBB127_338:
	s_or_b64 exec, exec, s[2:3]
	s_and_b64 s[2:3], s[16:17], s[18:19]
	s_and_saveexec_b64 s[4:5], s[2:3]
	s_cbranch_execnz .LBB127_368
.LBB127_339:
	s_endpgm
.LBB127_340:
	s_and_b64 vcc, exec, s[0:1]
	s_cbranch_vccnz .LBB127_342
; %bb.341:
	v_lshl_add_u64 v[76:77], v[128:129], 3, v[74:75]
	flat_load_dwordx2 v[76:77], v[76:77]
	s_waitcnt vmcnt(0) lgkmcnt(0)
	v_mul_f64 v[76:77], s[22:23], v[76:77]
	v_cvt_f32_f64_e32 v76, v[76:77]
	s_branch .LBB127_343
.LBB127_342:
	v_mov_b32_e32 v76, 0
.LBB127_343:
	v_add_f64 v[70:71], v[70:71], v[14:15]
	v_add_f64 v[68:69], v[68:69], v[12:13]
	;; [unrolled: 1-line block ×4, first 2 shown]
	v_cvt_f32_f64_e32 v68, v[68:69]
	v_cvt_f32_f64_e32 v69, v[70:71]
	;; [unrolled: 1-line block ×4, first 2 shown]
	v_min3_f32 v68, v68, v69, v157
	v_min_f32_e32 v64, v64, v65
	v_min3_f32 v64, v76, v64, v68
	v_cvt_f64_f32_e32 v[64:65], v64
	v_lshl_add_u64 v[66:67], v[128:129], 3, v[72:73]
	flat_store_dwordx2 v[66:67], v[64:65]
	s_or_b64 exec, exec, s[2:3]
	s_and_b64 s[4:5], s[4:5], s[18:19]
	s_and_saveexec_b64 s[2:3], s[4:5]
	s_cbranch_execz .LBB127_333
.LBB127_344:
	s_and_b64 vcc, exec, s[0:1]
	s_cbranch_vccnz .LBB127_346
; %bb.345:
	v_lshl_add_u64 v[64:65], v[130:131], 3, v[74:75]
	flat_load_dwordx2 v[64:65], v[64:65]
	s_waitcnt vmcnt(0) lgkmcnt(0)
	v_mul_f64 v[64:65], s[22:23], v[64:65]
	v_cvt_f32_f64_e32 v64, v[64:65]
	s_branch .LBB127_347
.LBB127_346:
	v_mov_b32_e32 v64, 0
.LBB127_347:
	v_add_f64 v[62:63], v[62:63], v[14:15]
	v_add_f64 v[60:61], v[60:61], v[12:13]
	;; [unrolled: 1-line block ×4, first 2 shown]
	v_cvt_f32_f64_e32 v60, v[60:61]
	v_cvt_f32_f64_e32 v61, v[62:63]
	;; [unrolled: 1-line block ×4, first 2 shown]
	v_min3_f32 v60, v60, v61, v156
	v_min_f32_e32 v56, v56, v57
	v_min3_f32 v56, v64, v56, v60
	v_cvt_f64_f32_e32 v[56:57], v56
	v_lshl_add_u64 v[58:59], v[130:131], 3, v[72:73]
	flat_store_dwordx2 v[58:59], v[56:57]
	s_or_b64 exec, exec, s[2:3]
	s_and_b64 s[4:5], s[6:7], s[18:19]
	s_and_saveexec_b64 s[2:3], s[4:5]
	s_cbranch_execz .LBB127_334
.LBB127_348:
	s_and_b64 vcc, exec, s[0:1]
	s_cbranch_vccnz .LBB127_350
; %bb.349:
	v_lshl_add_u64 v[56:57], v[132:133], 3, v[74:75]
	flat_load_dwordx2 v[56:57], v[56:57]
	s_waitcnt vmcnt(0) lgkmcnt(0)
	v_mul_f64 v[56:57], s[22:23], v[56:57]
	v_cvt_f32_f64_e32 v56, v[56:57]
	s_branch .LBB127_351
.LBB127_350:
	v_mov_b32_e32 v56, 0
.LBB127_351:
	v_add_f64 v[54:55], v[54:55], v[14:15]
	v_add_f64 v[52:53], v[52:53], v[12:13]
	;; [unrolled: 1-line block ×4, first 2 shown]
	v_cvt_f32_f64_e32 v52, v[52:53]
	v_cvt_f32_f64_e32 v53, v[54:55]
	v_cvt_f32_f64_e32 v48, v[48:49]
	v_cvt_f32_f64_e32 v49, v[50:51]
	v_min3_f32 v52, v52, v53, v155
	v_min_f32_e32 v48, v48, v49
	v_min3_f32 v48, v56, v48, v52
	v_cvt_f64_f32_e32 v[48:49], v48
	v_lshl_add_u64 v[50:51], v[132:133], 3, v[72:73]
	flat_store_dwordx2 v[50:51], v[48:49]
	s_or_b64 exec, exec, s[2:3]
	s_and_b64 s[4:5], s[8:9], s[18:19]
	s_and_saveexec_b64 s[2:3], s[4:5]
	s_cbranch_execz .LBB127_335
.LBB127_352:
	s_and_b64 vcc, exec, s[0:1]
	s_cbranch_vccnz .LBB127_354
; %bb.353:
	v_lshl_add_u64 v[48:49], v[134:135], 3, v[74:75]
	flat_load_dwordx2 v[48:49], v[48:49]
	s_waitcnt vmcnt(0) lgkmcnt(0)
	v_mul_f64 v[48:49], s[22:23], v[48:49]
	v_cvt_f32_f64_e32 v48, v[48:49]
	s_branch .LBB127_355
.LBB127_354:
	v_mov_b32_e32 v48, 0
.LBB127_355:
	v_add_f64 v[46:47], v[46:47], v[14:15]
	v_add_f64 v[44:45], v[44:45], v[12:13]
	;; [unrolled: 1-line block ×4, first 2 shown]
	v_cvt_f32_f64_e32 v44, v[44:45]
	v_cvt_f32_f64_e32 v45, v[46:47]
	;; [unrolled: 1-line block ×4, first 2 shown]
	v_min3_f32 v44, v44, v45, v154
	v_min_f32_e32 v40, v40, v41
	v_min3_f32 v40, v48, v40, v44
	v_cvt_f64_f32_e32 v[40:41], v40
	v_lshl_add_u64 v[42:43], v[134:135], 3, v[72:73]
	flat_store_dwordx2 v[42:43], v[40:41]
	s_or_b64 exec, exec, s[2:3]
	s_and_b64 s[4:5], s[10:11], s[18:19]
	s_and_saveexec_b64 s[2:3], s[4:5]
	s_cbranch_execz .LBB127_336
.LBB127_356:
	s_and_b64 vcc, exec, s[0:1]
	s_cbranch_vccnz .LBB127_358
; %bb.357:
	v_lshl_add_u64 v[40:41], v[136:137], 3, v[74:75]
	flat_load_dwordx2 v[40:41], v[40:41]
	s_waitcnt vmcnt(0) lgkmcnt(0)
	v_mul_f64 v[40:41], s[22:23], v[40:41]
	v_cvt_f32_f64_e32 v40, v[40:41]
	s_branch .LBB127_359
.LBB127_358:
	v_mov_b32_e32 v40, 0
.LBB127_359:
	v_add_f64 v[38:39], v[38:39], v[14:15]
	v_add_f64 v[36:37], v[36:37], v[12:13]
	v_add_f64 v[34:35], v[34:35], v[10:11]
	v_add_f64 v[32:33], v[32:33], v[8:9]
	v_cvt_f32_f64_e32 v36, v[36:37]
	v_cvt_f32_f64_e32 v37, v[38:39]
	;; [unrolled: 1-line block ×4, first 2 shown]
	v_min3_f32 v36, v36, v37, v151
	v_min_f32_e32 v32, v32, v33
	v_min3_f32 v32, v40, v32, v36
	v_cvt_f64_f32_e32 v[32:33], v32
	v_lshl_add_u64 v[34:35], v[136:137], 3, v[72:73]
	flat_store_dwordx2 v[34:35], v[32:33]
	s_or_b64 exec, exec, s[2:3]
	s_and_b64 s[4:5], s[12:13], s[18:19]
	s_and_saveexec_b64 s[2:3], s[4:5]
	s_cbranch_execz .LBB127_337
.LBB127_360:
	s_and_b64 vcc, exec, s[0:1]
	s_cbranch_vccnz .LBB127_362
; %bb.361:
	v_lshl_add_u64 v[32:33], v[138:139], 3, v[74:75]
	flat_load_dwordx2 v[32:33], v[32:33]
	s_waitcnt vmcnt(0) lgkmcnt(0)
	v_mul_f64 v[32:33], s[22:23], v[32:33]
	v_cvt_f32_f64_e32 v32, v[32:33]
	s_branch .LBB127_363
.LBB127_362:
	v_mov_b32_e32 v32, 0
.LBB127_363:
	v_add_f64 v[30:31], v[30:31], v[14:15]
	v_add_f64 v[28:29], v[28:29], v[12:13]
	v_add_f64 v[26:27], v[26:27], v[10:11]
	v_add_f64 v[24:25], v[24:25], v[8:9]
	v_cvt_f32_f64_e32 v28, v[28:29]
	v_cvt_f32_f64_e32 v29, v[30:31]
	;; [unrolled: 1-line block ×4, first 2 shown]
	v_min3_f32 v28, v28, v29, v150
	v_min_f32_e32 v24, v24, v25
	v_min3_f32 v24, v32, v24, v28
	v_cvt_f64_f32_e32 v[24:25], v24
	v_lshl_add_u64 v[26:27], v[138:139], 3, v[72:73]
	flat_store_dwordx2 v[26:27], v[24:25]
	s_or_b64 exec, exec, s[2:3]
	s_and_b64 s[4:5], s[14:15], s[18:19]
	s_and_saveexec_b64 s[2:3], s[4:5]
	s_cbranch_execz .LBB127_338
.LBB127_364:
	s_and_b64 vcc, exec, s[0:1]
	s_cbranch_vccnz .LBB127_366
; %bb.365:
	v_lshl_add_u64 v[24:25], v[140:141], 3, v[74:75]
	flat_load_dwordx2 v[24:25], v[24:25]
	s_waitcnt vmcnt(0) lgkmcnt(0)
	v_mul_f64 v[24:25], s[22:23], v[24:25]
	v_cvt_f32_f64_e32 v24, v[24:25]
	s_branch .LBB127_367
.LBB127_366:
	v_mov_b32_e32 v24, 0
.LBB127_367:
	v_add_f64 v[22:23], v[22:23], v[14:15]
	v_add_f64 v[20:21], v[20:21], v[12:13]
	;; [unrolled: 1-line block ×4, first 2 shown]
	v_cvt_f32_f64_e32 v20, v[20:21]
	v_cvt_f32_f64_e32 v21, v[22:23]
	;; [unrolled: 1-line block ×4, first 2 shown]
	v_min3_f32 v20, v20, v21, v149
	v_min_f32_e32 v16, v16, v17
	v_min3_f32 v16, v24, v16, v20
	v_cvt_f64_f32_e32 v[16:17], v16
	v_lshl_add_u64 v[18:19], v[140:141], 3, v[72:73]
	flat_store_dwordx2 v[18:19], v[16:17]
	s_or_b64 exec, exec, s[2:3]
	s_and_b64 s[2:3], s[16:17], s[18:19]
	s_and_saveexec_b64 s[4:5], s[2:3]
	s_cbranch_execz .LBB127_339
.LBB127_368:
	s_and_b64 vcc, exec, s[0:1]
	s_cbranch_vccnz .LBB127_370
; %bb.369:
	v_lshl_add_u64 v[16:17], v[142:143], 3, v[74:75]
	flat_load_dwordx2 v[16:17], v[16:17]
	s_waitcnt vmcnt(0) lgkmcnt(0)
	v_mul_f64 v[16:17], s[22:23], v[16:17]
	v_cvt_f32_f64_e32 v16, v[16:17]
	s_branch .LBB127_371
.LBB127_370:
	v_mov_b32_e32 v16, 0
.LBB127_371:
	v_add_f64 v[6:7], v[6:7], v[14:15]
	v_add_f64 v[4:5], v[4:5], v[12:13]
	;; [unrolled: 1-line block ×4, first 2 shown]
	v_cvt_f32_f64_e32 v4, v[4:5]
	v_cvt_f32_f64_e32 v5, v[6:7]
	;; [unrolled: 1-line block ×4, first 2 shown]
	v_min3_f32 v4, v4, v5, v148
	v_min_f32_e32 v0, v0, v1
	v_min3_f32 v0, v16, v0, v4
	v_cvt_f64_f32_e32 v[0:1], v0
	v_lshl_add_u64 v[2:3], v[142:143], 3, v[72:73]
	flat_store_dwordx2 v[2:3], v[0:1]
	s_endpgm
	.section	.rodata,"a",@progbits
	.p2align	6, 0x0
	.amdhsa_kernel _ZN12_GLOBAL__N_120geam_min_plus_kernelId15HIP_vector_typeIdLj2EEdLi8ELi32ELi64ELi256ELi4ELi4ELi64ELi64ELi4ELc84ELc84ELb1ELb1ELb1EdKPKdKPdEEviiiT16_PT17_ilSA_ilS8_SA_ilPT18_ili26rocblas_geam_ex_operation_
		.amdhsa_group_segment_fixed_size 20480
		.amdhsa_private_segment_fixed_size 0
		.amdhsa_kernarg_size 136
		.amdhsa_user_sgpr_count 2
		.amdhsa_user_sgpr_dispatch_ptr 0
		.amdhsa_user_sgpr_queue_ptr 0
		.amdhsa_user_sgpr_kernarg_segment_ptr 1
		.amdhsa_user_sgpr_dispatch_id 0
		.amdhsa_user_sgpr_kernarg_preload_length 0
		.amdhsa_user_sgpr_kernarg_preload_offset 0
		.amdhsa_user_sgpr_private_segment_size 0
		.amdhsa_uses_dynamic_stack 0
		.amdhsa_enable_private_segment 0
		.amdhsa_system_sgpr_workgroup_id_x 1
		.amdhsa_system_sgpr_workgroup_id_y 0
		.amdhsa_system_sgpr_workgroup_id_z 1
		.amdhsa_system_sgpr_workgroup_info 0
		.amdhsa_system_vgpr_workitem_id 1
		.amdhsa_next_free_vgpr 230
		.amdhsa_next_free_sgpr 40
		.amdhsa_accum_offset 232
		.amdhsa_reserve_vcc 1
		.amdhsa_float_round_mode_32 0
		.amdhsa_float_round_mode_16_64 0
		.amdhsa_float_denorm_mode_32 3
		.amdhsa_float_denorm_mode_16_64 3
		.amdhsa_dx10_clamp 1
		.amdhsa_ieee_mode 1
		.amdhsa_fp16_overflow 0
		.amdhsa_tg_split 0
		.amdhsa_exception_fp_ieee_invalid_op 0
		.amdhsa_exception_fp_denorm_src 0
		.amdhsa_exception_fp_ieee_div_zero 0
		.amdhsa_exception_fp_ieee_overflow 0
		.amdhsa_exception_fp_ieee_underflow 0
		.amdhsa_exception_fp_ieee_inexact 0
		.amdhsa_exception_int_div_zero 0
	.end_amdhsa_kernel
	.section	.text._ZN12_GLOBAL__N_120geam_min_plus_kernelId15HIP_vector_typeIdLj2EEdLi8ELi32ELi64ELi256ELi4ELi4ELi64ELi64ELi4ELc84ELc84ELb1ELb1ELb1EdKPKdKPdEEviiiT16_PT17_ilSA_ilS8_SA_ilPT18_ili26rocblas_geam_ex_operation_,"axG",@progbits,_ZN12_GLOBAL__N_120geam_min_plus_kernelId15HIP_vector_typeIdLj2EEdLi8ELi32ELi64ELi256ELi4ELi4ELi64ELi64ELi4ELc84ELc84ELb1ELb1ELb1EdKPKdKPdEEviiiT16_PT17_ilSA_ilS8_SA_ilPT18_ili26rocblas_geam_ex_operation_,comdat
.Lfunc_end127:
	.size	_ZN12_GLOBAL__N_120geam_min_plus_kernelId15HIP_vector_typeIdLj2EEdLi8ELi32ELi64ELi256ELi4ELi4ELi64ELi64ELi4ELc84ELc84ELb1ELb1ELb1EdKPKdKPdEEviiiT16_PT17_ilSA_ilS8_SA_ilPT18_ili26rocblas_geam_ex_operation_, .Lfunc_end127-_ZN12_GLOBAL__N_120geam_min_plus_kernelId15HIP_vector_typeIdLj2EEdLi8ELi32ELi64ELi256ELi4ELi4ELi64ELi64ELi4ELc84ELc84ELb1ELb1ELb1EdKPKdKPdEEviiiT16_PT17_ilSA_ilS8_SA_ilPT18_ili26rocblas_geam_ex_operation_
                                        ; -- End function
	.set _ZN12_GLOBAL__N_120geam_min_plus_kernelId15HIP_vector_typeIdLj2EEdLi8ELi32ELi64ELi256ELi4ELi4ELi64ELi64ELi4ELc84ELc84ELb1ELb1ELb1EdKPKdKPdEEviiiT16_PT17_ilSA_ilS8_SA_ilPT18_ili26rocblas_geam_ex_operation_.num_vgpr, 230
	.set _ZN12_GLOBAL__N_120geam_min_plus_kernelId15HIP_vector_typeIdLj2EEdLi8ELi32ELi64ELi256ELi4ELi4ELi64ELi64ELi4ELc84ELc84ELb1ELb1ELb1EdKPKdKPdEEviiiT16_PT17_ilSA_ilS8_SA_ilPT18_ili26rocblas_geam_ex_operation_.num_agpr, 0
	.set _ZN12_GLOBAL__N_120geam_min_plus_kernelId15HIP_vector_typeIdLj2EEdLi8ELi32ELi64ELi256ELi4ELi4ELi64ELi64ELi4ELc84ELc84ELb1ELb1ELb1EdKPKdKPdEEviiiT16_PT17_ilSA_ilS8_SA_ilPT18_ili26rocblas_geam_ex_operation_.numbered_sgpr, 40
	.set _ZN12_GLOBAL__N_120geam_min_plus_kernelId15HIP_vector_typeIdLj2EEdLi8ELi32ELi64ELi256ELi4ELi4ELi64ELi64ELi4ELc84ELc84ELb1ELb1ELb1EdKPKdKPdEEviiiT16_PT17_ilSA_ilS8_SA_ilPT18_ili26rocblas_geam_ex_operation_.num_named_barrier, 0
	.set _ZN12_GLOBAL__N_120geam_min_plus_kernelId15HIP_vector_typeIdLj2EEdLi8ELi32ELi64ELi256ELi4ELi4ELi64ELi64ELi4ELc84ELc84ELb1ELb1ELb1EdKPKdKPdEEviiiT16_PT17_ilSA_ilS8_SA_ilPT18_ili26rocblas_geam_ex_operation_.private_seg_size, 0
	.set _ZN12_GLOBAL__N_120geam_min_plus_kernelId15HIP_vector_typeIdLj2EEdLi8ELi32ELi64ELi256ELi4ELi4ELi64ELi64ELi4ELc84ELc84ELb1ELb1ELb1EdKPKdKPdEEviiiT16_PT17_ilSA_ilS8_SA_ilPT18_ili26rocblas_geam_ex_operation_.uses_vcc, 1
	.set _ZN12_GLOBAL__N_120geam_min_plus_kernelId15HIP_vector_typeIdLj2EEdLi8ELi32ELi64ELi256ELi4ELi4ELi64ELi64ELi4ELc84ELc84ELb1ELb1ELb1EdKPKdKPdEEviiiT16_PT17_ilSA_ilS8_SA_ilPT18_ili26rocblas_geam_ex_operation_.uses_flat_scratch, 0
	.set _ZN12_GLOBAL__N_120geam_min_plus_kernelId15HIP_vector_typeIdLj2EEdLi8ELi32ELi64ELi256ELi4ELi4ELi64ELi64ELi4ELc84ELc84ELb1ELb1ELb1EdKPKdKPdEEviiiT16_PT17_ilSA_ilS8_SA_ilPT18_ili26rocblas_geam_ex_operation_.has_dyn_sized_stack, 0
	.set _ZN12_GLOBAL__N_120geam_min_plus_kernelId15HIP_vector_typeIdLj2EEdLi8ELi32ELi64ELi256ELi4ELi4ELi64ELi64ELi4ELc84ELc84ELb1ELb1ELb1EdKPKdKPdEEviiiT16_PT17_ilSA_ilS8_SA_ilPT18_ili26rocblas_geam_ex_operation_.has_recursion, 0
	.set _ZN12_GLOBAL__N_120geam_min_plus_kernelId15HIP_vector_typeIdLj2EEdLi8ELi32ELi64ELi256ELi4ELi4ELi64ELi64ELi4ELc84ELc84ELb1ELb1ELb1EdKPKdKPdEEviiiT16_PT17_ilSA_ilS8_SA_ilPT18_ili26rocblas_geam_ex_operation_.has_indirect_call, 0
	.section	.AMDGPU.csdata,"",@progbits
; Kernel info:
; codeLenInByte = 26344
; TotalNumSgprs: 46
; NumVgprs: 230
; NumAgprs: 0
; TotalNumVgprs: 230
; ScratchSize: 0
; MemoryBound: 0
; FloatMode: 240
; IeeeMode: 1
; LDSByteSize: 20480 bytes/workgroup (compile time only)
; SGPRBlocks: 5
; VGPRBlocks: 28
; NumSGPRsForWavesPerEU: 46
; NumVGPRsForWavesPerEU: 230
; AccumOffset: 232
; Occupancy: 2
; WaveLimiterHint : 1
; COMPUTE_PGM_RSRC2:SCRATCH_EN: 0
; COMPUTE_PGM_RSRC2:USER_SGPR: 2
; COMPUTE_PGM_RSRC2:TRAP_HANDLER: 0
; COMPUTE_PGM_RSRC2:TGID_X_EN: 1
; COMPUTE_PGM_RSRC2:TGID_Y_EN: 0
; COMPUTE_PGM_RSRC2:TGID_Z_EN: 1
; COMPUTE_PGM_RSRC2:TIDIG_COMP_CNT: 1
; COMPUTE_PGM_RSRC3_GFX90A:ACCUM_OFFSET: 57
; COMPUTE_PGM_RSRC3_GFX90A:TG_SPLIT: 0
	.section	.text._ZN12_GLOBAL__N_120geam_min_plus_kernelId15HIP_vector_typeIdLj2EEdLi8ELi32ELi64ELi256ELi4ELi4ELi64ELi64ELi4ELc84ELc84ELb0ELb1ELb1EdKPKdKPdEEviiiT16_PT17_ilSA_ilS8_SA_ilPT18_ili26rocblas_geam_ex_operation_,"axG",@progbits,_ZN12_GLOBAL__N_120geam_min_plus_kernelId15HIP_vector_typeIdLj2EEdLi8ELi32ELi64ELi256ELi4ELi4ELi64ELi64ELi4ELc84ELc84ELb0ELb1ELb1EdKPKdKPdEEviiiT16_PT17_ilSA_ilS8_SA_ilPT18_ili26rocblas_geam_ex_operation_,comdat
	.globl	_ZN12_GLOBAL__N_120geam_min_plus_kernelId15HIP_vector_typeIdLj2EEdLi8ELi32ELi64ELi256ELi4ELi4ELi64ELi64ELi4ELc84ELc84ELb0ELb1ELb1EdKPKdKPdEEviiiT16_PT17_ilSA_ilS8_SA_ilPT18_ili26rocblas_geam_ex_operation_ ; -- Begin function _ZN12_GLOBAL__N_120geam_min_plus_kernelId15HIP_vector_typeIdLj2EEdLi8ELi32ELi64ELi256ELi4ELi4ELi64ELi64ELi4ELc84ELc84ELb0ELb1ELb1EdKPKdKPdEEviiiT16_PT17_ilSA_ilS8_SA_ilPT18_ili26rocblas_geam_ex_operation_
	.p2align	8
	.type	_ZN12_GLOBAL__N_120geam_min_plus_kernelId15HIP_vector_typeIdLj2EEdLi8ELi32ELi64ELi256ELi4ELi4ELi64ELi64ELi4ELc84ELc84ELb0ELb1ELb1EdKPKdKPdEEviiiT16_PT17_ilSA_ilS8_SA_ilPT18_ili26rocblas_geam_ex_operation_,@function
_ZN12_GLOBAL__N_120geam_min_plus_kernelId15HIP_vector_typeIdLj2EEdLi8ELi32ELi64ELi256ELi4ELi4ELi64ELi64ELi4ELc84ELc84ELb0ELb1ELb1EdKPKdKPdEEviiiT16_PT17_ilSA_ilS8_SA_ilPT18_ili26rocblas_geam_ex_operation_: ; @_ZN12_GLOBAL__N_120geam_min_plus_kernelId15HIP_vector_typeIdLj2EEdLi8ELi32ELi64ELi256ELi4ELi4ELi64ELi64ELi4ELc84ELc84ELb0ELb1ELb1EdKPKdKPdEEviiiT16_PT17_ilSA_ilS8_SA_ilPT18_ili26rocblas_geam_ex_operation_
; %bb.0:
	s_load_dwordx4 s[16:19], s[0:1], 0x10
	s_load_dwordx4 s[4:7], s[0:1], 0x28
	s_mov_b32 s8, s3
	s_mov_b64 s[34:35], 0
	s_waitcnt lgkmcnt(0)
	v_cmp_eq_f64_e64 s[12:13], s[16:17], 0
	s_and_b64 vcc, exec, s[12:13]
	s_cbranch_vccnz .LBB128_2
; %bb.1:
	s_mov_b32 s9, 0
	s_lshl_b64 s[10:11], s[8:9], 3
	s_add_u32 s10, s18, s10
	s_addc_u32 s11, s19, s11
	s_load_dwordx2 s[10:11], s[10:11], 0x0
	s_lshl_b64 s[4:5], s[4:5], 3
	s_waitcnt lgkmcnt(0)
	s_add_u32 s34, s10, s4
	s_addc_u32 s35, s11, s5
.LBB128_2:
	s_load_dwordx4 s[20:23], s[0:1], 0x40
	s_load_dwordx2 s[10:11], s[0:1], 0x50
	s_andn2_b64 vcc, exec, s[12:13]
	s_mov_b32 s9, 0
	s_cbranch_vccnz .LBB128_4
; %bb.3:
	s_mov_b64 s[28:29], 0
	s_mov_b64 s[18:19], 0
	s_cbranch_execz .LBB128_5
	s_branch .LBB128_6
.LBB128_4:
	s_mov_b64 s[28:29], 0
	s_mov_b64 s[18:19], 0
.LBB128_5:
	s_lshl_b64 s[4:5], s[8:9], 3
	s_add_u32 s4, s6, s4
	s_addc_u32 s5, s7, s5
	s_load_dwordx2 s[4:5], s[4:5], 0x0
	s_waitcnt lgkmcnt(0)
	s_lshl_b64 s[6:7], s[20:21], 3
	s_add_u32 s18, s4, s6
	s_addc_u32 s19, s5, s7
.LBB128_6:
	s_load_dwordx4 s[4:7], s[0:1], 0x60
	s_waitcnt lgkmcnt(0)
	v_cmp_eq_f64_e64 s[12:13], s[22:23], 0
	v_cmp_neq_f64_e64 s[14:15], s[22:23], 0
	s_and_b64 vcc, exec, s[12:13]
	s_cbranch_vccnz .LBB128_8
; %bb.7:
	s_lshl_b64 s[12:13], s[8:9], 3
	s_add_u32 s10, s10, s12
	s_addc_u32 s11, s11, s13
	s_load_dwordx2 s[10:11], s[10:11], 0x0
	s_lshl_b64 s[4:5], s[4:5], 3
	s_waitcnt lgkmcnt(0)
	s_add_u32 s28, s10, s4
	s_addc_u32 s29, s11, s5
.LBB128_8:
	s_load_dwordx4 s[24:27], s[0:1], 0x0
	s_load_dword s37, s[0:1], 0x20
	s_lshl_b64 s[4:5], s[8:9], 3
	s_add_u32 s30, s6, s4
	s_addc_u32 s31, s7, s5
	s_waitcnt lgkmcnt(0)
	s_add_i32 s3, s24, -1
	s_ashr_i32 s4, s3, 31
	s_lshr_b32 s4, s4, 26
	s_add_i32 s3, s3, s4
	s_ashr_i32 s3, s3, 6
	s_add_i32 s4, s3, 1
	v_cvt_f32_u32_e32 v1, s4
	v_and_b32_e32 v144, 0x3ff, v0
	v_bfe_u32 v145, v0, 10, 10
	v_and_b32_e32 v146, 3, v0
	v_rcp_iflag_f32_e32 v1, v1
	s_not_b32 s3, s3
	v_lshl_add_u32 v2, v145, 3, v144
	v_lshrrev_b32_e32 v12, 2, v2
	v_mul_f32_e32 v0, 0x4f7ffffe, v1
	v_cvt_u32_f32_e32 v0, v0
	v_cmp_le_i32_e32 vcc, s26, v146
	v_cmp_eq_f64_e64 s[20:21], s[16:17], 0
	v_readfirstlane_b32 s5, v0
	s_mul_i32 s3, s3, s5
	s_mul_hi_u32 s3, s5, s3
	s_add_i32 s5, s5, s3
	s_mul_hi_u32 s3, s2, s5
	s_mul_i32 s5, s3, s4
	s_sub_i32 s5, s2, s5
	s_add_i32 s6, s3, 1
	s_sub_i32 s7, s5, s4
	s_cmp_ge_u32 s5, s4
	s_cselect_b32 s3, s6, s3
	s_cselect_b32 s5, s7, s5
	s_add_i32 s6, s3, 1
	s_cmp_ge_u32 s5, s4
	s_cselect_b32 s6, s6, s3
	s_mul_i32 s3, s6, s4
	s_sub_i32 s2, s2, s3
	s_lshl_b32 s27, s2, 6
	v_add_u32_e32 v110, s27, v12
	v_cmp_le_i32_e64 s[2:3], s24, v110
	s_or_b64 vcc, vcc, s[2:3]
	s_nor_b64 s[4:5], s[20:21], vcc
                                        ; implicit-def: $vgpr0_vgpr1
                                        ; implicit-def: $sgpr7
	s_and_saveexec_b64 s[8:9], s[4:5]
	s_xor_b64 s[4:5], exec, s[8:9]
	s_cbranch_execz .LBB128_10
; %bb.9:
	s_add_i32 s7, s26, -1
	v_mad_i64_i32 v[0:1], s[8:9], v110, s37, 0
	v_min_u32_e32 v3, s7, v146
	v_lshl_add_u64 v[0:1], v[0:1], 3, s[34:35]
	v_lshlrev_b32_e32 v4, 3, v3
	v_mov_b32_e32 v5, 0
	v_lshl_add_u64 v[0:1], v[0:1], 0, v[4:5]
	flat_load_dwordx2 v[0:1], v[0:1]
	s_waitcnt vmcnt(0) lgkmcnt(0)
	v_mul_f64 v[0:1], s[16:17], v[0:1]
.LBB128_10:
	s_or_saveexec_b64 s[4:5], s[4:5]
	v_mov_b32_e32 v3, s7
	s_xor_b64 exec, exec, s[4:5]
; %bb.11:
	v_mov_b32_e32 v0, 0x7fefffff
	s_add_i32 s7, s26, -1
	v_cndmask_b32_e32 v1, 0, v0, vcc
	v_cndmask_b32_e64 v0, 0, -1, vcc
	v_mov_b32_e32 v3, s7
; %bb.12:
	s_or_b64 exec, exec, s[4:5]
	s_load_dword s36, s[0:1], 0x38
	v_lshrrev_b32_e32 v147, 6, v2
	v_and_b32_e32 v13, 63, v2
	s_lshl_b32 s33, s6, 8
	v_min_i32_e32 v2, v147, v3
	v_or_b32_e32 v128, s33, v13
	s_waitcnt lgkmcnt(0)
	v_mad_i64_i32 v[2:3], s[4:5], v2, s36, 0
	v_cmp_le_i32_e32 vcc, s26, v147
	v_cmp_le_i32_e64 s[4:5], s25, v128
	v_mov_b32_e32 v4, 0x7fefffff
	s_or_b64 s[6:7], s[4:5], vcc
	v_lshl_add_u64 v[10:11], v[2:3], 3, s[18:19]
	v_cndmask_b32_e64 v3, 0, v4, s[6:7]
	s_nor_b64 s[8:9], s[20:21], s[6:7]
	v_cndmask_b32_e64 v2, 0, -1, s[6:7]
	v_ashrrev_i32_e32 v129, 31, v128
	s_and_saveexec_b64 s[6:7], s[8:9]
	s_cbranch_execz .LBB128_14
; %bb.13:
	v_lshl_add_u64 v[2:3], v[128:129], 3, v[10:11]
	flat_load_dwordx2 v[2:3], v[2:3]
	s_waitcnt vmcnt(0) lgkmcnt(0)
	v_mul_f64 v[2:3], s[16:17], v[2:3]
.LBB128_14:
	s_or_b64 exec, exec, s[6:7]
	v_or_b32_e32 v5, 64, v128
	v_cmp_le_i32_e64 s[6:7], s25, v5
	s_or_b64 s[8:9], s[6:7], vcc
	v_cndmask_b32_e64 v5, 0, v4, s[8:9]
	s_nor_b64 s[10:11], s[20:21], s[8:9]
	v_cndmask_b32_e64 v4, 0, -1, s[8:9]
	s_and_saveexec_b64 s[8:9], s[10:11]
	s_cbranch_execz .LBB128_16
; %bb.15:
	v_lshl_add_u64 v[4:5], v[128:129], 3, v[10:11]
	flat_load_dwordx2 v[4:5], v[4:5] offset:512
	s_waitcnt vmcnt(0) lgkmcnt(0)
	v_mul_f64 v[4:5], s[16:17], v[4:5]
.LBB128_16:
	s_or_b64 exec, exec, s[8:9]
	v_or_b32_e32 v6, 0x80, v128
	v_cmp_le_i32_e64 s[8:9], s25, v6
	v_mov_b32_e32 v8, 0x7fefffff
	s_or_b64 s[10:11], s[8:9], vcc
	v_cndmask_b32_e64 v7, 0, v8, s[10:11]
	s_nor_b64 s[12:13], s[20:21], s[10:11]
	v_cndmask_b32_e64 v6, 0, -1, s[10:11]
	s_and_saveexec_b64 s[10:11], s[12:13]
	s_cbranch_execz .LBB128_18
; %bb.17:
	v_lshl_add_u64 v[6:7], v[128:129], 3, v[10:11]
	flat_load_dwordx2 v[6:7], v[6:7] offset:1024
	s_waitcnt vmcnt(0) lgkmcnt(0)
	v_mul_f64 v[6:7], s[16:17], v[6:7]
.LBB128_18:
	s_or_b64 exec, exec, s[10:11]
	v_or_b32_e32 v9, 0xc0, v128
	v_cmp_le_i32_e64 s[10:11], s25, v9
	s_or_b64 vcc, s[10:11], vcc
	v_cndmask_b32_e32 v9, 0, v8, vcc
	s_nor_b64 s[38:39], s[20:21], vcc
	v_cndmask_b32_e64 v8, 0, -1, vcc
	s_and_saveexec_b64 s[12:13], s[38:39]
	s_cbranch_execz .LBB128_20
; %bb.19:
	v_lshl_add_u64 v[8:9], v[128:129], 3, v[10:11]
	flat_load_dwordx2 v[8:9], v[8:9] offset:1536
	s_waitcnt vmcnt(0) lgkmcnt(0)
	v_mul_f64 v[8:9], s[16:17], v[8:9]
.LBB128_20:
	s_or_b64 exec, exec, s[12:13]
	v_or_b32_e32 v10, 4, v146
	v_cmp_le_i32_e32 vcc, s26, v10
	s_or_b64 vcc, vcc, s[2:3]
	s_nor_b64 s[12:13], s[20:21], vcc
                                        ; implicit-def: $vgpr100_vgpr101
                                        ; implicit-def: $sgpr38
	s_and_saveexec_b64 s[40:41], s[12:13]
	s_xor_b64 s[12:13], exec, s[40:41]
	s_cbranch_execz .LBB128_22
; %bb.21:
	v_mad_i64_i32 v[14:15], s[38:39], v110, s37, 0
	s_add_i32 s38, s26, -1
	s_nop 0
	v_min_u32_e32 v10, s38, v10
	v_lshl_add_u64 v[14:15], v[14:15], 3, s[34:35]
	v_lshlrev_b32_e32 v10, 3, v10
	v_mov_b32_e32 v11, 0
	v_lshl_add_u64 v[10:11], v[14:15], 0, v[10:11]
	flat_load_dwordx2 v[10:11], v[10:11]
	s_waitcnt vmcnt(0) lgkmcnt(0)
	v_mul_f64 v[100:101], s[16:17], v[10:11]
.LBB128_22:
	s_or_saveexec_b64 s[12:13], s[12:13]
	v_mov_b32_e32 v10, s38
	s_xor_b64 exec, exec, s[12:13]
; %bb.23:
	v_mov_b32_e32 v10, 0x7fefffff
	s_add_i32 s38, s26, -1
	v_cndmask_b32_e32 v101, 0, v10, vcc
	v_cndmask_b32_e64 v100, 0, -1, vcc
	v_mov_b32_e32 v10, s38
; %bb.24:
	s_or_b64 exec, exec, s[12:13]
	v_add_u32_e32 v11, 4, v147
	v_min_i32_e32 v10, v11, v10
	v_cmp_le_i32_e32 vcc, s26, v11
	v_mad_i64_i32 v[10:11], s[12:13], v10, s36, 0
	v_mov_b32_e32 v14, 0x7fefffff
	s_or_b64 s[12:13], s[4:5], vcc
	v_lshl_add_u64 v[10:11], v[10:11], 3, s[18:19]
	v_cndmask_b32_e64 v103, 0, v14, s[12:13]
	s_nor_b64 s[38:39], s[20:21], s[12:13]
	v_cndmask_b32_e64 v102, 0, -1, s[12:13]
	s_and_saveexec_b64 s[12:13], s[38:39]
	s_cbranch_execz .LBB128_26
; %bb.25:
	v_lshl_add_u64 v[16:17], v[128:129], 3, v[10:11]
	flat_load_dwordx2 v[16:17], v[16:17]
	s_waitcnt vmcnt(0) lgkmcnt(0)
	v_mul_f64 v[102:103], s[16:17], v[16:17]
.LBB128_26:
	s_or_b64 exec, exec, s[12:13]
	s_or_b64 s[12:13], s[6:7], vcc
	v_cndmask_b32_e64 v105, 0, v14, s[12:13]
	s_nor_b64 s[38:39], s[20:21], s[12:13]
	v_cndmask_b32_e64 v104, 0, -1, s[12:13]
	s_and_saveexec_b64 s[12:13], s[38:39]
	s_cbranch_execz .LBB128_28
; %bb.27:
	v_lshl_add_u64 v[14:15], v[128:129], 3, v[10:11]
	flat_load_dwordx2 v[14:15], v[14:15] offset:512
	s_waitcnt vmcnt(0) lgkmcnt(0)
	v_mul_f64 v[104:105], s[16:17], v[14:15]
.LBB128_28:
	s_or_b64 exec, exec, s[12:13]
	v_mov_b32_e32 v14, 0x7fefffff
	s_or_b64 s[12:13], s[8:9], vcc
	v_cndmask_b32_e64 v107, 0, v14, s[12:13]
	s_nor_b64 s[38:39], s[20:21], s[12:13]
	v_cndmask_b32_e64 v106, 0, -1, s[12:13]
	s_and_saveexec_b64 s[12:13], s[38:39]
	s_cbranch_execz .LBB128_30
; %bb.29:
	v_lshl_add_u64 v[16:17], v[128:129], 3, v[10:11]
	flat_load_dwordx2 v[16:17], v[16:17] offset:1024
	s_waitcnt vmcnt(0) lgkmcnt(0)
	v_mul_f64 v[106:107], s[16:17], v[16:17]
.LBB128_30:
	s_or_b64 exec, exec, s[12:13]
	s_or_b64 vcc, s[10:11], vcc
	v_cndmask_b32_e32 v109, 0, v14, vcc
	s_nor_b64 s[38:39], s[20:21], vcc
	v_cndmask_b32_e64 v108, 0, -1, vcc
	s_and_saveexec_b64 s[12:13], s[38:39]
	s_cbranch_execz .LBB128_32
; %bb.31:
	v_lshl_add_u64 v[10:11], v[128:129], 3, v[10:11]
	flat_load_dwordx2 v[10:11], v[10:11] offset:1536
	s_waitcnt vmcnt(0) lgkmcnt(0)
	v_mul_f64 v[108:109], s[16:17], v[10:11]
.LBB128_32:
	s_or_b64 exec, exec, s[12:13]
	v_lshlrev_b32_e32 v10, 3, v146
	v_lshl_or_b32 v111, v12, 5, v10
	ds_write_b64 v111, v[0:1] offset:16384
	v_lshlrev_b32_e32 v0, 5, v13
	v_lshl_add_u32 v165, v147, 3, v0
	v_lshlrev_b32_e32 v159, 5, v144
	s_load_dwordx2 s[30:31], s[30:31], 0x0
	ds_write2st64_b64 v165, v[2:3], v[4:5] offset1:4
	ds_write2st64_b64 v165, v[6:7], v[8:9] offset0:8 offset1:12
	s_waitcnt lgkmcnt(0)
	s_barrier
	v_lshlrev_b32_e32 v158, 5, v145
	ds_read_b128 v[32:35], v159 offset:16640
	ds_read_b128 v[28:31], v159 offset:16896
	;; [unrolled: 1-line block ×13, first 2 shown]
	ds_read_b128 v[96:99], v158
	ds_read_b128 v[44:47], v158 offset:6144
	ds_read_b128 v[36:39], v158 offset:7168
	;; [unrolled: 1-line block ×4, first 2 shown]
	s_waitcnt lgkmcnt(5)
	v_add_f64 v[114:115], v[42:43], v[94:95]
	v_add_f64 v[116:117], v[40:41], v[92:93]
	s_mov_b32 s12, 0x7f800000
	v_cvt_f32_f64_e32 v113, v[116:117]
	v_cvt_f32_f64_e32 v114, v[114:115]
	v_min3_f32 v179, v113, v114, s12
	v_add_f64 v[114:115], v[34:35], v[94:95]
	v_add_f64 v[116:117], v[32:33], v[92:93]
	v_cvt_f32_f64_e32 v113, v[116:117]
	v_cvt_f32_f64_e32 v114, v[114:115]
	v_min3_f32 v180, v113, v114, s12
	v_add_f64 v[114:115], v[30:31], v[94:95]
	v_add_f64 v[116:117], v[28:29], v[92:93]
	;; [unrolled: 5-line block ×34, first 2 shown]
	v_cvt_f32_f64_e32 v113, v[116:117]
	v_cvt_f32_f64_e32 v114, v[114:115]
	v_min3_f32 v119, v113, v114, s12
	s_waitcnt lgkmcnt(3)
	v_add_f64 v[114:115], v[42:43], v[46:47]
	v_add_f64 v[168:169], v[40:41], v[44:45]
	v_cvt_f32_f64_e32 v113, v[168:169]
	v_cvt_f32_f64_e32 v114, v[114:115]
	v_min3_f32 v125, v113, v114, s12
	v_add_f64 v[114:115], v[34:35], v[46:47]
	v_add_f64 v[168:169], v[32:33], v[44:45]
	v_cvt_f32_f64_e32 v113, v[168:169]
	v_cvt_f32_f64_e32 v114, v[114:115]
	v_min3_f32 v122, v113, v114, s12
	v_add_f64 v[114:115], v[30:31], v[46:47]
	v_add_f64 v[168:169], v[28:29], v[44:45]
	v_cvt_f32_f64_e32 v113, v[168:169]
	v_cvt_f32_f64_e32 v114, v[114:115]
	v_add_f64 v[56:57], v[42:43], v[98:99]
	v_add_f64 v[58:59], v[40:41], v[96:97]
	v_min3_f32 v120, v113, v114, s12
	v_add_f64 v[114:115], v[26:27], v[46:47]
	v_add_f64 v[168:169], v[24:25], v[44:45]
	v_cvt_f32_f64_e32 v58, v[58:59]
	v_cvt_f32_f64_e32 v56, v[56:57]
	;; [unrolled: 1-line block ×4, first 2 shown]
	v_min3_f32 v112, v58, v56, s12
	ds_read_b128 v[56:59], v159 offset:16656
	v_add_f64 v[60:61], v[34:35], v[98:99]
	v_add_f64 v[62:63], v[32:33], v[96:97]
	v_min3_f32 v118, v113, v114, s12
	v_add_f64 v[114:115], v[22:23], v[46:47]
	v_add_f64 v[168:169], v[20:21], v[44:45]
	v_cvt_f32_f64_e32 v62, v[62:63]
	v_cvt_f32_f64_e32 v60, v[60:61]
	;; [unrolled: 1-line block ×4, first 2 shown]
	v_add_f64 v[168:169], v[16:17], v[44:45]
	v_min3_f32 v172, v62, v60, s12
	ds_read_b128 v[60:63], v159 offset:16912
	v_add_f64 v[64:65], v[30:31], v[98:99]
	v_add_f64 v[66:67], v[28:29], v[96:97]
	;; [unrolled: 1-line block ×22, first 2 shown]
	v_min3_f32 v116, v113, v114, s12
	v_add_f64 v[114:115], v[18:19], v[46:47]
	v_cvt_f32_f64_e32 v113, v[168:169]
	v_add_f64 v[168:169], v[14:15], v[46:47]
	v_add_f64 v[170:171], v[12:13], v[44:45]
	;; [unrolled: 1-line block ×4, first 2 shown]
	s_waitcnt lgkmcnt(4)
	v_add_f64 v[14:15], v[14:15], v[38:39]
	v_add_f64 v[12:13], v[12:13], v[36:37]
	;; [unrolled: 1-line block ×4, first 2 shown]
	v_cvt_f32_f64_e32 v66, v[66:67]
	v_cvt_f32_f64_e32 v64, v[64:65]
	;; [unrolled: 1-line block ×7, first 2 shown]
	s_waitcnt lgkmcnt(2)
	v_add_f64 v[10:11], v[2:3], v[6:7]
	v_add_f64 v[14:15], v[0:1], v[4:5]
	v_min3_f32 v173, v66, v64, s12
	ds_read_b128 v[64:67], v159 offset:17168
	v_min3_f32 v115, v113, v114, s12
	v_cvt_f32_f64_e32 v113, v[170:171]
	v_cvt_f32_f64_e32 v114, v[168:169]
	;; [unrolled: 1-line block ×4, first 2 shown]
	v_min3_f32 v8, v8, v9, s12
	v_cvt_f32_f64_e32 v9, v[14:15]
	v_cvt_f32_f64_e32 v10, v[10:11]
	;; [unrolled: 1-line block ×4, first 2 shown]
	v_min3_f32 v114, v113, v114, s12
	v_min3_f32 v113, v44, v45, s12
	ds_read_b128 v[44:47], v158 offset:7184
	v_min3_f32 v221, v9, v10, v112
	s_waitcnt lgkmcnt(3)
	v_add_f64 v[10:11], v[58:59], v[6:7]
	v_add_f64 v[14:15], v[56:57], v[4:5]
	v_min3_f32 v174, v70, v68, s12
	ds_read_b128 v[68:71], v159 offset:17424
	v_cvt_f32_f64_e32 v9, v[14:15]
	v_cvt_f32_f64_e32 v10, v[10:11]
	;; [unrolled: 1-line block ×4, first 2 shown]
	v_min3_f32 v220, v9, v10, v172
	s_waitcnt lgkmcnt(3)
	v_add_f64 v[10:11], v[62:63], v[6:7]
	v_add_f64 v[14:15], v[60:61], v[4:5]
	v_min3_f32 v175, v74, v72, s12
	ds_read_b128 v[72:75], v159 offset:17680
	v_cvt_f32_f64_e32 v9, v[14:15]
	v_cvt_f32_f64_e32 v10, v[10:11]
	;; [unrolled: 1-line block ×6, first 2 shown]
	v_min3_f32 v219, v9, v10, v173
	s_waitcnt lgkmcnt(3)
	v_add_f64 v[10:11], v[66:67], v[6:7]
	v_add_f64 v[14:15], v[64:65], v[4:5]
	v_min3_f32 v176, v78, v76, s12
	ds_read_b128 v[76:79], v159 offset:17936
	v_min3_f32 v177, v82, v80, s12
	ds_read_b128 v[80:83], v159 offset:18192
	v_cvt_f32_f64_e32 v9, v[14:15]
	v_cvt_f32_f64_e32 v10, v[10:11]
	v_cvt_f32_f64_e32 v96, v[96:97]
	v_cvt_f32_f64_e32 v97, v[98:99]
	v_min3_f32 v218, v9, v10, v174
	s_waitcnt lgkmcnt(3)
	v_add_f64 v[10:11], v[70:71], v[6:7]
	v_add_f64 v[14:15], v[68:69], v[4:5]
	v_min3_f32 v178, v96, v97, s12
	ds_read_b128 v[96:99], v158 offset:1040
	v_cvt_f32_f64_e32 v9, v[14:15]
	v_cvt_f32_f64_e32 v10, v[10:11]
	v_min3_f32 v217, v9, v10, v175
	s_waitcnt lgkmcnt(3)
	v_add_f64 v[10:11], v[74:75], v[6:7]
	v_add_f64 v[14:15], v[72:73], v[4:5]
	v_cvt_f32_f64_e32 v9, v[14:15]
	v_cvt_f32_f64_e32 v10, v[10:11]
	v_min3_f32 v209, v9, v10, v176
	s_waitcnt lgkmcnt(2)
	v_add_f64 v[10:11], v[78:79], v[6:7]
	v_add_f64 v[14:15], v[76:77], v[4:5]
	s_waitcnt lgkmcnt(1)
	v_add_f64 v[6:7], v[82:83], v[6:7]
	v_add_f64 v[4:5], v[80:81], v[4:5]
	v_cvt_f32_f64_e32 v92, v[92:93]
	v_cvt_f32_f64_e32 v93, v[94:95]
	;; [unrolled: 1-line block ×4, first 2 shown]
	v_min3_f32 v154, v92, v93, s12
	ds_read_b128 v[92:95], v158 offset:2064
	v_min3_f32 v207, v4, v5, v178
	s_waitcnt lgkmcnt(1)
	v_add_f64 v[4:5], v[2:3], v[98:99]
	v_add_f64 v[6:7], v[0:1], v[96:97]
	v_cvt_f32_f64_e32 v6, v[6:7]
	v_cvt_f32_f64_e32 v4, v[4:5]
	v_min3_f32 v206, v6, v4, v179
	v_add_f64 v[4:5], v[58:59], v[98:99]
	v_add_f64 v[6:7], v[56:57], v[96:97]
	v_cvt_f32_f64_e32 v6, v[6:7]
	v_cvt_f32_f64_e32 v4, v[4:5]
	v_min3_f32 v205, v6, v4, v180
	v_add_f64 v[4:5], v[62:63], v[98:99]
	v_add_f64 v[6:7], v[60:61], v[96:97]
	v_cvt_f32_f64_e32 v6, v[6:7]
	v_cvt_f32_f64_e32 v4, v[4:5]
	v_min3_f32 v204, v6, v4, v167
	v_add_f64 v[4:5], v[66:67], v[98:99]
	v_add_f64 v[6:7], v[64:65], v[96:97]
	v_cvt_f32_f64_e32 v6, v[6:7]
	v_cvt_f32_f64_e32 v4, v[4:5]
	v_min3_f32 v203, v6, v4, v166
	v_add_f64 v[4:5], v[70:71], v[98:99]
	v_add_f64 v[6:7], v[68:69], v[96:97]
	v_cvt_f32_f64_e32 v6, v[6:7]
	v_cvt_f32_f64_e32 v4, v[4:5]
	v_min3_f32 v202, v6, v4, v163
	v_add_f64 v[4:5], v[74:75], v[98:99]
	v_add_f64 v[6:7], v[72:73], v[96:97]
	v_cvt_f32_f64_e32 v6, v[6:7]
	v_cvt_f32_f64_e32 v4, v[4:5]
	v_min3_f32 v201, v6, v4, v161
	v_add_f64 v[4:5], v[78:79], v[98:99]
	v_add_f64 v[6:7], v[76:77], v[96:97]
	v_cvt_f32_f64_e32 v6, v[6:7]
	v_cvt_f32_f64_e32 v4, v[4:5]
	v_min3_f32 v200, v6, v4, v157
	v_add_f64 v[4:5], v[82:83], v[98:99]
	v_add_f64 v[6:7], v[80:81], v[96:97]
	v_cvt_f32_f64_e32 v6, v[6:7]
	v_cvt_f32_f64_e32 v4, v[4:5]
	v_min3_f32 v199, v6, v4, v154
	s_waitcnt lgkmcnt(0)
	v_add_f64 v[4:5], v[2:3], v[94:95]
	v_add_f64 v[6:7], v[0:1], v[92:93]
	v_cvt_f32_f64_e32 v6, v[6:7]
	v_cvt_f32_f64_e32 v4, v[4:5]
	v_min3_f32 v198, v6, v4, v164
	v_add_f64 v[4:5], v[58:59], v[94:95]
	v_add_f64 v[6:7], v[56:57], v[92:93]
	v_cvt_f32_f64_e32 v6, v[6:7]
	v_cvt_f32_f64_e32 v4, v[4:5]
	v_min3_f32 v197, v6, v4, v162
	;; [unrolled: 5-line block ×4, first 2 shown]
	v_add_f64 v[4:5], v[70:71], v[94:95]
	v_add_f64 v[6:7], v[68:69], v[92:93]
	v_cvt_f32_f64_e32 v6, v[6:7]
	v_cvt_f32_f64_e32 v4, v[4:5]
	;; [unrolled: 1-line block ×4, first 2 shown]
	v_min3_f32 v194, v6, v4, v153
	v_add_f64 v[4:5], v[74:75], v[94:95]
	v_add_f64 v[6:7], v[72:73], v[92:93]
	v_min3_f32 v142, v88, v89, s12
	ds_read_b128 v[88:91], v158 offset:3088
	v_cvt_f32_f64_e32 v6, v[6:7]
	v_cvt_f32_f64_e32 v4, v[4:5]
	v_min3_f32 v193, v6, v4, v151
	v_add_f64 v[4:5], v[78:79], v[94:95]
	v_add_f64 v[6:7], v[76:77], v[92:93]
	v_cvt_f32_f64_e32 v6, v[6:7]
	v_cvt_f32_f64_e32 v4, v[4:5]
	v_min3_f32 v192, v6, v4, v149
	v_add_f64 v[4:5], v[82:83], v[94:95]
	v_add_f64 v[6:7], v[80:81], v[92:93]
	v_cvt_f32_f64_e32 v84, v[84:85]
	v_cvt_f32_f64_e32 v85, v[86:87]
	;; [unrolled: 1-line block ×4, first 2 shown]
	v_min3_f32 v134, v84, v85, s12
	ds_read_b128 v[84:87], v158 offset:4112
	v_min3_f32 v191, v6, v4, v142
	s_waitcnt lgkmcnt(1)
	v_add_f64 v[4:5], v[2:3], v[90:91]
	v_add_f64 v[6:7], v[0:1], v[88:89]
	v_cvt_f32_f64_e32 v6, v[6:7]
	v_cvt_f32_f64_e32 v4, v[4:5]
	v_min3_f32 v190, v6, v4, v155
	v_add_f64 v[4:5], v[58:59], v[90:91]
	v_add_f64 v[6:7], v[56:57], v[88:89]
	v_cvt_f32_f64_e32 v6, v[6:7]
	v_cvt_f32_f64_e32 v4, v[4:5]
	v_min3_f32 v189, v6, v4, v152
	;; [unrolled: 5-line block ×8, first 2 shown]
	s_waitcnt lgkmcnt(0)
	v_add_f64 v[4:5], v[2:3], v[86:87]
	v_add_f64 v[6:7], v[0:1], v[84:85]
	v_cvt_f32_f64_e32 v6, v[6:7]
	v_cvt_f32_f64_e32 v4, v[4:5]
	v_min3_f32 v182, v6, v4, v143
	v_add_f64 v[4:5], v[58:59], v[86:87]
	v_add_f64 v[6:7], v[56:57], v[84:85]
	v_cvt_f32_f64_e32 v6, v[6:7]
	v_cvt_f32_f64_e32 v4, v[4:5]
	v_min3_f32 v181, v6, v4, v140
	;; [unrolled: 5-line block ×4, first 2 shown]
	v_add_f64 v[4:5], v[70:71], v[86:87]
	v_add_f64 v[6:7], v[68:69], v[84:85]
	v_cvt_f32_f64_e32 v6, v[6:7]
	v_cvt_f32_f64_e32 v4, v[4:5]
	;; [unrolled: 1-line block ×4, first 2 shown]
	v_min3_f32 v178, v6, v4, v133
	v_add_f64 v[4:5], v[74:75], v[86:87]
	v_add_f64 v[6:7], v[72:73], v[84:85]
	v_min3_f32 v124, v52, v53, s12
	ds_read_b128 v[52:55], v158 offset:5136
	v_cvt_f32_f64_e32 v9, v[14:15]
	v_cvt_f32_f64_e32 v10, v[10:11]
	;; [unrolled: 1-line block ×4, first 2 shown]
	v_min3_f32 v208, v9, v10, v177
	v_min3_f32 v177, v6, v4, v131
	v_add_f64 v[4:5], v[78:79], v[86:87]
	v_add_f64 v[6:7], v[76:77], v[84:85]
	v_cvt_f32_f64_e32 v6, v[6:7]
	v_cvt_f32_f64_e32 v4, v[4:5]
	v_min3_f32 v176, v6, v4, v127
	v_add_f64 v[4:5], v[82:83], v[86:87]
	v_add_f64 v[6:7], v[80:81], v[84:85]
	v_cvt_f32_f64_e32 v48, v[48:49]
	v_cvt_f32_f64_e32 v49, v[50:51]
	;; [unrolled: 1-line block ×4, first 2 shown]
	v_min3_f32 v117, v48, v49, s12
	ds_read_b128 v[48:51], v158 offset:6160
	v_min3_f32 v175, v6, v4, v124
	s_waitcnt lgkmcnt(1)
	v_add_f64 v[4:5], v[2:3], v[54:55]
	v_add_f64 v[6:7], v[0:1], v[52:53]
	v_cvt_f32_f64_e32 v6, v[6:7]
	v_cvt_f32_f64_e32 v4, v[4:5]
	v_min3_f32 v174, v6, v4, v135
	v_add_f64 v[4:5], v[58:59], v[54:55]
	v_add_f64 v[6:7], v[56:57], v[52:53]
	v_cvt_f32_f64_e32 v6, v[6:7]
	v_cvt_f32_f64_e32 v4, v[4:5]
	v_min3_f32 v173, v6, v4, v132
	;; [unrolled: 5-line block ×7, first 2 shown]
	v_add_f64 v[4:5], v[82:83], v[54:55]
	v_add_f64 v[6:7], v[80:81], v[52:53]
	;; [unrolled: 1-line block ×4, first 2 shown]
	v_cvt_f32_f64_e32 v6, v[6:7]
	v_cvt_f32_f64_e32 v4, v[4:5]
	;; [unrolled: 1-line block ×4, first 2 shown]
	v_min3_f32 v167, v6, v4, v117
	s_waitcnt lgkmcnt(0)
	v_add_f64 v[4:5], v[2:3], v[50:51]
	v_add_f64 v[6:7], v[0:1], v[48:49]
	;; [unrolled: 1-line block ×4, first 2 shown]
	v_min3_f32 v40, v40, v41, s12
	v_add_f64 v[34:35], v[34:35], v[38:39]
	v_add_f64 v[32:33], v[32:33], v[36:37]
	v_cvt_f32_f64_e32 v6, v[6:7]
	v_cvt_f32_f64_e32 v4, v[4:5]
	v_cvt_f32_f64_e32 v0, v[0:1]
	v_cvt_f32_f64_e32 v1, v[2:3]
	v_cvt_f32_f64_e32 v32, v[32:33]
	v_cvt_f32_f64_e32 v33, v[34:35]
	v_min3_f32 v166, v6, v4, v125
	v_add_f64 v[4:5], v[58:59], v[50:51]
	v_add_f64 v[6:7], v[56:57], v[48:49]
	v_min3_f32 v155, v0, v1, v40
	v_add_f64 v[0:1], v[58:59], v[46:47]
	v_add_f64 v[2:3], v[56:57], v[44:45]
	v_min3_f32 v32, v32, v33, s12
	v_add_f64 v[30:31], v[30:31], v[38:39]
	v_add_f64 v[28:29], v[28:29], v[36:37]
	v_cvt_f32_f64_e32 v6, v[6:7]
	v_cvt_f32_f64_e32 v4, v[4:5]
	v_cvt_f32_f64_e32 v2, v[2:3]
	v_cvt_f32_f64_e32 v0, v[0:1]
	v_cvt_f32_f64_e32 v28, v[28:29]
	v_cvt_f32_f64_e32 v29, v[30:31]
	v_min3_f32 v164, v6, v4, v122
	v_add_f64 v[4:5], v[62:63], v[50:51]
	v_add_f64 v[6:7], v[60:61], v[48:49]
	v_min3_f32 v154, v2, v0, v32
	v_add_f64 v[0:1], v[62:63], v[46:47]
	v_add_f64 v[2:3], v[60:61], v[44:45]
	;; [unrolled: 15-line block ×5, first 2 shown]
	v_min3_f32 v16, v16, v17, s12
	v_cvt_f32_f64_e32 v6, v[6:7]
	v_cvt_f32_f64_e32 v4, v[4:5]
	;; [unrolled: 1-line block ×4, first 2 shown]
	v_min3_f32 v160, v6, v4, v115
	v_add_f64 v[4:5], v[78:79], v[50:51]
	v_add_f64 v[6:7], v[76:77], v[48:49]
	v_min3_f32 v150, v2, v0, v16
	v_add_f64 v[0:1], v[78:79], v[46:47]
	v_add_f64 v[2:3], v[76:77], v[44:45]
	v_min3_f32 v12, v12, v13, s12
	v_cvt_f32_f64_e32 v6, v[6:7]
	v_cvt_f32_f64_e32 v4, v[4:5]
	;; [unrolled: 1-line block ×4, first 2 shown]
	v_min3_f32 v157, v6, v4, v114
	v_add_f64 v[4:5], v[82:83], v[50:51]
	v_add_f64 v[6:7], v[80:81], v[48:49]
	v_min3_f32 v149, v2, v0, v12
	v_add_f64 v[0:1], v[82:83], v[46:47]
	v_add_f64 v[2:3], v[80:81], v[44:45]
	v_cvt_f32_f64_e32 v6, v[6:7]
	v_cvt_f32_f64_e32 v4, v[4:5]
	;; [unrolled: 1-line block ×4, first 2 shown]
	v_min3_f32 v156, v6, v4, v113
	v_min3_f32 v148, v2, v0, v8
	s_cmp_lt_i32 s26, 9
	ds_write_b64 v111, v[100:101] offset:18432
	ds_write2st64_b64 v165, v[102:103], v[104:105] offset0:16 offset1:20
	ds_write2st64_b64 v165, v[106:107], v[108:109] offset0:24 offset1:28
	s_waitcnt lgkmcnt(0)
	s_barrier
	s_cbranch_scc1 .LBB128_59
; %bb.33:
	v_mov_b32_e32 v0, 0x4800
	v_lshl_add_u32 v214, v144, 5, v0
	v_mov_b32_e32 v0, 0x2000
	v_and_b32_e32 v2, 3, v144
	v_lshl_add_u32 v215, v145, 5, v0
	v_mad_i64_i32 v[0:1], s[12:13], s37, v110, 0
	v_lshlrev_b32_e32 v2, 3, v2
	v_mov_b32_e32 v3, 0
	v_lshl_add_u64 v[0:1], v[0:1], 3, v[2:3]
	v_lshl_add_u64 v[0:1], s[34:35], 0, v[0:1]
	s_mov_b64 s[12:13], 0x60
	v_add_u32_e32 v210, 0x4000, v111
	v_add_u32_e32 v211, 0x4000, v159
	;; [unrolled: 1-line block ×4, first 2 shown]
	s_add_i32 s38, s26, -8
	s_add_i32 s39, s26, -1
	v_lshl_add_u64 v[130:131], v[0:1], 0, s[12:13]
	s_mov_b32 s37, 0
	v_mov_b32_e32 v216, 0x7fefffff
	s_branch .LBB128_35
.LBB128_34:                             ;   in Loop: Header=BB128_35 Depth=1
	s_or_b64 exec, exec, s[12:13]
	v_add_f64 v[142:143], v[98:99], v[126:127]
	v_add_f64 v[222:223], v[96:97], v[124:125]
	v_cvt_f32_f64_e32 v222, v[222:223]
	v_cvt_f32_f64_e32 v142, v[142:143]
	v_min3_f32 v224, v222, v142, v221
	v_add_f64 v[142:143], v[94:95], v[126:127]
	v_add_f64 v[222:223], v[92:93], v[124:125]
	v_cvt_f32_f64_e32 v221, v[222:223]
	v_cvt_f32_f64_e32 v142, v[142:143]
	v_min3_f32 v222, v221, v142, v220
	;; [unrolled: 5-line block ×6, first 2 shown]
	v_add_f64 v[142:143], v[70:71], v[126:127]
	v_add_f64 v[218:219], v[68:69], v[124:125]
	v_add_f64 v[126:127], v[66:67], v[126:127]
	v_add_f64 v[124:125], v[64:65], v[124:125]
	v_cvt_f32_f64_e32 v124, v[124:125]
	v_cvt_f32_f64_e32 v125, v[126:127]
	;; [unrolled: 1-line block ×3, first 2 shown]
	v_min3_f32 v143, v124, v125, v207
	v_add_f64 v[124:125], v[98:99], v[122:123]
	v_add_f64 v[126:127], v[96:97], v[120:121]
	v_cvt_f32_f64_e32 v126, v[126:127]
	v_cvt_f32_f64_e32 v124, v[124:125]
	v_min3_f32 v206, v126, v124, v206
	v_add_f64 v[124:125], v[94:95], v[122:123]
	v_add_f64 v[126:127], v[92:93], v[120:121]
	v_cvt_f32_f64_e32 v126, v[126:127]
	v_cvt_f32_f64_e32 v124, v[124:125]
	;; [unrolled: 5-line block ×6, first 2 shown]
	v_min3_f32 v201, v126, v124, v201
	v_add_f64 v[124:125], v[70:71], v[122:123]
	v_add_f64 v[126:127], v[68:69], v[120:121]
	;; [unrolled: 1-line block ×4, first 2 shown]
	v_cvt_f32_f64_e32 v120, v[120:121]
	v_cvt_f32_f64_e32 v121, v[122:123]
	;; [unrolled: 1-line block ×3, first 2 shown]
	v_min3_f32 v125, v120, v121, v199
	v_add_f64 v[120:121], v[98:99], v[118:119]
	v_add_f64 v[122:123], v[96:97], v[116:117]
	v_cvt_f32_f64_e32 v126, v[126:127]
	v_cvt_f32_f64_e32 v122, v[122:123]
	;; [unrolled: 1-line block ×3, first 2 shown]
	v_min3_f32 v124, v126, v124, v200
	v_min3_f32 v126, v122, v120, v198
	v_add_f64 v[120:121], v[94:95], v[118:119]
	v_add_f64 v[122:123], v[92:93], v[116:117]
	v_cvt_f32_f64_e32 v122, v[122:123]
	v_cvt_f32_f64_e32 v120, v[120:121]
	v_min3_f32 v127, v122, v120, v197
	v_add_f64 v[120:121], v[90:91], v[118:119]
	v_add_f64 v[122:123], v[88:89], v[116:117]
	v_cvt_f32_f64_e32 v122, v[122:123]
	v_cvt_f32_f64_e32 v120, v[120:121]
	;; [unrolled: 5-line block ×5, first 2 shown]
	v_min3_f32 v193, v122, v120, v193
	v_add_f64 v[120:121], v[70:71], v[118:119]
	v_add_f64 v[122:123], v[68:69], v[116:117]
	v_add_f64 v[118:119], v[66:67], v[118:119]
	v_add_f64 v[116:117], v[64:65], v[116:117]
	v_cvt_f32_f64_e32 v116, v[116:117]
	v_cvt_f32_f64_e32 v117, v[118:119]
	v_cvt_f32_f64_e32 v120, v[120:121]
	v_min3_f32 v121, v116, v117, v191
	v_add_f64 v[116:117], v[98:99], v[114:115]
	v_add_f64 v[118:119], v[96:97], v[112:113]
	v_cvt_f32_f64_e32 v122, v[122:123]
	v_cvt_f32_f64_e32 v118, v[118:119]
	;; [unrolled: 1-line block ×3, first 2 shown]
	v_min3_f32 v120, v122, v120, v192
	v_min3_f32 v122, v118, v116, v190
	v_add_f64 v[116:117], v[94:95], v[114:115]
	v_add_f64 v[118:119], v[92:93], v[112:113]
	v_cvt_f32_f64_e32 v118, v[118:119]
	v_cvt_f32_f64_e32 v116, v[116:117]
	v_min3_f32 v123, v118, v116, v189
	v_add_f64 v[116:117], v[90:91], v[114:115]
	v_add_f64 v[118:119], v[88:89], v[112:113]
	v_cvt_f32_f64_e32 v118, v[118:119]
	v_cvt_f32_f64_e32 v116, v[116:117]
	v_min3_f32 v188, v118, v116, v188
	v_add_f64 v[116:117], v[82:83], v[114:115]
	v_add_f64 v[118:119], v[80:81], v[112:113]
	v_cvt_f32_f64_e32 v118, v[118:119]
	v_cvt_f32_f64_e32 v116, v[116:117]
	v_min3_f32 v187, v118, v116, v187
	v_add_f64 v[116:117], v[78:79], v[114:115]
	v_add_f64 v[118:119], v[76:77], v[112:113]
	v_cvt_f32_f64_e32 v118, v[118:119]
	v_cvt_f32_f64_e32 v116, v[116:117]
	v_min3_f32 v186, v118, v116, v186
	v_add_f64 v[116:117], v[74:75], v[114:115]
	v_add_f64 v[118:119], v[72:73], v[112:113]
	v_cvt_f32_f64_e32 v118, v[118:119]
	v_cvt_f32_f64_e32 v116, v[116:117]
	v_min3_f32 v185, v118, v116, v185
	v_add_f64 v[116:117], v[70:71], v[114:115]
	v_add_f64 v[118:119], v[68:69], v[112:113]
	v_add_f64 v[114:115], v[66:67], v[114:115]
	v_add_f64 v[112:113], v[64:65], v[112:113]
	v_cvt_f32_f64_e32 v112, v[112:113]
	v_cvt_f32_f64_e32 v113, v[114:115]
	v_min3_f32 v183, v112, v113, v183
	v_add_f64 v[112:113], v[98:99], v[110:111]
	v_add_f64 v[114:115], v[96:97], v[108:109]
	v_cvt_f32_f64_e32 v114, v[114:115]
	v_cvt_f32_f64_e32 v112, v[112:113]
	v_min3_f32 v182, v114, v112, v182
	v_add_f64 v[112:113], v[94:95], v[110:111]
	v_add_f64 v[114:115], v[92:93], v[108:109]
	v_cvt_f32_f64_e32 v114, v[114:115]
	v_cvt_f32_f64_e32 v112, v[112:113]
	v_min3_f32 v181, v114, v112, v181
	v_add_f64 v[112:113], v[90:91], v[110:111]
	v_add_f64 v[114:115], v[88:89], v[108:109]
	v_cvt_f32_f64_e32 v114, v[114:115]
	v_cvt_f32_f64_e32 v112, v[112:113]
	v_min3_f32 v180, v114, v112, v180
	v_add_f64 v[112:113], v[82:83], v[110:111]
	v_add_f64 v[114:115], v[80:81], v[108:109]
	v_cvt_f32_f64_e32 v114, v[114:115]
	v_cvt_f32_f64_e32 v112, v[112:113]
	v_min3_f32 v179, v114, v112, v179
	v_add_f64 v[112:113], v[78:79], v[110:111]
	v_add_f64 v[114:115], v[76:77], v[108:109]
	v_cvt_f32_f64_e32 v114, v[114:115]
	v_cvt_f32_f64_e32 v112, v[112:113]
	v_min3_f32 v178, v114, v112, v178
	v_add_f64 v[112:113], v[74:75], v[110:111]
	v_add_f64 v[114:115], v[72:73], v[108:109]
	v_cvt_f32_f64_e32 v114, v[114:115]
	v_cvt_f32_f64_e32 v112, v[112:113]
	v_min3_f32 v177, v114, v112, v177
	v_add_f64 v[112:113], v[70:71], v[110:111]
	v_add_f64 v[114:115], v[68:69], v[108:109]
	v_add_f64 v[110:111], v[66:67], v[110:111]
	v_add_f64 v[108:109], v[64:65], v[108:109]
	v_cvt_f32_f64_e32 v108, v[108:109]
	v_cvt_f32_f64_e32 v109, v[110:111]
	v_min3_f32 v175, v108, v109, v175
	v_add_f64 v[108:109], v[98:99], v[106:107]
	v_add_f64 v[110:111], v[96:97], v[104:105]
	v_cvt_f32_f64_e32 v110, v[110:111]
	v_cvt_f32_f64_e32 v108, v[108:109]
	v_min3_f32 v174, v110, v108, v174
	v_add_f64 v[108:109], v[94:95], v[106:107]
	v_add_f64 v[110:111], v[92:93], v[104:105]
	v_cvt_f32_f64_e32 v110, v[110:111]
	v_cvt_f32_f64_e32 v108, v[108:109]
	v_min3_f32 v173, v110, v108, v173
	v_add_f64 v[108:109], v[90:91], v[106:107]
	v_add_f64 v[110:111], v[88:89], v[104:105]
	v_cvt_f32_f64_e32 v110, v[110:111]
	v_cvt_f32_f64_e32 v108, v[108:109]
	v_min3_f32 v172, v110, v108, v172
	v_add_f64 v[108:109], v[82:83], v[106:107]
	v_add_f64 v[110:111], v[80:81], v[104:105]
	v_cvt_f32_f64_e32 v110, v[110:111]
	v_cvt_f32_f64_e32 v108, v[108:109]
	v_min3_f32 v171, v110, v108, v171
	v_add_f64 v[108:109], v[78:79], v[106:107]
	v_add_f64 v[110:111], v[76:77], v[104:105]
	v_cvt_f32_f64_e32 v110, v[110:111]
	v_cvt_f32_f64_e32 v108, v[108:109]
	v_min3_f32 v170, v110, v108, v170
	v_add_f64 v[108:109], v[74:75], v[106:107]
	v_add_f64 v[110:111], v[72:73], v[104:105]
	v_cvt_f32_f64_e32 v110, v[110:111]
	v_cvt_f32_f64_e32 v108, v[108:109]
	v_min3_f32 v169, v110, v108, v169
	v_add_f64 v[108:109], v[70:71], v[106:107]
	v_add_f64 v[110:111], v[68:69], v[104:105]
	v_add_f64 v[106:107], v[66:67], v[106:107]
	v_add_f64 v[104:105], v[64:65], v[104:105]
	v_cvt_f32_f64_e32 v104, v[104:105]
	v_cvt_f32_f64_e32 v105, v[106:107]
	v_min3_f32 v167, v104, v105, v167
	v_add_f64 v[104:105], v[98:99], v[102:103]
	v_add_f64 v[106:107], v[96:97], v[100:101]
	v_cvt_f32_f64_e32 v106, v[106:107]
	v_cvt_f32_f64_e32 v104, v[104:105]
	v_min3_f32 v166, v106, v104, v166
	v_add_f64 v[104:105], v[94:95], v[102:103]
	v_add_f64 v[106:107], v[92:93], v[100:101]
	v_cvt_f32_f64_e32 v106, v[106:107]
	v_cvt_f32_f64_e32 v104, v[104:105]
	v_min3_f32 v164, v106, v104, v164
	v_add_f64 v[104:105], v[90:91], v[102:103]
	v_add_f64 v[106:107], v[88:89], v[100:101]
	v_cvt_f32_f64_e32 v106, v[106:107]
	v_cvt_f32_f64_e32 v104, v[104:105]
	;; [unrolled: 5-line block ×5, first 2 shown]
	v_min3_f32 v191, v106, v104, v160
	v_add_f64 v[104:105], v[70:71], v[102:103]
	v_add_f64 v[106:107], v[68:69], v[100:101]
	;; [unrolled: 1-line block ×8, first 2 shown]
	v_cvt_f32_f64_e32 v76, v[76:77]
	v_cvt_f32_f64_e32 v77, v[78:79]
	;; [unrolled: 1-line block ×4, first 2 shown]
	v_min3_f32 v76, v76, v77, v151
	v_min3_f32 v77, v64, v65, v148
	v_add_f64 v[64:65], v[34:35], v[62:63]
	v_add_f64 v[66:67], v[32:33], v[60:61]
	v_cvt_f32_f64_e32 v66, v[66:67]
	v_cvt_f32_f64_e32 v64, v[64:65]
	v_add_f64 v[70:71], v[70:71], v[86:87]
	v_add_f64 v[68:69], v[68:69], v[84:85]
	v_min3_f32 v198, v66, v64, v224
	v_add_f64 v[64:65], v[30:31], v[62:63]
	v_add_f64 v[66:67], v[28:29], v[60:61]
	;; [unrolled: 1-line block ×4, first 2 shown]
	v_cvt_f32_f64_e32 v68, v[68:69]
	v_cvt_f32_f64_e32 v69, v[70:71]
	;; [unrolled: 1-line block ×6, first 2 shown]
	v_min3_f32 v75, v68, v69, v149
	v_min3_f32 v64, v66, v64, v222
	v_add_f64 v[66:67], v[26:27], v[62:63]
	v_add_f64 v[68:69], v[24:25], v[60:61]
	v_cvt_f32_f64_e32 v65, v[68:69]
	v_cvt_f32_f64_e32 v66, v[66:67]
	v_min3_f32 v65, v65, v66, v223
	v_add_f64 v[66:67], v[18:19], v[62:63]
	v_add_f64 v[68:69], v[16:17], v[60:61]
	v_cvt_f32_f64_e32 v68, v[68:69]
	v_cvt_f32_f64_e32 v66, v[66:67]
	;; [unrolled: 5-line block ×4, first 2 shown]
	v_min3_f32 v74, v72, v73, v150
	v_min3_f32 v68, v70, v68, v209
	v_add_f64 v[70:71], v[6:7], v[62:63]
	v_add_f64 v[72:73], v[4:5], v[60:61]
	v_add_f64 v[62:63], v[2:3], v[62:63]
	v_add_f64 v[60:61], v[0:1], v[60:61]
	v_cvt_f32_f64_e32 v100, v[100:101]
	v_cvt_f32_f64_e32 v101, v[102:103]
	v_cvt_f32_f64_e32 v60, v[60:61]
	v_cvt_f32_f64_e32 v61, v[62:63]
	v_min3_f32 v197, v100, v101, v156
	v_min3_f32 v100, v60, v61, v143
	v_add_f64 v[60:61], v[34:35], v[58:59]
	v_add_f64 v[62:63], v[32:33], v[56:57]
	v_cvt_f32_f64_e32 v62, v[62:63]
	v_cvt_f32_f64_e32 v60, v[60:61]
	v_min3_f32 v101, v62, v60, v206
	v_add_f64 v[60:61], v[30:31], v[58:59]
	v_add_f64 v[62:63], v[28:29], v[56:57]
	v_cvt_f32_f64_e32 v62, v[62:63]
	v_cvt_f32_f64_e32 v60, v[60:61]
	v_min3_f32 v102, v62, v60, v205
	v_add_f64 v[60:61], v[26:27], v[58:59]
	v_add_f64 v[62:63], v[24:25], v[56:57]
	v_cvt_f32_f64_e32 v62, v[62:63]
	v_cvt_f32_f64_e32 v60, v[60:61]
	v_min3_f32 v103, v62, v60, v204
	v_add_f64 v[60:61], v[18:19], v[58:59]
	v_add_f64 v[62:63], v[16:17], v[56:57]
	v_cvt_f32_f64_e32 v106, v[106:107]
	v_cvt_f32_f64_e32 v104, v[104:105]
	v_cvt_f32_f64_e32 v62, v[62:63]
	v_cvt_f32_f64_e32 v60, v[60:61]
	v_min3_f32 v192, v106, v104, v157
	v_min3_f32 v104, v62, v60, v203
	v_add_f64 v[60:61], v[14:15], v[58:59]
	v_add_f64 v[62:63], v[12:13], v[56:57]
	v_cvt_f32_f64_e32 v62, v[62:63]
	v_cvt_f32_f64_e32 v60, v[60:61]
	v_min3_f32 v105, v62, v60, v202
	v_add_f64 v[60:61], v[10:11], v[58:59]
	v_add_f64 v[62:63], v[8:9], v[56:57]
	v_cvt_f32_f64_e32 v62, v[62:63]
	v_cvt_f32_f64_e32 v60, v[60:61]
	v_min3_f32 v106, v62, v60, v201
	v_add_f64 v[60:61], v[6:7], v[58:59]
	v_add_f64 v[62:63], v[4:5], v[56:57]
	v_add_f64 v[58:59], v[2:3], v[58:59]
	v_add_f64 v[56:57], v[0:1], v[56:57]
	v_cvt_f32_f64_e32 v110, v[110:111]
	v_cvt_f32_f64_e32 v108, v[108:109]
	v_cvt_f32_f64_e32 v56, v[56:57]
	v_cvt_f32_f64_e32 v57, v[58:59]
	v_min3_f32 v168, v110, v108, v168
	v_min3_f32 v108, v56, v57, v125
	v_add_f64 v[56:57], v[34:35], v[54:55]
	v_add_f64 v[58:59], v[32:33], v[52:53]
	v_cvt_f32_f64_e32 v58, v[58:59]
	v_cvt_f32_f64_e32 v56, v[56:57]
	v_min3_f32 v109, v58, v56, v126
	v_add_f64 v[56:57], v[30:31], v[54:55]
	v_add_f64 v[58:59], v[28:29], v[52:53]
	v_cvt_f32_f64_e32 v58, v[58:59]
	v_cvt_f32_f64_e32 v56, v[56:57]
	v_min3_f32 v110, v58, v56, v127
	v_add_f64 v[56:57], v[26:27], v[54:55]
	v_add_f64 v[58:59], v[24:25], v[52:53]
	v_cvt_f32_f64_e32 v58, v[58:59]
	v_cvt_f32_f64_e32 v56, v[56:57]
	v_min3_f32 v111, v58, v56, v196
	v_add_f64 v[56:57], v[18:19], v[54:55]
	v_add_f64 v[58:59], v[16:17], v[52:53]
	v_cvt_f32_f64_e32 v114, v[114:115]
	v_cvt_f32_f64_e32 v112, v[112:113]
	v_cvt_f32_f64_e32 v58, v[58:59]
	v_cvt_f32_f64_e32 v56, v[56:57]
	v_min3_f32 v176, v114, v112, v176
	v_min3_f32 v112, v58, v56, v195
	v_add_f64 v[56:57], v[14:15], v[54:55]
	v_add_f64 v[58:59], v[12:13], v[52:53]
	v_cvt_f32_f64_e32 v58, v[58:59]
	v_cvt_f32_f64_e32 v56, v[56:57]
	v_min3_f32 v113, v58, v56, v194
	v_add_f64 v[56:57], v[10:11], v[54:55]
	v_add_f64 v[58:59], v[8:9], v[52:53]
	v_cvt_f32_f64_e32 v58, v[58:59]
	v_cvt_f32_f64_e32 v56, v[56:57]
	;; [unrolled: 43-line block ×3, first 2 shown]
	v_min3_f32 v122, v54, v52, v185
	v_add_f64 v[52:53], v[6:7], v[50:51]
	v_add_f64 v[54:55], v[4:5], v[48:49]
	;; [unrolled: 1-line block ×4, first 2 shown]
	v_cvt_f32_f64_e32 v62, v[62:63]
	v_cvt_f32_f64_e32 v60, v[60:61]
	;; [unrolled: 1-line block ×4, first 2 shown]
	v_min3_f32 v107, v62, v60, v124
	v_min3_f32 v124, v48, v49, v183
	v_add_f64 v[48:49], v[34:35], v[46:47]
	v_add_f64 v[50:51], v[32:33], v[44:45]
	v_cvt_f32_f64_e32 v50, v[50:51]
	v_cvt_f32_f64_e32 v48, v[48:49]
	v_min3_f32 v125, v50, v48, v182
	v_add_f64 v[48:49], v[30:31], v[46:47]
	v_add_f64 v[50:51], v[28:29], v[44:45]
	v_cvt_f32_f64_e32 v50, v[50:51]
	v_cvt_f32_f64_e32 v48, v[48:49]
	;; [unrolled: 5-line block ×3, first 2 shown]
	v_cvt_f32_f64_e32 v218, v[218:219]
	v_min3_f32 v127, v50, v48, v180
	v_add_f64 v[48:49], v[18:19], v[46:47]
	v_add_f64 v[50:51], v[16:17], v[44:45]
	v_min3_f32 v142, v218, v142, v208
	v_cvt_f32_f64_e32 v69, v[72:73]
	v_cvt_f32_f64_e32 v70, v[70:71]
	;; [unrolled: 1-line block ×4, first 2 shown]
	v_min3_f32 v69, v69, v70, v142
	v_min3_f32 v142, v50, v48, v179
	v_add_f64 v[48:49], v[14:15], v[46:47]
	v_add_f64 v[50:51], v[12:13], v[44:45]
	v_cvt_f32_f64_e32 v50, v[50:51]
	v_cvt_f32_f64_e32 v48, v[48:49]
	v_min3_f32 v143, v50, v48, v178
	v_add_f64 v[48:49], v[10:11], v[46:47]
	v_add_f64 v[50:51], v[8:9], v[44:45]
	v_cvt_f32_f64_e32 v50, v[50:51]
	v_cvt_f32_f64_e32 v48, v[48:49]
	v_min3_f32 v148, v50, v48, v177
	v_add_f64 v[48:49], v[6:7], v[46:47]
	v_add_f64 v[50:51], v[4:5], v[44:45]
	;; [unrolled: 1-line block ×4, first 2 shown]
	v_cvt_f32_f64_e32 v44, v[44:45]
	v_cvt_f32_f64_e32 v45, v[46:47]
	v_min3_f32 v150, v44, v45, v175
	v_add_f64 v[44:45], v[34:35], v[42:43]
	v_add_f64 v[46:47], v[32:33], v[40:41]
	v_cvt_f32_f64_e32 v46, v[46:47]
	v_cvt_f32_f64_e32 v44, v[44:45]
	v_add_f64 v[82:83], v[82:83], v[86:87]
	v_add_f64 v[80:81], v[80:81], v[84:85]
	v_min3_f32 v151, v46, v44, v174
	v_add_f64 v[44:45], v[30:31], v[42:43]
	v_add_f64 v[46:47], v[28:29], v[40:41]
	v_cvt_f32_f64_e32 v80, v[80:81]
	v_cvt_f32_f64_e32 v81, v[82:83]
	v_cvt_f32_f64_e32 v46, v[46:47]
	v_cvt_f32_f64_e32 v44, v[44:45]
	v_add_f64 v[90:91], v[90:91], v[86:87]
	v_add_f64 v[88:89], v[88:89], v[84:85]
	v_min3_f32 v80, v80, v81, v152
	v_min3_f32 v152, v46, v44, v173
	v_add_f64 v[44:45], v[26:27], v[42:43]
	v_add_f64 v[46:47], v[24:25], v[40:41]
	v_cvt_f32_f64_e32 v88, v[88:89]
	v_cvt_f32_f64_e32 v89, v[90:91]
	v_cvt_f32_f64_e32 v46, v[46:47]
	v_cvt_f32_f64_e32 v44, v[44:45]
	v_add_f64 v[94:95], v[94:95], v[86:87]
	v_add_f64 v[92:93], v[92:93], v[84:85]
	v_min3_f32 v88, v88, v89, v153
	;; [unrolled: 10-line block ×3, first 2 shown]
	v_min3_f32 v154, v46, v44, v171
	v_add_f64 v[44:45], v[14:15], v[42:43]
	v_add_f64 v[46:47], v[12:13], v[40:41]
	v_cvt_f32_f64_e32 v96, v[96:97]
	v_cvt_f32_f64_e32 v97, v[98:99]
	;; [unrolled: 1-line block ×4, first 2 shown]
	v_min3_f32 v96, v96, v97, v155
	v_min3_f32 v155, v46, v44, v170
	v_add_f64 v[44:45], v[10:11], v[42:43]
	v_add_f64 v[46:47], v[8:9], v[40:41]
	v_cvt_f32_f64_e32 v46, v[46:47]
	v_cvt_f32_f64_e32 v44, v[44:45]
	v_min3_f32 v156, v46, v44, v169
	v_add_f64 v[44:45], v[6:7], v[42:43]
	v_add_f64 v[46:47], v[4:5], v[40:41]
	;; [unrolled: 1-line block ×4, first 2 shown]
	v_cvt_f32_f64_e32 v40, v[40:41]
	v_cvt_f32_f64_e32 v41, v[42:43]
	v_min3_f32 v160, v40, v41, v167
	v_add_f64 v[40:41], v[34:35], v[38:39]
	v_add_f64 v[42:43], v[32:33], v[36:37]
	v_cvt_f32_f64_e32 v42, v[42:43]
	v_cvt_f32_f64_e32 v40, v[40:41]
	v_min3_f32 v161, v42, v40, v166
	v_add_f64 v[40:41], v[30:31], v[38:39]
	v_add_f64 v[42:43], v[28:29], v[36:37]
	v_cvt_f32_f64_e32 v42, v[42:43]
	v_cvt_f32_f64_e32 v40, v[40:41]
	v_min3_f32 v162, v42, v40, v164
	v_add_f64 v[40:41], v[26:27], v[38:39]
	v_add_f64 v[42:43], v[24:25], v[36:37]
	v_cvt_f32_f64_e32 v42, v[42:43]
	v_cvt_f32_f64_e32 v40, v[40:41]
	v_min3_f32 v163, v42, v40, v163
	v_add_f64 v[40:41], v[18:19], v[38:39]
	v_add_f64 v[42:43], v[16:17], v[36:37]
	v_cvt_f32_f64_e32 v42, v[42:43]
	v_cvt_f32_f64_e32 v40, v[40:41]
	v_min3_f32 v164, v42, v40, v189
	v_add_f64 v[40:41], v[14:15], v[38:39]
	v_add_f64 v[42:43], v[12:13], v[36:37]
	v_cvt_f32_f64_e32 v42, v[42:43]
	v_cvt_f32_f64_e32 v40, v[40:41]
	v_min3_f32 v166, v42, v40, v190
	v_add_f64 v[40:41], v[10:11], v[38:39]
	v_add_f64 v[42:43], v[8:9], v[36:37]
	v_cvt_f32_f64_e32 v42, v[42:43]
	v_cvt_f32_f64_e32 v40, v[40:41]
	v_min3_f32 v167, v42, v40, v191
	v_add_f64 v[40:41], v[6:7], v[38:39]
	v_add_f64 v[42:43], v[4:5], v[36:37]
	v_add_f64 v[38:39], v[2:3], v[38:39]
	v_add_f64 v[36:37], v[0:1], v[36:37]
	;; [unrolled: 1-line block ×18, first 2 shown]
	v_cvt_f32_f64_e32 v54, v[54:55]
	v_cvt_f32_f64_e32 v52, v[52:53]
	;; [unrolled: 1-line block ×24, first 2 shown]
	v_min3_f32 v123, v54, v52, v184
	v_min3_f32 v149, v50, v48, v176
	v_min3_f32 v157, v46, v44, v168
	v_min3_f32 v169, v36, v37, v197
	v_min3_f32 v170, v32, v33, v96
	v_min3_f32 v171, v28, v29, v92
	v_min3_f32 v172, v24, v25, v88
	v_min3_f32 v173, v16, v17, v80
	v_min3_f32 v174, v12, v13, v76
	v_min3_f32 v175, v8, v9, v74
	v_min3_f32 v176, v4, v5, v75
	v_min3_f32 v177, v0, v1, v77
	ds_read_b128 v[36:39], v211 offset:256
	ds_read_b128 v[32:35], v211 offset:512
	;; [unrolled: 1-line block ×12, first 2 shown]
	ds_read_b128 v[96:99], v158
	ds_read_b128 v[48:51], v211
	ds_read_b128 v[72:75], v158 offset:6144
	ds_read_b128 v[24:27], v158 offset:7168
	;; [unrolled: 1-line block ×4, first 2 shown]
	s_waitcnt lgkmcnt(5)
	v_add_f64 v[44:45], v[38:39], v[98:99]
	v_add_f64 v[46:47], v[36:37], v[96:97]
	;; [unrolled: 1-line block ×8, first 2 shown]
	v_cvt_f32_f64_e32 v46, v[46:47]
	v_cvt_f32_f64_e32 v44, v[44:45]
	;; [unrolled: 1-line block ×10, first 2 shown]
	v_min3_f32 v179, v46, v44, v64
	v_min3_f32 v184, v54, v52, v65
	;; [unrolled: 1-line block ×4, first 2 shown]
	v_add_f64 v[64:65], v[18:19], v[98:99]
	v_add_f64 v[66:67], v[16:17], v[96:97]
	v_min3_f32 v168, v42, v40, v192
	s_waitcnt lgkmcnt(4)
	v_add_f64 v[40:41], v[50:51], v[98:99]
	v_add_f64 v[42:43], v[48:49], v[96:97]
	v_cvt_f32_f64_e32 v66, v[66:67]
	v_cvt_f32_f64_e32 v64, v[64:65]
	v_add_f64 v[70:71], v[14:15], v[98:99]
	v_add_f64 v[180:181], v[12:13], v[96:97]
	v_add_f64 v[98:99], v[10:11], v[98:99]
	v_add_f64 v[96:97], v[8:9], v[96:97]
	v_min3_f32 v187, v66, v64, v68
	v_cvt_f32_f64_e32 v68, v[180:181]
	v_cvt_f32_f64_e32 v96, v[96:97]
	;; [unrolled: 1-line block ×3, first 2 shown]
	v_add_f64 v[180:181], v[50:51], v[94:95]
	v_add_f64 v[182:183], v[48:49], v[92:93]
	v_min3_f32 v189, v96, v97, v100
	v_cvt_f32_f64_e32 v100, v[182:183]
	v_cvt_f32_f64_e32 v180, v[180:181]
	v_min3_f32 v182, v100, v180, v101
	v_add_f64 v[100:101], v[38:39], v[94:95]
	v_add_f64 v[180:181], v[36:37], v[92:93]
	v_cvt_f32_f64_e32 v180, v[180:181]
	v_cvt_f32_f64_e32 v100, v[100:101]
	v_min3_f32 v183, v180, v100, v102
	v_add_f64 v[100:101], v[34:35], v[94:95]
	v_add_f64 v[180:181], v[32:33], v[92:93]
	;; [unrolled: 5-line block ×34, first 2 shown]
	v_cvt_f32_f64_e32 v102, v[102:103]
	v_cvt_f32_f64_e32 v100, v[100:101]
	v_min3_f32 v157, v102, v100, v157
	s_waitcnt lgkmcnt(3)
	v_add_f64 v[100:101], v[50:51], v[74:75]
	v_add_f64 v[102:103], v[48:49], v[72:73]
	v_cvt_f32_f64_e32 v102, v[102:103]
	v_cvt_f32_f64_e32 v100, v[100:101]
	v_min3_f32 v161, v102, v100, v161
	v_add_f64 v[100:101], v[38:39], v[74:75]
	v_add_f64 v[102:103], v[36:37], v[72:73]
	v_cvt_f32_f64_e32 v102, v[102:103]
	v_cvt_f32_f64_e32 v100, v[100:101]
	v_min3_f32 v162, v102, v100, v162
	;; [unrolled: 5-line block ×4, first 2 shown]
	v_add_f64 v[100:101], v[22:23], v[74:75]
	v_add_f64 v[102:103], v[20:21], v[72:73]
	v_cvt_f32_f64_e32 v102, v[102:103]
	v_cvt_f32_f64_e32 v100, v[100:101]
	v_cvt_f32_f64_e32 v42, v[42:43]
	v_cvt_f32_f64_e32 v40, v[40:41]
	v_min3_f32 v223, v102, v100, v166
	v_add_f64 v[100:101], v[18:19], v[74:75]
	v_add_f64 v[102:103], v[16:17], v[72:73]
	v_min3_f32 v178, v42, v40, v198
	ds_read_b128 v[40:43], v211 offset:272
	v_cvt_f32_f64_e32 v102, v[102:103]
	v_cvt_f32_f64_e32 v100, v[100:101]
	v_add_f64 v[94:95], v[10:11], v[94:95]
	v_add_f64 v[92:93], v[8:9], v[92:93]
	;; [unrolled: 1-line block ×10, first 2 shown]
	v_min3_f32 v224, v102, v100, v167
	v_add_f64 v[100:101], v[14:15], v[74:75]
	v_add_f64 v[102:103], v[12:13], v[72:73]
	;; [unrolled: 1-line block ×4, first 2 shown]
	s_waitcnt lgkmcnt(3)
	v_add_f64 v[14:15], v[14:15], v[26:27]
	v_add_f64 v[12:13], v[12:13], v[24:25]
	;; [unrolled: 1-line block ×4, first 2 shown]
	ds_read_b128 v[44:47], v211 offset:528
	ds_read_b128 v[52:55], v211 offset:784
	v_cvt_f32_f64_e32 v12, v[12:13]
	v_cvt_f32_f64_e32 v13, v[14:15]
	;; [unrolled: 1-line block ×4, first 2 shown]
	v_min3_f32 v12, v12, v13, v176
	v_min3_f32 v13, v8, v9, v177
	s_waitcnt lgkmcnt(3)
	v_add_f64 v[8:9], v[2:3], v[6:7]
	v_add_f64 v[10:11], v[0:1], v[4:5]
	v_cvt_f32_f64_e32 v72, v[72:73]
	v_cvt_f32_f64_e32 v73, v[74:75]
	;; [unrolled: 1-line block ×5, first 2 shown]
	v_min3_f32 v101, v72, v73, v169
	ds_read_b128 v[72:75], v158 offset:7184
	v_min3_f32 v221, v10, v8, v178
	s_waitcnt lgkmcnt(3)
	v_add_f64 v[8:9], v[42:43], v[6:7]
	v_add_f64 v[10:11], v[40:41], v[4:5]
	ds_read_b128 v[56:59], v211 offset:1040
	ds_read_b128 v[60:63], v211 offset:1296
	v_cvt_f32_f64_e32 v10, v[10:11]
	v_cvt_f32_f64_e32 v8, v[8:9]
	v_min3_f32 v220, v10, v8, v179
	s_waitcnt lgkmcnt(4)
	v_add_f64 v[8:9], v[46:47], v[6:7]
	v_add_f64 v[10:11], v[44:45], v[4:5]
	v_cvt_f32_f64_e32 v10, v[10:11]
	v_cvt_f32_f64_e32 v8, v[8:9]
	;; [unrolled: 1-line block ×3, first 2 shown]
	v_min3_f32 v219, v10, v8, v184
	s_waitcnt lgkmcnt(3)
	v_add_f64 v[8:9], v[54:55], v[6:7]
	v_add_f64 v[10:11], v[52:53], v[4:5]
	ds_read_b128 v[64:67], v211 offset:1552
	v_min3_f32 v188, v68, v70, v69
	ds_read_b128 v[68:71], v211 offset:1808
	v_cvt_f32_f64_e32 v10, v[10:11]
	v_cvt_f32_f64_e32 v8, v[8:9]
	v_min3_f32 v218, v10, v8, v185
	s_waitcnt lgkmcnt(3)
	v_add_f64 v[8:9], v[58:59], v[6:7]
	v_add_f64 v[10:11], v[56:57], v[4:5]
	ds_read_b128 v[96:99], v158 offset:1040
	v_cvt_f32_f64_e32 v10, v[10:11]
	v_cvt_f32_f64_e32 v8, v[8:9]
	v_min3_f32 v217, v10, v8, v186
	s_waitcnt lgkmcnt(3)
	v_add_f64 v[8:9], v[62:63], v[6:7]
	v_add_f64 v[10:11], v[60:61], v[4:5]
	v_cvt_f32_f64_e32 v10, v[10:11]
	v_cvt_f32_f64_e32 v8, v[8:9]
	v_min3_f32 v209, v10, v8, v187
	s_waitcnt lgkmcnt(2)
	v_add_f64 v[8:9], v[66:67], v[6:7]
	v_add_f64 v[10:11], v[64:65], v[4:5]
	s_waitcnt lgkmcnt(1)
	v_add_f64 v[6:7], v[70:71], v[6:7]
	v_add_f64 v[4:5], v[68:69], v[4:5]
	v_cvt_f32_f64_e32 v92, v[92:93]
	v_cvt_f32_f64_e32 v93, v[94:95]
	;; [unrolled: 1-line block ×4, first 2 shown]
	v_min3_f32 v108, v92, v93, v108
	ds_read_b128 v[92:95], v158 offset:2064
	v_min3_f32 v207, v4, v5, v189
	s_waitcnt lgkmcnt(1)
	v_add_f64 v[4:5], v[2:3], v[98:99]
	v_add_f64 v[6:7], v[0:1], v[96:97]
	v_cvt_f32_f64_e32 v6, v[6:7]
	v_cvt_f32_f64_e32 v4, v[4:5]
	v_min3_f32 v206, v6, v4, v182
	v_add_f64 v[4:5], v[42:43], v[98:99]
	v_add_f64 v[6:7], v[40:41], v[96:97]
	v_cvt_f32_f64_e32 v6, v[6:7]
	v_cvt_f32_f64_e32 v4, v[4:5]
	v_min3_f32 v205, v6, v4, v183
	;; [unrolled: 5-line block ×8, first 2 shown]
	s_waitcnt lgkmcnt(0)
	v_add_f64 v[4:5], v[2:3], v[94:95]
	v_add_f64 v[6:7], v[0:1], v[92:93]
	v_cvt_f32_f64_e32 v6, v[6:7]
	v_cvt_f32_f64_e32 v4, v[4:5]
	v_min3_f32 v198, v6, v4, v109
	v_add_f64 v[4:5], v[42:43], v[94:95]
	v_add_f64 v[6:7], v[40:41], v[92:93]
	v_cvt_f32_f64_e32 v6, v[6:7]
	v_cvt_f32_f64_e32 v4, v[4:5]
	v_min3_f32 v197, v6, v4, v110
	;; [unrolled: 5-line block ×4, first 2 shown]
	v_add_f64 v[4:5], v[58:59], v[94:95]
	v_add_f64 v[6:7], v[56:57], v[92:93]
	v_cvt_f32_f64_e32 v6, v[6:7]
	v_cvt_f32_f64_e32 v4, v[4:5]
	v_cvt_f32_f64_e32 v88, v[88:89]
	v_cvt_f32_f64_e32 v89, v[90:91]
	v_min3_f32 v194, v6, v4, v113
	v_add_f64 v[4:5], v[62:63], v[94:95]
	v_add_f64 v[6:7], v[60:61], v[92:93]
	v_min3_f32 v116, v88, v89, v116
	ds_read_b128 v[88:91], v158 offset:3088
	v_cvt_f32_f64_e32 v6, v[6:7]
	v_cvt_f32_f64_e32 v4, v[4:5]
	v_min3_f32 v193, v6, v4, v114
	v_add_f64 v[4:5], v[66:67], v[94:95]
	v_add_f64 v[6:7], v[64:65], v[92:93]
	v_cvt_f32_f64_e32 v6, v[6:7]
	v_cvt_f32_f64_e32 v4, v[4:5]
	v_min3_f32 v192, v6, v4, v115
	v_add_f64 v[4:5], v[70:71], v[94:95]
	v_add_f64 v[6:7], v[68:69], v[92:93]
	v_cvt_f32_f64_e32 v84, v[84:85]
	v_cvt_f32_f64_e32 v85, v[86:87]
	;; [unrolled: 1-line block ×4, first 2 shown]
	v_min3_f32 v124, v84, v85, v124
	ds_read_b128 v[84:87], v158 offset:4112
	v_min3_f32 v191, v6, v4, v116
	s_waitcnt lgkmcnt(1)
	v_add_f64 v[4:5], v[2:3], v[90:91]
	v_add_f64 v[6:7], v[0:1], v[88:89]
	v_cvt_f32_f64_e32 v6, v[6:7]
	v_cvt_f32_f64_e32 v4, v[4:5]
	v_min3_f32 v190, v6, v4, v117
	v_add_f64 v[4:5], v[42:43], v[90:91]
	v_add_f64 v[6:7], v[40:41], v[88:89]
	v_cvt_f32_f64_e32 v6, v[6:7]
	v_cvt_f32_f64_e32 v4, v[4:5]
	v_min3_f32 v189, v6, v4, v118
	v_add_f64 v[4:5], v[46:47], v[90:91]
	v_add_f64 v[6:7], v[44:45], v[88:89]
	v_cvt_f32_f64_e32 v10, v[10:11]
	v_cvt_f32_f64_e32 v8, v[8:9]
	v_cvt_f32_f64_e32 v6, v[6:7]
	v_cvt_f32_f64_e32 v4, v[4:5]
	v_min3_f32 v208, v10, v8, v188
	v_min3_f32 v188, v6, v4, v119
	v_add_f64 v[4:5], v[54:55], v[90:91]
	v_add_f64 v[6:7], v[52:53], v[88:89]
	v_cvt_f32_f64_e32 v6, v[6:7]
	v_cvt_f32_f64_e32 v4, v[4:5]
	v_min3_f32 v187, v6, v4, v120
	v_add_f64 v[4:5], v[58:59], v[90:91]
	v_add_f64 v[6:7], v[56:57], v[88:89]
	v_cvt_f32_f64_e32 v6, v[6:7]
	v_cvt_f32_f64_e32 v4, v[4:5]
	;; [unrolled: 5-line block ×5, first 2 shown]
	v_min3_f32 v183, v6, v4, v124
	s_waitcnt lgkmcnt(0)
	v_add_f64 v[4:5], v[2:3], v[86:87]
	v_add_f64 v[6:7], v[0:1], v[84:85]
	v_cvt_f32_f64_e32 v6, v[6:7]
	v_cvt_f32_f64_e32 v4, v[4:5]
	v_min3_f32 v182, v6, v4, v125
	v_add_f64 v[4:5], v[42:43], v[86:87]
	v_add_f64 v[6:7], v[40:41], v[84:85]
	v_cvt_f32_f64_e32 v6, v[6:7]
	v_cvt_f32_f64_e32 v4, v[4:5]
	v_min3_f32 v181, v6, v4, v126
	v_add_f64 v[4:5], v[46:47], v[86:87]
	v_add_f64 v[6:7], v[44:45], v[84:85]
	v_cvt_f32_f64_e32 v6, v[6:7]
	v_cvt_f32_f64_e32 v4, v[4:5]
	v_min3_f32 v180, v6, v4, v127
	v_add_f64 v[4:5], v[54:55], v[86:87]
	v_add_f64 v[6:7], v[52:53], v[84:85]
	v_cvt_f32_f64_e32 v6, v[6:7]
	v_cvt_f32_f64_e32 v4, v[4:5]
	v_min3_f32 v179, v6, v4, v142
	v_add_f64 v[4:5], v[58:59], v[86:87]
	v_add_f64 v[6:7], v[56:57], v[84:85]
	v_cvt_f32_f64_e32 v6, v[6:7]
	v_cvt_f32_f64_e32 v4, v[4:5]
	;; [unrolled: 1-line block ×4, first 2 shown]
	v_min3_f32 v178, v6, v4, v143
	v_add_f64 v[4:5], v[62:63], v[86:87]
	v_add_f64 v[6:7], v[60:61], v[84:85]
	v_min3_f32 v150, v80, v81, v150
	ds_read_b128 v[80:83], v158 offset:5136
	v_cvt_f32_f64_e32 v6, v[6:7]
	v_cvt_f32_f64_e32 v4, v[4:5]
	v_min3_f32 v177, v6, v4, v148
	v_add_f64 v[4:5], v[66:67], v[86:87]
	v_add_f64 v[6:7], v[64:65], v[84:85]
	v_cvt_f32_f64_e32 v6, v[6:7]
	v_cvt_f32_f64_e32 v4, v[4:5]
	v_add_f64 v[18:19], v[18:19], v[26:27]
	v_add_f64 v[16:17], v[16:17], v[24:25]
	v_min3_f32 v176, v6, v4, v149
	v_add_f64 v[4:5], v[70:71], v[86:87]
	v_add_f64 v[6:7], v[68:69], v[84:85]
	v_cvt_f32_f64_e32 v76, v[76:77]
	v_cvt_f32_f64_e32 v77, v[78:79]
	;; [unrolled: 1-line block ×6, first 2 shown]
	v_min3_f32 v160, v76, v77, v160
	ds_read_b128 v[76:79], v158 offset:6160
	v_add_f64 v[22:23], v[22:23], v[26:27]
	v_add_f64 v[20:21], v[20:21], v[24:25]
	v_min3_f32 v16, v16, v17, v175
	v_min3_f32 v175, v6, v4, v150
	s_waitcnt lgkmcnt(1)
	v_add_f64 v[4:5], v[2:3], v[82:83]
	v_add_f64 v[6:7], v[0:1], v[80:81]
	v_cvt_f32_f64_e32 v20, v[20:21]
	v_cvt_f32_f64_e32 v21, v[22:23]
	v_cvt_f32_f64_e32 v6, v[6:7]
	v_cvt_f32_f64_e32 v4, v[4:5]
	v_add_f64 v[30:31], v[30:31], v[26:27]
	v_add_f64 v[28:29], v[28:29], v[24:25]
	v_min3_f32 v20, v20, v21, v174
	v_min3_f32 v174, v6, v4, v151
	v_add_f64 v[4:5], v[42:43], v[82:83]
	v_add_f64 v[6:7], v[40:41], v[80:81]
	v_cvt_f32_f64_e32 v28, v[28:29]
	v_cvt_f32_f64_e32 v29, v[30:31]
	v_cvt_f32_f64_e32 v6, v[6:7]
	v_cvt_f32_f64_e32 v4, v[4:5]
	v_add_f64 v[34:35], v[34:35], v[26:27]
	v_add_f64 v[32:33], v[32:33], v[24:25]
	v_min3_f32 v28, v28, v29, v173
	v_min3_f32 v173, v6, v4, v152
	;; [unrolled: 10-line block ×4, first 2 shown]
	v_add_f64 v[4:5], v[58:59], v[82:83]
	v_add_f64 v[6:7], v[56:57], v[80:81]
	v_cvt_f32_f64_e32 v48, v[48:49]
	v_cvt_f32_f64_e32 v49, v[50:51]
	;; [unrolled: 1-line block ×4, first 2 shown]
	v_min3_f32 v48, v48, v49, v170
	v_min3_f32 v170, v6, v4, v155
	v_add_f64 v[4:5], v[62:63], v[82:83]
	v_add_f64 v[6:7], v[60:61], v[80:81]
	v_cvt_f32_f64_e32 v6, v[6:7]
	v_cvt_f32_f64_e32 v4, v[4:5]
	v_min3_f32 v169, v6, v4, v156
	v_add_f64 v[4:5], v[66:67], v[82:83]
	v_add_f64 v[6:7], v[64:65], v[80:81]
	v_cvt_f32_f64_e32 v102, v[102:103]
	v_cvt_f32_f64_e32 v6, v[6:7]
	;; [unrolled: 1-line block ×3, first 2 shown]
	v_min3_f32 v100, v102, v100, v168
	v_min3_f32 v168, v6, v4, v157
	v_add_f64 v[4:5], v[70:71], v[82:83]
	v_add_f64 v[6:7], v[68:69], v[80:81]
	v_cvt_f32_f64_e32 v6, v[6:7]
	v_cvt_f32_f64_e32 v4, v[4:5]
	v_min3_f32 v167, v6, v4, v160
	s_waitcnt lgkmcnt(0)
	v_add_f64 v[4:5], v[2:3], v[78:79]
	v_add_f64 v[6:7], v[0:1], v[76:77]
	;; [unrolled: 1-line block ×4, first 2 shown]
	v_cvt_f32_f64_e32 v6, v[6:7]
	v_cvt_f32_f64_e32 v4, v[4:5]
	v_cvt_f32_f64_e32 v0, v[0:1]
	v_cvt_f32_f64_e32 v1, v[2:3]
	v_min3_f32 v166, v6, v4, v161
	v_add_f64 v[4:5], v[42:43], v[78:79]
	v_add_f64 v[6:7], v[40:41], v[76:77]
	v_min3_f32 v155, v0, v1, v48
	v_add_f64 v[0:1], v[42:43], v[74:75]
	v_add_f64 v[2:3], v[40:41], v[72:73]
	v_cvt_f32_f64_e32 v6, v[6:7]
	v_cvt_f32_f64_e32 v4, v[4:5]
	v_cvt_f32_f64_e32 v2, v[2:3]
	v_cvt_f32_f64_e32 v0, v[0:1]
	v_min3_f32 v164, v6, v4, v162
	v_add_f64 v[4:5], v[46:47], v[78:79]
	v_add_f64 v[6:7], v[44:45], v[76:77]
	v_min3_f32 v154, v2, v0, v36
	v_add_f64 v[0:1], v[46:47], v[74:75]
	v_add_f64 v[2:3], v[44:45], v[72:73]
	;; [unrolled: 10-line block ×7, first 2 shown]
	v_cvt_f32_f64_e32 v6, v[6:7]
	v_cvt_f32_f64_e32 v4, v[4:5]
	;; [unrolled: 1-line block ×4, first 2 shown]
	s_add_i32 s37, s37, 8
	v_min3_f32 v156, v6, v4, v101
	v_min3_f32 v148, v2, v0, v13
	s_cmp_ge_i32 s37, s38
	v_lshl_add_u64 v[130:131], v[130:131], 0, 64
	ds_write_b64 v212, v[132:133]
	ds_write2st64_b64 v213, v[134:135], v[136:137] offset1:4
	ds_write2st64_b64 v213, v[138:139], v[140:141] offset0:8 offset1:12
	s_waitcnt lgkmcnt(0)
	s_barrier
	s_cbranch_scc1 .LBB128_59
.LBB128_35:                             ; =>This Inner Loop Header: Depth=1
	v_add_u32_e32 v142, s37, v146
	v_add_u32_e32 v0, 8, v142
	v_cmp_le_i32_e32 vcc, s26, v0
	s_or_b64 s[12:13], vcc, s[2:3]
	s_nor_b64 s[34:35], s[20:21], s[12:13]
                                        ; implicit-def: $vgpr132_vgpr133
	s_and_saveexec_b64 s[40:41], s[34:35]
	s_xor_b64 s[34:35], exec, s[40:41]
	s_cbranch_execz .LBB128_37
; %bb.36:                               ;   in Loop: Header=BB128_35 Depth=1
	v_add_co_u32_e32 v0, vcc, 0xffffffe0, v130
	s_nop 1
	v_addc_co_u32_e32 v1, vcc, -1, v131, vcc
	flat_load_dwordx2 v[0:1], v[0:1]
	s_waitcnt vmcnt(0) lgkmcnt(0)
	v_mul_f64 v[132:133], s[16:17], v[0:1]
.LBB128_37:                             ;   in Loop: Header=BB128_35 Depth=1
	s_andn2_saveexec_b64 s[34:35], s[34:35]
; %bb.38:                               ;   in Loop: Header=BB128_35 Depth=1
	v_cndmask_b32_e64 v133, 0, v216, s[12:13]
	v_cndmask_b32_e64 v132, 0, -1, s[12:13]
; %bb.39:                               ;   in Loop: Header=BB128_35 Depth=1
	s_or_b64 exec, exec, s[34:35]
	v_add_u32_e32 v143, s37, v147
	v_add_u32_e32 v0, 8, v143
	v_cmp_le_i32_e32 vcc, s26, v0
	v_min_i32_e32 v0, s39, v0
	v_mad_i64_i32 v[0:1], s[12:13], v0, s36, 0
	v_lshl_add_u64 v[0:1], v[0:1], 3, s[18:19]
	s_or_b64 s[12:13], s[4:5], vcc
	v_cndmask_b32_e64 v135, 0, v216, s[12:13]
	s_nor_b64 s[34:35], s[20:21], s[12:13]
	v_cndmask_b32_e64 v134, 0, -1, s[12:13]
	v_lshl_add_u64 v[0:1], v[128:129], 3, v[0:1]
	s_and_saveexec_b64 s[12:13], s[34:35]
	s_cbranch_execz .LBB128_41
; %bb.40:                               ;   in Loop: Header=BB128_35 Depth=1
	flat_load_dwordx2 v[2:3], v[0:1]
	s_waitcnt vmcnt(0) lgkmcnt(0)
	v_mul_f64 v[134:135], s[16:17], v[2:3]
.LBB128_41:                             ;   in Loop: Header=BB128_35 Depth=1
	s_or_b64 exec, exec, s[12:13]
	s_or_b64 s[12:13], s[6:7], vcc
	v_cndmask_b32_e64 v137, 0, v216, s[12:13]
	s_nor_b64 s[34:35], s[20:21], s[12:13]
	v_cndmask_b32_e64 v136, 0, -1, s[12:13]
	s_and_saveexec_b64 s[12:13], s[34:35]
	s_cbranch_execz .LBB128_43
; %bb.42:                               ;   in Loop: Header=BB128_35 Depth=1
	flat_load_dwordx2 v[2:3], v[0:1] offset:512
	s_waitcnt vmcnt(0) lgkmcnt(0)
	v_mul_f64 v[136:137], s[16:17], v[2:3]
.LBB128_43:                             ;   in Loop: Header=BB128_35 Depth=1
	s_or_b64 exec, exec, s[12:13]
	s_or_b64 s[12:13], s[8:9], vcc
	v_cndmask_b32_e64 v139, 0, v216, s[12:13]
	s_nor_b64 s[34:35], s[20:21], s[12:13]
	v_cndmask_b32_e64 v138, 0, -1, s[12:13]
	s_and_saveexec_b64 s[12:13], s[34:35]
	s_cbranch_execz .LBB128_45
; %bb.44:                               ;   in Loop: Header=BB128_35 Depth=1
	flat_load_dwordx2 v[2:3], v[0:1] offset:1024
	s_waitcnt vmcnt(0) lgkmcnt(0)
	v_mul_f64 v[138:139], s[16:17], v[2:3]
.LBB128_45:                             ;   in Loop: Header=BB128_35 Depth=1
	s_or_b64 exec, exec, s[12:13]
	s_or_b64 vcc, s[10:11], vcc
	v_cndmask_b32_e32 v141, 0, v216, vcc
	s_nor_b64 s[34:35], s[20:21], vcc
	v_cndmask_b32_e64 v140, 0, -1, vcc
	s_and_saveexec_b64 s[12:13], s[34:35]
	s_cbranch_execz .LBB128_47
; %bb.46:                               ;   in Loop: Header=BB128_35 Depth=1
	flat_load_dwordx2 v[0:1], v[0:1] offset:1536
	s_waitcnt vmcnt(0) lgkmcnt(0)
	v_mul_f64 v[140:141], s[16:17], v[0:1]
.LBB128_47:                             ;   in Loop: Header=BB128_35 Depth=1
	s_or_b64 exec, exec, s[12:13]
	ds_read_b128 v[124:127], v215
	ds_read_b128 v[60:63], v215 offset:16
	ds_read_b128 v[96:99], v214
	ds_read_b128 v[32:35], v214 offset:16
	ds_read_b128 v[92:95], v214 offset:256
	ds_read_b128 v[28:31], v214 offset:272
	ds_read_b128 v[88:91], v214 offset:512
	ds_read_b128 v[24:27], v214 offset:528
	ds_read_b128 v[80:83], v214 offset:768
	ds_read_b128 v[16:19], v214 offset:784
	ds_read_b128 v[76:79], v214 offset:1024
	ds_read_b128 v[12:15], v214 offset:1040
	ds_read_b128 v[72:75], v214 offset:1280
	ds_read_b128 v[8:11], v214 offset:1296
	ds_read_b128 v[68:71], v214 offset:1536
	ds_read_b128 v[4:7], v214 offset:1552
	ds_read_b128 v[64:67], v214 offset:1792
	ds_read_b128 v[0:3], v214 offset:1808
	ds_read_b128 v[120:123], v215 offset:1024
	ds_read_b128 v[56:59], v215 offset:1040
	ds_read_b128 v[116:119], v215 offset:2048
	ds_read_b128 v[52:55], v215 offset:2064
	ds_read_b128 v[112:115], v215 offset:3072
	ds_read_b128 v[48:51], v215 offset:3088
	ds_read_b128 v[108:111], v215 offset:4096
	ds_read_b128 v[44:47], v215 offset:4112
	ds_read_b128 v[104:107], v215 offset:5120
	ds_read_b128 v[40:43], v215 offset:5136
	ds_read_b128 v[100:103], v215 offset:6144
	ds_read_b128 v[36:39], v215 offset:6160
	ds_read_b128 v[84:87], v215 offset:7168
	ds_read_b128 v[20:23], v215 offset:7184
	ds_write_b64 v210, v[132:133]
	ds_write2st64_b64 v165, v[134:135], v[136:137] offset1:4
	ds_write2st64_b64 v165, v[138:139], v[140:141] offset0:8 offset1:12
	v_add_u32_e32 v132, 12, v142
	v_cmp_le_i32_e32 vcc, s26, v132
	s_or_b64 vcc, vcc, s[2:3]
	s_nor_b64 s[12:13], s[20:21], vcc
	s_waitcnt lgkmcnt(0)
	s_barrier
                                        ; implicit-def: $vgpr132_vgpr133
	s_and_saveexec_b64 s[34:35], s[12:13]
	s_xor_b64 s[12:13], exec, s[34:35]
	s_cbranch_execz .LBB128_49
; %bb.48:                               ;   in Loop: Header=BB128_35 Depth=1
	flat_load_dwordx2 v[132:133], v[130:131]
	s_waitcnt vmcnt(0) lgkmcnt(0)
	v_mul_f64 v[132:133], s[16:17], v[132:133]
.LBB128_49:                             ;   in Loop: Header=BB128_35 Depth=1
	s_andn2_saveexec_b64 s[12:13], s[12:13]
; %bb.50:                               ;   in Loop: Header=BB128_35 Depth=1
	v_cndmask_b32_e32 v133, 0, v216, vcc
	v_cndmask_b32_e64 v132, 0, -1, vcc
; %bb.51:                               ;   in Loop: Header=BB128_35 Depth=1
	s_or_b64 exec, exec, s[12:13]
	v_add_u32_e32 v134, 12, v143
	v_cmp_le_i32_e32 vcc, s26, v134
	v_min_i32_e32 v134, s39, v134
	v_mad_i64_i32 v[134:135], s[12:13], v134, s36, 0
	v_lshl_add_u64 v[136:137], v[134:135], 3, s[18:19]
	s_or_b64 s[12:13], s[4:5], vcc
	v_cndmask_b32_e64 v135, 0, v216, s[12:13]
	s_nor_b64 s[34:35], s[20:21], s[12:13]
	v_cndmask_b32_e64 v134, 0, -1, s[12:13]
	v_lshl_add_u64 v[142:143], v[128:129], 3, v[136:137]
	s_and_saveexec_b64 s[12:13], s[34:35]
	s_cbranch_execz .LBB128_53
; %bb.52:                               ;   in Loop: Header=BB128_35 Depth=1
	flat_load_dwordx2 v[134:135], v[142:143]
	s_waitcnt vmcnt(0) lgkmcnt(0)
	v_mul_f64 v[134:135], s[16:17], v[134:135]
.LBB128_53:                             ;   in Loop: Header=BB128_35 Depth=1
	s_or_b64 exec, exec, s[12:13]
	s_or_b64 s[12:13], s[6:7], vcc
	v_cndmask_b32_e64 v137, 0, v216, s[12:13]
	s_nor_b64 s[34:35], s[20:21], s[12:13]
	v_cndmask_b32_e64 v136, 0, -1, s[12:13]
	s_and_saveexec_b64 s[12:13], s[34:35]
	s_cbranch_execz .LBB128_55
; %bb.54:                               ;   in Loop: Header=BB128_35 Depth=1
	flat_load_dwordx2 v[136:137], v[142:143] offset:512
	s_waitcnt vmcnt(0) lgkmcnt(0)
	v_mul_f64 v[136:137], s[16:17], v[136:137]
.LBB128_55:                             ;   in Loop: Header=BB128_35 Depth=1
	s_or_b64 exec, exec, s[12:13]
	s_or_b64 s[12:13], s[8:9], vcc
	v_cndmask_b32_e64 v139, 0, v216, s[12:13]
	s_nor_b64 s[34:35], s[20:21], s[12:13]
	v_cndmask_b32_e64 v138, 0, -1, s[12:13]
	s_and_saveexec_b64 s[12:13], s[34:35]
	s_cbranch_execz .LBB128_57
; %bb.56:                               ;   in Loop: Header=BB128_35 Depth=1
	flat_load_dwordx2 v[138:139], v[142:143] offset:1024
	s_waitcnt vmcnt(0) lgkmcnt(0)
	v_mul_f64 v[138:139], s[16:17], v[138:139]
.LBB128_57:                             ;   in Loop: Header=BB128_35 Depth=1
	s_or_b64 exec, exec, s[12:13]
	s_or_b64 vcc, s[10:11], vcc
	v_cndmask_b32_e32 v141, 0, v216, vcc
	s_nor_b64 s[34:35], s[20:21], vcc
	v_cndmask_b32_e64 v140, 0, -1, vcc
	s_and_saveexec_b64 s[12:13], s[34:35]
	s_cbranch_execz .LBB128_34
; %bb.58:                               ;   in Loop: Header=BB128_35 Depth=1
	flat_load_dwordx2 v[140:141], v[142:143] offset:1536
	s_waitcnt vmcnt(0) lgkmcnt(0)
	v_mul_f64 v[140:141], s[16:17], v[140:141]
	s_branch .LBB128_34
.LBB128_59:
	s_load_dwordx2 s[2:3], s[0:1], 0x78
	s_load_dword s35, s[0:1], 0x58
	s_load_dword s34, s[0:1], 0x70
	ds_read_b128 v[68:71], v159 offset:18432
	ds_read_b128 v[64:67], v159 offset:18448
	;; [unrolled: 1-line block ×32, first 2 shown]
	s_waitcnt lgkmcnt(0)
	s_lshl_b64 s[0:1], s[2:3], 3
	s_add_u32 s20, s30, s0
	v_add_u32_e32 v158, s33, v145
	s_addc_u32 s21, s31, s1
	v_mad_i64_i32 v[130:131], s[0:1], v158, s35, 0
	v_add_u32_e32 v128, s27, v144
	v_lshl_add_u64 v[146:147], v[130:131], 3, s[28:29]
	v_mad_i64_i32 v[130:131], s[0:1], v158, s34, 0
	v_cmp_gt_i32_e64 s[2:3], s24, v128
	v_cmp_gt_i32_e64 s[18:19], s25, v158
	v_lshl_add_u64 v[144:145], v[130:131], 3, s[20:21]
	v_cndmask_b32_e64 v130, 0, 1, s[14:15]
	v_ashrrev_i32_e32 v129, 31, v128
	s_and_b64 s[6:7], s[2:3], s[18:19]
	v_cmp_ne_u32_e64 s[0:1], 1, v130
	s_and_saveexec_b64 s[4:5], s[6:7]
	s_cbranch_execz .LBB128_64
; %bb.60:
	s_and_b64 vcc, exec, s[0:1]
	s_cbranch_vccnz .LBB128_62
; %bb.61:
	v_lshl_add_u64 v[130:131], v[128:129], 3, v[146:147]
	flat_load_dwordx2 v[130:131], v[130:131]
	s_waitcnt vmcnt(0) lgkmcnt(0)
	v_mul_f64 v[130:131], s[22:23], v[130:131]
	v_cvt_f32_f64_e32 v130, v[130:131]
	s_branch .LBB128_63
.LBB128_62:
	v_mov_b32_e32 v130, 0
.LBB128_63:
	v_add_f64 v[132:133], v[70:71], v[126:127]
	v_add_f64 v[134:135], v[68:69], v[124:125]
	v_cvt_f32_f64_e32 v131, v[134:135]
	v_cvt_f32_f64_e32 v132, v[132:133]
	v_min3_f32 v131, v131, v132, v221
	v_add_f64 v[132:133], v[66:67], v[122:123]
	v_add_f64 v[134:135], v[64:65], v[120:121]
	v_cvt_f32_f64_e32 v134, v[134:135]
	v_cvt_f32_f64_e32 v132, v[132:133]
	v_min_f32_e32 v132, v134, v132
	v_min3_f32 v130, v130, v132, v131
	v_cvt_f64_f32_e32 v[130:131], v130
	v_lshl_add_u64 v[132:133], v[128:129], 3, v[144:145]
	flat_store_dwordx2 v[132:133], v[130:131]
.LBB128_64:
	s_or_b64 exec, exec, s[4:5]
	v_add_u32_e32 v130, 8, v128
	v_cmp_gt_i32_e64 s[4:5], s24, v130
	v_ashrrev_i32_e32 v131, 31, v130
	s_and_b64 s[8:9], s[4:5], s[18:19]
	s_and_saveexec_b64 s[6:7], s[8:9]
	s_cbranch_execz .LBB128_69
; %bb.65:
	s_and_b64 vcc, exec, s[0:1]
	s_cbranch_vccnz .LBB128_67
; %bb.66:
	v_lshl_add_u64 v[132:133], v[130:131], 3, v[146:147]
	flat_load_dwordx2 v[132:133], v[132:133]
	s_waitcnt vmcnt(0) lgkmcnt(0)
	v_mul_f64 v[132:133], s[22:23], v[132:133]
	v_cvt_f32_f64_e32 v132, v[132:133]
	s_branch .LBB128_68
.LBB128_67:
	v_mov_b32_e32 v132, 0
.LBB128_68:
	v_add_f64 v[134:135], v[62:63], v[126:127]
	v_add_f64 v[136:137], v[60:61], v[124:125]
	v_cvt_f32_f64_e32 v133, v[136:137]
	v_cvt_f32_f64_e32 v134, v[134:135]
	v_min3_f32 v133, v133, v134, v220
	v_add_f64 v[134:135], v[58:59], v[122:123]
	v_add_f64 v[136:137], v[56:57], v[120:121]
	v_cvt_f32_f64_e32 v136, v[136:137]
	v_cvt_f32_f64_e32 v134, v[134:135]
	v_min_f32_e32 v134, v136, v134
	v_min3_f32 v132, v132, v134, v133
	v_cvt_f64_f32_e32 v[132:133], v132
	v_lshl_add_u64 v[134:135], v[130:131], 3, v[144:145]
	flat_store_dwordx2 v[134:135], v[132:133]
.LBB128_69:
	s_or_b64 exec, exec, s[6:7]
	v_add_u32_e32 v132, 16, v128
	v_cmp_gt_i32_e64 s[6:7], s24, v132
	v_ashrrev_i32_e32 v133, 31, v132
	s_and_b64 s[10:11], s[6:7], s[18:19]
	;; [unrolled: 35-line block ×7, first 2 shown]
	s_and_saveexec_b64 s[18:19], s[26:27]
	s_cbranch_execz .LBB128_99
; %bb.95:
	s_and_b64 vcc, exec, s[0:1]
	s_cbranch_vccnz .LBB128_97
; %bb.96:
	v_lshl_add_u64 v[146:147], v[142:143], 3, v[146:147]
	flat_load_dwordx2 v[146:147], v[146:147]
	s_waitcnt vmcnt(0) lgkmcnt(0)
	v_mul_f64 v[146:147], s[22:23], v[146:147]
	v_cvt_f32_f64_e32 v146, v[146:147]
	s_branch .LBB128_98
.LBB128_97:
	v_mov_b32_e32 v146, 0
.LBB128_98:
	v_add_f64 v[126:127], v[6:7], v[126:127]
	v_add_f64 v[124:125], v[4:5], v[124:125]
	;; [unrolled: 1-line block ×4, first 2 shown]
	v_cvt_f32_f64_e32 v124, v[124:125]
	v_cvt_f32_f64_e32 v125, v[126:127]
	;; [unrolled: 1-line block ×4, first 2 shown]
	v_min3_f32 v124, v124, v125, v207
	v_min_f32_e32 v120, v120, v121
	v_min3_f32 v120, v146, v120, v124
	v_cvt_f64_f32_e32 v[120:121], v120
	v_lshl_add_u64 v[122:123], v[142:143], 3, v[144:145]
	flat_store_dwordx2 v[122:123], v[120:121]
.LBB128_99:
	s_or_b64 exec, exec, s[18:19]
	v_add_u32_e32 v124, 32, v158
	v_mad_i64_i32 v[120:121], s[26:27], v124, s35, 0
	v_cmp_gt_i32_e64 s[18:19], s25, v124
	v_lshl_add_u64 v[122:123], v[120:121], 3, s[28:29]
	v_mad_i64_i32 v[120:121], s[26:27], v124, s34, 0
	v_lshl_add_u64 v[120:121], v[120:121], 3, s[20:21]
	s_and_b64 s[30:31], s[2:3], s[18:19]
	s_and_saveexec_b64 s[26:27], s[30:31]
	s_cbranch_execnz .LBB128_107
; %bb.100:
	s_or_b64 exec, exec, s[26:27]
	s_and_b64 s[30:31], s[4:5], s[18:19]
	s_and_saveexec_b64 s[26:27], s[30:31]
	s_cbranch_execnz .LBB128_111
.LBB128_101:
	s_or_b64 exec, exec, s[26:27]
	s_and_b64 s[30:31], s[6:7], s[18:19]
	s_and_saveexec_b64 s[26:27], s[30:31]
	s_cbranch_execnz .LBB128_115
.LBB128_102:
	s_or_b64 exec, exec, s[26:27]
	s_and_b64 s[30:31], s[8:9], s[18:19]
	s_and_saveexec_b64 s[26:27], s[30:31]
	s_cbranch_execnz .LBB128_119
.LBB128_103:
	s_or_b64 exec, exec, s[26:27]
	s_and_b64 s[30:31], s[10:11], s[18:19]
	s_and_saveexec_b64 s[26:27], s[30:31]
	s_cbranch_execnz .LBB128_123
.LBB128_104:
	s_or_b64 exec, exec, s[26:27]
	s_and_b64 s[30:31], s[12:13], s[18:19]
	s_and_saveexec_b64 s[26:27], s[30:31]
	s_cbranch_execnz .LBB128_127
.LBB128_105:
	s_or_b64 exec, exec, s[26:27]
	s_and_b64 s[30:31], s[14:15], s[18:19]
	s_and_saveexec_b64 s[26:27], s[30:31]
	s_cbranch_execnz .LBB128_131
.LBB128_106:
	s_or_b64 exec, exec, s[26:27]
	s_and_b64 s[26:27], s[16:17], s[18:19]
	s_and_saveexec_b64 s[18:19], s[26:27]
	s_cbranch_execnz .LBB128_135
	s_branch .LBB128_139
.LBB128_107:
	s_and_b64 vcc, exec, s[0:1]
	s_cbranch_vccnz .LBB128_109
; %bb.108:
	v_lshl_add_u64 v[124:125], v[128:129], 3, v[122:123]
	flat_load_dwordx2 v[124:125], v[124:125]
	s_waitcnt vmcnt(0) lgkmcnt(0)
	v_mul_f64 v[124:125], s[22:23], v[124:125]
	v_cvt_f32_f64_e32 v124, v[124:125]
	s_branch .LBB128_110
.LBB128_109:
	v_mov_b32_e32 v124, 0
.LBB128_110:
	v_add_f64 v[126:127], v[70:71], v[118:119]
	v_add_f64 v[144:145], v[68:69], v[116:117]
	v_cvt_f32_f64_e32 v125, v[144:145]
	v_cvt_f32_f64_e32 v126, v[126:127]
	v_min3_f32 v125, v125, v126, v206
	v_add_f64 v[126:127], v[66:67], v[114:115]
	v_add_f64 v[144:145], v[64:65], v[112:113]
	v_cvt_f32_f64_e32 v144, v[144:145]
	v_cvt_f32_f64_e32 v126, v[126:127]
	v_min_f32_e32 v126, v144, v126
	v_min3_f32 v124, v124, v126, v125
	v_cvt_f64_f32_e32 v[124:125], v124
	v_lshl_add_u64 v[126:127], v[128:129], 3, v[120:121]
	flat_store_dwordx2 v[126:127], v[124:125]
	s_or_b64 exec, exec, s[26:27]
	s_and_b64 s[30:31], s[4:5], s[18:19]
	s_and_saveexec_b64 s[26:27], s[30:31]
	s_cbranch_execz .LBB128_101
.LBB128_111:
	s_and_b64 vcc, exec, s[0:1]
	s_cbranch_vccnz .LBB128_113
; %bb.112:
	v_lshl_add_u64 v[124:125], v[130:131], 3, v[122:123]
	flat_load_dwordx2 v[124:125], v[124:125]
	s_waitcnt vmcnt(0) lgkmcnt(0)
	v_mul_f64 v[124:125], s[22:23], v[124:125]
	v_cvt_f32_f64_e32 v124, v[124:125]
	s_branch .LBB128_114
.LBB128_113:
	v_mov_b32_e32 v124, 0
.LBB128_114:
	v_add_f64 v[126:127], v[62:63], v[118:119]
	v_add_f64 v[144:145], v[60:61], v[116:117]
	v_cvt_f32_f64_e32 v125, v[144:145]
	v_cvt_f32_f64_e32 v126, v[126:127]
	v_min3_f32 v125, v125, v126, v205
	v_add_f64 v[126:127], v[58:59], v[114:115]
	v_add_f64 v[144:145], v[56:57], v[112:113]
	v_cvt_f32_f64_e32 v144, v[144:145]
	v_cvt_f32_f64_e32 v126, v[126:127]
	v_min_f32_e32 v126, v144, v126
	v_min3_f32 v124, v124, v126, v125
	v_cvt_f64_f32_e32 v[124:125], v124
	v_lshl_add_u64 v[126:127], v[130:131], 3, v[120:121]
	flat_store_dwordx2 v[126:127], v[124:125]
	s_or_b64 exec, exec, s[26:27]
	s_and_b64 s[30:31], s[6:7], s[18:19]
	s_and_saveexec_b64 s[26:27], s[30:31]
	s_cbranch_execz .LBB128_102
.LBB128_115:
	s_and_b64 vcc, exec, s[0:1]
	s_cbranch_vccnz .LBB128_117
; %bb.116:
	v_lshl_add_u64 v[124:125], v[132:133], 3, v[122:123]
	flat_load_dwordx2 v[124:125], v[124:125]
	s_waitcnt vmcnt(0) lgkmcnt(0)
	v_mul_f64 v[124:125], s[22:23], v[124:125]
	v_cvt_f32_f64_e32 v124, v[124:125]
	s_branch .LBB128_118
.LBB128_117:
	v_mov_b32_e32 v124, 0
.LBB128_118:
	v_add_f64 v[126:127], v[54:55], v[118:119]
	v_add_f64 v[144:145], v[52:53], v[116:117]
	v_cvt_f32_f64_e32 v125, v[144:145]
	v_cvt_f32_f64_e32 v126, v[126:127]
	v_min3_f32 v125, v125, v126, v204
	v_add_f64 v[126:127], v[50:51], v[114:115]
	v_add_f64 v[144:145], v[48:49], v[112:113]
	v_cvt_f32_f64_e32 v144, v[144:145]
	v_cvt_f32_f64_e32 v126, v[126:127]
	v_min_f32_e32 v126, v144, v126
	v_min3_f32 v124, v124, v126, v125
	v_cvt_f64_f32_e32 v[124:125], v124
	v_lshl_add_u64 v[126:127], v[132:133], 3, v[120:121]
	flat_store_dwordx2 v[126:127], v[124:125]
	s_or_b64 exec, exec, s[26:27]
	s_and_b64 s[30:31], s[8:9], s[18:19]
	s_and_saveexec_b64 s[26:27], s[30:31]
	s_cbranch_execz .LBB128_103
.LBB128_119:
	s_and_b64 vcc, exec, s[0:1]
	s_cbranch_vccnz .LBB128_121
; %bb.120:
	v_lshl_add_u64 v[124:125], v[134:135], 3, v[122:123]
	flat_load_dwordx2 v[124:125], v[124:125]
	s_waitcnt vmcnt(0) lgkmcnt(0)
	v_mul_f64 v[124:125], s[22:23], v[124:125]
	v_cvt_f32_f64_e32 v124, v[124:125]
	s_branch .LBB128_122
.LBB128_121:
	v_mov_b32_e32 v124, 0
.LBB128_122:
	v_add_f64 v[126:127], v[46:47], v[118:119]
	v_add_f64 v[144:145], v[44:45], v[116:117]
	v_cvt_f32_f64_e32 v125, v[144:145]
	v_cvt_f32_f64_e32 v126, v[126:127]
	v_min3_f32 v125, v125, v126, v203
	v_add_f64 v[126:127], v[42:43], v[114:115]
	v_add_f64 v[144:145], v[40:41], v[112:113]
	v_cvt_f32_f64_e32 v144, v[144:145]
	v_cvt_f32_f64_e32 v126, v[126:127]
	v_min_f32_e32 v126, v144, v126
	v_min3_f32 v124, v124, v126, v125
	v_cvt_f64_f32_e32 v[124:125], v124
	v_lshl_add_u64 v[126:127], v[134:135], 3, v[120:121]
	flat_store_dwordx2 v[126:127], v[124:125]
	s_or_b64 exec, exec, s[26:27]
	s_and_b64 s[30:31], s[10:11], s[18:19]
	s_and_saveexec_b64 s[26:27], s[30:31]
	s_cbranch_execz .LBB128_104
.LBB128_123:
	s_and_b64 vcc, exec, s[0:1]
	s_cbranch_vccnz .LBB128_125
; %bb.124:
	v_lshl_add_u64 v[124:125], v[136:137], 3, v[122:123]
	flat_load_dwordx2 v[124:125], v[124:125]
	s_waitcnt vmcnt(0) lgkmcnt(0)
	v_mul_f64 v[124:125], s[22:23], v[124:125]
	v_cvt_f32_f64_e32 v124, v[124:125]
	s_branch .LBB128_126
.LBB128_125:
	v_mov_b32_e32 v124, 0
.LBB128_126:
	v_add_f64 v[126:127], v[38:39], v[118:119]
	v_add_f64 v[144:145], v[36:37], v[116:117]
	v_cvt_f32_f64_e32 v125, v[144:145]
	v_cvt_f32_f64_e32 v126, v[126:127]
	v_min3_f32 v125, v125, v126, v202
	v_add_f64 v[126:127], v[34:35], v[114:115]
	v_add_f64 v[144:145], v[32:33], v[112:113]
	v_cvt_f32_f64_e32 v144, v[144:145]
	v_cvt_f32_f64_e32 v126, v[126:127]
	v_min_f32_e32 v126, v144, v126
	v_min3_f32 v124, v124, v126, v125
	v_cvt_f64_f32_e32 v[124:125], v124
	v_lshl_add_u64 v[126:127], v[136:137], 3, v[120:121]
	flat_store_dwordx2 v[126:127], v[124:125]
	s_or_b64 exec, exec, s[26:27]
	s_and_b64 s[30:31], s[12:13], s[18:19]
	s_and_saveexec_b64 s[26:27], s[30:31]
	s_cbranch_execz .LBB128_105
.LBB128_127:
	s_and_b64 vcc, exec, s[0:1]
	s_cbranch_vccnz .LBB128_129
; %bb.128:
	v_lshl_add_u64 v[124:125], v[138:139], 3, v[122:123]
	flat_load_dwordx2 v[124:125], v[124:125]
	s_waitcnt vmcnt(0) lgkmcnt(0)
	v_mul_f64 v[124:125], s[22:23], v[124:125]
	v_cvt_f32_f64_e32 v124, v[124:125]
	s_branch .LBB128_130
.LBB128_129:
	v_mov_b32_e32 v124, 0
.LBB128_130:
	v_add_f64 v[126:127], v[30:31], v[118:119]
	v_add_f64 v[144:145], v[28:29], v[116:117]
	v_cvt_f32_f64_e32 v125, v[144:145]
	v_cvt_f32_f64_e32 v126, v[126:127]
	v_min3_f32 v125, v125, v126, v201
	v_add_f64 v[126:127], v[26:27], v[114:115]
	v_add_f64 v[144:145], v[24:25], v[112:113]
	v_cvt_f32_f64_e32 v144, v[144:145]
	v_cvt_f32_f64_e32 v126, v[126:127]
	v_min_f32_e32 v126, v144, v126
	v_min3_f32 v124, v124, v126, v125
	v_cvt_f64_f32_e32 v[124:125], v124
	v_lshl_add_u64 v[126:127], v[138:139], 3, v[120:121]
	flat_store_dwordx2 v[126:127], v[124:125]
	s_or_b64 exec, exec, s[26:27]
	s_and_b64 s[30:31], s[14:15], s[18:19]
	s_and_saveexec_b64 s[26:27], s[30:31]
	s_cbranch_execz .LBB128_106
.LBB128_131:
	s_and_b64 vcc, exec, s[0:1]
	s_cbranch_vccnz .LBB128_133
; %bb.132:
	v_lshl_add_u64 v[124:125], v[140:141], 3, v[122:123]
	flat_load_dwordx2 v[124:125], v[124:125]
	s_waitcnt vmcnt(0) lgkmcnt(0)
	v_mul_f64 v[124:125], s[22:23], v[124:125]
	v_cvt_f32_f64_e32 v124, v[124:125]
	s_branch .LBB128_134
.LBB128_133:
	v_mov_b32_e32 v124, 0
.LBB128_134:
	v_add_f64 v[126:127], v[22:23], v[118:119]
	v_add_f64 v[144:145], v[20:21], v[116:117]
	v_cvt_f32_f64_e32 v125, v[144:145]
	v_cvt_f32_f64_e32 v126, v[126:127]
	v_min3_f32 v125, v125, v126, v200
	v_add_f64 v[126:127], v[18:19], v[114:115]
	v_add_f64 v[144:145], v[16:17], v[112:113]
	v_cvt_f32_f64_e32 v144, v[144:145]
	v_cvt_f32_f64_e32 v126, v[126:127]
	v_min_f32_e32 v126, v144, v126
	v_min3_f32 v124, v124, v126, v125
	v_cvt_f64_f32_e32 v[124:125], v124
	v_lshl_add_u64 v[126:127], v[140:141], 3, v[120:121]
	flat_store_dwordx2 v[126:127], v[124:125]
	s_or_b64 exec, exec, s[26:27]
	s_and_b64 s[26:27], s[16:17], s[18:19]
	s_and_saveexec_b64 s[18:19], s[26:27]
	s_cbranch_execz .LBB128_139
.LBB128_135:
	s_and_b64 vcc, exec, s[0:1]
	s_cbranch_vccnz .LBB128_137
; %bb.136:
	v_lshl_add_u64 v[122:123], v[142:143], 3, v[122:123]
	flat_load_dwordx2 v[122:123], v[122:123]
	s_waitcnt vmcnt(0) lgkmcnt(0)
	v_mul_f64 v[122:123], s[22:23], v[122:123]
	v_cvt_f32_f64_e32 v122, v[122:123]
	s_branch .LBB128_138
.LBB128_137:
	v_mov_b32_e32 v122, 0
.LBB128_138:
	v_add_f64 v[118:119], v[6:7], v[118:119]
	v_add_f64 v[116:117], v[4:5], v[116:117]
	;; [unrolled: 1-line block ×4, first 2 shown]
	v_cvt_f32_f64_e32 v116, v[116:117]
	v_cvt_f32_f64_e32 v117, v[118:119]
	;; [unrolled: 1-line block ×4, first 2 shown]
	v_min3_f32 v116, v116, v117, v199
	v_min_f32_e32 v112, v112, v113
	v_min3_f32 v112, v122, v112, v116
	v_cvt_f64_f32_e32 v[112:113], v112
	v_lshl_add_u64 v[114:115], v[142:143], 3, v[120:121]
	flat_store_dwordx2 v[114:115], v[112:113]
.LBB128_139:
	s_or_b64 exec, exec, s[18:19]
	v_add_u32_e32 v116, 64, v158
	v_mad_i64_i32 v[112:113], s[26:27], v116, s35, 0
	v_cmp_gt_i32_e64 s[18:19], s25, v116
	v_lshl_add_u64 v[114:115], v[112:113], 3, s[28:29]
	v_mad_i64_i32 v[112:113], s[26:27], v116, s34, 0
	v_lshl_add_u64 v[112:113], v[112:113], 3, s[20:21]
	s_and_b64 s[30:31], s[2:3], s[18:19]
	s_and_saveexec_b64 s[26:27], s[30:31]
	s_cbranch_execnz .LBB128_147
; %bb.140:
	s_or_b64 exec, exec, s[26:27]
	s_and_b64 s[30:31], s[4:5], s[18:19]
	s_and_saveexec_b64 s[26:27], s[30:31]
	s_cbranch_execnz .LBB128_151
.LBB128_141:
	s_or_b64 exec, exec, s[26:27]
	s_and_b64 s[30:31], s[6:7], s[18:19]
	s_and_saveexec_b64 s[26:27], s[30:31]
	s_cbranch_execnz .LBB128_155
.LBB128_142:
	s_or_b64 exec, exec, s[26:27]
	s_and_b64 s[30:31], s[8:9], s[18:19]
	s_and_saveexec_b64 s[26:27], s[30:31]
	s_cbranch_execnz .LBB128_159
.LBB128_143:
	s_or_b64 exec, exec, s[26:27]
	s_and_b64 s[30:31], s[10:11], s[18:19]
	s_and_saveexec_b64 s[26:27], s[30:31]
	s_cbranch_execnz .LBB128_163
.LBB128_144:
	s_or_b64 exec, exec, s[26:27]
	s_and_b64 s[30:31], s[12:13], s[18:19]
	s_and_saveexec_b64 s[26:27], s[30:31]
	s_cbranch_execnz .LBB128_167
.LBB128_145:
	s_or_b64 exec, exec, s[26:27]
	s_and_b64 s[30:31], s[14:15], s[18:19]
	s_and_saveexec_b64 s[26:27], s[30:31]
	s_cbranch_execnz .LBB128_171
.LBB128_146:
	s_or_b64 exec, exec, s[26:27]
	s_and_b64 s[26:27], s[16:17], s[18:19]
	s_and_saveexec_b64 s[18:19], s[26:27]
	s_cbranch_execnz .LBB128_175
	s_branch .LBB128_179
.LBB128_147:
	s_and_b64 vcc, exec, s[0:1]
	s_cbranch_vccnz .LBB128_149
; %bb.148:
	v_lshl_add_u64 v[116:117], v[128:129], 3, v[114:115]
	flat_load_dwordx2 v[116:117], v[116:117]
	s_waitcnt vmcnt(0) lgkmcnt(0)
	v_mul_f64 v[116:117], s[22:23], v[116:117]
	v_cvt_f32_f64_e32 v116, v[116:117]
	s_branch .LBB128_150
.LBB128_149:
	v_mov_b32_e32 v116, 0
.LBB128_150:
	v_add_f64 v[118:119], v[70:71], v[110:111]
	v_add_f64 v[120:121], v[68:69], v[108:109]
	v_cvt_f32_f64_e32 v117, v[120:121]
	v_cvt_f32_f64_e32 v118, v[118:119]
	v_min3_f32 v117, v117, v118, v198
	v_add_f64 v[118:119], v[66:67], v[106:107]
	v_add_f64 v[120:121], v[64:65], v[104:105]
	v_cvt_f32_f64_e32 v120, v[120:121]
	v_cvt_f32_f64_e32 v118, v[118:119]
	v_min_f32_e32 v118, v120, v118
	v_min3_f32 v116, v116, v118, v117
	v_cvt_f64_f32_e32 v[116:117], v116
	v_lshl_add_u64 v[118:119], v[128:129], 3, v[112:113]
	flat_store_dwordx2 v[118:119], v[116:117]
	s_or_b64 exec, exec, s[26:27]
	s_and_b64 s[30:31], s[4:5], s[18:19]
	s_and_saveexec_b64 s[26:27], s[30:31]
	s_cbranch_execz .LBB128_141
.LBB128_151:
	s_and_b64 vcc, exec, s[0:1]
	s_cbranch_vccnz .LBB128_153
; %bb.152:
	v_lshl_add_u64 v[116:117], v[130:131], 3, v[114:115]
	flat_load_dwordx2 v[116:117], v[116:117]
	s_waitcnt vmcnt(0) lgkmcnt(0)
	v_mul_f64 v[116:117], s[22:23], v[116:117]
	v_cvt_f32_f64_e32 v116, v[116:117]
	s_branch .LBB128_154
.LBB128_153:
	v_mov_b32_e32 v116, 0
.LBB128_154:
	v_add_f64 v[118:119], v[62:63], v[110:111]
	v_add_f64 v[120:121], v[60:61], v[108:109]
	v_cvt_f32_f64_e32 v117, v[120:121]
	v_cvt_f32_f64_e32 v118, v[118:119]
	v_min3_f32 v117, v117, v118, v197
	v_add_f64 v[118:119], v[58:59], v[106:107]
	v_add_f64 v[120:121], v[56:57], v[104:105]
	v_cvt_f32_f64_e32 v120, v[120:121]
	v_cvt_f32_f64_e32 v118, v[118:119]
	v_min_f32_e32 v118, v120, v118
	v_min3_f32 v116, v116, v118, v117
	v_cvt_f64_f32_e32 v[116:117], v116
	v_lshl_add_u64 v[118:119], v[130:131], 3, v[112:113]
	flat_store_dwordx2 v[118:119], v[116:117]
	s_or_b64 exec, exec, s[26:27]
	s_and_b64 s[30:31], s[6:7], s[18:19]
	s_and_saveexec_b64 s[26:27], s[30:31]
	s_cbranch_execz .LBB128_142
.LBB128_155:
	s_and_b64 vcc, exec, s[0:1]
	s_cbranch_vccnz .LBB128_157
; %bb.156:
	v_lshl_add_u64 v[116:117], v[132:133], 3, v[114:115]
	flat_load_dwordx2 v[116:117], v[116:117]
	s_waitcnt vmcnt(0) lgkmcnt(0)
	v_mul_f64 v[116:117], s[22:23], v[116:117]
	v_cvt_f32_f64_e32 v116, v[116:117]
	s_branch .LBB128_158
.LBB128_157:
	v_mov_b32_e32 v116, 0
.LBB128_158:
	v_add_f64 v[118:119], v[54:55], v[110:111]
	v_add_f64 v[120:121], v[52:53], v[108:109]
	v_cvt_f32_f64_e32 v117, v[120:121]
	v_cvt_f32_f64_e32 v118, v[118:119]
	v_min3_f32 v117, v117, v118, v196
	v_add_f64 v[118:119], v[50:51], v[106:107]
	v_add_f64 v[120:121], v[48:49], v[104:105]
	v_cvt_f32_f64_e32 v120, v[120:121]
	v_cvt_f32_f64_e32 v118, v[118:119]
	v_min_f32_e32 v118, v120, v118
	v_min3_f32 v116, v116, v118, v117
	v_cvt_f64_f32_e32 v[116:117], v116
	v_lshl_add_u64 v[118:119], v[132:133], 3, v[112:113]
	flat_store_dwordx2 v[118:119], v[116:117]
	s_or_b64 exec, exec, s[26:27]
	s_and_b64 s[30:31], s[8:9], s[18:19]
	s_and_saveexec_b64 s[26:27], s[30:31]
	s_cbranch_execz .LBB128_143
.LBB128_159:
	s_and_b64 vcc, exec, s[0:1]
	s_cbranch_vccnz .LBB128_161
; %bb.160:
	v_lshl_add_u64 v[116:117], v[134:135], 3, v[114:115]
	flat_load_dwordx2 v[116:117], v[116:117]
	s_waitcnt vmcnt(0) lgkmcnt(0)
	v_mul_f64 v[116:117], s[22:23], v[116:117]
	v_cvt_f32_f64_e32 v116, v[116:117]
	s_branch .LBB128_162
.LBB128_161:
	v_mov_b32_e32 v116, 0
.LBB128_162:
	v_add_f64 v[118:119], v[46:47], v[110:111]
	v_add_f64 v[120:121], v[44:45], v[108:109]
	v_cvt_f32_f64_e32 v117, v[120:121]
	v_cvt_f32_f64_e32 v118, v[118:119]
	v_min3_f32 v117, v117, v118, v195
	v_add_f64 v[118:119], v[42:43], v[106:107]
	v_add_f64 v[120:121], v[40:41], v[104:105]
	v_cvt_f32_f64_e32 v120, v[120:121]
	v_cvt_f32_f64_e32 v118, v[118:119]
	v_min_f32_e32 v118, v120, v118
	v_min3_f32 v116, v116, v118, v117
	v_cvt_f64_f32_e32 v[116:117], v116
	v_lshl_add_u64 v[118:119], v[134:135], 3, v[112:113]
	flat_store_dwordx2 v[118:119], v[116:117]
	s_or_b64 exec, exec, s[26:27]
	s_and_b64 s[30:31], s[10:11], s[18:19]
	s_and_saveexec_b64 s[26:27], s[30:31]
	s_cbranch_execz .LBB128_144
.LBB128_163:
	s_and_b64 vcc, exec, s[0:1]
	s_cbranch_vccnz .LBB128_165
; %bb.164:
	v_lshl_add_u64 v[116:117], v[136:137], 3, v[114:115]
	flat_load_dwordx2 v[116:117], v[116:117]
	s_waitcnt vmcnt(0) lgkmcnt(0)
	v_mul_f64 v[116:117], s[22:23], v[116:117]
	v_cvt_f32_f64_e32 v116, v[116:117]
	s_branch .LBB128_166
.LBB128_165:
	v_mov_b32_e32 v116, 0
.LBB128_166:
	v_add_f64 v[118:119], v[38:39], v[110:111]
	v_add_f64 v[120:121], v[36:37], v[108:109]
	v_cvt_f32_f64_e32 v117, v[120:121]
	v_cvt_f32_f64_e32 v118, v[118:119]
	v_min3_f32 v117, v117, v118, v194
	v_add_f64 v[118:119], v[34:35], v[106:107]
	v_add_f64 v[120:121], v[32:33], v[104:105]
	v_cvt_f32_f64_e32 v120, v[120:121]
	v_cvt_f32_f64_e32 v118, v[118:119]
	v_min_f32_e32 v118, v120, v118
	v_min3_f32 v116, v116, v118, v117
	v_cvt_f64_f32_e32 v[116:117], v116
	v_lshl_add_u64 v[118:119], v[136:137], 3, v[112:113]
	flat_store_dwordx2 v[118:119], v[116:117]
	s_or_b64 exec, exec, s[26:27]
	s_and_b64 s[30:31], s[12:13], s[18:19]
	s_and_saveexec_b64 s[26:27], s[30:31]
	s_cbranch_execz .LBB128_145
.LBB128_167:
	s_and_b64 vcc, exec, s[0:1]
	s_cbranch_vccnz .LBB128_169
; %bb.168:
	v_lshl_add_u64 v[116:117], v[138:139], 3, v[114:115]
	flat_load_dwordx2 v[116:117], v[116:117]
	s_waitcnt vmcnt(0) lgkmcnt(0)
	v_mul_f64 v[116:117], s[22:23], v[116:117]
	v_cvt_f32_f64_e32 v116, v[116:117]
	s_branch .LBB128_170
.LBB128_169:
	v_mov_b32_e32 v116, 0
.LBB128_170:
	v_add_f64 v[118:119], v[30:31], v[110:111]
	v_add_f64 v[120:121], v[28:29], v[108:109]
	v_cvt_f32_f64_e32 v117, v[120:121]
	v_cvt_f32_f64_e32 v118, v[118:119]
	v_min3_f32 v117, v117, v118, v193
	v_add_f64 v[118:119], v[26:27], v[106:107]
	v_add_f64 v[120:121], v[24:25], v[104:105]
	v_cvt_f32_f64_e32 v120, v[120:121]
	v_cvt_f32_f64_e32 v118, v[118:119]
	v_min_f32_e32 v118, v120, v118
	v_min3_f32 v116, v116, v118, v117
	v_cvt_f64_f32_e32 v[116:117], v116
	v_lshl_add_u64 v[118:119], v[138:139], 3, v[112:113]
	flat_store_dwordx2 v[118:119], v[116:117]
	s_or_b64 exec, exec, s[26:27]
	s_and_b64 s[30:31], s[14:15], s[18:19]
	s_and_saveexec_b64 s[26:27], s[30:31]
	s_cbranch_execz .LBB128_146
.LBB128_171:
	s_and_b64 vcc, exec, s[0:1]
	s_cbranch_vccnz .LBB128_173
; %bb.172:
	v_lshl_add_u64 v[116:117], v[140:141], 3, v[114:115]
	flat_load_dwordx2 v[116:117], v[116:117]
	s_waitcnt vmcnt(0) lgkmcnt(0)
	v_mul_f64 v[116:117], s[22:23], v[116:117]
	v_cvt_f32_f64_e32 v116, v[116:117]
	s_branch .LBB128_174
.LBB128_173:
	v_mov_b32_e32 v116, 0
.LBB128_174:
	v_add_f64 v[118:119], v[22:23], v[110:111]
	v_add_f64 v[120:121], v[20:21], v[108:109]
	v_cvt_f32_f64_e32 v117, v[120:121]
	v_cvt_f32_f64_e32 v118, v[118:119]
	v_min3_f32 v117, v117, v118, v192
	v_add_f64 v[118:119], v[18:19], v[106:107]
	v_add_f64 v[120:121], v[16:17], v[104:105]
	v_cvt_f32_f64_e32 v120, v[120:121]
	v_cvt_f32_f64_e32 v118, v[118:119]
	v_min_f32_e32 v118, v120, v118
	v_min3_f32 v116, v116, v118, v117
	v_cvt_f64_f32_e32 v[116:117], v116
	v_lshl_add_u64 v[118:119], v[140:141], 3, v[112:113]
	flat_store_dwordx2 v[118:119], v[116:117]
	s_or_b64 exec, exec, s[26:27]
	s_and_b64 s[26:27], s[16:17], s[18:19]
	s_and_saveexec_b64 s[18:19], s[26:27]
	s_cbranch_execz .LBB128_179
.LBB128_175:
	s_and_b64 vcc, exec, s[0:1]
	s_cbranch_vccnz .LBB128_177
; %bb.176:
	v_lshl_add_u64 v[114:115], v[142:143], 3, v[114:115]
	flat_load_dwordx2 v[114:115], v[114:115]
	s_waitcnt vmcnt(0) lgkmcnt(0)
	v_mul_f64 v[114:115], s[22:23], v[114:115]
	v_cvt_f32_f64_e32 v114, v[114:115]
	s_branch .LBB128_178
.LBB128_177:
	v_mov_b32_e32 v114, 0
.LBB128_178:
	v_add_f64 v[110:111], v[6:7], v[110:111]
	v_add_f64 v[108:109], v[4:5], v[108:109]
	;; [unrolled: 1-line block ×4, first 2 shown]
	v_cvt_f32_f64_e32 v108, v[108:109]
	v_cvt_f32_f64_e32 v109, v[110:111]
	;; [unrolled: 1-line block ×4, first 2 shown]
	v_min3_f32 v108, v108, v109, v191
	v_min_f32_e32 v104, v104, v105
	v_min3_f32 v104, v114, v104, v108
	v_cvt_f64_f32_e32 v[104:105], v104
	v_lshl_add_u64 v[106:107], v[142:143], 3, v[112:113]
	flat_store_dwordx2 v[106:107], v[104:105]
.LBB128_179:
	s_or_b64 exec, exec, s[18:19]
	v_add_u32_e32 v108, 0x60, v158
	v_mad_i64_i32 v[104:105], s[26:27], v108, s35, 0
	v_cmp_gt_i32_e64 s[18:19], s25, v108
	v_lshl_add_u64 v[106:107], v[104:105], 3, s[28:29]
	v_mad_i64_i32 v[104:105], s[26:27], v108, s34, 0
	v_lshl_add_u64 v[104:105], v[104:105], 3, s[20:21]
	s_and_b64 s[30:31], s[2:3], s[18:19]
	s_and_saveexec_b64 s[26:27], s[30:31]
	s_cbranch_execnz .LBB128_187
; %bb.180:
	s_or_b64 exec, exec, s[26:27]
	s_and_b64 s[30:31], s[4:5], s[18:19]
	s_and_saveexec_b64 s[26:27], s[30:31]
	s_cbranch_execnz .LBB128_191
.LBB128_181:
	s_or_b64 exec, exec, s[26:27]
	s_and_b64 s[30:31], s[6:7], s[18:19]
	s_and_saveexec_b64 s[26:27], s[30:31]
	s_cbranch_execnz .LBB128_195
.LBB128_182:
	s_or_b64 exec, exec, s[26:27]
	s_and_b64 s[30:31], s[8:9], s[18:19]
	s_and_saveexec_b64 s[26:27], s[30:31]
	s_cbranch_execnz .LBB128_199
.LBB128_183:
	s_or_b64 exec, exec, s[26:27]
	s_and_b64 s[30:31], s[10:11], s[18:19]
	s_and_saveexec_b64 s[26:27], s[30:31]
	s_cbranch_execnz .LBB128_203
.LBB128_184:
	s_or_b64 exec, exec, s[26:27]
	s_and_b64 s[30:31], s[12:13], s[18:19]
	s_and_saveexec_b64 s[26:27], s[30:31]
	s_cbranch_execnz .LBB128_207
.LBB128_185:
	s_or_b64 exec, exec, s[26:27]
	s_and_b64 s[30:31], s[14:15], s[18:19]
	s_and_saveexec_b64 s[26:27], s[30:31]
	s_cbranch_execnz .LBB128_211
.LBB128_186:
	s_or_b64 exec, exec, s[26:27]
	s_and_b64 s[26:27], s[16:17], s[18:19]
	s_and_saveexec_b64 s[18:19], s[26:27]
	s_cbranch_execnz .LBB128_215
	s_branch .LBB128_219
.LBB128_187:
	s_and_b64 vcc, exec, s[0:1]
	s_cbranch_vccnz .LBB128_189
; %bb.188:
	v_lshl_add_u64 v[108:109], v[128:129], 3, v[106:107]
	flat_load_dwordx2 v[108:109], v[108:109]
	s_waitcnt vmcnt(0) lgkmcnt(0)
	v_mul_f64 v[108:109], s[22:23], v[108:109]
	v_cvt_f32_f64_e32 v108, v[108:109]
	s_branch .LBB128_190
.LBB128_189:
	v_mov_b32_e32 v108, 0
.LBB128_190:
	v_add_f64 v[110:111], v[70:71], v[102:103]
	v_add_f64 v[112:113], v[68:69], v[100:101]
	v_cvt_f32_f64_e32 v109, v[112:113]
	v_cvt_f32_f64_e32 v110, v[110:111]
	v_min3_f32 v109, v109, v110, v190
	v_add_f64 v[110:111], v[66:67], v[98:99]
	v_add_f64 v[112:113], v[64:65], v[96:97]
	v_cvt_f32_f64_e32 v112, v[112:113]
	v_cvt_f32_f64_e32 v110, v[110:111]
	v_min_f32_e32 v110, v112, v110
	v_min3_f32 v108, v108, v110, v109
	v_cvt_f64_f32_e32 v[108:109], v108
	v_lshl_add_u64 v[110:111], v[128:129], 3, v[104:105]
	flat_store_dwordx2 v[110:111], v[108:109]
	s_or_b64 exec, exec, s[26:27]
	s_and_b64 s[30:31], s[4:5], s[18:19]
	s_and_saveexec_b64 s[26:27], s[30:31]
	s_cbranch_execz .LBB128_181
.LBB128_191:
	s_and_b64 vcc, exec, s[0:1]
	s_cbranch_vccnz .LBB128_193
; %bb.192:
	v_lshl_add_u64 v[108:109], v[130:131], 3, v[106:107]
	flat_load_dwordx2 v[108:109], v[108:109]
	s_waitcnt vmcnt(0) lgkmcnt(0)
	v_mul_f64 v[108:109], s[22:23], v[108:109]
	v_cvt_f32_f64_e32 v108, v[108:109]
	s_branch .LBB128_194
.LBB128_193:
	v_mov_b32_e32 v108, 0
.LBB128_194:
	v_add_f64 v[110:111], v[62:63], v[102:103]
	v_add_f64 v[112:113], v[60:61], v[100:101]
	v_cvt_f32_f64_e32 v109, v[112:113]
	v_cvt_f32_f64_e32 v110, v[110:111]
	v_min3_f32 v109, v109, v110, v189
	v_add_f64 v[110:111], v[58:59], v[98:99]
	v_add_f64 v[112:113], v[56:57], v[96:97]
	v_cvt_f32_f64_e32 v112, v[112:113]
	v_cvt_f32_f64_e32 v110, v[110:111]
	v_min_f32_e32 v110, v112, v110
	v_min3_f32 v108, v108, v110, v109
	v_cvt_f64_f32_e32 v[108:109], v108
	v_lshl_add_u64 v[110:111], v[130:131], 3, v[104:105]
	flat_store_dwordx2 v[110:111], v[108:109]
	s_or_b64 exec, exec, s[26:27]
	s_and_b64 s[30:31], s[6:7], s[18:19]
	s_and_saveexec_b64 s[26:27], s[30:31]
	s_cbranch_execz .LBB128_182
.LBB128_195:
	s_and_b64 vcc, exec, s[0:1]
	s_cbranch_vccnz .LBB128_197
; %bb.196:
	v_lshl_add_u64 v[108:109], v[132:133], 3, v[106:107]
	flat_load_dwordx2 v[108:109], v[108:109]
	s_waitcnt vmcnt(0) lgkmcnt(0)
	v_mul_f64 v[108:109], s[22:23], v[108:109]
	v_cvt_f32_f64_e32 v108, v[108:109]
	s_branch .LBB128_198
.LBB128_197:
	v_mov_b32_e32 v108, 0
.LBB128_198:
	v_add_f64 v[110:111], v[54:55], v[102:103]
	v_add_f64 v[112:113], v[52:53], v[100:101]
	v_cvt_f32_f64_e32 v109, v[112:113]
	v_cvt_f32_f64_e32 v110, v[110:111]
	v_min3_f32 v109, v109, v110, v188
	v_add_f64 v[110:111], v[50:51], v[98:99]
	v_add_f64 v[112:113], v[48:49], v[96:97]
	v_cvt_f32_f64_e32 v112, v[112:113]
	v_cvt_f32_f64_e32 v110, v[110:111]
	v_min_f32_e32 v110, v112, v110
	v_min3_f32 v108, v108, v110, v109
	v_cvt_f64_f32_e32 v[108:109], v108
	v_lshl_add_u64 v[110:111], v[132:133], 3, v[104:105]
	flat_store_dwordx2 v[110:111], v[108:109]
	s_or_b64 exec, exec, s[26:27]
	s_and_b64 s[30:31], s[8:9], s[18:19]
	s_and_saveexec_b64 s[26:27], s[30:31]
	s_cbranch_execz .LBB128_183
.LBB128_199:
	s_and_b64 vcc, exec, s[0:1]
	s_cbranch_vccnz .LBB128_201
; %bb.200:
	v_lshl_add_u64 v[108:109], v[134:135], 3, v[106:107]
	flat_load_dwordx2 v[108:109], v[108:109]
	s_waitcnt vmcnt(0) lgkmcnt(0)
	v_mul_f64 v[108:109], s[22:23], v[108:109]
	v_cvt_f32_f64_e32 v108, v[108:109]
	s_branch .LBB128_202
.LBB128_201:
	v_mov_b32_e32 v108, 0
.LBB128_202:
	v_add_f64 v[110:111], v[46:47], v[102:103]
	v_add_f64 v[112:113], v[44:45], v[100:101]
	v_cvt_f32_f64_e32 v109, v[112:113]
	v_cvt_f32_f64_e32 v110, v[110:111]
	v_min3_f32 v109, v109, v110, v187
	v_add_f64 v[110:111], v[42:43], v[98:99]
	v_add_f64 v[112:113], v[40:41], v[96:97]
	v_cvt_f32_f64_e32 v112, v[112:113]
	v_cvt_f32_f64_e32 v110, v[110:111]
	v_min_f32_e32 v110, v112, v110
	v_min3_f32 v108, v108, v110, v109
	v_cvt_f64_f32_e32 v[108:109], v108
	v_lshl_add_u64 v[110:111], v[134:135], 3, v[104:105]
	flat_store_dwordx2 v[110:111], v[108:109]
	s_or_b64 exec, exec, s[26:27]
	s_and_b64 s[30:31], s[10:11], s[18:19]
	s_and_saveexec_b64 s[26:27], s[30:31]
	s_cbranch_execz .LBB128_184
.LBB128_203:
	s_and_b64 vcc, exec, s[0:1]
	s_cbranch_vccnz .LBB128_205
; %bb.204:
	v_lshl_add_u64 v[108:109], v[136:137], 3, v[106:107]
	flat_load_dwordx2 v[108:109], v[108:109]
	s_waitcnt vmcnt(0) lgkmcnt(0)
	v_mul_f64 v[108:109], s[22:23], v[108:109]
	v_cvt_f32_f64_e32 v108, v[108:109]
	s_branch .LBB128_206
.LBB128_205:
	v_mov_b32_e32 v108, 0
.LBB128_206:
	v_add_f64 v[110:111], v[38:39], v[102:103]
	v_add_f64 v[112:113], v[36:37], v[100:101]
	v_cvt_f32_f64_e32 v109, v[112:113]
	v_cvt_f32_f64_e32 v110, v[110:111]
	v_min3_f32 v109, v109, v110, v186
	v_add_f64 v[110:111], v[34:35], v[98:99]
	v_add_f64 v[112:113], v[32:33], v[96:97]
	v_cvt_f32_f64_e32 v112, v[112:113]
	v_cvt_f32_f64_e32 v110, v[110:111]
	v_min_f32_e32 v110, v112, v110
	v_min3_f32 v108, v108, v110, v109
	v_cvt_f64_f32_e32 v[108:109], v108
	v_lshl_add_u64 v[110:111], v[136:137], 3, v[104:105]
	flat_store_dwordx2 v[110:111], v[108:109]
	s_or_b64 exec, exec, s[26:27]
	s_and_b64 s[30:31], s[12:13], s[18:19]
	s_and_saveexec_b64 s[26:27], s[30:31]
	s_cbranch_execz .LBB128_185
.LBB128_207:
	s_and_b64 vcc, exec, s[0:1]
	s_cbranch_vccnz .LBB128_209
; %bb.208:
	v_lshl_add_u64 v[108:109], v[138:139], 3, v[106:107]
	flat_load_dwordx2 v[108:109], v[108:109]
	s_waitcnt vmcnt(0) lgkmcnt(0)
	v_mul_f64 v[108:109], s[22:23], v[108:109]
	v_cvt_f32_f64_e32 v108, v[108:109]
	s_branch .LBB128_210
.LBB128_209:
	v_mov_b32_e32 v108, 0
.LBB128_210:
	v_add_f64 v[110:111], v[30:31], v[102:103]
	v_add_f64 v[112:113], v[28:29], v[100:101]
	v_cvt_f32_f64_e32 v109, v[112:113]
	v_cvt_f32_f64_e32 v110, v[110:111]
	v_min3_f32 v109, v109, v110, v185
	v_add_f64 v[110:111], v[26:27], v[98:99]
	v_add_f64 v[112:113], v[24:25], v[96:97]
	v_cvt_f32_f64_e32 v112, v[112:113]
	v_cvt_f32_f64_e32 v110, v[110:111]
	v_min_f32_e32 v110, v112, v110
	v_min3_f32 v108, v108, v110, v109
	v_cvt_f64_f32_e32 v[108:109], v108
	v_lshl_add_u64 v[110:111], v[138:139], 3, v[104:105]
	flat_store_dwordx2 v[110:111], v[108:109]
	s_or_b64 exec, exec, s[26:27]
	s_and_b64 s[30:31], s[14:15], s[18:19]
	s_and_saveexec_b64 s[26:27], s[30:31]
	s_cbranch_execz .LBB128_186
.LBB128_211:
	s_and_b64 vcc, exec, s[0:1]
	s_cbranch_vccnz .LBB128_213
; %bb.212:
	v_lshl_add_u64 v[108:109], v[140:141], 3, v[106:107]
	flat_load_dwordx2 v[108:109], v[108:109]
	s_waitcnt vmcnt(0) lgkmcnt(0)
	v_mul_f64 v[108:109], s[22:23], v[108:109]
	v_cvt_f32_f64_e32 v108, v[108:109]
	s_branch .LBB128_214
.LBB128_213:
	v_mov_b32_e32 v108, 0
.LBB128_214:
	v_add_f64 v[110:111], v[22:23], v[102:103]
	v_add_f64 v[112:113], v[20:21], v[100:101]
	v_cvt_f32_f64_e32 v109, v[112:113]
	v_cvt_f32_f64_e32 v110, v[110:111]
	v_min3_f32 v109, v109, v110, v184
	v_add_f64 v[110:111], v[18:19], v[98:99]
	v_add_f64 v[112:113], v[16:17], v[96:97]
	v_cvt_f32_f64_e32 v112, v[112:113]
	v_cvt_f32_f64_e32 v110, v[110:111]
	v_min_f32_e32 v110, v112, v110
	v_min3_f32 v108, v108, v110, v109
	v_cvt_f64_f32_e32 v[108:109], v108
	v_lshl_add_u64 v[110:111], v[140:141], 3, v[104:105]
	flat_store_dwordx2 v[110:111], v[108:109]
	s_or_b64 exec, exec, s[26:27]
	s_and_b64 s[26:27], s[16:17], s[18:19]
	s_and_saveexec_b64 s[18:19], s[26:27]
	s_cbranch_execz .LBB128_219
.LBB128_215:
	s_and_b64 vcc, exec, s[0:1]
	s_cbranch_vccnz .LBB128_217
; %bb.216:
	v_lshl_add_u64 v[106:107], v[142:143], 3, v[106:107]
	flat_load_dwordx2 v[106:107], v[106:107]
	s_waitcnt vmcnt(0) lgkmcnt(0)
	v_mul_f64 v[106:107], s[22:23], v[106:107]
	v_cvt_f32_f64_e32 v106, v[106:107]
	s_branch .LBB128_218
.LBB128_217:
	v_mov_b32_e32 v106, 0
.LBB128_218:
	v_add_f64 v[102:103], v[6:7], v[102:103]
	v_add_f64 v[100:101], v[4:5], v[100:101]
	;; [unrolled: 1-line block ×4, first 2 shown]
	v_cvt_f32_f64_e32 v100, v[100:101]
	v_cvt_f32_f64_e32 v101, v[102:103]
	;; [unrolled: 1-line block ×4, first 2 shown]
	v_min3_f32 v100, v100, v101, v183
	v_min_f32_e32 v96, v96, v97
	v_min3_f32 v96, v106, v96, v100
	v_cvt_f64_f32_e32 v[96:97], v96
	v_lshl_add_u64 v[98:99], v[142:143], 3, v[104:105]
	flat_store_dwordx2 v[98:99], v[96:97]
.LBB128_219:
	s_or_b64 exec, exec, s[18:19]
	v_add_u32_e32 v100, 0x80, v158
	v_mad_i64_i32 v[96:97], s[26:27], v100, s35, 0
	v_cmp_gt_i32_e64 s[18:19], s25, v100
	v_lshl_add_u64 v[98:99], v[96:97], 3, s[28:29]
	v_mad_i64_i32 v[96:97], s[26:27], v100, s34, 0
	v_lshl_add_u64 v[96:97], v[96:97], 3, s[20:21]
	s_and_b64 s[30:31], s[2:3], s[18:19]
	s_and_saveexec_b64 s[26:27], s[30:31]
	s_cbranch_execnz .LBB128_227
; %bb.220:
	s_or_b64 exec, exec, s[26:27]
	s_and_b64 s[30:31], s[4:5], s[18:19]
	s_and_saveexec_b64 s[26:27], s[30:31]
	s_cbranch_execnz .LBB128_231
.LBB128_221:
	s_or_b64 exec, exec, s[26:27]
	s_and_b64 s[30:31], s[6:7], s[18:19]
	s_and_saveexec_b64 s[26:27], s[30:31]
	s_cbranch_execnz .LBB128_235
.LBB128_222:
	s_or_b64 exec, exec, s[26:27]
	s_and_b64 s[30:31], s[8:9], s[18:19]
	s_and_saveexec_b64 s[26:27], s[30:31]
	s_cbranch_execnz .LBB128_239
.LBB128_223:
	s_or_b64 exec, exec, s[26:27]
	s_and_b64 s[30:31], s[10:11], s[18:19]
	s_and_saveexec_b64 s[26:27], s[30:31]
	s_cbranch_execnz .LBB128_243
.LBB128_224:
	s_or_b64 exec, exec, s[26:27]
	s_and_b64 s[30:31], s[12:13], s[18:19]
	s_and_saveexec_b64 s[26:27], s[30:31]
	s_cbranch_execnz .LBB128_247
.LBB128_225:
	s_or_b64 exec, exec, s[26:27]
	s_and_b64 s[30:31], s[14:15], s[18:19]
	s_and_saveexec_b64 s[26:27], s[30:31]
	s_cbranch_execnz .LBB128_251
.LBB128_226:
	s_or_b64 exec, exec, s[26:27]
	s_and_b64 s[26:27], s[16:17], s[18:19]
	s_and_saveexec_b64 s[18:19], s[26:27]
	s_cbranch_execnz .LBB128_255
	s_branch .LBB128_259
.LBB128_227:
	s_and_b64 vcc, exec, s[0:1]
	s_cbranch_vccnz .LBB128_229
; %bb.228:
	v_lshl_add_u64 v[100:101], v[128:129], 3, v[98:99]
	flat_load_dwordx2 v[100:101], v[100:101]
	s_waitcnt vmcnt(0) lgkmcnt(0)
	v_mul_f64 v[100:101], s[22:23], v[100:101]
	v_cvt_f32_f64_e32 v100, v[100:101]
	s_branch .LBB128_230
.LBB128_229:
	v_mov_b32_e32 v100, 0
.LBB128_230:
	v_add_f64 v[102:103], v[70:71], v[94:95]
	v_add_f64 v[104:105], v[68:69], v[92:93]
	v_cvt_f32_f64_e32 v101, v[104:105]
	v_cvt_f32_f64_e32 v102, v[102:103]
	v_min3_f32 v101, v101, v102, v182
	v_add_f64 v[102:103], v[66:67], v[90:91]
	v_add_f64 v[104:105], v[64:65], v[88:89]
	v_cvt_f32_f64_e32 v104, v[104:105]
	v_cvt_f32_f64_e32 v102, v[102:103]
	v_min_f32_e32 v102, v104, v102
	v_min3_f32 v100, v100, v102, v101
	v_cvt_f64_f32_e32 v[100:101], v100
	v_lshl_add_u64 v[102:103], v[128:129], 3, v[96:97]
	flat_store_dwordx2 v[102:103], v[100:101]
	s_or_b64 exec, exec, s[26:27]
	s_and_b64 s[30:31], s[4:5], s[18:19]
	s_and_saveexec_b64 s[26:27], s[30:31]
	s_cbranch_execz .LBB128_221
.LBB128_231:
	s_and_b64 vcc, exec, s[0:1]
	s_cbranch_vccnz .LBB128_233
; %bb.232:
	v_lshl_add_u64 v[100:101], v[130:131], 3, v[98:99]
	flat_load_dwordx2 v[100:101], v[100:101]
	s_waitcnt vmcnt(0) lgkmcnt(0)
	v_mul_f64 v[100:101], s[22:23], v[100:101]
	v_cvt_f32_f64_e32 v100, v[100:101]
	s_branch .LBB128_234
.LBB128_233:
	v_mov_b32_e32 v100, 0
.LBB128_234:
	v_add_f64 v[102:103], v[62:63], v[94:95]
	v_add_f64 v[104:105], v[60:61], v[92:93]
	v_cvt_f32_f64_e32 v101, v[104:105]
	v_cvt_f32_f64_e32 v102, v[102:103]
	v_min3_f32 v101, v101, v102, v181
	v_add_f64 v[102:103], v[58:59], v[90:91]
	v_add_f64 v[104:105], v[56:57], v[88:89]
	v_cvt_f32_f64_e32 v104, v[104:105]
	v_cvt_f32_f64_e32 v102, v[102:103]
	v_min_f32_e32 v102, v104, v102
	v_min3_f32 v100, v100, v102, v101
	v_cvt_f64_f32_e32 v[100:101], v100
	v_lshl_add_u64 v[102:103], v[130:131], 3, v[96:97]
	flat_store_dwordx2 v[102:103], v[100:101]
	s_or_b64 exec, exec, s[26:27]
	s_and_b64 s[30:31], s[6:7], s[18:19]
	s_and_saveexec_b64 s[26:27], s[30:31]
	s_cbranch_execz .LBB128_222
.LBB128_235:
	s_and_b64 vcc, exec, s[0:1]
	s_cbranch_vccnz .LBB128_237
; %bb.236:
	v_lshl_add_u64 v[100:101], v[132:133], 3, v[98:99]
	flat_load_dwordx2 v[100:101], v[100:101]
	s_waitcnt vmcnt(0) lgkmcnt(0)
	v_mul_f64 v[100:101], s[22:23], v[100:101]
	v_cvt_f32_f64_e32 v100, v[100:101]
	s_branch .LBB128_238
.LBB128_237:
	v_mov_b32_e32 v100, 0
.LBB128_238:
	v_add_f64 v[102:103], v[54:55], v[94:95]
	v_add_f64 v[104:105], v[52:53], v[92:93]
	v_cvt_f32_f64_e32 v101, v[104:105]
	v_cvt_f32_f64_e32 v102, v[102:103]
	v_min3_f32 v101, v101, v102, v180
	v_add_f64 v[102:103], v[50:51], v[90:91]
	v_add_f64 v[104:105], v[48:49], v[88:89]
	v_cvt_f32_f64_e32 v104, v[104:105]
	v_cvt_f32_f64_e32 v102, v[102:103]
	v_min_f32_e32 v102, v104, v102
	v_min3_f32 v100, v100, v102, v101
	v_cvt_f64_f32_e32 v[100:101], v100
	v_lshl_add_u64 v[102:103], v[132:133], 3, v[96:97]
	flat_store_dwordx2 v[102:103], v[100:101]
	s_or_b64 exec, exec, s[26:27]
	s_and_b64 s[30:31], s[8:9], s[18:19]
	s_and_saveexec_b64 s[26:27], s[30:31]
	s_cbranch_execz .LBB128_223
.LBB128_239:
	s_and_b64 vcc, exec, s[0:1]
	s_cbranch_vccnz .LBB128_241
; %bb.240:
	v_lshl_add_u64 v[100:101], v[134:135], 3, v[98:99]
	flat_load_dwordx2 v[100:101], v[100:101]
	s_waitcnt vmcnt(0) lgkmcnt(0)
	v_mul_f64 v[100:101], s[22:23], v[100:101]
	v_cvt_f32_f64_e32 v100, v[100:101]
	s_branch .LBB128_242
.LBB128_241:
	v_mov_b32_e32 v100, 0
.LBB128_242:
	v_add_f64 v[102:103], v[46:47], v[94:95]
	v_add_f64 v[104:105], v[44:45], v[92:93]
	v_cvt_f32_f64_e32 v101, v[104:105]
	v_cvt_f32_f64_e32 v102, v[102:103]
	v_min3_f32 v101, v101, v102, v179
	v_add_f64 v[102:103], v[42:43], v[90:91]
	v_add_f64 v[104:105], v[40:41], v[88:89]
	v_cvt_f32_f64_e32 v104, v[104:105]
	v_cvt_f32_f64_e32 v102, v[102:103]
	v_min_f32_e32 v102, v104, v102
	v_min3_f32 v100, v100, v102, v101
	v_cvt_f64_f32_e32 v[100:101], v100
	v_lshl_add_u64 v[102:103], v[134:135], 3, v[96:97]
	flat_store_dwordx2 v[102:103], v[100:101]
	s_or_b64 exec, exec, s[26:27]
	s_and_b64 s[30:31], s[10:11], s[18:19]
	s_and_saveexec_b64 s[26:27], s[30:31]
	s_cbranch_execz .LBB128_224
.LBB128_243:
	s_and_b64 vcc, exec, s[0:1]
	s_cbranch_vccnz .LBB128_245
; %bb.244:
	v_lshl_add_u64 v[100:101], v[136:137], 3, v[98:99]
	flat_load_dwordx2 v[100:101], v[100:101]
	s_waitcnt vmcnt(0) lgkmcnt(0)
	v_mul_f64 v[100:101], s[22:23], v[100:101]
	v_cvt_f32_f64_e32 v100, v[100:101]
	s_branch .LBB128_246
.LBB128_245:
	v_mov_b32_e32 v100, 0
.LBB128_246:
	v_add_f64 v[102:103], v[38:39], v[94:95]
	v_add_f64 v[104:105], v[36:37], v[92:93]
	v_cvt_f32_f64_e32 v101, v[104:105]
	v_cvt_f32_f64_e32 v102, v[102:103]
	v_min3_f32 v101, v101, v102, v178
	v_add_f64 v[102:103], v[34:35], v[90:91]
	v_add_f64 v[104:105], v[32:33], v[88:89]
	v_cvt_f32_f64_e32 v104, v[104:105]
	v_cvt_f32_f64_e32 v102, v[102:103]
	v_min_f32_e32 v102, v104, v102
	v_min3_f32 v100, v100, v102, v101
	v_cvt_f64_f32_e32 v[100:101], v100
	v_lshl_add_u64 v[102:103], v[136:137], 3, v[96:97]
	flat_store_dwordx2 v[102:103], v[100:101]
	s_or_b64 exec, exec, s[26:27]
	s_and_b64 s[30:31], s[12:13], s[18:19]
	s_and_saveexec_b64 s[26:27], s[30:31]
	s_cbranch_execz .LBB128_225
.LBB128_247:
	s_and_b64 vcc, exec, s[0:1]
	s_cbranch_vccnz .LBB128_249
; %bb.248:
	v_lshl_add_u64 v[100:101], v[138:139], 3, v[98:99]
	flat_load_dwordx2 v[100:101], v[100:101]
	s_waitcnt vmcnt(0) lgkmcnt(0)
	v_mul_f64 v[100:101], s[22:23], v[100:101]
	v_cvt_f32_f64_e32 v100, v[100:101]
	s_branch .LBB128_250
.LBB128_249:
	v_mov_b32_e32 v100, 0
.LBB128_250:
	v_add_f64 v[102:103], v[30:31], v[94:95]
	v_add_f64 v[104:105], v[28:29], v[92:93]
	v_cvt_f32_f64_e32 v101, v[104:105]
	v_cvt_f32_f64_e32 v102, v[102:103]
	v_min3_f32 v101, v101, v102, v177
	v_add_f64 v[102:103], v[26:27], v[90:91]
	v_add_f64 v[104:105], v[24:25], v[88:89]
	v_cvt_f32_f64_e32 v104, v[104:105]
	v_cvt_f32_f64_e32 v102, v[102:103]
	v_min_f32_e32 v102, v104, v102
	v_min3_f32 v100, v100, v102, v101
	v_cvt_f64_f32_e32 v[100:101], v100
	v_lshl_add_u64 v[102:103], v[138:139], 3, v[96:97]
	flat_store_dwordx2 v[102:103], v[100:101]
	s_or_b64 exec, exec, s[26:27]
	s_and_b64 s[30:31], s[14:15], s[18:19]
	s_and_saveexec_b64 s[26:27], s[30:31]
	s_cbranch_execz .LBB128_226
.LBB128_251:
	s_and_b64 vcc, exec, s[0:1]
	s_cbranch_vccnz .LBB128_253
; %bb.252:
	v_lshl_add_u64 v[100:101], v[140:141], 3, v[98:99]
	flat_load_dwordx2 v[100:101], v[100:101]
	s_waitcnt vmcnt(0) lgkmcnt(0)
	v_mul_f64 v[100:101], s[22:23], v[100:101]
	v_cvt_f32_f64_e32 v100, v[100:101]
	s_branch .LBB128_254
.LBB128_253:
	v_mov_b32_e32 v100, 0
.LBB128_254:
	v_add_f64 v[102:103], v[22:23], v[94:95]
	v_add_f64 v[104:105], v[20:21], v[92:93]
	v_cvt_f32_f64_e32 v101, v[104:105]
	v_cvt_f32_f64_e32 v102, v[102:103]
	v_min3_f32 v101, v101, v102, v176
	v_add_f64 v[102:103], v[18:19], v[90:91]
	v_add_f64 v[104:105], v[16:17], v[88:89]
	v_cvt_f32_f64_e32 v104, v[104:105]
	v_cvt_f32_f64_e32 v102, v[102:103]
	v_min_f32_e32 v102, v104, v102
	v_min3_f32 v100, v100, v102, v101
	v_cvt_f64_f32_e32 v[100:101], v100
	v_lshl_add_u64 v[102:103], v[140:141], 3, v[96:97]
	flat_store_dwordx2 v[102:103], v[100:101]
	s_or_b64 exec, exec, s[26:27]
	s_and_b64 s[26:27], s[16:17], s[18:19]
	s_and_saveexec_b64 s[18:19], s[26:27]
	s_cbranch_execz .LBB128_259
.LBB128_255:
	s_and_b64 vcc, exec, s[0:1]
	s_cbranch_vccnz .LBB128_257
; %bb.256:
	v_lshl_add_u64 v[98:99], v[142:143], 3, v[98:99]
	flat_load_dwordx2 v[98:99], v[98:99]
	s_waitcnt vmcnt(0) lgkmcnt(0)
	v_mul_f64 v[98:99], s[22:23], v[98:99]
	v_cvt_f32_f64_e32 v98, v[98:99]
	s_branch .LBB128_258
.LBB128_257:
	v_mov_b32_e32 v98, 0
.LBB128_258:
	v_add_f64 v[94:95], v[6:7], v[94:95]
	v_add_f64 v[92:93], v[4:5], v[92:93]
	;; [unrolled: 1-line block ×4, first 2 shown]
	v_cvt_f32_f64_e32 v92, v[92:93]
	v_cvt_f32_f64_e32 v93, v[94:95]
	v_cvt_f32_f64_e32 v88, v[88:89]
	v_cvt_f32_f64_e32 v89, v[90:91]
	v_min3_f32 v92, v92, v93, v175
	v_min_f32_e32 v88, v88, v89
	v_min3_f32 v88, v98, v88, v92
	v_cvt_f64_f32_e32 v[88:89], v88
	v_lshl_add_u64 v[90:91], v[142:143], 3, v[96:97]
	flat_store_dwordx2 v[90:91], v[88:89]
.LBB128_259:
	s_or_b64 exec, exec, s[18:19]
	v_add_u32_e32 v92, 0xa0, v158
	v_mad_i64_i32 v[88:89], s[26:27], v92, s35, 0
	v_cmp_gt_i32_e64 s[18:19], s25, v92
	v_lshl_add_u64 v[90:91], v[88:89], 3, s[28:29]
	v_mad_i64_i32 v[88:89], s[26:27], v92, s34, 0
	v_lshl_add_u64 v[88:89], v[88:89], 3, s[20:21]
	s_and_b64 s[30:31], s[2:3], s[18:19]
	s_and_saveexec_b64 s[26:27], s[30:31]
	s_cbranch_execnz .LBB128_267
; %bb.260:
	s_or_b64 exec, exec, s[26:27]
	s_and_b64 s[30:31], s[4:5], s[18:19]
	s_and_saveexec_b64 s[26:27], s[30:31]
	s_cbranch_execnz .LBB128_271
.LBB128_261:
	s_or_b64 exec, exec, s[26:27]
	s_and_b64 s[30:31], s[6:7], s[18:19]
	s_and_saveexec_b64 s[26:27], s[30:31]
	s_cbranch_execnz .LBB128_275
.LBB128_262:
	s_or_b64 exec, exec, s[26:27]
	s_and_b64 s[30:31], s[8:9], s[18:19]
	s_and_saveexec_b64 s[26:27], s[30:31]
	s_cbranch_execnz .LBB128_279
.LBB128_263:
	s_or_b64 exec, exec, s[26:27]
	s_and_b64 s[30:31], s[10:11], s[18:19]
	s_and_saveexec_b64 s[26:27], s[30:31]
	s_cbranch_execnz .LBB128_283
.LBB128_264:
	s_or_b64 exec, exec, s[26:27]
	s_and_b64 s[30:31], s[12:13], s[18:19]
	s_and_saveexec_b64 s[26:27], s[30:31]
	s_cbranch_execnz .LBB128_287
.LBB128_265:
	s_or_b64 exec, exec, s[26:27]
	s_and_b64 s[30:31], s[14:15], s[18:19]
	s_and_saveexec_b64 s[26:27], s[30:31]
	s_cbranch_execnz .LBB128_291
.LBB128_266:
	s_or_b64 exec, exec, s[26:27]
	s_and_b64 s[26:27], s[16:17], s[18:19]
	s_and_saveexec_b64 s[18:19], s[26:27]
	s_cbranch_execnz .LBB128_295
	s_branch .LBB128_299
.LBB128_267:
	s_and_b64 vcc, exec, s[0:1]
	s_cbranch_vccnz .LBB128_269
; %bb.268:
	v_lshl_add_u64 v[92:93], v[128:129], 3, v[90:91]
	flat_load_dwordx2 v[92:93], v[92:93]
	s_waitcnt vmcnt(0) lgkmcnt(0)
	v_mul_f64 v[92:93], s[22:23], v[92:93]
	v_cvt_f32_f64_e32 v92, v[92:93]
	s_branch .LBB128_270
.LBB128_269:
	v_mov_b32_e32 v92, 0
.LBB128_270:
	v_add_f64 v[94:95], v[70:71], v[86:87]
	v_add_f64 v[96:97], v[68:69], v[84:85]
	v_cvt_f32_f64_e32 v93, v[96:97]
	v_cvt_f32_f64_e32 v94, v[94:95]
	v_min3_f32 v93, v93, v94, v174
	v_add_f64 v[94:95], v[66:67], v[82:83]
	v_add_f64 v[96:97], v[64:65], v[80:81]
	v_cvt_f32_f64_e32 v96, v[96:97]
	v_cvt_f32_f64_e32 v94, v[94:95]
	v_min_f32_e32 v94, v96, v94
	v_min3_f32 v92, v92, v94, v93
	v_cvt_f64_f32_e32 v[92:93], v92
	v_lshl_add_u64 v[94:95], v[128:129], 3, v[88:89]
	flat_store_dwordx2 v[94:95], v[92:93]
	s_or_b64 exec, exec, s[26:27]
	s_and_b64 s[30:31], s[4:5], s[18:19]
	s_and_saveexec_b64 s[26:27], s[30:31]
	s_cbranch_execz .LBB128_261
.LBB128_271:
	s_and_b64 vcc, exec, s[0:1]
	s_cbranch_vccnz .LBB128_273
; %bb.272:
	v_lshl_add_u64 v[92:93], v[130:131], 3, v[90:91]
	flat_load_dwordx2 v[92:93], v[92:93]
	s_waitcnt vmcnt(0) lgkmcnt(0)
	v_mul_f64 v[92:93], s[22:23], v[92:93]
	v_cvt_f32_f64_e32 v92, v[92:93]
	s_branch .LBB128_274
.LBB128_273:
	v_mov_b32_e32 v92, 0
.LBB128_274:
	v_add_f64 v[94:95], v[62:63], v[86:87]
	v_add_f64 v[96:97], v[60:61], v[84:85]
	v_cvt_f32_f64_e32 v93, v[96:97]
	v_cvt_f32_f64_e32 v94, v[94:95]
	v_min3_f32 v93, v93, v94, v173
	v_add_f64 v[94:95], v[58:59], v[82:83]
	v_add_f64 v[96:97], v[56:57], v[80:81]
	v_cvt_f32_f64_e32 v96, v[96:97]
	v_cvt_f32_f64_e32 v94, v[94:95]
	v_min_f32_e32 v94, v96, v94
	v_min3_f32 v92, v92, v94, v93
	v_cvt_f64_f32_e32 v[92:93], v92
	v_lshl_add_u64 v[94:95], v[130:131], 3, v[88:89]
	flat_store_dwordx2 v[94:95], v[92:93]
	s_or_b64 exec, exec, s[26:27]
	s_and_b64 s[30:31], s[6:7], s[18:19]
	s_and_saveexec_b64 s[26:27], s[30:31]
	s_cbranch_execz .LBB128_262
.LBB128_275:
	s_and_b64 vcc, exec, s[0:1]
	s_cbranch_vccnz .LBB128_277
; %bb.276:
	v_lshl_add_u64 v[92:93], v[132:133], 3, v[90:91]
	flat_load_dwordx2 v[92:93], v[92:93]
	s_waitcnt vmcnt(0) lgkmcnt(0)
	v_mul_f64 v[92:93], s[22:23], v[92:93]
	v_cvt_f32_f64_e32 v92, v[92:93]
	s_branch .LBB128_278
.LBB128_277:
	v_mov_b32_e32 v92, 0
.LBB128_278:
	v_add_f64 v[94:95], v[54:55], v[86:87]
	v_add_f64 v[96:97], v[52:53], v[84:85]
	v_cvt_f32_f64_e32 v93, v[96:97]
	v_cvt_f32_f64_e32 v94, v[94:95]
	v_min3_f32 v93, v93, v94, v172
	v_add_f64 v[94:95], v[50:51], v[82:83]
	v_add_f64 v[96:97], v[48:49], v[80:81]
	v_cvt_f32_f64_e32 v96, v[96:97]
	v_cvt_f32_f64_e32 v94, v[94:95]
	v_min_f32_e32 v94, v96, v94
	v_min3_f32 v92, v92, v94, v93
	v_cvt_f64_f32_e32 v[92:93], v92
	v_lshl_add_u64 v[94:95], v[132:133], 3, v[88:89]
	flat_store_dwordx2 v[94:95], v[92:93]
	s_or_b64 exec, exec, s[26:27]
	s_and_b64 s[30:31], s[8:9], s[18:19]
	s_and_saveexec_b64 s[26:27], s[30:31]
	s_cbranch_execz .LBB128_263
.LBB128_279:
	s_and_b64 vcc, exec, s[0:1]
	s_cbranch_vccnz .LBB128_281
; %bb.280:
	v_lshl_add_u64 v[92:93], v[134:135], 3, v[90:91]
	flat_load_dwordx2 v[92:93], v[92:93]
	s_waitcnt vmcnt(0) lgkmcnt(0)
	v_mul_f64 v[92:93], s[22:23], v[92:93]
	v_cvt_f32_f64_e32 v92, v[92:93]
	s_branch .LBB128_282
.LBB128_281:
	v_mov_b32_e32 v92, 0
.LBB128_282:
	v_add_f64 v[94:95], v[46:47], v[86:87]
	v_add_f64 v[96:97], v[44:45], v[84:85]
	v_cvt_f32_f64_e32 v93, v[96:97]
	v_cvt_f32_f64_e32 v94, v[94:95]
	v_min3_f32 v93, v93, v94, v171
	v_add_f64 v[94:95], v[42:43], v[82:83]
	v_add_f64 v[96:97], v[40:41], v[80:81]
	v_cvt_f32_f64_e32 v96, v[96:97]
	v_cvt_f32_f64_e32 v94, v[94:95]
	v_min_f32_e32 v94, v96, v94
	v_min3_f32 v92, v92, v94, v93
	v_cvt_f64_f32_e32 v[92:93], v92
	v_lshl_add_u64 v[94:95], v[134:135], 3, v[88:89]
	flat_store_dwordx2 v[94:95], v[92:93]
	s_or_b64 exec, exec, s[26:27]
	s_and_b64 s[30:31], s[10:11], s[18:19]
	s_and_saveexec_b64 s[26:27], s[30:31]
	s_cbranch_execz .LBB128_264
.LBB128_283:
	s_and_b64 vcc, exec, s[0:1]
	s_cbranch_vccnz .LBB128_285
; %bb.284:
	v_lshl_add_u64 v[92:93], v[136:137], 3, v[90:91]
	flat_load_dwordx2 v[92:93], v[92:93]
	s_waitcnt vmcnt(0) lgkmcnt(0)
	v_mul_f64 v[92:93], s[22:23], v[92:93]
	v_cvt_f32_f64_e32 v92, v[92:93]
	s_branch .LBB128_286
.LBB128_285:
	v_mov_b32_e32 v92, 0
.LBB128_286:
	v_add_f64 v[94:95], v[38:39], v[86:87]
	v_add_f64 v[96:97], v[36:37], v[84:85]
	v_cvt_f32_f64_e32 v93, v[96:97]
	v_cvt_f32_f64_e32 v94, v[94:95]
	v_min3_f32 v93, v93, v94, v170
	v_add_f64 v[94:95], v[34:35], v[82:83]
	v_add_f64 v[96:97], v[32:33], v[80:81]
	v_cvt_f32_f64_e32 v96, v[96:97]
	v_cvt_f32_f64_e32 v94, v[94:95]
	v_min_f32_e32 v94, v96, v94
	v_min3_f32 v92, v92, v94, v93
	v_cvt_f64_f32_e32 v[92:93], v92
	v_lshl_add_u64 v[94:95], v[136:137], 3, v[88:89]
	flat_store_dwordx2 v[94:95], v[92:93]
	s_or_b64 exec, exec, s[26:27]
	s_and_b64 s[30:31], s[12:13], s[18:19]
	s_and_saveexec_b64 s[26:27], s[30:31]
	s_cbranch_execz .LBB128_265
.LBB128_287:
	s_and_b64 vcc, exec, s[0:1]
	s_cbranch_vccnz .LBB128_289
; %bb.288:
	v_lshl_add_u64 v[92:93], v[138:139], 3, v[90:91]
	flat_load_dwordx2 v[92:93], v[92:93]
	s_waitcnt vmcnt(0) lgkmcnt(0)
	v_mul_f64 v[92:93], s[22:23], v[92:93]
	v_cvt_f32_f64_e32 v92, v[92:93]
	s_branch .LBB128_290
.LBB128_289:
	v_mov_b32_e32 v92, 0
.LBB128_290:
	v_add_f64 v[94:95], v[30:31], v[86:87]
	v_add_f64 v[96:97], v[28:29], v[84:85]
	v_cvt_f32_f64_e32 v93, v[96:97]
	v_cvt_f32_f64_e32 v94, v[94:95]
	v_min3_f32 v93, v93, v94, v169
	v_add_f64 v[94:95], v[26:27], v[82:83]
	v_add_f64 v[96:97], v[24:25], v[80:81]
	v_cvt_f32_f64_e32 v96, v[96:97]
	v_cvt_f32_f64_e32 v94, v[94:95]
	v_min_f32_e32 v94, v96, v94
	v_min3_f32 v92, v92, v94, v93
	v_cvt_f64_f32_e32 v[92:93], v92
	v_lshl_add_u64 v[94:95], v[138:139], 3, v[88:89]
	flat_store_dwordx2 v[94:95], v[92:93]
	s_or_b64 exec, exec, s[26:27]
	s_and_b64 s[30:31], s[14:15], s[18:19]
	s_and_saveexec_b64 s[26:27], s[30:31]
	s_cbranch_execz .LBB128_266
.LBB128_291:
	s_and_b64 vcc, exec, s[0:1]
	s_cbranch_vccnz .LBB128_293
; %bb.292:
	v_lshl_add_u64 v[92:93], v[140:141], 3, v[90:91]
	flat_load_dwordx2 v[92:93], v[92:93]
	s_waitcnt vmcnt(0) lgkmcnt(0)
	v_mul_f64 v[92:93], s[22:23], v[92:93]
	v_cvt_f32_f64_e32 v92, v[92:93]
	s_branch .LBB128_294
.LBB128_293:
	v_mov_b32_e32 v92, 0
.LBB128_294:
	v_add_f64 v[94:95], v[22:23], v[86:87]
	v_add_f64 v[96:97], v[20:21], v[84:85]
	v_cvt_f32_f64_e32 v93, v[96:97]
	v_cvt_f32_f64_e32 v94, v[94:95]
	v_min3_f32 v93, v93, v94, v168
	v_add_f64 v[94:95], v[18:19], v[82:83]
	v_add_f64 v[96:97], v[16:17], v[80:81]
	v_cvt_f32_f64_e32 v96, v[96:97]
	v_cvt_f32_f64_e32 v94, v[94:95]
	v_min_f32_e32 v94, v96, v94
	v_min3_f32 v92, v92, v94, v93
	v_cvt_f64_f32_e32 v[92:93], v92
	v_lshl_add_u64 v[94:95], v[140:141], 3, v[88:89]
	flat_store_dwordx2 v[94:95], v[92:93]
	s_or_b64 exec, exec, s[26:27]
	s_and_b64 s[26:27], s[16:17], s[18:19]
	s_and_saveexec_b64 s[18:19], s[26:27]
	s_cbranch_execz .LBB128_299
.LBB128_295:
	s_and_b64 vcc, exec, s[0:1]
	s_cbranch_vccnz .LBB128_297
; %bb.296:
	v_lshl_add_u64 v[90:91], v[142:143], 3, v[90:91]
	flat_load_dwordx2 v[90:91], v[90:91]
	s_waitcnt vmcnt(0) lgkmcnt(0)
	v_mul_f64 v[90:91], s[22:23], v[90:91]
	v_cvt_f32_f64_e32 v90, v[90:91]
	s_branch .LBB128_298
.LBB128_297:
	v_mov_b32_e32 v90, 0
.LBB128_298:
	v_add_f64 v[86:87], v[6:7], v[86:87]
	v_add_f64 v[84:85], v[4:5], v[84:85]
	;; [unrolled: 1-line block ×4, first 2 shown]
	v_cvt_f32_f64_e32 v84, v[84:85]
	v_cvt_f32_f64_e32 v85, v[86:87]
	;; [unrolled: 1-line block ×4, first 2 shown]
	v_min3_f32 v84, v84, v85, v167
	v_min_f32_e32 v80, v80, v81
	v_min3_f32 v80, v90, v80, v84
	v_cvt_f64_f32_e32 v[80:81], v80
	v_lshl_add_u64 v[82:83], v[142:143], 3, v[88:89]
	flat_store_dwordx2 v[82:83], v[80:81]
.LBB128_299:
	s_or_b64 exec, exec, s[18:19]
	v_add_u32_e32 v84, 0xc0, v158
	v_mad_i64_i32 v[80:81], s[26:27], v84, s35, 0
	v_cmp_gt_i32_e64 s[18:19], s25, v84
	v_lshl_add_u64 v[82:83], v[80:81], 3, s[28:29]
	v_mad_i64_i32 v[80:81], s[26:27], v84, s34, 0
	v_lshl_add_u64 v[80:81], v[80:81], 3, s[20:21]
	s_and_b64 s[30:31], s[2:3], s[18:19]
	s_and_saveexec_b64 s[26:27], s[30:31]
	s_cbranch_execnz .LBB128_307
; %bb.300:
	s_or_b64 exec, exec, s[26:27]
	s_and_b64 s[30:31], s[4:5], s[18:19]
	s_and_saveexec_b64 s[26:27], s[30:31]
	s_cbranch_execnz .LBB128_311
.LBB128_301:
	s_or_b64 exec, exec, s[26:27]
	s_and_b64 s[30:31], s[6:7], s[18:19]
	s_and_saveexec_b64 s[26:27], s[30:31]
	s_cbranch_execnz .LBB128_315
.LBB128_302:
	s_or_b64 exec, exec, s[26:27]
	s_and_b64 s[30:31], s[8:9], s[18:19]
	s_and_saveexec_b64 s[26:27], s[30:31]
	s_cbranch_execnz .LBB128_319
.LBB128_303:
	s_or_b64 exec, exec, s[26:27]
	s_and_b64 s[30:31], s[10:11], s[18:19]
	s_and_saveexec_b64 s[26:27], s[30:31]
	s_cbranch_execnz .LBB128_323
.LBB128_304:
	s_or_b64 exec, exec, s[26:27]
	s_and_b64 s[30:31], s[12:13], s[18:19]
	s_and_saveexec_b64 s[26:27], s[30:31]
	s_cbranch_execnz .LBB128_327
.LBB128_305:
	s_or_b64 exec, exec, s[26:27]
	s_and_b64 s[30:31], s[14:15], s[18:19]
	s_and_saveexec_b64 s[26:27], s[30:31]
	s_cbranch_execnz .LBB128_331
.LBB128_306:
	s_or_b64 exec, exec, s[26:27]
	s_and_b64 s[26:27], s[16:17], s[18:19]
	s_and_saveexec_b64 s[18:19], s[26:27]
	s_cbranch_execnz .LBB128_335
	s_branch .LBB128_339
.LBB128_307:
	s_and_b64 vcc, exec, s[0:1]
	s_cbranch_vccnz .LBB128_309
; %bb.308:
	v_lshl_add_u64 v[84:85], v[128:129], 3, v[82:83]
	flat_load_dwordx2 v[84:85], v[84:85]
	s_waitcnt vmcnt(0) lgkmcnt(0)
	v_mul_f64 v[84:85], s[22:23], v[84:85]
	v_cvt_f32_f64_e32 v84, v[84:85]
	s_branch .LBB128_310
.LBB128_309:
	v_mov_b32_e32 v84, 0
.LBB128_310:
	v_add_f64 v[86:87], v[70:71], v[78:79]
	v_add_f64 v[88:89], v[68:69], v[76:77]
	v_cvt_f32_f64_e32 v85, v[88:89]
	v_cvt_f32_f64_e32 v86, v[86:87]
	v_min3_f32 v85, v85, v86, v166
	v_add_f64 v[86:87], v[66:67], v[74:75]
	v_add_f64 v[88:89], v[64:65], v[72:73]
	v_cvt_f32_f64_e32 v88, v[88:89]
	v_cvt_f32_f64_e32 v86, v[86:87]
	v_min_f32_e32 v86, v88, v86
	v_min3_f32 v84, v84, v86, v85
	v_cvt_f64_f32_e32 v[84:85], v84
	v_lshl_add_u64 v[86:87], v[128:129], 3, v[80:81]
	flat_store_dwordx2 v[86:87], v[84:85]
	s_or_b64 exec, exec, s[26:27]
	s_and_b64 s[30:31], s[4:5], s[18:19]
	s_and_saveexec_b64 s[26:27], s[30:31]
	s_cbranch_execz .LBB128_301
.LBB128_311:
	s_and_b64 vcc, exec, s[0:1]
	s_cbranch_vccnz .LBB128_313
; %bb.312:
	v_lshl_add_u64 v[84:85], v[130:131], 3, v[82:83]
	flat_load_dwordx2 v[84:85], v[84:85]
	s_waitcnt vmcnt(0) lgkmcnt(0)
	v_mul_f64 v[84:85], s[22:23], v[84:85]
	v_cvt_f32_f64_e32 v84, v[84:85]
	s_branch .LBB128_314
.LBB128_313:
	v_mov_b32_e32 v84, 0
.LBB128_314:
	v_add_f64 v[86:87], v[62:63], v[78:79]
	v_add_f64 v[88:89], v[60:61], v[76:77]
	v_cvt_f32_f64_e32 v85, v[88:89]
	v_cvt_f32_f64_e32 v86, v[86:87]
	v_min3_f32 v85, v85, v86, v164
	v_add_f64 v[86:87], v[58:59], v[74:75]
	v_add_f64 v[88:89], v[56:57], v[72:73]
	v_cvt_f32_f64_e32 v88, v[88:89]
	v_cvt_f32_f64_e32 v86, v[86:87]
	v_min_f32_e32 v86, v88, v86
	v_min3_f32 v84, v84, v86, v85
	v_cvt_f64_f32_e32 v[84:85], v84
	v_lshl_add_u64 v[86:87], v[130:131], 3, v[80:81]
	flat_store_dwordx2 v[86:87], v[84:85]
	s_or_b64 exec, exec, s[26:27]
	s_and_b64 s[30:31], s[6:7], s[18:19]
	s_and_saveexec_b64 s[26:27], s[30:31]
	s_cbranch_execz .LBB128_302
.LBB128_315:
	s_and_b64 vcc, exec, s[0:1]
	s_cbranch_vccnz .LBB128_317
; %bb.316:
	v_lshl_add_u64 v[84:85], v[132:133], 3, v[82:83]
	flat_load_dwordx2 v[84:85], v[84:85]
	s_waitcnt vmcnt(0) lgkmcnt(0)
	v_mul_f64 v[84:85], s[22:23], v[84:85]
	v_cvt_f32_f64_e32 v84, v[84:85]
	s_branch .LBB128_318
.LBB128_317:
	v_mov_b32_e32 v84, 0
.LBB128_318:
	v_add_f64 v[86:87], v[54:55], v[78:79]
	v_add_f64 v[88:89], v[52:53], v[76:77]
	v_cvt_f32_f64_e32 v85, v[88:89]
	v_cvt_f32_f64_e32 v86, v[86:87]
	v_min3_f32 v85, v85, v86, v163
	v_add_f64 v[86:87], v[50:51], v[74:75]
	v_add_f64 v[88:89], v[48:49], v[72:73]
	v_cvt_f32_f64_e32 v88, v[88:89]
	v_cvt_f32_f64_e32 v86, v[86:87]
	v_min_f32_e32 v86, v88, v86
	v_min3_f32 v84, v84, v86, v85
	v_cvt_f64_f32_e32 v[84:85], v84
	v_lshl_add_u64 v[86:87], v[132:133], 3, v[80:81]
	flat_store_dwordx2 v[86:87], v[84:85]
	s_or_b64 exec, exec, s[26:27]
	s_and_b64 s[30:31], s[8:9], s[18:19]
	s_and_saveexec_b64 s[26:27], s[30:31]
	s_cbranch_execz .LBB128_303
.LBB128_319:
	s_and_b64 vcc, exec, s[0:1]
	s_cbranch_vccnz .LBB128_321
; %bb.320:
	v_lshl_add_u64 v[84:85], v[134:135], 3, v[82:83]
	flat_load_dwordx2 v[84:85], v[84:85]
	s_waitcnt vmcnt(0) lgkmcnt(0)
	v_mul_f64 v[84:85], s[22:23], v[84:85]
	v_cvt_f32_f64_e32 v84, v[84:85]
	s_branch .LBB128_322
.LBB128_321:
	v_mov_b32_e32 v84, 0
.LBB128_322:
	v_add_f64 v[86:87], v[46:47], v[78:79]
	v_add_f64 v[88:89], v[44:45], v[76:77]
	v_cvt_f32_f64_e32 v85, v[88:89]
	v_cvt_f32_f64_e32 v86, v[86:87]
	v_min3_f32 v85, v85, v86, v162
	v_add_f64 v[86:87], v[42:43], v[74:75]
	v_add_f64 v[88:89], v[40:41], v[72:73]
	v_cvt_f32_f64_e32 v88, v[88:89]
	v_cvt_f32_f64_e32 v86, v[86:87]
	v_min_f32_e32 v86, v88, v86
	v_min3_f32 v84, v84, v86, v85
	v_cvt_f64_f32_e32 v[84:85], v84
	v_lshl_add_u64 v[86:87], v[134:135], 3, v[80:81]
	flat_store_dwordx2 v[86:87], v[84:85]
	s_or_b64 exec, exec, s[26:27]
	s_and_b64 s[30:31], s[10:11], s[18:19]
	s_and_saveexec_b64 s[26:27], s[30:31]
	s_cbranch_execz .LBB128_304
.LBB128_323:
	s_and_b64 vcc, exec, s[0:1]
	s_cbranch_vccnz .LBB128_325
; %bb.324:
	v_lshl_add_u64 v[84:85], v[136:137], 3, v[82:83]
	flat_load_dwordx2 v[84:85], v[84:85]
	s_waitcnt vmcnt(0) lgkmcnt(0)
	v_mul_f64 v[84:85], s[22:23], v[84:85]
	v_cvt_f32_f64_e32 v84, v[84:85]
	s_branch .LBB128_326
.LBB128_325:
	v_mov_b32_e32 v84, 0
.LBB128_326:
	v_add_f64 v[86:87], v[38:39], v[78:79]
	v_add_f64 v[88:89], v[36:37], v[76:77]
	v_cvt_f32_f64_e32 v85, v[88:89]
	v_cvt_f32_f64_e32 v86, v[86:87]
	v_min3_f32 v85, v85, v86, v161
	v_add_f64 v[86:87], v[34:35], v[74:75]
	v_add_f64 v[88:89], v[32:33], v[72:73]
	v_cvt_f32_f64_e32 v88, v[88:89]
	v_cvt_f32_f64_e32 v86, v[86:87]
	v_min_f32_e32 v86, v88, v86
	v_min3_f32 v84, v84, v86, v85
	v_cvt_f64_f32_e32 v[84:85], v84
	v_lshl_add_u64 v[86:87], v[136:137], 3, v[80:81]
	flat_store_dwordx2 v[86:87], v[84:85]
	s_or_b64 exec, exec, s[26:27]
	s_and_b64 s[30:31], s[12:13], s[18:19]
	s_and_saveexec_b64 s[26:27], s[30:31]
	s_cbranch_execz .LBB128_305
.LBB128_327:
	s_and_b64 vcc, exec, s[0:1]
	s_cbranch_vccnz .LBB128_329
; %bb.328:
	v_lshl_add_u64 v[84:85], v[138:139], 3, v[82:83]
	flat_load_dwordx2 v[84:85], v[84:85]
	s_waitcnt vmcnt(0) lgkmcnt(0)
	v_mul_f64 v[84:85], s[22:23], v[84:85]
	v_cvt_f32_f64_e32 v84, v[84:85]
	s_branch .LBB128_330
.LBB128_329:
	v_mov_b32_e32 v84, 0
.LBB128_330:
	v_add_f64 v[86:87], v[30:31], v[78:79]
	v_add_f64 v[88:89], v[28:29], v[76:77]
	v_cvt_f32_f64_e32 v85, v[88:89]
	v_cvt_f32_f64_e32 v86, v[86:87]
	v_min3_f32 v85, v85, v86, v160
	v_add_f64 v[86:87], v[26:27], v[74:75]
	v_add_f64 v[88:89], v[24:25], v[72:73]
	v_cvt_f32_f64_e32 v88, v[88:89]
	v_cvt_f32_f64_e32 v86, v[86:87]
	v_min_f32_e32 v86, v88, v86
	v_min3_f32 v84, v84, v86, v85
	v_cvt_f64_f32_e32 v[84:85], v84
	v_lshl_add_u64 v[86:87], v[138:139], 3, v[80:81]
	flat_store_dwordx2 v[86:87], v[84:85]
	s_or_b64 exec, exec, s[26:27]
	s_and_b64 s[30:31], s[14:15], s[18:19]
	s_and_saveexec_b64 s[26:27], s[30:31]
	s_cbranch_execz .LBB128_306
.LBB128_331:
	s_and_b64 vcc, exec, s[0:1]
	s_cbranch_vccnz .LBB128_333
; %bb.332:
	v_lshl_add_u64 v[84:85], v[140:141], 3, v[82:83]
	flat_load_dwordx2 v[84:85], v[84:85]
	s_waitcnt vmcnt(0) lgkmcnt(0)
	v_mul_f64 v[84:85], s[22:23], v[84:85]
	v_cvt_f32_f64_e32 v84, v[84:85]
	s_branch .LBB128_334
.LBB128_333:
	v_mov_b32_e32 v84, 0
.LBB128_334:
	v_add_f64 v[86:87], v[22:23], v[78:79]
	v_add_f64 v[88:89], v[20:21], v[76:77]
	v_cvt_f32_f64_e32 v85, v[88:89]
	v_cvt_f32_f64_e32 v86, v[86:87]
	v_min3_f32 v85, v85, v86, v157
	v_add_f64 v[86:87], v[18:19], v[74:75]
	v_add_f64 v[88:89], v[16:17], v[72:73]
	v_cvt_f32_f64_e32 v88, v[88:89]
	v_cvt_f32_f64_e32 v86, v[86:87]
	v_min_f32_e32 v86, v88, v86
	v_min3_f32 v84, v84, v86, v85
	v_cvt_f64_f32_e32 v[84:85], v84
	v_lshl_add_u64 v[86:87], v[140:141], 3, v[80:81]
	flat_store_dwordx2 v[86:87], v[84:85]
	s_or_b64 exec, exec, s[26:27]
	s_and_b64 s[26:27], s[16:17], s[18:19]
	s_and_saveexec_b64 s[18:19], s[26:27]
	s_cbranch_execz .LBB128_339
.LBB128_335:
	s_and_b64 vcc, exec, s[0:1]
	s_cbranch_vccnz .LBB128_337
; %bb.336:
	v_lshl_add_u64 v[82:83], v[142:143], 3, v[82:83]
	flat_load_dwordx2 v[82:83], v[82:83]
	s_waitcnt vmcnt(0) lgkmcnt(0)
	v_mul_f64 v[82:83], s[22:23], v[82:83]
	v_cvt_f32_f64_e32 v82, v[82:83]
	s_branch .LBB128_338
.LBB128_337:
	v_mov_b32_e32 v82, 0
.LBB128_338:
	v_add_f64 v[78:79], v[6:7], v[78:79]
	v_add_f64 v[76:77], v[4:5], v[76:77]
	;; [unrolled: 1-line block ×4, first 2 shown]
	v_cvt_f32_f64_e32 v76, v[76:77]
	v_cvt_f32_f64_e32 v77, v[78:79]
	v_cvt_f32_f64_e32 v72, v[72:73]
	v_cvt_f32_f64_e32 v73, v[74:75]
	v_min3_f32 v76, v76, v77, v156
	v_min_f32_e32 v72, v72, v73
	v_min3_f32 v72, v82, v72, v76
	v_cvt_f64_f32_e32 v[72:73], v72
	v_lshl_add_u64 v[74:75], v[142:143], 3, v[80:81]
	flat_store_dwordx2 v[74:75], v[72:73]
.LBB128_339:
	s_or_b64 exec, exec, s[18:19]
	v_add_u32_e32 v76, 0xe0, v158
	v_cmp_gt_i32_e64 s[18:19], s25, v76
	v_mad_i64_i32 v[72:73], s[24:25], v76, s35, 0
	v_lshl_add_u64 v[74:75], v[72:73], 3, s[28:29]
	v_mad_i64_i32 v[72:73], s[24:25], v76, s34, 0
	v_lshl_add_u64 v[72:73], v[72:73], 3, s[20:21]
	s_and_b64 s[20:21], s[2:3], s[18:19]
	s_and_saveexec_b64 s[2:3], s[20:21]
	s_cbranch_execnz .LBB128_348
; %bb.340:
	s_or_b64 exec, exec, s[2:3]
	s_and_b64 s[4:5], s[4:5], s[18:19]
	s_and_saveexec_b64 s[2:3], s[4:5]
	s_cbranch_execnz .LBB128_352
.LBB128_341:
	s_or_b64 exec, exec, s[2:3]
	s_and_b64 s[4:5], s[6:7], s[18:19]
	s_and_saveexec_b64 s[2:3], s[4:5]
	s_cbranch_execnz .LBB128_356
.LBB128_342:
	s_or_b64 exec, exec, s[2:3]
	s_and_b64 s[4:5], s[8:9], s[18:19]
	s_and_saveexec_b64 s[2:3], s[4:5]
	s_cbranch_execnz .LBB128_360
.LBB128_343:
	s_or_b64 exec, exec, s[2:3]
	s_and_b64 s[4:5], s[10:11], s[18:19]
	s_and_saveexec_b64 s[2:3], s[4:5]
	s_cbranch_execnz .LBB128_364
.LBB128_344:
	s_or_b64 exec, exec, s[2:3]
	s_and_b64 s[4:5], s[12:13], s[18:19]
	s_and_saveexec_b64 s[2:3], s[4:5]
	s_cbranch_execnz .LBB128_368
.LBB128_345:
	s_or_b64 exec, exec, s[2:3]
	s_and_b64 s[4:5], s[14:15], s[18:19]
	s_and_saveexec_b64 s[2:3], s[4:5]
	s_cbranch_execnz .LBB128_372
.LBB128_346:
	s_or_b64 exec, exec, s[2:3]
	s_and_b64 s[2:3], s[16:17], s[18:19]
	s_and_saveexec_b64 s[4:5], s[2:3]
	s_cbranch_execnz .LBB128_376
.LBB128_347:
	s_endpgm
.LBB128_348:
	s_and_b64 vcc, exec, s[0:1]
	s_cbranch_vccnz .LBB128_350
; %bb.349:
	v_lshl_add_u64 v[76:77], v[128:129], 3, v[74:75]
	flat_load_dwordx2 v[76:77], v[76:77]
	s_waitcnt vmcnt(0) lgkmcnt(0)
	v_mul_f64 v[76:77], s[22:23], v[76:77]
	v_cvt_f32_f64_e32 v76, v[76:77]
	s_branch .LBB128_351
.LBB128_350:
	v_mov_b32_e32 v76, 0
.LBB128_351:
	v_add_f64 v[70:71], v[70:71], v[14:15]
	v_add_f64 v[68:69], v[68:69], v[12:13]
	;; [unrolled: 1-line block ×4, first 2 shown]
	v_cvt_f32_f64_e32 v68, v[68:69]
	v_cvt_f32_f64_e32 v69, v[70:71]
	v_cvt_f32_f64_e32 v64, v[64:65]
	v_cvt_f32_f64_e32 v65, v[66:67]
	v_min3_f32 v68, v68, v69, v155
	v_min_f32_e32 v64, v64, v65
	v_min3_f32 v64, v76, v64, v68
	v_cvt_f64_f32_e32 v[64:65], v64
	v_lshl_add_u64 v[66:67], v[128:129], 3, v[72:73]
	flat_store_dwordx2 v[66:67], v[64:65]
	s_or_b64 exec, exec, s[2:3]
	s_and_b64 s[4:5], s[4:5], s[18:19]
	s_and_saveexec_b64 s[2:3], s[4:5]
	s_cbranch_execz .LBB128_341
.LBB128_352:
	s_and_b64 vcc, exec, s[0:1]
	s_cbranch_vccnz .LBB128_354
; %bb.353:
	v_lshl_add_u64 v[64:65], v[130:131], 3, v[74:75]
	flat_load_dwordx2 v[64:65], v[64:65]
	s_waitcnt vmcnt(0) lgkmcnt(0)
	v_mul_f64 v[64:65], s[22:23], v[64:65]
	v_cvt_f32_f64_e32 v64, v[64:65]
	s_branch .LBB128_355
.LBB128_354:
	v_mov_b32_e32 v64, 0
.LBB128_355:
	v_add_f64 v[62:63], v[62:63], v[14:15]
	v_add_f64 v[60:61], v[60:61], v[12:13]
	;; [unrolled: 1-line block ×4, first 2 shown]
	v_cvt_f32_f64_e32 v60, v[60:61]
	v_cvt_f32_f64_e32 v61, v[62:63]
	;; [unrolled: 1-line block ×4, first 2 shown]
	v_min3_f32 v60, v60, v61, v154
	v_min_f32_e32 v56, v56, v57
	v_min3_f32 v56, v64, v56, v60
	v_cvt_f64_f32_e32 v[56:57], v56
	v_lshl_add_u64 v[58:59], v[130:131], 3, v[72:73]
	flat_store_dwordx2 v[58:59], v[56:57]
	s_or_b64 exec, exec, s[2:3]
	s_and_b64 s[4:5], s[6:7], s[18:19]
	s_and_saveexec_b64 s[2:3], s[4:5]
	s_cbranch_execz .LBB128_342
.LBB128_356:
	s_and_b64 vcc, exec, s[0:1]
	s_cbranch_vccnz .LBB128_358
; %bb.357:
	v_lshl_add_u64 v[56:57], v[132:133], 3, v[74:75]
	flat_load_dwordx2 v[56:57], v[56:57]
	s_waitcnt vmcnt(0) lgkmcnt(0)
	v_mul_f64 v[56:57], s[22:23], v[56:57]
	v_cvt_f32_f64_e32 v56, v[56:57]
	s_branch .LBB128_359
.LBB128_358:
	v_mov_b32_e32 v56, 0
.LBB128_359:
	v_add_f64 v[54:55], v[54:55], v[14:15]
	v_add_f64 v[52:53], v[52:53], v[12:13]
	;; [unrolled: 1-line block ×4, first 2 shown]
	v_cvt_f32_f64_e32 v52, v[52:53]
	v_cvt_f32_f64_e32 v53, v[54:55]
	;; [unrolled: 1-line block ×4, first 2 shown]
	v_min3_f32 v52, v52, v53, v153
	v_min_f32_e32 v48, v48, v49
	v_min3_f32 v48, v56, v48, v52
	v_cvt_f64_f32_e32 v[48:49], v48
	v_lshl_add_u64 v[50:51], v[132:133], 3, v[72:73]
	flat_store_dwordx2 v[50:51], v[48:49]
	s_or_b64 exec, exec, s[2:3]
	s_and_b64 s[4:5], s[8:9], s[18:19]
	s_and_saveexec_b64 s[2:3], s[4:5]
	s_cbranch_execz .LBB128_343
.LBB128_360:
	s_and_b64 vcc, exec, s[0:1]
	s_cbranch_vccnz .LBB128_362
; %bb.361:
	v_lshl_add_u64 v[48:49], v[134:135], 3, v[74:75]
	flat_load_dwordx2 v[48:49], v[48:49]
	s_waitcnt vmcnt(0) lgkmcnt(0)
	v_mul_f64 v[48:49], s[22:23], v[48:49]
	v_cvt_f32_f64_e32 v48, v[48:49]
	s_branch .LBB128_363
.LBB128_362:
	v_mov_b32_e32 v48, 0
.LBB128_363:
	v_add_f64 v[46:47], v[46:47], v[14:15]
	v_add_f64 v[44:45], v[44:45], v[12:13]
	;; [unrolled: 1-line block ×4, first 2 shown]
	v_cvt_f32_f64_e32 v44, v[44:45]
	v_cvt_f32_f64_e32 v45, v[46:47]
	;; [unrolled: 1-line block ×4, first 2 shown]
	v_min3_f32 v44, v44, v45, v152
	v_min_f32_e32 v40, v40, v41
	v_min3_f32 v40, v48, v40, v44
	v_cvt_f64_f32_e32 v[40:41], v40
	v_lshl_add_u64 v[42:43], v[134:135], 3, v[72:73]
	flat_store_dwordx2 v[42:43], v[40:41]
	s_or_b64 exec, exec, s[2:3]
	s_and_b64 s[4:5], s[10:11], s[18:19]
	s_and_saveexec_b64 s[2:3], s[4:5]
	s_cbranch_execz .LBB128_344
.LBB128_364:
	s_and_b64 vcc, exec, s[0:1]
	s_cbranch_vccnz .LBB128_366
; %bb.365:
	v_lshl_add_u64 v[40:41], v[136:137], 3, v[74:75]
	flat_load_dwordx2 v[40:41], v[40:41]
	s_waitcnt vmcnt(0) lgkmcnt(0)
	v_mul_f64 v[40:41], s[22:23], v[40:41]
	v_cvt_f32_f64_e32 v40, v[40:41]
	s_branch .LBB128_367
.LBB128_366:
	v_mov_b32_e32 v40, 0
.LBB128_367:
	v_add_f64 v[38:39], v[38:39], v[14:15]
	v_add_f64 v[36:37], v[36:37], v[12:13]
	;; [unrolled: 1-line block ×4, first 2 shown]
	v_cvt_f32_f64_e32 v36, v[36:37]
	v_cvt_f32_f64_e32 v37, v[38:39]
	;; [unrolled: 1-line block ×4, first 2 shown]
	v_min3_f32 v36, v36, v37, v151
	v_min_f32_e32 v32, v32, v33
	v_min3_f32 v32, v40, v32, v36
	v_cvt_f64_f32_e32 v[32:33], v32
	v_lshl_add_u64 v[34:35], v[136:137], 3, v[72:73]
	flat_store_dwordx2 v[34:35], v[32:33]
	s_or_b64 exec, exec, s[2:3]
	s_and_b64 s[4:5], s[12:13], s[18:19]
	s_and_saveexec_b64 s[2:3], s[4:5]
	s_cbranch_execz .LBB128_345
.LBB128_368:
	s_and_b64 vcc, exec, s[0:1]
	s_cbranch_vccnz .LBB128_370
; %bb.369:
	v_lshl_add_u64 v[32:33], v[138:139], 3, v[74:75]
	flat_load_dwordx2 v[32:33], v[32:33]
	s_waitcnt vmcnt(0) lgkmcnt(0)
	v_mul_f64 v[32:33], s[22:23], v[32:33]
	v_cvt_f32_f64_e32 v32, v[32:33]
	s_branch .LBB128_371
.LBB128_370:
	v_mov_b32_e32 v32, 0
.LBB128_371:
	v_add_f64 v[30:31], v[30:31], v[14:15]
	v_add_f64 v[28:29], v[28:29], v[12:13]
	;; [unrolled: 1-line block ×4, first 2 shown]
	v_cvt_f32_f64_e32 v28, v[28:29]
	v_cvt_f32_f64_e32 v29, v[30:31]
	;; [unrolled: 1-line block ×4, first 2 shown]
	v_min3_f32 v28, v28, v29, v150
	v_min_f32_e32 v24, v24, v25
	v_min3_f32 v24, v32, v24, v28
	v_cvt_f64_f32_e32 v[24:25], v24
	v_lshl_add_u64 v[26:27], v[138:139], 3, v[72:73]
	flat_store_dwordx2 v[26:27], v[24:25]
	s_or_b64 exec, exec, s[2:3]
	s_and_b64 s[4:5], s[14:15], s[18:19]
	s_and_saveexec_b64 s[2:3], s[4:5]
	s_cbranch_execz .LBB128_346
.LBB128_372:
	s_and_b64 vcc, exec, s[0:1]
	s_cbranch_vccnz .LBB128_374
; %bb.373:
	v_lshl_add_u64 v[24:25], v[140:141], 3, v[74:75]
	flat_load_dwordx2 v[24:25], v[24:25]
	s_waitcnt vmcnt(0) lgkmcnt(0)
	v_mul_f64 v[24:25], s[22:23], v[24:25]
	v_cvt_f32_f64_e32 v24, v[24:25]
	s_branch .LBB128_375
.LBB128_374:
	v_mov_b32_e32 v24, 0
.LBB128_375:
	v_add_f64 v[22:23], v[22:23], v[14:15]
	v_add_f64 v[20:21], v[20:21], v[12:13]
	;; [unrolled: 1-line block ×4, first 2 shown]
	v_cvt_f32_f64_e32 v20, v[20:21]
	v_cvt_f32_f64_e32 v21, v[22:23]
	;; [unrolled: 1-line block ×4, first 2 shown]
	v_min3_f32 v20, v20, v21, v149
	v_min_f32_e32 v16, v16, v17
	v_min3_f32 v16, v24, v16, v20
	v_cvt_f64_f32_e32 v[16:17], v16
	v_lshl_add_u64 v[18:19], v[140:141], 3, v[72:73]
	flat_store_dwordx2 v[18:19], v[16:17]
	s_or_b64 exec, exec, s[2:3]
	s_and_b64 s[2:3], s[16:17], s[18:19]
	s_and_saveexec_b64 s[4:5], s[2:3]
	s_cbranch_execz .LBB128_347
.LBB128_376:
	s_and_b64 vcc, exec, s[0:1]
	s_cbranch_vccnz .LBB128_378
; %bb.377:
	v_lshl_add_u64 v[16:17], v[142:143], 3, v[74:75]
	flat_load_dwordx2 v[16:17], v[16:17]
	s_waitcnt vmcnt(0) lgkmcnt(0)
	v_mul_f64 v[16:17], s[22:23], v[16:17]
	v_cvt_f32_f64_e32 v16, v[16:17]
	s_branch .LBB128_379
.LBB128_378:
	v_mov_b32_e32 v16, 0
.LBB128_379:
	v_add_f64 v[6:7], v[6:7], v[14:15]
	v_add_f64 v[4:5], v[4:5], v[12:13]
	;; [unrolled: 1-line block ×4, first 2 shown]
	v_cvt_f32_f64_e32 v4, v[4:5]
	v_cvt_f32_f64_e32 v5, v[6:7]
	;; [unrolled: 1-line block ×4, first 2 shown]
	v_min3_f32 v4, v4, v5, v148
	v_min_f32_e32 v0, v0, v1
	v_min3_f32 v0, v16, v0, v4
	v_cvt_f64_f32_e32 v[0:1], v0
	v_lshl_add_u64 v[2:3], v[142:143], 3, v[72:73]
	flat_store_dwordx2 v[2:3], v[0:1]
	s_endpgm
	.section	.rodata,"a",@progbits
	.p2align	6, 0x0
	.amdhsa_kernel _ZN12_GLOBAL__N_120geam_min_plus_kernelId15HIP_vector_typeIdLj2EEdLi8ELi32ELi64ELi256ELi4ELi4ELi64ELi64ELi4ELc84ELc84ELb0ELb1ELb1EdKPKdKPdEEviiiT16_PT17_ilSA_ilS8_SA_ilPT18_ili26rocblas_geam_ex_operation_
		.amdhsa_group_segment_fixed_size 20480
		.amdhsa_private_segment_fixed_size 0
		.amdhsa_kernarg_size 136
		.amdhsa_user_sgpr_count 2
		.amdhsa_user_sgpr_dispatch_ptr 0
		.amdhsa_user_sgpr_queue_ptr 0
		.amdhsa_user_sgpr_kernarg_segment_ptr 1
		.amdhsa_user_sgpr_dispatch_id 0
		.amdhsa_user_sgpr_kernarg_preload_length 0
		.amdhsa_user_sgpr_kernarg_preload_offset 0
		.amdhsa_user_sgpr_private_segment_size 0
		.amdhsa_uses_dynamic_stack 0
		.amdhsa_enable_private_segment 0
		.amdhsa_system_sgpr_workgroup_id_x 1
		.amdhsa_system_sgpr_workgroup_id_y 0
		.amdhsa_system_sgpr_workgroup_id_z 1
		.amdhsa_system_sgpr_workgroup_info 0
		.amdhsa_system_vgpr_workitem_id 1
		.amdhsa_next_free_vgpr 225
		.amdhsa_next_free_sgpr 42
		.amdhsa_accum_offset 228
		.amdhsa_reserve_vcc 1
		.amdhsa_float_round_mode_32 0
		.amdhsa_float_round_mode_16_64 0
		.amdhsa_float_denorm_mode_32 3
		.amdhsa_float_denorm_mode_16_64 3
		.amdhsa_dx10_clamp 1
		.amdhsa_ieee_mode 1
		.amdhsa_fp16_overflow 0
		.amdhsa_tg_split 0
		.amdhsa_exception_fp_ieee_invalid_op 0
		.amdhsa_exception_fp_denorm_src 0
		.amdhsa_exception_fp_ieee_div_zero 0
		.amdhsa_exception_fp_ieee_overflow 0
		.amdhsa_exception_fp_ieee_underflow 0
		.amdhsa_exception_fp_ieee_inexact 0
		.amdhsa_exception_int_div_zero 0
	.end_amdhsa_kernel
	.section	.text._ZN12_GLOBAL__N_120geam_min_plus_kernelId15HIP_vector_typeIdLj2EEdLi8ELi32ELi64ELi256ELi4ELi4ELi64ELi64ELi4ELc84ELc84ELb0ELb1ELb1EdKPKdKPdEEviiiT16_PT17_ilSA_ilS8_SA_ilPT18_ili26rocblas_geam_ex_operation_,"axG",@progbits,_ZN12_GLOBAL__N_120geam_min_plus_kernelId15HIP_vector_typeIdLj2EEdLi8ELi32ELi64ELi256ELi4ELi4ELi64ELi64ELi4ELc84ELc84ELb0ELb1ELb1EdKPKdKPdEEviiiT16_PT17_ilSA_ilS8_SA_ilPT18_ili26rocblas_geam_ex_operation_,comdat
.Lfunc_end128:
	.size	_ZN12_GLOBAL__N_120geam_min_plus_kernelId15HIP_vector_typeIdLj2EEdLi8ELi32ELi64ELi256ELi4ELi4ELi64ELi64ELi4ELc84ELc84ELb0ELb1ELb1EdKPKdKPdEEviiiT16_PT17_ilSA_ilS8_SA_ilPT18_ili26rocblas_geam_ex_operation_, .Lfunc_end128-_ZN12_GLOBAL__N_120geam_min_plus_kernelId15HIP_vector_typeIdLj2EEdLi8ELi32ELi64ELi256ELi4ELi4ELi64ELi64ELi4ELc84ELc84ELb0ELb1ELb1EdKPKdKPdEEviiiT16_PT17_ilSA_ilS8_SA_ilPT18_ili26rocblas_geam_ex_operation_
                                        ; -- End function
	.set _ZN12_GLOBAL__N_120geam_min_plus_kernelId15HIP_vector_typeIdLj2EEdLi8ELi32ELi64ELi256ELi4ELi4ELi64ELi64ELi4ELc84ELc84ELb0ELb1ELb1EdKPKdKPdEEviiiT16_PT17_ilSA_ilS8_SA_ilPT18_ili26rocblas_geam_ex_operation_.num_vgpr, 225
	.set _ZN12_GLOBAL__N_120geam_min_plus_kernelId15HIP_vector_typeIdLj2EEdLi8ELi32ELi64ELi256ELi4ELi4ELi64ELi64ELi4ELc84ELc84ELb0ELb1ELb1EdKPKdKPdEEviiiT16_PT17_ilSA_ilS8_SA_ilPT18_ili26rocblas_geam_ex_operation_.num_agpr, 0
	.set _ZN12_GLOBAL__N_120geam_min_plus_kernelId15HIP_vector_typeIdLj2EEdLi8ELi32ELi64ELi256ELi4ELi4ELi64ELi64ELi4ELc84ELc84ELb0ELb1ELb1EdKPKdKPdEEviiiT16_PT17_ilSA_ilS8_SA_ilPT18_ili26rocblas_geam_ex_operation_.numbered_sgpr, 42
	.set _ZN12_GLOBAL__N_120geam_min_plus_kernelId15HIP_vector_typeIdLj2EEdLi8ELi32ELi64ELi256ELi4ELi4ELi64ELi64ELi4ELc84ELc84ELb0ELb1ELb1EdKPKdKPdEEviiiT16_PT17_ilSA_ilS8_SA_ilPT18_ili26rocblas_geam_ex_operation_.num_named_barrier, 0
	.set _ZN12_GLOBAL__N_120geam_min_plus_kernelId15HIP_vector_typeIdLj2EEdLi8ELi32ELi64ELi256ELi4ELi4ELi64ELi64ELi4ELc84ELc84ELb0ELb1ELb1EdKPKdKPdEEviiiT16_PT17_ilSA_ilS8_SA_ilPT18_ili26rocblas_geam_ex_operation_.private_seg_size, 0
	.set _ZN12_GLOBAL__N_120geam_min_plus_kernelId15HIP_vector_typeIdLj2EEdLi8ELi32ELi64ELi256ELi4ELi4ELi64ELi64ELi4ELc84ELc84ELb0ELb1ELb1EdKPKdKPdEEviiiT16_PT17_ilSA_ilS8_SA_ilPT18_ili26rocblas_geam_ex_operation_.uses_vcc, 1
	.set _ZN12_GLOBAL__N_120geam_min_plus_kernelId15HIP_vector_typeIdLj2EEdLi8ELi32ELi64ELi256ELi4ELi4ELi64ELi64ELi4ELc84ELc84ELb0ELb1ELb1EdKPKdKPdEEviiiT16_PT17_ilSA_ilS8_SA_ilPT18_ili26rocblas_geam_ex_operation_.uses_flat_scratch, 0
	.set _ZN12_GLOBAL__N_120geam_min_plus_kernelId15HIP_vector_typeIdLj2EEdLi8ELi32ELi64ELi256ELi4ELi4ELi64ELi64ELi4ELc84ELc84ELb0ELb1ELb1EdKPKdKPdEEviiiT16_PT17_ilSA_ilS8_SA_ilPT18_ili26rocblas_geam_ex_operation_.has_dyn_sized_stack, 0
	.set _ZN12_GLOBAL__N_120geam_min_plus_kernelId15HIP_vector_typeIdLj2EEdLi8ELi32ELi64ELi256ELi4ELi4ELi64ELi64ELi4ELc84ELc84ELb0ELb1ELb1EdKPKdKPdEEviiiT16_PT17_ilSA_ilS8_SA_ilPT18_ili26rocblas_geam_ex_operation_.has_recursion, 0
	.set _ZN12_GLOBAL__N_120geam_min_plus_kernelId15HIP_vector_typeIdLj2EEdLi8ELi32ELi64ELi256ELi4ELi4ELi64ELi64ELi4ELc84ELc84ELb0ELb1ELb1EdKPKdKPdEEviiiT16_PT17_ilSA_ilS8_SA_ilPT18_ili26rocblas_geam_ex_operation_.has_indirect_call, 0
	.section	.AMDGPU.csdata,"",@progbits
; Kernel info:
; codeLenInByte = 26956
; TotalNumSgprs: 48
; NumVgprs: 225
; NumAgprs: 0
; TotalNumVgprs: 225
; ScratchSize: 0
; MemoryBound: 1
; FloatMode: 240
; IeeeMode: 1
; LDSByteSize: 20480 bytes/workgroup (compile time only)
; SGPRBlocks: 5
; VGPRBlocks: 28
; NumSGPRsForWavesPerEU: 48
; NumVGPRsForWavesPerEU: 225
; AccumOffset: 228
; Occupancy: 2
; WaveLimiterHint : 1
; COMPUTE_PGM_RSRC2:SCRATCH_EN: 0
; COMPUTE_PGM_RSRC2:USER_SGPR: 2
; COMPUTE_PGM_RSRC2:TRAP_HANDLER: 0
; COMPUTE_PGM_RSRC2:TGID_X_EN: 1
; COMPUTE_PGM_RSRC2:TGID_Y_EN: 0
; COMPUTE_PGM_RSRC2:TGID_Z_EN: 1
; COMPUTE_PGM_RSRC2:TIDIG_COMP_CNT: 1
; COMPUTE_PGM_RSRC3_GFX90A:ACCUM_OFFSET: 56
; COMPUTE_PGM_RSRC3_GFX90A:TG_SPLIT: 0
	.section	.text._ZN12_GLOBAL__N_120geam_min_plus_kernelIdddLi4ELi64ELi128ELi128ELi4ELi64ELi4ELi4ELi64ELc78ELc78ELb0ELb0ELb0EPKdKS2_KPdEEviiiT16_PT17_ilS8_ilS6_S8_ilPT18_ili26rocblas_geam_ex_operation_,"axG",@progbits,_ZN12_GLOBAL__N_120geam_min_plus_kernelIdddLi4ELi64ELi128ELi128ELi4ELi64ELi4ELi4ELi64ELc78ELc78ELb0ELb0ELb0EPKdKS2_KPdEEviiiT16_PT17_ilS8_ilS6_S8_ilPT18_ili26rocblas_geam_ex_operation_,comdat
	.globl	_ZN12_GLOBAL__N_120geam_min_plus_kernelIdddLi4ELi64ELi128ELi128ELi4ELi64ELi4ELi4ELi64ELc78ELc78ELb0ELb0ELb0EPKdKS2_KPdEEviiiT16_PT17_ilS8_ilS6_S8_ilPT18_ili26rocblas_geam_ex_operation_ ; -- Begin function _ZN12_GLOBAL__N_120geam_min_plus_kernelIdddLi4ELi64ELi128ELi128ELi4ELi64ELi4ELi4ELi64ELc78ELc78ELb0ELb0ELb0EPKdKS2_KPdEEviiiT16_PT17_ilS8_ilS6_S8_ilPT18_ili26rocblas_geam_ex_operation_
	.p2align	8
	.type	_ZN12_GLOBAL__N_120geam_min_plus_kernelIdddLi4ELi64ELi128ELi128ELi4ELi64ELi4ELi4ELi64ELc78ELc78ELb0ELb0ELb0EPKdKS2_KPdEEviiiT16_PT17_ilS8_ilS6_S8_ilPT18_ili26rocblas_geam_ex_operation_,@function
_ZN12_GLOBAL__N_120geam_min_plus_kernelIdddLi4ELi64ELi128ELi128ELi4ELi64ELi4ELi4ELi64ELc78ELc78ELb0ELb0ELb0EPKdKS2_KPdEEviiiT16_PT17_ilS8_ilS6_S8_ilPT18_ili26rocblas_geam_ex_operation_: ; @_ZN12_GLOBAL__N_120geam_min_plus_kernelIdddLi4ELi64ELi128ELi128ELi4ELi64ELi4ELi4ELi64ELc78ELc78ELb0ELb0ELb0EPKdKS2_KPdEEviiiT16_PT17_ilS8_ilS6_S8_ilPT18_ili26rocblas_geam_ex_operation_
; %bb.0:
	s_load_dwordx4 s[4:7], s[0:1], 0x10
	s_load_dwordx4 s[12:15], s[0:1], 0x28
	;; [unrolled: 1-line block ×3, first 2 shown]
	s_mov_b32 s16, s3
	s_mov_b32 s17, 0
	s_lshl_b64 s[24:25], s[16:17], 3
	s_waitcnt lgkmcnt(0)
	s_add_u32 s4, s4, s24
	s_addc_u32 s5, s5, s25
	s_load_dwordx2 s[18:19], s[4:5], 0x0
	s_load_dwordx2 s[26:27], s[0:1], 0x50
	s_add_u32 s10, s10, s24
	s_addc_u32 s11, s11, s25
	s_mov_b64 s[20:21], 0
	s_waitcnt lgkmcnt(0)
	v_cmp_eq_f64_e64 s[4:5], s[18:19], 0
	s_and_b64 s[4:5], exec, s[4:5]
	v_cmp_neq_f64_e64 s[16:17], s[18:19], 0
	s_mov_b64 s[22:23], 0
	s_mov_b64 vcc, s[4:5]
	s_cbranch_vccnz .LBB129_2
; %bb.1:
	s_add_u32 s6, s6, s24
	s_addc_u32 s7, s7, s25
	s_load_dwordx2 s[6:7], s[6:7], 0x0
	s_lshl_b64 s[12:13], s[12:13], 3
	s_waitcnt lgkmcnt(0)
	s_add_u32 s22, s6, s12
	s_addc_u32 s23, s7, s13
.LBB129_2:
	s_load_dwordx2 s[10:11], s[10:11], 0x0
	v_cndmask_b32_e64 v1, 0, 1, s[16:17]
	v_cmp_ne_u32_e64 s[6:7], 1, v1
	s_andn2_b64 vcc, exec, s[16:17]
	s_cbranch_vccnz .LBB129_4
; %bb.3:
	s_add_u32 s12, s14, s24
	s_addc_u32 s13, s15, s25
	s_load_dwordx2 s[12:13], s[12:13], 0x0
	s_lshl_b64 s[8:9], s[8:9], 3
	s_waitcnt lgkmcnt(0)
	s_add_u32 s20, s12, s8
	s_addc_u32 s21, s13, s9
.LBB129_4:
	s_load_dwordx4 s[12:15], s[0:1], 0x60
	s_waitcnt lgkmcnt(0)
	v_cmp_eq_f64_e64 s[8:9], s[10:11], 0
	s_and_b64 s[8:9], exec, s[8:9]
	s_mov_b64 s[16:17], 0
	s_mov_b64 vcc, s[8:9]
	s_cbranch_vccnz .LBB129_6
; %bb.5:
	s_add_u32 s16, s26, s24
	s_addc_u32 s17, s27, s25
	s_load_dwordx2 s[16:17], s[16:17], 0x0
	s_lshl_b64 s[12:13], s[12:13], 3
	s_waitcnt lgkmcnt(0)
	s_add_u32 s16, s16, s12
	s_addc_u32 s17, s17, s13
.LBB129_6:
	s_load_dword s26, s[0:1], 0x20
	s_load_dword s3, s[0:1], 0x0
	v_and_b32_e32 v144, 0x3ff, v0
	v_bfe_u32 v145, v0, 10, 10
	v_lshl_add_u32 v2, v145, 2, v144
	s_waitcnt lgkmcnt(0)
	s_ashr_i32 s27, s26, 31
	s_add_u32 s12, s14, s24
	s_addc_u32 s13, s15, s25
	s_add_i32 s3, s3, -1
	s_ashr_i32 s14, s3, 31
	s_lshr_b32 s14, s14, 25
	s_add_i32 s3, s3, s14
	s_ashr_i32 s3, s3, 7
	s_add_i32 s14, s3, 1
	v_cvt_f32_u32_e32 v1, s14
	s_not_b32 s3, s3
	v_and_b32_e32 v138, 63, v2
	v_mov_b64_e32 v[6:7], 0
	v_rcp_iflag_f32_e32 v0, v1
	v_lshrrev_b32_e32 v146, 6, v2
	v_mov_b64_e32 v[8:9], 0
	v_mov_b64_e32 v[10:11], 0
	v_mul_f32_e32 v0, 0x4f7ffffe, v0
	v_cvt_u32_f32_e32 v0, v0
	s_nop 0
	v_readfirstlane_b32 s15, v0
	s_mul_i32 s3, s3, s15
	s_mul_hi_u32 s3, s15, s3
	s_add_i32 s15, s15, s3
	s_mul_hi_u32 s3, s2, s15
	s_mul_i32 s15, s3, s14
	s_sub_i32 s15, s2, s15
	s_add_i32 s24, s3, 1
	s_sub_i32 s25, s15, s14
	s_cmp_ge_u32 s15, s14
	s_cselect_b32 s3, s24, s3
	s_cselect_b32 s15, s25, s15
	s_add_i32 s24, s3, 1
	s_cmp_ge_u32 s15, s14
	s_cselect_b32 s3, s24, s3
	s_mul_i32 s14, s3, s14
	s_sub_i32 s2, s2, s14
	s_lshl_b32 s14, s2, 7
	v_or_b32_e32 v0, s14, v138
	s_and_b64 vcc, exec, s[6:7]
	v_ashrrev_i32_e32 v1, 31, v0
	s_cbranch_vccnz .LBB129_8
; %bb.7:
	v_mad_i64_i32 v[4:5], s[24:25], s26, v146, 0
	v_lshl_add_u64 v[4:5], v[4:5], 3, s[22:23]
	v_lshl_add_u64 v[4:5], v[0:1], 3, v[4:5]
	flat_load_dwordx2 v[8:9], v[4:5]
	flat_load_dwordx2 v[12:13], v[4:5] offset:512
	s_waitcnt vmcnt(0) lgkmcnt(0)
	v_mul_f64 v[10:11], s[18:19], v[8:9]
	v_mul_f64 v[8:9], s[18:19], v[12:13]
.LBB129_8:
	s_load_dword s24, s[0:1], 0x38
	v_lshrrev_b32_e32 v16, 2, v2
	s_lshl_b32 s15, s3, 7
	v_and_b32_e32 v147, 3, v144
	v_add_u32_e32 v140, s15, v16
	s_and_b64 vcc, exec, s[6:7]
	v_lshlrev_b32_e32 v12, 3, v147
	v_add_u32_e32 v139, 64, v140
	v_mov_b64_e32 v[14:15], 0
	s_cbranch_vccnz .LBB129_10
; %bb.9:
	v_mov_b32_e32 v13, 0
	v_lshl_add_u64 v[2:3], s[20:21], 0, v[12:13]
	s_waitcnt lgkmcnt(0)
	v_mad_i64_i32 v[4:5], s[2:3], v140, s24, 0
	v_lshl_add_u64 v[4:5], v[4:5], 3, v[2:3]
	v_mad_i64_i32 v[6:7], s[2:3], v139, s24, 0
	v_lshl_add_u64 v[2:3], v[6:7], 3, v[2:3]
	flat_load_dwordx2 v[6:7], v[4:5]
	flat_load_dwordx2 v[18:19], v[2:3]
	s_waitcnt vmcnt(0) lgkmcnt(0)
	v_mul_f64 v[14:15], s[18:19], v[6:7]
	v_mul_f64 v[6:7], s[18:19], v[18:19]
.LBB129_10:
	v_mov_b64_e32 v[134:135], 0
	s_and_b64 vcc, exec, s[6:7]
	v_add_u32_e32 v149, 4, v146
	v_mov_b64_e32 v[2:3], 0
	v_mov_b64_e32 v[4:5], 0
	s_cbranch_vccnz .LBB129_12
; %bb.11:
	v_mad_i64_i32 v[2:3], s[2:3], s26, v149, 0
	v_lshl_add_u64 v[2:3], v[2:3], 3, s[22:23]
	v_lshl_add_u64 v[2:3], v[0:1], 3, v[2:3]
	flat_load_dwordx2 v[4:5], v[2:3]
	flat_load_dwordx2 v[18:19], v[2:3] offset:512
	s_waitcnt vmcnt(0) lgkmcnt(0)
	v_mul_f64 v[4:5], s[18:19], v[4:5]
	v_mul_f64 v[2:3], s[18:19], v[18:19]
.LBB129_12:
	s_load_dwordx2 s[2:3], s[12:13], 0x0
	s_and_b64 vcc, exec, s[6:7]
	v_mov_b64_e32 v[136:137], 0
	s_cbranch_vccnz .LBB129_14
; %bb.13:
	v_mov_b32_e32 v13, 0
	v_lshl_add_u64 v[18:19], s[20:21], 0, v[12:13]
	s_waitcnt lgkmcnt(0)
	v_mad_i64_i32 v[20:21], s[6:7], v140, s24, 0
	v_lshl_add_u64 v[20:21], v[20:21], 3, v[18:19]
	v_mad_i64_i32 v[22:23], s[6:7], v139, s24, 0
	v_lshl_add_u64 v[18:19], v[22:23], 3, v[18:19]
	flat_load_dwordx2 v[22:23], v[20:21] offset:32
	flat_load_dwordx2 v[24:25], v[18:19] offset:32
	s_waitcnt vmcnt(0) lgkmcnt(0)
	v_mul_f64 v[136:137], s[18:19], v[22:23]
	v_mul_f64 v[134:135], s[18:19], v[24:25]
.LBB129_14:
	v_lshlrev_b32_e32 v13, 5, v138
	v_lshl_add_u32 v150, v146, 3, v13
	v_lshl_or_b32 v142, v16, 5, v12
	v_lshlrev_b32_e32 v141, 5, v145
	ds_write2st64_b64 v150, v[10:11], v[8:9] offset1:4
	v_add_u32_e32 v151, 0x2000, v142
	ds_write2st64_b64 v142, v[14:15], v[6:7] offset0:16 offset1:20
	v_lshlrev_b32_e32 v152, 5, v144
	v_add_u32_e32 v153, 0x2000, v141
	v_mov_b64_e32 v[132:133], 0
	s_mov_b32 s6, 0
	v_mov_b64_e32 v[130:131], 0
	v_mov_b64_e32 v[128:129], 0
	;; [unrolled: 1-line block ×63, first 2 shown]
	s_waitcnt lgkmcnt(0)
	s_barrier
.LBB129_15:                             ; =>This Inner Loop Header: Depth=1
	v_add_u32_e32 v143, s6, v152
	v_add_u32_e32 v148, s6, v153
	ds_read2_b64 v[154:157], v143 offset1:16
	ds_read2_b64 v[158:161], v143 offset0:32 offset1:48
	ds_read2_b64 v[162:165], v143 offset0:64 offset1:80
	;; [unrolled: 1-line block ×7, first 2 shown]
	ds_read2st64_b64 v[186:189], v148 offset1:4
	v_add_u32_e32 v143, 0x800, v143
	ds_read2_b64 v[190:193], v143 offset1:16
	ds_read2_b64 v[194:197], v143 offset0:32 offset1:48
	ds_read2_b64 v[198:201], v143 offset0:64 offset1:80
	;; [unrolled: 1-line block ×7, first 2 shown]
	s_waitcnt lgkmcnt(14)
	v_max_f64 v[154:155], v[154:155], v[154:155]
	v_max_f64 v[156:157], v[156:157], v[156:157]
	v_max_f64 v[158:159], v[158:159], v[158:159]
	v_max_f64 v[160:161], v[160:161], v[160:161]
	v_max_f64 v[162:163], v[162:163], v[162:163]
	v_max_f64 v[164:165], v[164:165], v[164:165]
	s_waitcnt lgkmcnt(13)
	v_max_f64 v[166:167], v[166:167], v[166:167]
	v_max_f64 v[168:169], v[168:169], v[168:169]
	s_waitcnt lgkmcnt(12)
	v_max_f64 v[170:171], v[170:171], v[170:171]
	v_max_f64 v[172:173], v[172:173], v[172:173]
	;; [unrolled: 3-line block ×14, first 2 shown]
	v_min_f64 v[222:223], v[154:155], v[186:187]
	v_min_f64 v[224:225], v[156:157], v[186:187]
	;; [unrolled: 1-line block ×32, first 2 shown]
	s_add_i32 s6, s6, 8
	v_add_f64 v[68:69], v[68:69], v[154:155]
	v_add_f64 v[66:67], v[66:67], v[156:157]
	;; [unrolled: 1-line block ×16, first 2 shown]
	v_min_f64 v[154:155], v[190:191], v[186:187]
	v_min_f64 v[156:157], v[192:193], v[186:187]
	;; [unrolled: 1-line block ×32, first 2 shown]
	s_cmp_eq_u32 s6, 32
	v_add_f64 v[132:133], v[132:133], v[222:223]
	v_add_f64 v[130:131], v[130:131], v[224:225]
	;; [unrolled: 1-line block ×48, first 2 shown]
	s_cbranch_scc0 .LBB129_15
; %bb.16:
	s_load_dword s12, s[0:1], 0x8
	v_lshlrev_b32_e32 v143, 3, v146
	v_lshl_add_u32 v138, v138, 5, v143
	ds_write2st64_b64 v138, v[4:5], v[2:3] offset0:8 offset1:12
	ds_write2st64_b64 v142, v[136:137], v[134:135] offset0:24 offset1:28
	s_waitcnt lgkmcnt(0)
	s_cmp_gt_i32 s12, 8
	s_barrier
	s_cbranch_scc1 .LBB129_18
; %bb.17:
	v_add_u32_e32 v148, 0x3000, v141
	s_cbranch_execz .LBB129_19
	s_branch .LBB129_41
.LBB129_18:
                                        ; implicit-def: $vgpr148
.LBB129_19:
	v_or_b32_e32 v154, 0x1000, v138
	v_mad_i64_i32 v[136:137], s[6:7], v139, s24, 0
	v_lshl_add_u64 v[138:139], v[0:1], 3, s[22:23]
	v_mov_b32_e32 v0, 0x1000
	v_add_u32_e32 v155, 0x3000, v142
	s_add_i32 s12, s12, -8
	v_mad_i64_i32 v[134:135], s[6:7], v140, s24, 0
	v_lshl_add_u32 v156, v144, 5, v0
	v_add_u32_e32 v148, 0x3000, v141
	s_mov_b32 s13, 8
	s_mov_b32 s22, 0
	v_mov_b32_e32 v141, 0
	s_mov_b32 s23, 0
.LBB129_20:                             ; =>This Loop Header: Depth=1
                                        ;     Child Loop BB129_26 Depth 2
                                        ;     Child Loop BB129_33 Depth 2
	s_mov_b64 s[6:7], -1
	s_mov_b64 vcc, s[4:5]
                                        ; implicit-def: $vgpr0_vgpr1_vgpr2_vgpr3
	s_cbranch_vccnz .LBB129_35
; %bb.21:                               ;   in Loop: Header=BB129_20 Depth=1
	s_andn2_b64 vcc, exec, s[6:7]
	v_mov_b64_e32 v[142:143], 0
	s_cbranch_vccz .LBB129_36
.LBB129_22:                             ;   in Loop: Header=BB129_20 Depth=1
	s_mov_b64 s[6:7], -1
	s_mov_b64 vcc, s[4:5]
                                        ; implicit-def: $vgpr2_vgpr3_vgpr4_vgpr5
	s_cbranch_vccnz .LBB129_37
.LBB129_23:                             ;   in Loop: Header=BB129_20 Depth=1
	s_andn2_b64 vcc, exec, s[6:7]
	v_mov_b64_e32 v[4:5], 0
	s_cbranch_vccnz .LBB129_25
.LBB129_24:                             ;   in Loop: Header=BB129_20 Depth=1
	v_or_b32_e32 v140, s13, v147
	v_lshl_add_u64 v[2:3], v[140:141], 3, s[20:21]
	v_lshl_add_u64 v[4:5], v[134:135], 3, v[2:3]
	;; [unrolled: 1-line block ×3, first 2 shown]
	flat_load_dwordx2 v[4:5], v[4:5]
	s_nop 0
	flat_load_dwordx2 v[158:159], v[2:3]
	s_waitcnt vmcnt(0) lgkmcnt(0)
	v_mul_f64 v[2:3], s[18:19], v[4:5]
	v_mul_f64 v[4:5], s[18:19], v[158:159]
.LBB129_25:                             ;   in Loop: Header=BB129_20 Depth=1
	s_mov_b32 s6, 0
.LBB129_26:                             ;   Parent Loop BB129_20 Depth=1
                                        ; =>  This Inner Loop Header: Depth=2
	v_add_u32_e32 v140, s6, v156
	ds_read2_b64 v[158:161], v140 offset1:16
	ds_read2_b64 v[162:165], v140 offset0:32 offset1:48
	ds_read2_b64 v[166:169], v140 offset0:64 offset1:80
	;; [unrolled: 1-line block ×7, first 2 shown]
	v_add_u32_e32 v140, 0x800, v140
	ds_read2_b64 v[190:193], v140 offset1:16
	ds_read2_b64 v[194:197], v140 offset0:32 offset1:48
	ds_read2_b64 v[198:201], v140 offset0:64 offset1:80
	;; [unrolled: 1-line block ×7, first 2 shown]
	v_add_u32_e32 v140, s6, v148
	ds_read2st64_b64 v[222:225], v140 offset1:4
	s_waitcnt lgkmcnt(14)
	v_max_f64 v[158:159], v[158:159], v[158:159]
	v_max_f64 v[160:161], v[160:161], v[160:161]
	;; [unrolled: 1-line block ×4, first 2 shown]
	s_waitcnt lgkmcnt(0)
	v_max_f64 v[222:223], v[222:223], v[222:223]
	v_min_f64 v[226:227], v[158:159], v[222:223]
	v_add_f64 v[132:133], v[132:133], v[226:227]
	v_min_f64 v[226:227], v[160:161], v[222:223]
	v_add_f64 v[130:131], v[130:131], v[226:227]
	;; [unrolled: 2-line block ×3, first 2 shown]
	v_min_f64 v[226:227], v[164:165], v[222:223]
	v_max_f64 v[166:167], v[166:167], v[166:167]
	v_add_f64 v[126:127], v[126:127], v[226:227]
	v_min_f64 v[226:227], v[166:167], v[222:223]
	v_max_f64 v[168:169], v[168:169], v[168:169]
	v_add_f64 v[124:125], v[124:125], v[226:227]
	;; [unrolled: 3-line block ×26, first 2 shown]
	v_min_f64 v[226:227], v[216:217], v[222:223]
	v_max_f64 v[218:219], v[218:219], v[218:219]
	v_max_f64 v[220:221], v[220:221], v[220:221]
	v_add_f64 v[74:75], v[74:75], v[226:227]
	v_min_f64 v[226:227], v[218:219], v[222:223]
	v_min_f64 v[222:223], v[220:221], v[222:223]
	v_add_f64 v[70:71], v[70:71], v[222:223]
	v_max_f64 v[222:223], v[224:225], v[224:225]
	v_min_f64 v[158:159], v[158:159], v[222:223]
	v_add_f64 v[68:69], v[68:69], v[158:159]
	v_min_f64 v[158:159], v[160:161], v[222:223]
	v_add_f64 v[66:67], v[66:67], v[158:159]
	;; [unrolled: 2-line block ×31, first 2 shown]
	v_min_f64 v[158:159], v[220:221], v[222:223]
	s_add_i32 s6, s6, 8
	v_add_f64 v[72:73], v[72:73], v[226:227]
	v_add_f64 v[6:7], v[6:7], v[158:159]
	s_cmp_eq_u32 s6, 32
	s_cbranch_scc0 .LBB129_26
; %bb.27:                               ;   in Loop: Header=BB129_20 Depth=1
	s_mov_b64 s[6:7], -1
	s_mov_b64 vcc, s[4:5]
	ds_write2st64_b64 v150, v[0:1], v[142:143] offset1:4
	ds_write2st64_b64 v151, v[2:3], v[4:5] offset1:4
	s_waitcnt lgkmcnt(0)
	s_barrier
                                        ; implicit-def: $vgpr0_vgpr1_vgpr2_vgpr3
	s_cbranch_vccnz .LBB129_38
; %bb.28:                               ;   in Loop: Header=BB129_20 Depth=1
	s_andn2_b64 vcc, exec, s[6:7]
	v_mov_b64_e32 v[142:143], 0
	s_cbranch_vccz .LBB129_39
.LBB129_29:                             ;   in Loop: Header=BB129_20 Depth=1
	s_mov_b64 s[6:7], -1
	s_mov_b64 vcc, s[4:5]
                                        ; implicit-def: $vgpr2_vgpr3_vgpr4_vgpr5
	s_cbranch_vccnz .LBB129_40
.LBB129_30:                             ;   in Loop: Header=BB129_20 Depth=1
	s_andn2_b64 vcc, exec, s[6:7]
	v_mov_b64_e32 v[4:5], 0
	s_cbranch_vccnz .LBB129_32
.LBB129_31:                             ;   in Loop: Header=BB129_20 Depth=1
	v_or_b32_e32 v140, s13, v147
	v_lshl_add_u64 v[2:3], v[140:141], 3, s[20:21]
	v_lshl_add_u64 v[4:5], v[134:135], 3, v[2:3]
	;; [unrolled: 1-line block ×3, first 2 shown]
	flat_load_dwordx2 v[4:5], v[4:5] offset:32
	s_nop 0
	flat_load_dwordx2 v[158:159], v[2:3] offset:32
	s_waitcnt vmcnt(0) lgkmcnt(0)
	v_mul_f64 v[2:3], s[18:19], v[4:5]
	v_mul_f64 v[4:5], s[18:19], v[158:159]
.LBB129_32:                             ;   in Loop: Header=BB129_20 Depth=1
	s_mov_b32 s6, 0
.LBB129_33:                             ;   Parent Loop BB129_20 Depth=1
                                        ; =>  This Inner Loop Header: Depth=2
	v_add_u32_e32 v140, s6, v152
	ds_read2_b64 v[158:161], v140 offset1:16
	ds_read2_b64 v[162:165], v140 offset0:32 offset1:48
	ds_read2_b64 v[166:169], v140 offset0:64 offset1:80
	;; [unrolled: 1-line block ×7, first 2 shown]
	v_add_u32_e32 v140, 0x800, v140
	ds_read2_b64 v[190:193], v140 offset1:16
	ds_read2_b64 v[194:197], v140 offset0:32 offset1:48
	ds_read2_b64 v[198:201], v140 offset0:64 offset1:80
	ds_read2_b64 v[202:205], v140 offset0:96 offset1:112
	ds_read2_b64 v[206:209], v140 offset0:128 offset1:144
	ds_read2_b64 v[210:213], v140 offset0:160 offset1:176
	ds_read2_b64 v[214:217], v140 offset0:192 offset1:208
	ds_read2_b64 v[218:221], v140 offset0:224 offset1:240
	v_add_u32_e32 v140, s6, v153
	ds_read2st64_b64 v[222:225], v140 offset1:4
	s_waitcnt lgkmcnt(14)
	v_max_f64 v[158:159], v[158:159], v[158:159]
	v_max_f64 v[160:161], v[160:161], v[160:161]
	;; [unrolled: 1-line block ×4, first 2 shown]
	s_waitcnt lgkmcnt(0)
	v_max_f64 v[222:223], v[222:223], v[222:223]
	v_min_f64 v[226:227], v[158:159], v[222:223]
	v_add_f64 v[132:133], v[132:133], v[226:227]
	v_min_f64 v[226:227], v[160:161], v[222:223]
	v_add_f64 v[130:131], v[130:131], v[226:227]
	v_min_f64 v[226:227], v[162:163], v[222:223]
	v_add_f64 v[128:129], v[128:129], v[226:227]
	v_min_f64 v[226:227], v[164:165], v[222:223]
	v_max_f64 v[166:167], v[166:167], v[166:167]
	v_add_f64 v[126:127], v[126:127], v[226:227]
	v_min_f64 v[226:227], v[166:167], v[222:223]
	v_max_f64 v[168:169], v[168:169], v[168:169]
	v_add_f64 v[124:125], v[124:125], v[226:227]
	;; [unrolled: 3-line block ×26, first 2 shown]
	v_min_f64 v[226:227], v[216:217], v[222:223]
	v_max_f64 v[218:219], v[218:219], v[218:219]
	v_max_f64 v[220:221], v[220:221], v[220:221]
	v_add_f64 v[74:75], v[74:75], v[226:227]
	v_min_f64 v[226:227], v[218:219], v[222:223]
	v_min_f64 v[222:223], v[220:221], v[222:223]
	v_add_f64 v[70:71], v[70:71], v[222:223]
	v_max_f64 v[222:223], v[224:225], v[224:225]
	v_min_f64 v[158:159], v[158:159], v[222:223]
	v_add_f64 v[68:69], v[68:69], v[158:159]
	v_min_f64 v[158:159], v[160:161], v[222:223]
	v_add_f64 v[66:67], v[66:67], v[158:159]
	;; [unrolled: 2-line block ×31, first 2 shown]
	v_min_f64 v[158:159], v[220:221], v[222:223]
	s_add_i32 s6, s6, 8
	v_add_f64 v[72:73], v[72:73], v[226:227]
	v_add_f64 v[6:7], v[6:7], v[158:159]
	s_cmp_eq_u32 s6, 32
	s_cbranch_scc0 .LBB129_33
; %bb.34:                               ;   in Loop: Header=BB129_20 Depth=1
	s_add_i32 s13, s13, 8
	s_add_i32 s23, s23, 8
	s_cmp_ge_i32 s23, s12
	ds_write2st64_b64 v154, v[0:1], v[142:143] offset1:4
	ds_write2st64_b64 v155, v[2:3], v[4:5] offset1:4
	s_waitcnt lgkmcnt(0)
	s_barrier
	s_cbranch_scc0 .LBB129_20
	s_branch .LBB129_41
.LBB129_35:                             ;   in Loop: Header=BB129_20 Depth=1
	v_mov_b32_e32 v0, s22
	v_mov_b32_e32 v1, s22
	v_mov_b64_e32 v[142:143], 0
	s_cbranch_execnz .LBB129_22
.LBB129_36:                             ;   in Loop: Header=BB129_20 Depth=1
	v_add_u32_e32 v3, s13, v146
	v_mad_u64_u32 v[0:1], s[6:7], v3, s26, 0
	v_mov_b32_e32 v2, v1
	v_mad_u64_u32 v[2:3], s[6:7], v3, s27, v[2:3]
	v_mov_b32_e32 v1, v2
	v_lshl_add_u64 v[0:1], v[0:1], 3, v[138:139]
	flat_load_dwordx2 v[2:3], v[0:1]
	flat_load_dwordx2 v[4:5], v[0:1] offset:512
	s_waitcnt vmcnt(0) lgkmcnt(0)
	v_mul_f64 v[0:1], s[18:19], v[2:3]
	v_mul_f64 v[142:143], s[18:19], v[4:5]
	s_mov_b64 s[6:7], -1
	s_mov_b64 vcc, s[4:5]
                                        ; implicit-def: $vgpr2_vgpr3_vgpr4_vgpr5
	s_cbranch_vccz .LBB129_23
.LBB129_37:                             ;   in Loop: Header=BB129_20 Depth=1
	v_mov_b32_e32 v2, s22
	v_mov_b32_e32 v3, s22
	v_mov_b64_e32 v[4:5], 0
	s_cbranch_execz .LBB129_24
	s_branch .LBB129_25
.LBB129_38:                             ;   in Loop: Header=BB129_20 Depth=1
	v_mov_b32_e32 v0, s22
	v_mov_b32_e32 v1, s22
	v_mov_b64_e32 v[142:143], 0
	s_cbranch_execnz .LBB129_29
.LBB129_39:                             ;   in Loop: Header=BB129_20 Depth=1
	v_add_u32_e32 v3, s13, v149
	v_mad_u64_u32 v[0:1], s[6:7], v3, s26, 0
	v_mov_b32_e32 v2, v1
	v_mad_u64_u32 v[2:3], s[6:7], v3, s27, v[2:3]
	v_mov_b32_e32 v1, v2
	v_lshl_add_u64 v[0:1], v[0:1], 3, v[138:139]
	flat_load_dwordx2 v[2:3], v[0:1]
	flat_load_dwordx2 v[4:5], v[0:1] offset:512
	s_waitcnt vmcnt(0) lgkmcnt(0)
	v_mul_f64 v[0:1], s[18:19], v[2:3]
	v_mul_f64 v[142:143], s[18:19], v[4:5]
	s_mov_b64 s[6:7], -1
	s_mov_b64 vcc, s[4:5]
                                        ; implicit-def: $vgpr2_vgpr3_vgpr4_vgpr5
	s_cbranch_vccz .LBB129_30
.LBB129_40:                             ;   in Loop: Header=BB129_20 Depth=1
	v_mov_b32_e32 v2, s22
	v_mov_b32_e32 v3, s22
	v_mov_b64_e32 v[4:5], 0
	s_cbranch_execz .LBB129_31
	s_branch .LBB129_32
.LBB129_41:
	v_mov_b32_e32 v0, 0x1000
	v_lshl_add_u32 v0, v144, 5, v0
	s_mov_b32 s4, 0
.LBB129_42:                             ; =>This Inner Loop Header: Depth=1
	v_add_u32_e32 v1, s4, v0
	v_add_u32_e32 v142, s4, v148
	ds_read2_b64 v[2:5], v1 offset1:16
	ds_read2_b64 v[134:137], v1 offset0:32 offset1:48
	ds_read2_b64 v[138:141], v1 offset0:64 offset1:80
	;; [unrolled: 1-line block ×7, first 2 shown]
	v_add_u32_e32 v1, 0x800, v1
	ds_read2st64_b64 v[170:173], v142 offset1:4
	ds_read2_b64 v[174:177], v1 offset1:16
	ds_read2_b64 v[178:181], v1 offset0:32 offset1:48
	ds_read2_b64 v[182:185], v1 offset0:64 offset1:80
	ds_read2_b64 v[186:189], v1 offset0:96 offset1:112
	ds_read2_b64 v[190:193], v1 offset0:128 offset1:144
	ds_read2_b64 v[194:197], v1 offset0:160 offset1:176
	ds_read2_b64 v[198:201], v1 offset0:192 offset1:208
	ds_read2_b64 v[202:205], v1 offset0:224 offset1:240
	s_waitcnt lgkmcnt(14)
	v_max_f64 v[2:3], v[2:3], v[2:3]
	v_max_f64 v[4:5], v[4:5], v[4:5]
	;; [unrolled: 1-line block ×3, first 2 shown]
	s_waitcnt lgkmcnt(8)
	v_max_f64 v[142:143], v[170:171], v[170:171]
	v_max_f64 v[136:137], v[136:137], v[136:137]
	;; [unrolled: 1-line block ×15, first 2 shown]
	v_min_f64 v[170:171], v[2:3], v[142:143]
	v_min_f64 v[172:173], v[4:5], v[142:143]
	;; [unrolled: 1-line block ×16, first 2 shown]
	s_waitcnt lgkmcnt(7)
	v_max_f64 v[174:175], v[174:175], v[174:175]
	v_max_f64 v[176:177], v[176:177], v[176:177]
	s_waitcnt lgkmcnt(6)
	v_max_f64 v[178:179], v[178:179], v[178:179]
	v_max_f64 v[180:181], v[180:181], v[180:181]
	s_waitcnt lgkmcnt(5)
	v_max_f64 v[182:183], v[182:183], v[182:183]
	v_max_f64 v[184:185], v[184:185], v[184:185]
	s_waitcnt lgkmcnt(4)
	v_max_f64 v[186:187], v[186:187], v[186:187]
	v_max_f64 v[188:189], v[188:189], v[188:189]
	s_waitcnt lgkmcnt(3)
	v_max_f64 v[190:191], v[190:191], v[190:191]
	v_max_f64 v[192:193], v[192:193], v[192:193]
	s_waitcnt lgkmcnt(2)
	v_max_f64 v[194:195], v[194:195], v[194:195]
	v_max_f64 v[196:197], v[196:197], v[196:197]
	s_waitcnt lgkmcnt(1)
	v_max_f64 v[198:199], v[198:199], v[198:199]
	v_max_f64 v[200:201], v[200:201], v[200:201]
	s_waitcnt lgkmcnt(0)
	v_max_f64 v[202:203], v[202:203], v[202:203]
	v_max_f64 v[204:205], v[204:205], v[204:205]
	v_min_f64 v[2:3], v[2:3], v[168:169]
	v_min_f64 v[4:5], v[4:5], v[168:169]
	;; [unrolled: 1-line block ×16, first 2 shown]
	s_add_i32 s4, s4, 8
	v_add_f64 v[132:133], v[132:133], v[170:171]
	v_add_f64 v[130:131], v[130:131], v[172:173]
	;; [unrolled: 1-line block ×15, first 2 shown]
	v_min_f64 v[170:171], v[174:175], v[142:143]
	v_min_f64 v[172:173], v[176:177], v[142:143]
	;; [unrolled: 1-line block ×16, first 2 shown]
	v_add_f64 v[68:69], v[68:69], v[2:3]
	v_add_f64 v[66:67], v[66:67], v[4:5]
	;; [unrolled: 1-line block ×16, first 2 shown]
	v_min_f64 v[2:3], v[174:175], v[168:169]
	v_min_f64 v[4:5], v[176:177], v[168:169]
	;; [unrolled: 1-line block ×16, first 2 shown]
	s_cmp_eq_u32 s4, 32
	v_add_f64 v[102:103], v[102:103], v[232:233]
	v_add_f64 v[100:101], v[100:101], v[170:171]
	;; [unrolled: 1-line block ×33, first 2 shown]
	s_cbranch_scc0 .LBB129_42
; %bb.43:
	s_load_dwordx2 s[6:7], s[0:1], 0x78
	s_load_dword s4, s[0:1], 0x58
	s_load_dword s5, s[0:1], 0x70
	v_add_u32_e32 v170, s15, v145
	v_add_u32_e32 v134, s14, v144
	s_waitcnt lgkmcnt(0)
	s_lshl_b64 s[0:1], s[6:7], 3
	s_add_u32 s0, s2, s0
	s_addc_u32 s1, s3, s1
	v_mad_i64_i32 v[2:3], s[2:3], v170, s5, 0
	v_add_u32_e32 v0, 4, v134
	v_lshl_add_u64 v[138:139], v[2:3], 3, s[0:1]
	v_mad_i64_i32 v[2:3], s[2:3], v170, s4, 0
	v_ashrrev_i32_e32 v135, 31, v134
	v_ashrrev_i32_e32 v1, 31, v0
	s_mov_b64 s[2:3], -1
	s_mov_b64 vcc, s[8:9]
	s_cbranch_vccz .LBB129_45
; %bb.44:
	v_add_f64 v[4:5], v[132:133], 0
	v_lshl_add_u64 v[136:137], v[134:135], 3, v[138:139]
	s_mov_b64 s[2:3], 0
	flat_store_dwordx2 v[136:137], v[4:5]
.LBB129_45:
	v_lshl_add_u64 v[146:147], v[2:3], 3, s[16:17]
	v_mov_b64_e32 v[4:5], 0
	s_andn2_b64 vcc, exec, s[2:3]
	v_lshlrev_b64 v[136:137], 3, v[134:135]
	s_cbranch_vccnz .LBB129_47
; %bb.46:
	v_lshl_add_u64 v[2:3], v[146:147], 0, v[136:137]
	flat_load_dwordx2 v[2:3], v[2:3]
	v_lshl_add_u64 v[4:5], v[138:139], 0, v[136:137]
	s_waitcnt vmcnt(0) lgkmcnt(0)
	v_fmac_f64_e32 v[132:133], s[10:11], v[2:3]
	flat_store_dwordx2 v[4:5], v[132:133]
	v_lshl_add_u64 v[2:3], v[0:1], 3, v[146:147]
	flat_load_dwordx2 v[2:3], v[2:3]
	s_waitcnt vmcnt(0) lgkmcnt(0)
	v_mul_f64 v[4:5], s[10:11], v[2:3]
.LBB129_47:
	v_add_u32_e32 v132, 8, v134
	v_add_u32_e32 v2, 12, v134
	v_ashrrev_i32_e32 v133, 31, v132
	v_ashrrev_i32_e32 v3, 31, v2
	v_add_f64 v[4:5], v[130:131], v[4:5]
	v_lshl_add_u64 v[130:131], v[0:1], 3, v[138:139]
	s_mov_b64 s[2:3], -1
	s_mov_b64 vcc, s[8:9]
	flat_store_dwordx2 v[130:131], v[4:5]
	s_cbranch_vccz .LBB129_49
; %bb.48:
	v_add_f64 v[4:5], v[128:129], 0
	v_lshl_add_u64 v[130:131], v[132:133], 3, v[138:139]
	s_mov_b64 s[2:3], 0
	flat_store_dwordx2 v[130:131], v[4:5]
.LBB129_49:
	v_mov_b64_e32 v[140:141], 0
	s_andn2_b64 vcc, exec, s[2:3]
	v_lshlrev_b64 v[130:131], 3, v[132:133]
	s_cbranch_vccnz .LBB129_51
; %bb.50:
	v_lshl_add_u64 v[4:5], v[146:147], 0, v[130:131]
	flat_load_dwordx2 v[4:5], v[4:5]
	v_lshl_add_u64 v[140:141], v[138:139], 0, v[130:131]
	s_waitcnt vmcnt(0) lgkmcnt(0)
	v_fmac_f64_e32 v[128:129], s[10:11], v[4:5]
	flat_store_dwordx2 v[140:141], v[128:129]
	v_lshl_add_u64 v[4:5], v[2:3], 3, v[146:147]
	flat_load_dwordx2 v[4:5], v[4:5]
	s_waitcnt vmcnt(0) lgkmcnt(0)
	v_mul_f64 v[140:141], s[10:11], v[4:5]
.LBB129_51:
	v_add_u32_e32 v128, 16, v134
	v_add_u32_e32 v4, 20, v134
	v_ashrrev_i32_e32 v129, 31, v128
	v_ashrrev_i32_e32 v5, 31, v4
	v_add_f64 v[126:127], v[126:127], v[140:141]
	v_lshl_add_u64 v[140:141], v[2:3], 3, v[138:139]
	s_mov_b64 s[2:3], -1
	s_mov_b64 vcc, s[8:9]
	flat_store_dwordx2 v[140:141], v[126:127]
	s_cbranch_vccz .LBB129_53
; %bb.52:
	v_add_f64 v[126:127], v[124:125], 0
	v_lshl_add_u64 v[140:141], v[128:129], 3, v[138:139]
	s_mov_b64 s[2:3], 0
	flat_store_dwordx2 v[140:141], v[126:127]
.LBB129_53:
	;; [unrolled: 32-line block ×15, first 2 shown]
	v_mov_b64_e32 v[168:169], 0
	s_andn2_b64 vcc, exec, s[2:3]
	v_lshlrev_b64 v[74:75], 3, v[78:79]
	s_cbranch_vccnz .LBB129_107
; %bb.106:
	v_lshl_add_u64 v[168:169], v[146:147], 0, v[74:75]
	flat_load_dwordx2 v[168:169], v[168:169]
	v_lshl_add_u64 v[172:173], v[138:139], 0, v[74:75]
	s_waitcnt vmcnt(0) lgkmcnt(0)
	v_fmac_f64_e32 v[72:73], s[10:11], v[168:169]
	flat_store_dwordx2 v[172:173], v[72:73]
	v_lshl_add_u64 v[72:73], v[76:77], 3, v[146:147]
	flat_load_dwordx2 v[72:73], v[72:73]
	s_waitcnt vmcnt(0) lgkmcnt(0)
	v_mul_f64 v[168:169], s[10:11], v[72:73]
.LBB129_107:
	v_add_f64 v[70:71], v[70:71], v[168:169]
	v_lshl_add_u64 v[72:73], v[76:77], 3, v[138:139]
	flat_store_dwordx2 v[72:73], v[70:71]
	v_add_u32_e32 v72, 64, v170
	v_mad_i64_i32 v[70:71], s[2:3], v72, s5, 0
	v_lshl_add_u64 v[70:71], v[70:71], 3, s[0:1]
	v_mad_i64_i32 v[72:73], s[0:1], v72, s4, 0
	s_mov_b64 s[0:1], -1
	s_mov_b64 vcc, s[8:9]
	s_cbranch_vccz .LBB129_109
; %bb.108:
	v_add_f64 v[138:139], v[68:69], 0
	v_lshl_add_u64 v[134:135], v[134:135], 3, v[70:71]
	s_mov_b64 s[0:1], 0
	flat_store_dwordx2 v[134:135], v[138:139]
.LBB129_109:
	v_lshl_add_u64 v[72:73], v[72:73], 3, s[16:17]
	s_andn2_b64 vcc, exec, s[0:1]
	v_mov_b64_e32 v[134:135], 0
	s_cbranch_vccnz .LBB129_111
; %bb.110:
	v_lshl_add_u64 v[134:135], v[72:73], 0, v[136:137]
	flat_load_dwordx2 v[134:135], v[134:135]
	v_lshl_add_u64 v[136:137], v[70:71], 0, v[136:137]
	s_waitcnt vmcnt(0) lgkmcnt(0)
	v_fmac_f64_e32 v[68:69], s[10:11], v[134:135]
	flat_store_dwordx2 v[136:137], v[68:69]
	v_lshl_add_u64 v[68:69], v[0:1], 3, v[72:73]
	flat_load_dwordx2 v[68:69], v[68:69]
	s_waitcnt vmcnt(0) lgkmcnt(0)
	v_mul_f64 v[134:135], s[10:11], v[68:69]
.LBB129_111:
	v_add_f64 v[66:67], v[66:67], v[134:135]
	v_lshl_add_u64 v[0:1], v[0:1], 3, v[70:71]
	s_mov_b64 s[0:1], -1
	s_mov_b64 vcc, s[8:9]
	flat_store_dwordx2 v[0:1], v[66:67]
	s_cbranch_vccz .LBB129_113
; %bb.112:
	v_add_f64 v[0:1], v[64:65], 0
	v_lshl_add_u64 v[66:67], v[132:133], 3, v[70:71]
	s_mov_b64 s[0:1], 0
	flat_store_dwordx2 v[66:67], v[0:1]
.LBB129_113:
	s_andn2_b64 vcc, exec, s[0:1]
	v_mov_b64_e32 v[0:1], 0
	s_cbranch_vccnz .LBB129_115
; %bb.114:
	v_lshl_add_u64 v[0:1], v[72:73], 0, v[130:131]
	flat_load_dwordx2 v[0:1], v[0:1]
	v_lshl_add_u64 v[66:67], v[70:71], 0, v[130:131]
	s_waitcnt vmcnt(0) lgkmcnt(0)
	v_fmac_f64_e32 v[64:65], s[10:11], v[0:1]
	flat_store_dwordx2 v[66:67], v[64:65]
	v_lshl_add_u64 v[0:1], v[2:3], 3, v[72:73]
	flat_load_dwordx2 v[0:1], v[0:1]
	s_waitcnt vmcnt(0) lgkmcnt(0)
	v_mul_f64 v[0:1], s[10:11], v[0:1]
.LBB129_115:
	v_add_f64 v[0:1], v[62:63], v[0:1]
	v_lshl_add_u64 v[2:3], v[2:3], 3, v[70:71]
	s_mov_b64 s[0:1], -1
	s_mov_b64 vcc, s[8:9]
	flat_store_dwordx2 v[2:3], v[0:1]
	s_cbranch_vccz .LBB129_117
; %bb.116:
	v_add_f64 v[0:1], v[60:61], 0
	v_lshl_add_u64 v[2:3], v[128:129], 3, v[70:71]
	s_mov_b64 s[0:1], 0
	flat_store_dwordx2 v[2:3], v[0:1]
.LBB129_117:
	;; [unrolled: 27-line block ×14, first 2 shown]
	s_andn2_b64 vcc, exec, s[0:1]
	v_mov_b64_e32 v[0:1], 0
	s_cbranch_vccnz .LBB129_167
; %bb.166:
	v_lshl_add_u64 v[0:1], v[72:73], 0, v[166:167]
	flat_load_dwordx2 v[0:1], v[0:1]
	v_lshl_add_u64 v[2:3], v[70:71], 0, v[166:167]
	s_waitcnt vmcnt(0) lgkmcnt(0)
	v_fmac_f64_e32 v[12:13], s[10:11], v[0:1]
	flat_store_dwordx2 v[2:3], v[12:13]
	v_lshl_add_u64 v[0:1], v[80:81], 3, v[72:73]
	flat_load_dwordx2 v[0:1], v[0:1]
	s_waitcnt vmcnt(0) lgkmcnt(0)
	v_mul_f64 v[0:1], s[10:11], v[0:1]
.LBB129_167:
	v_add_f64 v[0:1], v[10:11], v[0:1]
	v_lshl_add_u64 v[2:3], v[80:81], 3, v[70:71]
	s_mov_b64 s[0:1], -1
	s_mov_b64 vcc, s[8:9]
	flat_store_dwordx2 v[2:3], v[0:1]
	s_cbranch_vccnz .LBB129_170
; %bb.168:
	s_andn2_b64 vcc, exec, s[0:1]
	v_mov_b64_e32 v[0:1], 0
	s_cbranch_vccz .LBB129_171
.LBB129_169:
	v_add_f64 v[0:1], v[6:7], v[0:1]
	v_lshl_add_u64 v[2:3], v[76:77], 3, v[70:71]
	flat_store_dwordx2 v[2:3], v[0:1]
	s_endpgm
.LBB129_170:
	v_add_f64 v[0:1], v[8:9], 0
	v_lshl_add_u64 v[2:3], v[78:79], 3, v[70:71]
	flat_store_dwordx2 v[2:3], v[0:1]
	v_mov_b64_e32 v[0:1], 0
	s_cbranch_execnz .LBB129_169
.LBB129_171:
	v_lshl_add_u64 v[0:1], v[72:73], 0, v[74:75]
	flat_load_dwordx2 v[0:1], v[0:1]
	v_lshl_add_u64 v[2:3], v[70:71], 0, v[74:75]
	s_waitcnt vmcnt(0) lgkmcnt(0)
	v_fmac_f64_e32 v[8:9], s[10:11], v[0:1]
	flat_store_dwordx2 v[2:3], v[8:9]
	v_lshl_add_u64 v[0:1], v[76:77], 3, v[72:73]
	flat_load_dwordx2 v[0:1], v[0:1]
	s_waitcnt vmcnt(0) lgkmcnt(0)
	v_mul_f64 v[0:1], s[10:11], v[0:1]
	v_add_f64 v[0:1], v[6:7], v[0:1]
	v_lshl_add_u64 v[2:3], v[76:77], 3, v[70:71]
	flat_store_dwordx2 v[2:3], v[0:1]
	s_endpgm
	.section	.rodata,"a",@progbits
	.p2align	6, 0x0
	.amdhsa_kernel _ZN12_GLOBAL__N_120geam_min_plus_kernelIdddLi4ELi64ELi128ELi128ELi4ELi64ELi4ELi4ELi64ELc78ELc78ELb0ELb0ELb0EPKdKS2_KPdEEviiiT16_PT17_ilS8_ilS6_S8_ilPT18_ili26rocblas_geam_ex_operation_
		.amdhsa_group_segment_fixed_size 16384
		.amdhsa_private_segment_fixed_size 0
		.amdhsa_kernarg_size 136
		.amdhsa_user_sgpr_count 2
		.amdhsa_user_sgpr_dispatch_ptr 0
		.amdhsa_user_sgpr_queue_ptr 0
		.amdhsa_user_sgpr_kernarg_segment_ptr 1
		.amdhsa_user_sgpr_dispatch_id 0
		.amdhsa_user_sgpr_kernarg_preload_length 0
		.amdhsa_user_sgpr_kernarg_preload_offset 0
		.amdhsa_user_sgpr_private_segment_size 0
		.amdhsa_uses_dynamic_stack 0
		.amdhsa_enable_private_segment 0
		.amdhsa_system_sgpr_workgroup_id_x 1
		.amdhsa_system_sgpr_workgroup_id_y 0
		.amdhsa_system_sgpr_workgroup_id_z 1
		.amdhsa_system_sgpr_workgroup_info 0
		.amdhsa_system_vgpr_workitem_id 1
		.amdhsa_next_free_vgpr 254
		.amdhsa_next_free_sgpr 28
		.amdhsa_accum_offset 256
		.amdhsa_reserve_vcc 1
		.amdhsa_float_round_mode_32 0
		.amdhsa_float_round_mode_16_64 0
		.amdhsa_float_denorm_mode_32 3
		.amdhsa_float_denorm_mode_16_64 3
		.amdhsa_dx10_clamp 1
		.amdhsa_ieee_mode 1
		.amdhsa_fp16_overflow 0
		.amdhsa_tg_split 0
		.amdhsa_exception_fp_ieee_invalid_op 0
		.amdhsa_exception_fp_denorm_src 0
		.amdhsa_exception_fp_ieee_div_zero 0
		.amdhsa_exception_fp_ieee_overflow 0
		.amdhsa_exception_fp_ieee_underflow 0
		.amdhsa_exception_fp_ieee_inexact 0
		.amdhsa_exception_int_div_zero 0
	.end_amdhsa_kernel
	.section	.text._ZN12_GLOBAL__N_120geam_min_plus_kernelIdddLi4ELi64ELi128ELi128ELi4ELi64ELi4ELi4ELi64ELc78ELc78ELb0ELb0ELb0EPKdKS2_KPdEEviiiT16_PT17_ilS8_ilS6_S8_ilPT18_ili26rocblas_geam_ex_operation_,"axG",@progbits,_ZN12_GLOBAL__N_120geam_min_plus_kernelIdddLi4ELi64ELi128ELi128ELi4ELi64ELi4ELi4ELi64ELc78ELc78ELb0ELb0ELb0EPKdKS2_KPdEEviiiT16_PT17_ilS8_ilS6_S8_ilPT18_ili26rocblas_geam_ex_operation_,comdat
.Lfunc_end129:
	.size	_ZN12_GLOBAL__N_120geam_min_plus_kernelIdddLi4ELi64ELi128ELi128ELi4ELi64ELi4ELi4ELi64ELc78ELc78ELb0ELb0ELb0EPKdKS2_KPdEEviiiT16_PT17_ilS8_ilS6_S8_ilPT18_ili26rocblas_geam_ex_operation_, .Lfunc_end129-_ZN12_GLOBAL__N_120geam_min_plus_kernelIdddLi4ELi64ELi128ELi128ELi4ELi64ELi4ELi4ELi64ELc78ELc78ELb0ELb0ELb0EPKdKS2_KPdEEviiiT16_PT17_ilS8_ilS6_S8_ilPT18_ili26rocblas_geam_ex_operation_
                                        ; -- End function
	.set _ZN12_GLOBAL__N_120geam_min_plus_kernelIdddLi4ELi64ELi128ELi128ELi4ELi64ELi4ELi4ELi64ELc78ELc78ELb0ELb0ELb0EPKdKS2_KPdEEviiiT16_PT17_ilS8_ilS6_S8_ilPT18_ili26rocblas_geam_ex_operation_.num_vgpr, 254
	.set _ZN12_GLOBAL__N_120geam_min_plus_kernelIdddLi4ELi64ELi128ELi128ELi4ELi64ELi4ELi4ELi64ELc78ELc78ELb0ELb0ELb0EPKdKS2_KPdEEviiiT16_PT17_ilS8_ilS6_S8_ilPT18_ili26rocblas_geam_ex_operation_.num_agpr, 0
	.set _ZN12_GLOBAL__N_120geam_min_plus_kernelIdddLi4ELi64ELi128ELi128ELi4ELi64ELi4ELi4ELi64ELc78ELc78ELb0ELb0ELb0EPKdKS2_KPdEEviiiT16_PT17_ilS8_ilS6_S8_ilPT18_ili26rocblas_geam_ex_operation_.numbered_sgpr, 28
	.set _ZN12_GLOBAL__N_120geam_min_plus_kernelIdddLi4ELi64ELi128ELi128ELi4ELi64ELi4ELi4ELi64ELc78ELc78ELb0ELb0ELb0EPKdKS2_KPdEEviiiT16_PT17_ilS8_ilS6_S8_ilPT18_ili26rocblas_geam_ex_operation_.num_named_barrier, 0
	.set _ZN12_GLOBAL__N_120geam_min_plus_kernelIdddLi4ELi64ELi128ELi128ELi4ELi64ELi4ELi4ELi64ELc78ELc78ELb0ELb0ELb0EPKdKS2_KPdEEviiiT16_PT17_ilS8_ilS6_S8_ilPT18_ili26rocblas_geam_ex_operation_.private_seg_size, 0
	.set _ZN12_GLOBAL__N_120geam_min_plus_kernelIdddLi4ELi64ELi128ELi128ELi4ELi64ELi4ELi4ELi64ELc78ELc78ELb0ELb0ELb0EPKdKS2_KPdEEviiiT16_PT17_ilS8_ilS6_S8_ilPT18_ili26rocblas_geam_ex_operation_.uses_vcc, 1
	.set _ZN12_GLOBAL__N_120geam_min_plus_kernelIdddLi4ELi64ELi128ELi128ELi4ELi64ELi4ELi4ELi64ELc78ELc78ELb0ELb0ELb0EPKdKS2_KPdEEviiiT16_PT17_ilS8_ilS6_S8_ilPT18_ili26rocblas_geam_ex_operation_.uses_flat_scratch, 0
	.set _ZN12_GLOBAL__N_120geam_min_plus_kernelIdddLi4ELi64ELi128ELi128ELi4ELi64ELi4ELi4ELi64ELc78ELc78ELb0ELb0ELb0EPKdKS2_KPdEEviiiT16_PT17_ilS8_ilS6_S8_ilPT18_ili26rocblas_geam_ex_operation_.has_dyn_sized_stack, 0
	.set _ZN12_GLOBAL__N_120geam_min_plus_kernelIdddLi4ELi64ELi128ELi128ELi4ELi64ELi4ELi4ELi64ELc78ELc78ELb0ELb0ELb0EPKdKS2_KPdEEviiiT16_PT17_ilS8_ilS6_S8_ilPT18_ili26rocblas_geam_ex_operation_.has_recursion, 0
	.set _ZN12_GLOBAL__N_120geam_min_plus_kernelIdddLi4ELi64ELi128ELi128ELi4ELi64ELi4ELi4ELi64ELc78ELc78ELb0ELb0ELb0EPKdKS2_KPdEEviiiT16_PT17_ilS8_ilS6_S8_ilPT18_ili26rocblas_geam_ex_operation_.has_indirect_call, 0
	.section	.AMDGPU.csdata,"",@progbits
; Kernel info:
; codeLenInByte = 13072
; TotalNumSgprs: 34
; NumVgprs: 254
; NumAgprs: 0
; TotalNumVgprs: 254
; ScratchSize: 0
; MemoryBound: 0
; FloatMode: 240
; IeeeMode: 1
; LDSByteSize: 16384 bytes/workgroup (compile time only)
; SGPRBlocks: 4
; VGPRBlocks: 31
; NumSGPRsForWavesPerEU: 34
; NumVGPRsForWavesPerEU: 254
; AccumOffset: 256
; Occupancy: 2
; WaveLimiterHint : 1
; COMPUTE_PGM_RSRC2:SCRATCH_EN: 0
; COMPUTE_PGM_RSRC2:USER_SGPR: 2
; COMPUTE_PGM_RSRC2:TRAP_HANDLER: 0
; COMPUTE_PGM_RSRC2:TGID_X_EN: 1
; COMPUTE_PGM_RSRC2:TGID_Y_EN: 0
; COMPUTE_PGM_RSRC2:TGID_Z_EN: 1
; COMPUTE_PGM_RSRC2:TIDIG_COMP_CNT: 1
; COMPUTE_PGM_RSRC3_GFX90A:ACCUM_OFFSET: 63
; COMPUTE_PGM_RSRC3_GFX90A:TG_SPLIT: 0
	.section	.text._ZN12_GLOBAL__N_120geam_min_plus_kernelIdddLi4ELi64ELi128ELi128ELi4ELi64ELi4ELi4ELi64ELc78ELc78ELb1ELb0ELb0EdKPKdKPdEEviiiT16_PT17_ilS8_ilS6_S8_ilPT18_ili26rocblas_geam_ex_operation_,"axG",@progbits,_ZN12_GLOBAL__N_120geam_min_plus_kernelIdddLi4ELi64ELi128ELi128ELi4ELi64ELi4ELi4ELi64ELc78ELc78ELb1ELb0ELb0EdKPKdKPdEEviiiT16_PT17_ilS8_ilS6_S8_ilPT18_ili26rocblas_geam_ex_operation_,comdat
	.globl	_ZN12_GLOBAL__N_120geam_min_plus_kernelIdddLi4ELi64ELi128ELi128ELi4ELi64ELi4ELi4ELi64ELc78ELc78ELb1ELb0ELb0EdKPKdKPdEEviiiT16_PT17_ilS8_ilS6_S8_ilPT18_ili26rocblas_geam_ex_operation_ ; -- Begin function _ZN12_GLOBAL__N_120geam_min_plus_kernelIdddLi4ELi64ELi128ELi128ELi4ELi64ELi4ELi4ELi64ELc78ELc78ELb1ELb0ELb0EdKPKdKPdEEviiiT16_PT17_ilS8_ilS6_S8_ilPT18_ili26rocblas_geam_ex_operation_
	.p2align	8
	.type	_ZN12_GLOBAL__N_120geam_min_plus_kernelIdddLi4ELi64ELi128ELi128ELi4ELi64ELi4ELi4ELi64ELc78ELc78ELb1ELb0ELb0EdKPKdKPdEEviiiT16_PT17_ilS8_ilS6_S8_ilPT18_ili26rocblas_geam_ex_operation_,@function
_ZN12_GLOBAL__N_120geam_min_plus_kernelIdddLi4ELi64ELi128ELi128ELi4ELi64ELi4ELi4ELi64ELc78ELc78ELb1ELb0ELb0EdKPKdKPdEEviiiT16_PT17_ilS8_ilS6_S8_ilPT18_ili26rocblas_geam_ex_operation_: ; @_ZN12_GLOBAL__N_120geam_min_plus_kernelIdddLi4ELi64ELi128ELi128ELi4ELi64ELi4ELi4ELi64ELc78ELc78ELb1ELb0ELb0EdKPKdKPdEEviiiT16_PT17_ilS8_ilS6_S8_ilPT18_ili26rocblas_geam_ex_operation_
; %bb.0:
	s_load_dwordx4 s[4:7], s[0:1], 0x10
	s_load_dwordx4 s[8:11], s[0:1], 0x28
	s_mov_b32 s18, s3
	s_mov_b64 s[16:17], 0
	s_waitcnt lgkmcnt(0)
	v_cmp_eq_f64_e64 s[12:13], s[4:5], 0
	s_and_b64 vcc, exec, s[12:13]
	s_cbranch_vccnz .LBB130_2
; %bb.1:
	s_mov_b32 s19, 0
	s_lshl_b64 s[4:5], s[18:19], 3
	s_add_u32 s4, s6, s4
	s_addc_u32 s5, s7, s5
	s_load_dwordx2 s[4:5], s[4:5], 0x0
	s_lshl_b64 s[6:7], s[8:9], 3
	s_waitcnt lgkmcnt(0)
	s_add_u32 s16, s4, s6
	s_addc_u32 s17, s5, s7
.LBB130_2:
	s_load_dwordx4 s[4:7], s[0:1], 0x40
	s_load_dwordx2 s[20:21], s[0:1], 0x50
	s_andn2_b64 vcc, exec, s[12:13]
	s_mov_b32 s19, 0
	s_cbranch_vccnz .LBB130_4
; %bb.3:
	s_mov_b64 s[12:13], 0
	s_mov_b64 s[14:15], 0
	s_cbranch_execz .LBB130_5
	s_branch .LBB130_6
.LBB130_4:
	s_mov_b64 s[12:13], 0
	s_mov_b64 s[14:15], 0
.LBB130_5:
	s_lshl_b64 s[8:9], s[18:19], 3
	s_add_u32 s8, s10, s8
	s_addc_u32 s9, s11, s9
	s_load_dwordx2 s[8:9], s[8:9], 0x0
	s_waitcnt lgkmcnt(0)
	s_lshl_b64 s[4:5], s[4:5], 3
	s_add_u32 s14, s8, s4
	s_addc_u32 s15, s9, s5
.LBB130_6:
	s_load_dwordx4 s[8:11], s[0:1], 0x60
	s_waitcnt lgkmcnt(0)
	v_cmp_eq_f64_e64 s[4:5], s[6:7], 0
	s_and_b64 s[4:5], exec, s[4:5]
	s_mov_b64 vcc, s[4:5]
	s_cbranch_vccnz .LBB130_8
; %bb.7:
	s_lshl_b64 s[12:13], s[18:19], 3
	s_add_u32 s12, s20, s12
	s_addc_u32 s13, s21, s13
	s_load_dwordx2 s[12:13], s[12:13], 0x0
	s_lshl_b64 s[8:9], s[8:9], 3
	s_waitcnt lgkmcnt(0)
	s_add_u32 s12, s12, s8
	s_addc_u32 s13, s13, s9
.LBB130_8:
	s_load_dword s20, s[0:1], 0x20
	s_load_dword s21, s[0:1], 0x38
	;; [unrolled: 1-line block ×3, first 2 shown]
	s_lshl_b64 s[8:9], s[18:19], 3
	v_and_b32_e32 v148, 0x3ff, v0
	s_waitcnt lgkmcnt(0)
	s_ashr_i32 s18, s20, 31
	s_add_u32 s8, s10, s8
	s_addc_u32 s9, s11, s9
	s_add_i32 s3, s3, -1
	s_ashr_i32 s10, s3, 31
	s_lshr_b32 s10, s10, 25
	s_add_i32 s3, s3, s10
	s_ashr_i32 s3, s3, 7
	s_add_i32 s10, s3, 1
	v_cvt_f32_u32_e32 v1, s10
	s_not_b32 s3, s3
	v_bfe_u32 v149, v0, 10, 10
	v_and_b32_e32 v150, 3, v0
	v_rcp_iflag_f32_e32 v1, v1
	v_lshl_add_u32 v0, v149, 2, v148
	v_and_b32_e32 v142, 63, v0
	v_lshrrev_b32_e32 v18, 2, v0
	v_mul_f32_e32 v1, 0x4f7ffffe, v1
	v_cvt_u32_f32_e32 v1, v1
	v_lshrrev_b32_e32 v151, 6, v0
	v_lshlrev_b32_e32 v0, 3, v150
	v_add_u32_e32 v155, 4, v151
	v_readfirstlane_b32 s11, v1
	s_mul_i32 s3, s3, s11
	s_mul_hi_u32 s3, s11, s3
	s_add_i32 s11, s11, s3
	s_mul_hi_u32 s3, s2, s11
	s_mul_i32 s11, s3, s10
	s_sub_i32 s11, s2, s11
	s_add_i32 s19, s3, 1
	s_sub_i32 s22, s11, s10
	s_cmp_ge_u32 s11, s10
	s_cselect_b32 s3, s19, s3
	s_cselect_b32 s11, s22, s11
	s_add_i32 s19, s3, 1
	s_cmp_ge_u32 s11, s10
	s_cselect_b32 s3, s19, s3
	s_mul_i32 s10, s3, s10
	s_sub_i32 s2, s2, s10
	s_lshl_b32 s10, s2, 7
	s_lshl_b32 s11, s3, 7
	v_or_b32_e32 v132, s10, v142
	v_add_u32_e32 v6, s11, v18
	v_mov_b32_e32 v1, 0
	v_lshl_add_u64 v[2:3], s[14:15], 0, v[0:1]
	v_add_u32_e32 v1, 64, v6
	v_mad_i64_i32 v[10:11], s[2:3], s20, v151, 0
	v_ashrrev_i32_e32 v133, 31, v132
	v_lshl_or_b32 v144, v18, 5, v0
	v_lshlrev_b32_e32 v0, 5, v142
	v_mad_i64_i32 v[128:129], s[2:3], v6, s21, 0
	v_mad_i64_i32 v[130:131], s[2:3], v1, s21, 0
	v_lshl_add_u64 v[10:11], v[10:11], 3, s[16:17]
	v_lshlrev_b64 v[12:13], 3, v[132:133]
	v_lshl_add_u32 v156, v151, 3, v0
	v_mad_i64_i32 v[0:1], s[2:3], s20, v155, 0
	v_lshl_add_u64 v[4:5], v[128:129], 3, v[2:3]
	v_lshl_add_u64 v[10:11], v[10:11], 0, v[12:13]
	;; [unrolled: 1-line block ×4, first 2 shown]
	flat_load_dwordx2 v[6:7], v[4:5]
	flat_load_dwordx2 v[8:9], v[2:3]
	flat_load_dwordx2 v[14:15], v[10:11]
	flat_load_dwordx2 v[16:17], v[10:11] offset:512
	v_lshl_add_u64 v[0:1], v[0:1], 0, v[12:13]
	s_load_dwordx2 s[2:3], s[8:9], 0x0
	flat_load_dwordx2 v[134:135], v[2:3] offset:32
	flat_load_dwordx2 v[136:137], v[4:5] offset:32
	flat_load_dwordx2 v[138:139], v[0:1]
	flat_load_dwordx2 v[140:141], v[0:1] offset:512
	v_lshlrev_b32_e32 v143, 5, v149
	v_mov_b64_e32 v[126:127], 0
	s_mov_b32 s19, 0
	v_mov_b64_e32 v[124:125], 0
	v_mov_b64_e32 v[122:123], 0
	;; [unrolled: 1-line block ×18, first 2 shown]
	v_lshlrev_b32_e32 v153, 5, v148
	v_add_u32_e32 v154, 0x2000, v143
	v_add_u32_e32 v157, 0x2000, v144
	v_mov_b64_e32 v[90:91], 0
	v_mov_b64_e32 v[86:87], 0
	;; [unrolled: 1-line block ×27, first 2 shown]
	s_waitcnt vmcnt(0) lgkmcnt(0)
	ds_write2st64_b64 v144, v[6:7], v[8:9] offset0:16 offset1:20
	ds_write2st64_b64 v156, v[14:15], v[16:17] offset1:4
	v_mov_b64_e32 v[34:35], 0
	v_mov_b64_e32 v[32:33], 0
	;; [unrolled: 1-line block ×18, first 2 shown]
	s_waitcnt lgkmcnt(0)
	s_barrier
.LBB130_9:                              ; =>This Inner Loop Header: Depth=1
	v_add_u32_e32 v145, s19, v153
	v_add_u32_e32 v146, s19, v154
	ds_read2_b64 v[158:161], v145 offset1:16
	ds_read2_b64 v[162:165], v145 offset0:32 offset1:48
	ds_read2_b64 v[166:169], v145 offset0:64 offset1:80
	;; [unrolled: 1-line block ×7, first 2 shown]
	ds_read2st64_b64 v[190:193], v146 offset1:4
	v_add_u32_e32 v145, 0x800, v145
	ds_read2_b64 v[194:197], v145 offset1:16
	ds_read2_b64 v[198:201], v145 offset0:32 offset1:48
	ds_read2_b64 v[202:205], v145 offset0:64 offset1:80
	;; [unrolled: 1-line block ×7, first 2 shown]
	s_waitcnt lgkmcnt(14)
	v_max_f64 v[146:147], v[158:159], v[158:159]
	v_max_f64 v[158:159], v[160:161], v[160:161]
	v_max_f64 v[160:161], v[162:163], v[162:163]
	v_max_f64 v[162:163], v[164:165], v[164:165]
	v_max_f64 v[164:165], v[166:167], v[166:167]
	v_max_f64 v[166:167], v[168:169], v[168:169]
	s_waitcnt lgkmcnt(13)
	v_max_f64 v[168:169], v[170:171], v[170:171]
	v_max_f64 v[170:171], v[172:173], v[172:173]
	s_waitcnt lgkmcnt(12)
	v_max_f64 v[172:173], v[174:175], v[174:175]
	v_max_f64 v[174:175], v[176:177], v[176:177]
	;; [unrolled: 3-line block ×14, first 2 shown]
	v_min_f64 v[224:225], v[146:147], v[188:189]
	v_min_f64 v[226:227], v[158:159], v[188:189]
	;; [unrolled: 1-line block ×32, first 2 shown]
	s_add_i32 s19, s19, 8
	v_add_f64 v[62:63], v[62:63], v[146:147]
	v_add_f64 v[60:61], v[60:61], v[158:159]
	;; [unrolled: 1-line block ×16, first 2 shown]
	v_min_f64 v[146:147], v[192:193], v[188:189]
	v_min_f64 v[158:159], v[194:195], v[188:189]
	v_min_f64 v[160:161], v[196:197], v[188:189]
	v_min_f64 v[162:163], v[198:199], v[188:189]
	v_min_f64 v[164:165], v[200:201], v[188:189]
	v_min_f64 v[166:167], v[202:203], v[188:189]
	v_min_f64 v[168:169], v[204:205], v[188:189]
	v_min_f64 v[170:171], v[206:207], v[188:189]
	v_min_f64 v[172:173], v[208:209], v[188:189]
	v_min_f64 v[174:175], v[210:211], v[188:189]
	v_min_f64 v[176:177], v[212:213], v[188:189]
	v_min_f64 v[178:179], v[214:215], v[188:189]
	v_min_f64 v[180:181], v[216:217], v[188:189]
	v_min_f64 v[182:183], v[218:219], v[188:189]
	v_min_f64 v[184:185], v[220:221], v[188:189]
	v_min_f64 v[186:187], v[222:223], v[188:189]
	v_min_f64 v[188:189], v[192:193], v[190:191]
	v_min_f64 v[192:193], v[194:195], v[190:191]
	v_min_f64 v[194:195], v[196:197], v[190:191]
	v_min_f64 v[196:197], v[198:199], v[190:191]
	v_min_f64 v[198:199], v[200:201], v[190:191]
	v_min_f64 v[200:201], v[202:203], v[190:191]
	v_min_f64 v[202:203], v[204:205], v[190:191]
	v_min_f64 v[204:205], v[206:207], v[190:191]
	v_min_f64 v[206:207], v[208:209], v[190:191]
	v_min_f64 v[208:209], v[210:211], v[190:191]
	v_min_f64 v[210:211], v[212:213], v[190:191]
	v_min_f64 v[212:213], v[214:215], v[190:191]
	v_min_f64 v[214:215], v[216:217], v[190:191]
	v_min_f64 v[216:217], v[218:219], v[190:191]
	v_min_f64 v[218:219], v[220:221], v[190:191]
	v_min_f64 v[190:191], v[222:223], v[190:191]
	s_cmp_eq_u32 s19, 32
	v_add_f64 v[126:127], v[126:127], v[224:225]
	v_add_f64 v[124:125], v[124:125], v[226:227]
	;; [unrolled: 1-line block ×48, first 2 shown]
	s_cbranch_scc0 .LBB130_9
; %bb.10:
	s_load_dword s19, s[0:1], 0x8
	v_lshlrev_b32_e32 v145, 3, v151
	v_lshl_add_u32 v142, v142, 5, v145
	ds_write2st64_b64 v142, v[138:139], v[140:141] offset0:8 offset1:12
	ds_write2st64_b64 v144, v[136:137], v[134:135] offset0:24 offset1:28
	s_waitcnt lgkmcnt(0)
	s_cmp_gt_i32 s19, 8
	s_barrier
	s_cbranch_scc1 .LBB130_12
; %bb.11:
	v_add_u32_e32 v152, 0x3000, v143
	s_cbranch_execz .LBB130_13
	s_branch .LBB130_19
.LBB130_12:
                                        ; implicit-def: $vgpr152
.LBB130_13:
	v_mov_b32_e32 v134, 0x1000
	v_or_b32_e32 v158, 0x1000, v142
	v_add_u32_e32 v159, 0x3000, v144
	s_add_i32 s8, s19, -8
	v_lshl_add_u32 v160, v148, 5, v134
	v_lshl_add_u64 v[132:133], v[132:133], 3, s[16:17]
	v_add_u32_e32 v152, 0x3000, v143
	s_mov_b32 s9, 8
	s_mov_b32 s16, 0
	v_mov_b32_e32 v135, 0
.LBB130_14:                             ; =>This Loop Header: Depth=1
                                        ;     Child Loop BB130_15 Depth 2
                                        ;     Child Loop BB130_17 Depth 2
	v_add_u32_e32 v138, s9, v151
	v_mad_u64_u32 v[136:137], s[22:23], v138, s20, 0
	v_mov_b32_e32 v134, v137
	v_mad_u64_u32 v[138:139], s[22:23], v138, s18, v[134:135]
	v_mov_b32_e32 v137, v138
	v_or_b32_e32 v134, s9, v150
	v_lshl_add_u64 v[136:137], v[136:137], 3, v[132:133]
	v_lshl_add_u64 v[138:139], v[134:135], 3, s[14:15]
	flat_load_dwordx2 v[140:141], v[136:137]
	flat_load_dwordx2 v[142:143], v[136:137] offset:512
	v_lshl_add_u64 v[136:137], v[128:129], 3, v[138:139]
	v_lshl_add_u64 v[138:139], v[130:131], 3, v[138:139]
	flat_load_dwordx2 v[144:145], v[136:137]
	flat_load_dwordx2 v[146:147], v[138:139]
	s_mov_b32 s17, 0
.LBB130_15:                             ;   Parent Loop BB130_14 Depth=1
                                        ; =>  This Inner Loop Header: Depth=2
	v_add_u32_e32 v134, s17, v160
	ds_read2_b64 v[162:165], v134 offset1:16
	ds_read2_b64 v[166:169], v134 offset0:32 offset1:48
	ds_read2_b64 v[170:173], v134 offset0:64 offset1:80
	;; [unrolled: 1-line block ×7, first 2 shown]
	v_add_u32_e32 v134, 0x800, v134
	ds_read2_b64 v[194:197], v134 offset1:16
	ds_read2_b64 v[198:201], v134 offset0:32 offset1:48
	ds_read2_b64 v[202:205], v134 offset0:64 offset1:80
	;; [unrolled: 1-line block ×7, first 2 shown]
	v_add_u32_e32 v134, s17, v152
	ds_read2st64_b64 v[226:229], v134 offset1:4
	s_waitcnt lgkmcnt(0)
	v_max_f64 v[162:163], v[162:163], v[162:163]
	v_max_f64 v[164:165], v[164:165], v[164:165]
	;; [unrolled: 1-line block ×5, first 2 shown]
	v_min_f64 v[230:231], v[162:163], v[226:227]
	v_add_f64 v[126:127], v[126:127], v[230:231]
	v_min_f64 v[230:231], v[164:165], v[226:227]
	v_add_f64 v[124:125], v[124:125], v[230:231]
	;; [unrolled: 2-line block ×3, first 2 shown]
	v_min_f64 v[230:231], v[168:169], v[226:227]
	v_max_f64 v[170:171], v[170:171], v[170:171]
	v_add_f64 v[120:121], v[120:121], v[230:231]
	v_min_f64 v[230:231], v[170:171], v[226:227]
	v_max_f64 v[172:173], v[172:173], v[172:173]
	v_add_f64 v[118:119], v[118:119], v[230:231]
	;; [unrolled: 3-line block ×26, first 2 shown]
	v_min_f64 v[230:231], v[220:221], v[226:227]
	v_max_f64 v[222:223], v[222:223], v[222:223]
	v_max_f64 v[224:225], v[224:225], v[224:225]
	v_add_f64 v[68:69], v[68:69], v[230:231]
	v_min_f64 v[230:231], v[222:223], v[226:227]
	v_min_f64 v[226:227], v[224:225], v[226:227]
	v_add_f64 v[64:65], v[64:65], v[226:227]
	v_max_f64 v[226:227], v[228:229], v[228:229]
	v_min_f64 v[162:163], v[162:163], v[226:227]
	v_add_f64 v[62:63], v[62:63], v[162:163]
	v_min_f64 v[162:163], v[164:165], v[226:227]
	v_add_f64 v[60:61], v[60:61], v[162:163]
	;; [unrolled: 2-line block ×31, first 2 shown]
	v_min_f64 v[162:163], v[224:225], v[226:227]
	s_add_i32 s17, s17, 8
	v_add_f64 v[66:67], v[66:67], v[230:231]
	v_add_f64 v[0:1], v[0:1], v[162:163]
	s_cmp_eq_u32 s17, 32
	s_cbranch_scc0 .LBB130_15
; %bb.16:                               ;   in Loop: Header=BB130_14 Depth=1
	s_waitcnt vmcnt(0)
	ds_write2st64_b64 v156, v[140:141], v[142:143] offset1:4
	ds_write2st64_b64 v157, v[144:145], v[146:147] offset1:4
	v_add_u32_e32 v142, s9, v155
	v_mad_u64_u32 v[140:141], s[22:23], v142, s20, 0
	v_mov_b32_e32 v134, v141
	v_mad_u64_u32 v[142:143], s[22:23], v142, s18, v[134:135]
	v_mov_b32_e32 v141, v142
	v_lshl_add_u64 v[142:143], v[140:141], 3, v[132:133]
	s_waitcnt lgkmcnt(0)
	s_barrier
	flat_load_dwordx2 v[140:141], v[142:143]
	s_nop 0
	flat_load_dwordx2 v[142:143], v[142:143] offset:512
	s_nop 0
	flat_load_dwordx2 v[136:137], v[136:137] offset:32
	;; [unrolled: 2-line block ×3, first 2 shown]
	s_mov_b32 s17, 0
.LBB130_17:                             ;   Parent Loop BB130_14 Depth=1
                                        ; =>  This Inner Loop Header: Depth=2
	v_add_u32_e32 v134, s17, v153
	ds_read2_b64 v[144:147], v134 offset1:16
	ds_read2_b64 v[162:165], v134 offset0:32 offset1:48
	ds_read2_b64 v[166:169], v134 offset0:64 offset1:80
	;; [unrolled: 1-line block ×7, first 2 shown]
	v_add_u32_e32 v134, 0x800, v134
	ds_read2_b64 v[190:193], v134 offset1:16
	ds_read2_b64 v[194:197], v134 offset0:32 offset1:48
	ds_read2_b64 v[198:201], v134 offset0:64 offset1:80
	;; [unrolled: 1-line block ×7, first 2 shown]
	v_add_u32_e32 v134, s17, v154
	ds_read2st64_b64 v[222:225], v134 offset1:4
	s_waitcnt lgkmcnt(0)
	v_max_f64 v[144:145], v[144:145], v[144:145]
	v_max_f64 v[146:147], v[146:147], v[146:147]
	;; [unrolled: 1-line block ×5, first 2 shown]
	v_min_f64 v[226:227], v[144:145], v[222:223]
	v_add_f64 v[126:127], v[126:127], v[226:227]
	v_min_f64 v[226:227], v[146:147], v[222:223]
	v_add_f64 v[124:125], v[124:125], v[226:227]
	;; [unrolled: 2-line block ×3, first 2 shown]
	v_min_f64 v[226:227], v[164:165], v[222:223]
	v_max_f64 v[166:167], v[166:167], v[166:167]
	v_add_f64 v[120:121], v[120:121], v[226:227]
	v_min_f64 v[226:227], v[166:167], v[222:223]
	v_max_f64 v[168:169], v[168:169], v[168:169]
	v_add_f64 v[118:119], v[118:119], v[226:227]
	;; [unrolled: 3-line block ×26, first 2 shown]
	v_min_f64 v[226:227], v[216:217], v[222:223]
	v_max_f64 v[218:219], v[218:219], v[218:219]
	v_max_f64 v[220:221], v[220:221], v[220:221]
	v_add_f64 v[68:69], v[68:69], v[226:227]
	v_min_f64 v[226:227], v[218:219], v[222:223]
	v_min_f64 v[222:223], v[220:221], v[222:223]
	v_add_f64 v[64:65], v[64:65], v[222:223]
	v_max_f64 v[222:223], v[224:225], v[224:225]
	v_min_f64 v[144:145], v[144:145], v[222:223]
	v_add_f64 v[62:63], v[62:63], v[144:145]
	v_min_f64 v[144:145], v[146:147], v[222:223]
	v_add_f64 v[60:61], v[60:61], v[144:145]
	v_min_f64 v[144:145], v[162:163], v[222:223]
	v_add_f64 v[58:59], v[58:59], v[144:145]
	v_min_f64 v[144:145], v[164:165], v[222:223]
	v_add_f64 v[56:57], v[56:57], v[144:145]
	v_min_f64 v[144:145], v[166:167], v[222:223]
	v_add_f64 v[54:55], v[54:55], v[144:145]
	v_min_f64 v[144:145], v[168:169], v[222:223]
	v_add_f64 v[52:53], v[52:53], v[144:145]
	v_min_f64 v[144:145], v[170:171], v[222:223]
	v_add_f64 v[50:51], v[50:51], v[144:145]
	v_min_f64 v[144:145], v[172:173], v[222:223]
	v_add_f64 v[48:49], v[48:49], v[144:145]
	v_min_f64 v[144:145], v[174:175], v[222:223]
	v_add_f64 v[46:47], v[46:47], v[144:145]
	v_min_f64 v[144:145], v[176:177], v[222:223]
	v_add_f64 v[44:45], v[44:45], v[144:145]
	v_min_f64 v[144:145], v[178:179], v[222:223]
	v_add_f64 v[42:43], v[42:43], v[144:145]
	v_min_f64 v[144:145], v[180:181], v[222:223]
	v_add_f64 v[40:41], v[40:41], v[144:145]
	v_min_f64 v[144:145], v[182:183], v[222:223]
	v_add_f64 v[38:39], v[38:39], v[144:145]
	v_min_f64 v[144:145], v[184:185], v[222:223]
	v_add_f64 v[36:37], v[36:37], v[144:145]
	v_min_f64 v[144:145], v[186:187], v[222:223]
	v_add_f64 v[34:35], v[34:35], v[144:145]
	v_min_f64 v[144:145], v[188:189], v[222:223]
	v_add_f64 v[32:33], v[32:33], v[144:145]
	v_min_f64 v[144:145], v[190:191], v[222:223]
	v_add_f64 v[30:31], v[30:31], v[144:145]
	v_min_f64 v[144:145], v[192:193], v[222:223]
	v_add_f64 v[28:29], v[28:29], v[144:145]
	v_min_f64 v[144:145], v[194:195], v[222:223]
	v_add_f64 v[26:27], v[26:27], v[144:145]
	v_min_f64 v[144:145], v[196:197], v[222:223]
	v_add_f64 v[24:25], v[24:25], v[144:145]
	v_min_f64 v[144:145], v[198:199], v[222:223]
	v_add_f64 v[22:23], v[22:23], v[144:145]
	v_min_f64 v[144:145], v[200:201], v[222:223]
	v_add_f64 v[20:21], v[20:21], v[144:145]
	v_min_f64 v[144:145], v[202:203], v[222:223]
	v_add_f64 v[18:19], v[18:19], v[144:145]
	v_min_f64 v[144:145], v[204:205], v[222:223]
	v_add_f64 v[16:17], v[16:17], v[144:145]
	v_min_f64 v[144:145], v[206:207], v[222:223]
	v_add_f64 v[14:15], v[14:15], v[144:145]
	v_min_f64 v[144:145], v[208:209], v[222:223]
	v_add_f64 v[12:13], v[12:13], v[144:145]
	v_min_f64 v[144:145], v[210:211], v[222:223]
	v_add_f64 v[10:11], v[10:11], v[144:145]
	v_min_f64 v[144:145], v[212:213], v[222:223]
	v_add_f64 v[8:9], v[8:9], v[144:145]
	v_min_f64 v[144:145], v[214:215], v[222:223]
	v_add_f64 v[6:7], v[6:7], v[144:145]
	v_min_f64 v[144:145], v[216:217], v[222:223]
	v_add_f64 v[4:5], v[4:5], v[144:145]
	v_min_f64 v[144:145], v[218:219], v[222:223]
	v_add_f64 v[2:3], v[2:3], v[144:145]
	v_min_f64 v[144:145], v[220:221], v[222:223]
	s_add_i32 s17, s17, 8
	v_add_f64 v[66:67], v[66:67], v[226:227]
	v_add_f64 v[0:1], v[0:1], v[144:145]
	s_cmp_eq_u32 s17, 32
	s_cbranch_scc0 .LBB130_17
; %bb.18:                               ;   in Loop: Header=BB130_14 Depth=1
	s_add_i32 s9, s9, 8
	s_add_i32 s16, s16, 8
	s_cmp_ge_i32 s16, s8
	s_waitcnt vmcnt(0)
	ds_write2st64_b64 v158, v[140:141], v[142:143] offset1:4
	ds_write2st64_b64 v159, v[136:137], v[138:139] offset1:4
	s_waitcnt lgkmcnt(0)
	s_barrier
	s_cbranch_scc0 .LBB130_14
.LBB130_19:
	v_mov_b32_e32 v128, 0x1000
	v_lshl_add_u32 v128, v148, 5, v128
	s_mov_b32 s8, 0
.LBB130_20:                             ; =>This Inner Loop Header: Depth=1
	v_add_u32_e32 v129, s8, v128
	v_add_u32_e32 v146, s8, v152
	ds_read2_b64 v[130:133], v129 offset1:16
	ds_read2_b64 v[134:137], v129 offset0:32 offset1:48
	ds_read2_b64 v[138:141], v129 offset0:64 offset1:80
	;; [unrolled: 1-line block ×7, first 2 shown]
	v_add_u32_e32 v129, 0x800, v129
	ds_read2st64_b64 v[170:173], v146 offset1:4
	ds_read2_b64 v[174:177], v129 offset1:16
	ds_read2_b64 v[178:181], v129 offset0:32 offset1:48
	ds_read2_b64 v[182:185], v129 offset0:64 offset1:80
	;; [unrolled: 1-line block ×7, first 2 shown]
	s_waitcnt lgkmcnt(14)
	v_max_f64 v[130:131], v[130:131], v[130:131]
	v_max_f64 v[132:133], v[132:133], v[132:133]
	;; [unrolled: 1-line block ×3, first 2 shown]
	s_waitcnt lgkmcnt(8)
	v_max_f64 v[146:147], v[170:171], v[170:171]
	v_max_f64 v[136:137], v[136:137], v[136:137]
	;; [unrolled: 1-line block ×15, first 2 shown]
	v_min_f64 v[170:171], v[130:131], v[146:147]
	v_min_f64 v[172:173], v[132:133], v[146:147]
	;; [unrolled: 1-line block ×16, first 2 shown]
	s_waitcnt lgkmcnt(7)
	v_max_f64 v[174:175], v[174:175], v[174:175]
	v_max_f64 v[176:177], v[176:177], v[176:177]
	s_waitcnt lgkmcnt(6)
	v_max_f64 v[178:179], v[178:179], v[178:179]
	v_max_f64 v[180:181], v[180:181], v[180:181]
	;; [unrolled: 3-line block ×8, first 2 shown]
	v_min_f64 v[130:131], v[130:131], v[168:169]
	v_min_f64 v[132:133], v[132:133], v[168:169]
	;; [unrolled: 1-line block ×16, first 2 shown]
	s_add_i32 s8, s8, 8
	v_add_f64 v[126:127], v[126:127], v[170:171]
	v_add_f64 v[124:125], v[124:125], v[172:173]
	;; [unrolled: 1-line block ×15, first 2 shown]
	v_min_f64 v[170:171], v[174:175], v[146:147]
	v_min_f64 v[172:173], v[176:177], v[146:147]
	;; [unrolled: 1-line block ×16, first 2 shown]
	v_add_f64 v[62:63], v[62:63], v[130:131]
	v_add_f64 v[60:61], v[60:61], v[132:133]
	;; [unrolled: 1-line block ×16, first 2 shown]
	v_min_f64 v[130:131], v[174:175], v[168:169]
	v_min_f64 v[132:133], v[176:177], v[168:169]
	;; [unrolled: 1-line block ×16, first 2 shown]
	s_cmp_eq_u32 s8, 32
	v_add_f64 v[96:97], v[96:97], v[232:233]
	v_add_f64 v[94:95], v[94:95], v[170:171]
	;; [unrolled: 1-line block ×33, first 2 shown]
	s_cbranch_scc0 .LBB130_20
; %bb.21:
	s_load_dwordx2 s[14:15], s[0:1], 0x78
	s_load_dword s8, s[0:1], 0x58
	s_load_dword s9, s[0:1], 0x70
	v_add_u32_e32 v170, s11, v149
	v_add_u32_e32 v130, s10, v148
	s_waitcnt lgkmcnt(0)
	s_lshl_b64 s[0:1], s[14:15], 3
	s_add_u32 s0, s2, s0
	s_addc_u32 s1, s3, s1
	v_mad_i64_i32 v[132:133], s[2:3], v170, s9, 0
	v_add_u32_e32 v128, 4, v130
	v_lshl_add_u64 v[138:139], v[132:133], 3, s[0:1]
	v_mad_i64_i32 v[132:133], s[2:3], v170, s8, 0
	v_ashrrev_i32_e32 v131, 31, v130
	v_ashrrev_i32_e32 v129, 31, v128
	s_mov_b64 s[2:3], -1
	s_mov_b64 vcc, s[4:5]
	s_cbranch_vccz .LBB130_23
; %bb.22:
	v_add_f64 v[134:135], v[126:127], 0
	v_lshl_add_u64 v[136:137], v[130:131], 3, v[138:139]
	s_mov_b64 s[2:3], 0
	flat_store_dwordx2 v[136:137], v[134:135]
.LBB130_23:
	v_lshl_add_u64 v[146:147], v[132:133], 3, s[12:13]
	v_mov_b64_e32 v[136:137], 0
	s_andn2_b64 vcc, exec, s[2:3]
	v_lshlrev_b64 v[134:135], 3, v[130:131]
	s_cbranch_vccnz .LBB130_25
; %bb.24:
	v_lshl_add_u64 v[132:133], v[146:147], 0, v[134:135]
	flat_load_dwordx2 v[132:133], v[132:133]
	v_lshl_add_u64 v[136:137], v[138:139], 0, v[134:135]
	s_waitcnt vmcnt(0) lgkmcnt(0)
	v_fmac_f64_e32 v[126:127], s[6:7], v[132:133]
	flat_store_dwordx2 v[136:137], v[126:127]
	v_lshl_add_u64 v[126:127], v[128:129], 3, v[146:147]
	flat_load_dwordx2 v[126:127], v[126:127]
	s_waitcnt vmcnt(0) lgkmcnt(0)
	v_mul_f64 v[136:137], s[6:7], v[126:127]
.LBB130_25:
	v_add_u32_e32 v132, 8, v130
	v_add_u32_e32 v126, 12, v130
	v_ashrrev_i32_e32 v133, 31, v132
	v_ashrrev_i32_e32 v127, 31, v126
	v_add_f64 v[124:125], v[124:125], v[136:137]
	v_lshl_add_u64 v[136:137], v[128:129], 3, v[138:139]
	s_mov_b64 s[2:3], -1
	s_mov_b64 vcc, s[4:5]
	flat_store_dwordx2 v[136:137], v[124:125]
	s_cbranch_vccz .LBB130_27
; %bb.26:
	v_add_f64 v[124:125], v[122:123], 0
	v_lshl_add_u64 v[136:137], v[132:133], 3, v[138:139]
	s_mov_b64 s[2:3], 0
	flat_store_dwordx2 v[136:137], v[124:125]
.LBB130_27:
	v_mov_b64_e32 v[140:141], 0
	s_andn2_b64 vcc, exec, s[2:3]
	v_lshlrev_b64 v[136:137], 3, v[132:133]
	s_cbranch_vccnz .LBB130_29
; %bb.28:
	v_lshl_add_u64 v[124:125], v[146:147], 0, v[136:137]
	flat_load_dwordx2 v[124:125], v[124:125]
	v_lshl_add_u64 v[140:141], v[138:139], 0, v[136:137]
	s_waitcnt vmcnt(0) lgkmcnt(0)
	v_fmac_f64_e32 v[122:123], s[6:7], v[124:125]
	flat_store_dwordx2 v[140:141], v[122:123]
	v_lshl_add_u64 v[122:123], v[126:127], 3, v[146:147]
	flat_load_dwordx2 v[122:123], v[122:123]
	s_waitcnt vmcnt(0) lgkmcnt(0)
	v_mul_f64 v[140:141], s[6:7], v[122:123]
.LBB130_29:
	v_add_u32_e32 v124, 16, v130
	v_add_u32_e32 v122, 20, v130
	v_ashrrev_i32_e32 v125, 31, v124
	v_ashrrev_i32_e32 v123, 31, v122
	v_add_f64 v[120:121], v[120:121], v[140:141]
	v_lshl_add_u64 v[140:141], v[126:127], 3, v[138:139]
	s_mov_b64 s[2:3], -1
	s_mov_b64 vcc, s[4:5]
	flat_store_dwordx2 v[140:141], v[120:121]
	s_cbranch_vccz .LBB130_31
; %bb.30:
	v_add_f64 v[120:121], v[118:119], 0
	v_lshl_add_u64 v[140:141], v[124:125], 3, v[138:139]
	s_mov_b64 s[2:3], 0
	flat_store_dwordx2 v[140:141], v[120:121]
.LBB130_31:
	;; [unrolled: 32-line block ×15, first 2 shown]
	v_mov_b64_e32 v[168:169], 0
	s_andn2_b64 vcc, exec, s[2:3]
	v_lshlrev_b64 v[68:69], 3, v[72:73]
	s_cbranch_vccnz .LBB130_85
; %bb.84:
	v_lshl_add_u64 v[168:169], v[146:147], 0, v[68:69]
	flat_load_dwordx2 v[168:169], v[168:169]
	v_lshl_add_u64 v[172:173], v[138:139], 0, v[68:69]
	s_waitcnt vmcnt(0) lgkmcnt(0)
	v_fmac_f64_e32 v[66:67], s[6:7], v[168:169]
	flat_store_dwordx2 v[172:173], v[66:67]
	v_lshl_add_u64 v[66:67], v[70:71], 3, v[146:147]
	flat_load_dwordx2 v[66:67], v[66:67]
	s_waitcnt vmcnt(0) lgkmcnt(0)
	v_mul_f64 v[168:169], s[6:7], v[66:67]
.LBB130_85:
	v_add_f64 v[64:65], v[64:65], v[168:169]
	v_lshl_add_u64 v[66:67], v[70:71], 3, v[138:139]
	flat_store_dwordx2 v[66:67], v[64:65]
	v_add_u32_e32 v66, 64, v170
	v_mad_i64_i32 v[64:65], s[2:3], v66, s9, 0
	v_lshl_add_u64 v[64:65], v[64:65], 3, s[0:1]
	v_mad_i64_i32 v[66:67], s[0:1], v66, s8, 0
	s_mov_b64 s[0:1], -1
	s_mov_b64 vcc, s[4:5]
	s_cbranch_vccz .LBB130_87
; %bb.86:
	v_add_f64 v[138:139], v[62:63], 0
	v_lshl_add_u64 v[130:131], v[130:131], 3, v[64:65]
	s_mov_b64 s[0:1], 0
	flat_store_dwordx2 v[130:131], v[138:139]
.LBB130_87:
	v_lshl_add_u64 v[66:67], v[66:67], 3, s[12:13]
	s_andn2_b64 vcc, exec, s[0:1]
	v_mov_b64_e32 v[130:131], 0
	s_cbranch_vccnz .LBB130_89
; %bb.88:
	v_lshl_add_u64 v[130:131], v[66:67], 0, v[134:135]
	flat_load_dwordx2 v[130:131], v[130:131]
	v_lshl_add_u64 v[134:135], v[64:65], 0, v[134:135]
	s_waitcnt vmcnt(0) lgkmcnt(0)
	v_fmac_f64_e32 v[62:63], s[6:7], v[130:131]
	flat_store_dwordx2 v[134:135], v[62:63]
	v_lshl_add_u64 v[62:63], v[128:129], 3, v[66:67]
	flat_load_dwordx2 v[62:63], v[62:63]
	s_waitcnt vmcnt(0) lgkmcnt(0)
	v_mul_f64 v[130:131], s[6:7], v[62:63]
.LBB130_89:
	v_add_f64 v[60:61], v[60:61], v[130:131]
	v_lshl_add_u64 v[62:63], v[128:129], 3, v[64:65]
	s_mov_b64 s[0:1], -1
	s_mov_b64 vcc, s[4:5]
	flat_store_dwordx2 v[62:63], v[60:61]
	s_cbranch_vccz .LBB130_91
; %bb.90:
	v_add_f64 v[60:61], v[58:59], 0
	v_lshl_add_u64 v[62:63], v[132:133], 3, v[64:65]
	s_mov_b64 s[0:1], 0
	flat_store_dwordx2 v[62:63], v[60:61]
.LBB130_91:
	s_andn2_b64 vcc, exec, s[0:1]
	v_mov_b64_e32 v[60:61], 0
	s_cbranch_vccnz .LBB130_93
; %bb.92:
	v_lshl_add_u64 v[60:61], v[66:67], 0, v[136:137]
	flat_load_dwordx2 v[60:61], v[60:61]
	v_lshl_add_u64 v[62:63], v[64:65], 0, v[136:137]
	s_waitcnt vmcnt(0) lgkmcnt(0)
	v_fmac_f64_e32 v[58:59], s[6:7], v[60:61]
	flat_store_dwordx2 v[62:63], v[58:59]
	v_lshl_add_u64 v[58:59], v[126:127], 3, v[66:67]
	flat_load_dwordx2 v[58:59], v[58:59]
	s_waitcnt vmcnt(0) lgkmcnt(0)
	v_mul_f64 v[60:61], s[6:7], v[58:59]
.LBB130_93:
	v_add_f64 v[56:57], v[56:57], v[60:61]
	v_lshl_add_u64 v[58:59], v[126:127], 3, v[64:65]
	s_mov_b64 s[0:1], -1
	s_mov_b64 vcc, s[4:5]
	flat_store_dwordx2 v[58:59], v[56:57]
	s_cbranch_vccz .LBB130_95
; %bb.94:
	v_add_f64 v[56:57], v[54:55], 0
	v_lshl_add_u64 v[58:59], v[124:125], 3, v[64:65]
	s_mov_b64 s[0:1], 0
	flat_store_dwordx2 v[58:59], v[56:57]
.LBB130_95:
	;; [unrolled: 27-line block ×14, first 2 shown]
	s_andn2_b64 vcc, exec, s[0:1]
	v_mov_b64_e32 v[8:9], 0
	s_cbranch_vccnz .LBB130_145
; %bb.144:
	v_lshl_add_u64 v[8:9], v[66:67], 0, v[166:167]
	flat_load_dwordx2 v[8:9], v[8:9]
	v_lshl_add_u64 v[10:11], v[64:65], 0, v[166:167]
	s_waitcnt vmcnt(0) lgkmcnt(0)
	v_fmac_f64_e32 v[6:7], s[6:7], v[8:9]
	flat_store_dwordx2 v[10:11], v[6:7]
	v_lshl_add_u64 v[6:7], v[74:75], 3, v[66:67]
	flat_load_dwordx2 v[6:7], v[6:7]
	s_waitcnt vmcnt(0) lgkmcnt(0)
	v_mul_f64 v[8:9], s[6:7], v[6:7]
.LBB130_145:
	v_add_f64 v[4:5], v[4:5], v[8:9]
	v_lshl_add_u64 v[6:7], v[74:75], 3, v[64:65]
	s_mov_b64 s[0:1], -1
	s_mov_b64 vcc, s[4:5]
	flat_store_dwordx2 v[6:7], v[4:5]
	s_cbranch_vccnz .LBB130_148
; %bb.146:
	s_andn2_b64 vcc, exec, s[0:1]
	v_mov_b64_e32 v[4:5], 0
	s_cbranch_vccz .LBB130_149
.LBB130_147:
	v_add_f64 v[0:1], v[0:1], v[4:5]
	v_lshl_add_u64 v[2:3], v[70:71], 3, v[64:65]
	flat_store_dwordx2 v[2:3], v[0:1]
	s_endpgm
.LBB130_148:
	v_add_f64 v[4:5], v[2:3], 0
	v_lshl_add_u64 v[6:7], v[72:73], 3, v[64:65]
	flat_store_dwordx2 v[6:7], v[4:5]
	v_mov_b64_e32 v[4:5], 0
	s_cbranch_execnz .LBB130_147
.LBB130_149:
	v_lshl_add_u64 v[4:5], v[66:67], 0, v[68:69]
	flat_load_dwordx2 v[4:5], v[4:5]
	v_lshl_add_u64 v[6:7], v[64:65], 0, v[68:69]
	s_waitcnt vmcnt(0) lgkmcnt(0)
	v_fmac_f64_e32 v[2:3], s[6:7], v[4:5]
	flat_store_dwordx2 v[6:7], v[2:3]
	v_lshl_add_u64 v[2:3], v[70:71], 3, v[66:67]
	flat_load_dwordx2 v[2:3], v[2:3]
	s_waitcnt vmcnt(0) lgkmcnt(0)
	v_mul_f64 v[4:5], s[6:7], v[2:3]
	v_add_f64 v[0:1], v[0:1], v[4:5]
	v_lshl_add_u64 v[2:3], v[70:71], 3, v[64:65]
	flat_store_dwordx2 v[2:3], v[0:1]
	s_endpgm
	.section	.rodata,"a",@progbits
	.p2align	6, 0x0
	.amdhsa_kernel _ZN12_GLOBAL__N_120geam_min_plus_kernelIdddLi4ELi64ELi128ELi128ELi4ELi64ELi4ELi4ELi64ELc78ELc78ELb1ELb0ELb0EdKPKdKPdEEviiiT16_PT17_ilS8_ilS6_S8_ilPT18_ili26rocblas_geam_ex_operation_
		.amdhsa_group_segment_fixed_size 16384
		.amdhsa_private_segment_fixed_size 0
		.amdhsa_kernarg_size 136
		.amdhsa_user_sgpr_count 2
		.amdhsa_user_sgpr_dispatch_ptr 0
		.amdhsa_user_sgpr_queue_ptr 0
		.amdhsa_user_sgpr_kernarg_segment_ptr 1
		.amdhsa_user_sgpr_dispatch_id 0
		.amdhsa_user_sgpr_kernarg_preload_length 0
		.amdhsa_user_sgpr_kernarg_preload_offset 0
		.amdhsa_user_sgpr_private_segment_size 0
		.amdhsa_uses_dynamic_stack 0
		.amdhsa_enable_private_segment 0
		.amdhsa_system_sgpr_workgroup_id_x 1
		.amdhsa_system_sgpr_workgroup_id_y 0
		.amdhsa_system_sgpr_workgroup_id_z 1
		.amdhsa_system_sgpr_workgroup_info 0
		.amdhsa_system_vgpr_workitem_id 1
		.amdhsa_next_free_vgpr 256
		.amdhsa_next_free_sgpr 24
		.amdhsa_accum_offset 256
		.amdhsa_reserve_vcc 1
		.amdhsa_float_round_mode_32 0
		.amdhsa_float_round_mode_16_64 0
		.amdhsa_float_denorm_mode_32 3
		.amdhsa_float_denorm_mode_16_64 3
		.amdhsa_dx10_clamp 1
		.amdhsa_ieee_mode 1
		.amdhsa_fp16_overflow 0
		.amdhsa_tg_split 0
		.amdhsa_exception_fp_ieee_invalid_op 0
		.amdhsa_exception_fp_denorm_src 0
		.amdhsa_exception_fp_ieee_div_zero 0
		.amdhsa_exception_fp_ieee_overflow 0
		.amdhsa_exception_fp_ieee_underflow 0
		.amdhsa_exception_fp_ieee_inexact 0
		.amdhsa_exception_int_div_zero 0
	.end_amdhsa_kernel
	.section	.text._ZN12_GLOBAL__N_120geam_min_plus_kernelIdddLi4ELi64ELi128ELi128ELi4ELi64ELi4ELi4ELi64ELc78ELc78ELb1ELb0ELb0EdKPKdKPdEEviiiT16_PT17_ilS8_ilS6_S8_ilPT18_ili26rocblas_geam_ex_operation_,"axG",@progbits,_ZN12_GLOBAL__N_120geam_min_plus_kernelIdddLi4ELi64ELi128ELi128ELi4ELi64ELi4ELi4ELi64ELc78ELc78ELb1ELb0ELb0EdKPKdKPdEEviiiT16_PT17_ilS8_ilS6_S8_ilPT18_ili26rocblas_geam_ex_operation_,comdat
.Lfunc_end130:
	.size	_ZN12_GLOBAL__N_120geam_min_plus_kernelIdddLi4ELi64ELi128ELi128ELi4ELi64ELi4ELi4ELi64ELc78ELc78ELb1ELb0ELb0EdKPKdKPdEEviiiT16_PT17_ilS8_ilS6_S8_ilPT18_ili26rocblas_geam_ex_operation_, .Lfunc_end130-_ZN12_GLOBAL__N_120geam_min_plus_kernelIdddLi4ELi64ELi128ELi128ELi4ELi64ELi4ELi4ELi64ELc78ELc78ELb1ELb0ELb0EdKPKdKPdEEviiiT16_PT17_ilS8_ilS6_S8_ilPT18_ili26rocblas_geam_ex_operation_
                                        ; -- End function
	.set _ZN12_GLOBAL__N_120geam_min_plus_kernelIdddLi4ELi64ELi128ELi128ELi4ELi64ELi4ELi4ELi64ELc78ELc78ELb1ELb0ELb0EdKPKdKPdEEviiiT16_PT17_ilS8_ilS6_S8_ilPT18_ili26rocblas_geam_ex_operation_.num_vgpr, 256
	.set _ZN12_GLOBAL__N_120geam_min_plus_kernelIdddLi4ELi64ELi128ELi128ELi4ELi64ELi4ELi4ELi64ELc78ELc78ELb1ELb0ELb0EdKPKdKPdEEviiiT16_PT17_ilS8_ilS6_S8_ilPT18_ili26rocblas_geam_ex_operation_.num_agpr, 0
	.set _ZN12_GLOBAL__N_120geam_min_plus_kernelIdddLi4ELi64ELi128ELi128ELi4ELi64ELi4ELi4ELi64ELc78ELc78ELb1ELb0ELb0EdKPKdKPdEEviiiT16_PT17_ilS8_ilS6_S8_ilPT18_ili26rocblas_geam_ex_operation_.numbered_sgpr, 24
	.set _ZN12_GLOBAL__N_120geam_min_plus_kernelIdddLi4ELi64ELi128ELi128ELi4ELi64ELi4ELi4ELi64ELc78ELc78ELb1ELb0ELb0EdKPKdKPdEEviiiT16_PT17_ilS8_ilS6_S8_ilPT18_ili26rocblas_geam_ex_operation_.num_named_barrier, 0
	.set _ZN12_GLOBAL__N_120geam_min_plus_kernelIdddLi4ELi64ELi128ELi128ELi4ELi64ELi4ELi4ELi64ELc78ELc78ELb1ELb0ELb0EdKPKdKPdEEviiiT16_PT17_ilS8_ilS6_S8_ilPT18_ili26rocblas_geam_ex_operation_.private_seg_size, 0
	.set _ZN12_GLOBAL__N_120geam_min_plus_kernelIdddLi4ELi64ELi128ELi128ELi4ELi64ELi4ELi4ELi64ELc78ELc78ELb1ELb0ELb0EdKPKdKPdEEviiiT16_PT17_ilS8_ilS6_S8_ilPT18_ili26rocblas_geam_ex_operation_.uses_vcc, 1
	.set _ZN12_GLOBAL__N_120geam_min_plus_kernelIdddLi4ELi64ELi128ELi128ELi4ELi64ELi4ELi4ELi64ELc78ELc78ELb1ELb0ELb0EdKPKdKPdEEviiiT16_PT17_ilS8_ilS6_S8_ilPT18_ili26rocblas_geam_ex_operation_.uses_flat_scratch, 0
	.set _ZN12_GLOBAL__N_120geam_min_plus_kernelIdddLi4ELi64ELi128ELi128ELi4ELi64ELi4ELi4ELi64ELc78ELc78ELb1ELb0ELb0EdKPKdKPdEEviiiT16_PT17_ilS8_ilS6_S8_ilPT18_ili26rocblas_geam_ex_operation_.has_dyn_sized_stack, 0
	.set _ZN12_GLOBAL__N_120geam_min_plus_kernelIdddLi4ELi64ELi128ELi128ELi4ELi64ELi4ELi4ELi64ELc78ELc78ELb1ELb0ELb0EdKPKdKPdEEviiiT16_PT17_ilS8_ilS6_S8_ilPT18_ili26rocblas_geam_ex_operation_.has_recursion, 0
	.set _ZN12_GLOBAL__N_120geam_min_plus_kernelIdddLi4ELi64ELi128ELi128ELi4ELi64ELi4ELi4ELi64ELc78ELc78ELb1ELb0ELb0EdKPKdKPdEEviiiT16_PT17_ilS8_ilS6_S8_ilPT18_ili26rocblas_geam_ex_operation_.has_indirect_call, 0
	.section	.AMDGPU.csdata,"",@progbits
; Kernel info:
; codeLenInByte = 12532
; TotalNumSgprs: 30
; NumVgprs: 256
; NumAgprs: 0
; TotalNumVgprs: 256
; ScratchSize: 0
; MemoryBound: 0
; FloatMode: 240
; IeeeMode: 1
; LDSByteSize: 16384 bytes/workgroup (compile time only)
; SGPRBlocks: 3
; VGPRBlocks: 31
; NumSGPRsForWavesPerEU: 30
; NumVGPRsForWavesPerEU: 256
; AccumOffset: 256
; Occupancy: 2
; WaveLimiterHint : 1
; COMPUTE_PGM_RSRC2:SCRATCH_EN: 0
; COMPUTE_PGM_RSRC2:USER_SGPR: 2
; COMPUTE_PGM_RSRC2:TRAP_HANDLER: 0
; COMPUTE_PGM_RSRC2:TGID_X_EN: 1
; COMPUTE_PGM_RSRC2:TGID_Y_EN: 0
; COMPUTE_PGM_RSRC2:TGID_Z_EN: 1
; COMPUTE_PGM_RSRC2:TIDIG_COMP_CNT: 1
; COMPUTE_PGM_RSRC3_GFX90A:ACCUM_OFFSET: 63
; COMPUTE_PGM_RSRC3_GFX90A:TG_SPLIT: 0
	.section	.text._ZN12_GLOBAL__N_120geam_min_plus_kernelIdddLi4ELi64ELi128ELi128ELi4ELi64ELi4ELi4ELi64ELc78ELc78ELb0ELb0ELb0EdKPKdKPdEEviiiT16_PT17_ilS8_ilS6_S8_ilPT18_ili26rocblas_geam_ex_operation_,"axG",@progbits,_ZN12_GLOBAL__N_120geam_min_plus_kernelIdddLi4ELi64ELi128ELi128ELi4ELi64ELi4ELi4ELi64ELc78ELc78ELb0ELb0ELb0EdKPKdKPdEEviiiT16_PT17_ilS8_ilS6_S8_ilPT18_ili26rocblas_geam_ex_operation_,comdat
	.globl	_ZN12_GLOBAL__N_120geam_min_plus_kernelIdddLi4ELi64ELi128ELi128ELi4ELi64ELi4ELi4ELi64ELc78ELc78ELb0ELb0ELb0EdKPKdKPdEEviiiT16_PT17_ilS8_ilS6_S8_ilPT18_ili26rocblas_geam_ex_operation_ ; -- Begin function _ZN12_GLOBAL__N_120geam_min_plus_kernelIdddLi4ELi64ELi128ELi128ELi4ELi64ELi4ELi4ELi64ELc78ELc78ELb0ELb0ELb0EdKPKdKPdEEviiiT16_PT17_ilS8_ilS6_S8_ilPT18_ili26rocblas_geam_ex_operation_
	.p2align	8
	.type	_ZN12_GLOBAL__N_120geam_min_plus_kernelIdddLi4ELi64ELi128ELi128ELi4ELi64ELi4ELi4ELi64ELc78ELc78ELb0ELb0ELb0EdKPKdKPdEEviiiT16_PT17_ilS8_ilS6_S8_ilPT18_ili26rocblas_geam_ex_operation_,@function
_ZN12_GLOBAL__N_120geam_min_plus_kernelIdddLi4ELi64ELi128ELi128ELi4ELi64ELi4ELi4ELi64ELc78ELc78ELb0ELb0ELb0EdKPKdKPdEEviiiT16_PT17_ilS8_ilS6_S8_ilPT18_ili26rocblas_geam_ex_operation_: ; @_ZN12_GLOBAL__N_120geam_min_plus_kernelIdddLi4ELi64ELi128ELi128ELi4ELi64ELi4ELi4ELi64ELc78ELc78ELb0ELb0ELb0EdKPKdKPdEEviiiT16_PT17_ilS8_ilS6_S8_ilPT18_ili26rocblas_geam_ex_operation_
; %bb.0:
	s_load_dwordx4 s[12:15], s[0:1], 0x10
	s_load_dwordx4 s[16:19], s[0:1], 0x28
	s_mov_b32 s6, s3
	s_mov_b64 s[22:23], 0
	s_waitcnt lgkmcnt(0)
	v_cmp_eq_f64_e64 s[20:21], s[12:13], 0
	s_and_b64 s[4:5], exec, s[20:21]
	s_mov_b64 vcc, s[4:5]
	s_cbranch_vccnz .LBB131_2
; %bb.1:
	s_mov_b32 s7, 0
	s_lshl_b64 s[8:9], s[6:7], 3
	s_add_u32 s8, s14, s8
	s_addc_u32 s9, s15, s9
	s_load_dwordx2 s[8:9], s[8:9], 0x0
	s_lshl_b64 s[10:11], s[16:17], 3
	s_waitcnt lgkmcnt(0)
	s_add_u32 s22, s8, s10
	s_addc_u32 s23, s9, s11
.LBB131_2:
	s_load_dwordx4 s[8:11], s[0:1], 0x40
	s_load_dwordx2 s[26:27], s[0:1], 0x50
	s_andn2_b64 vcc, exec, s[20:21]
	s_mov_b32 s7, 0
	s_cbranch_vccnz .LBB131_4
; %bb.3:
	s_mov_b64 s[14:15], 0
	s_mov_b64 s[20:21], 0
	s_cbranch_execz .LBB131_5
	s_branch .LBB131_6
.LBB131_4:
	s_mov_b64 s[14:15], 0
	s_mov_b64 s[20:21], 0
.LBB131_5:
	s_lshl_b64 s[16:17], s[6:7], 3
	s_add_u32 s16, s18, s16
	s_addc_u32 s17, s19, s17
	s_load_dwordx2 s[16:17], s[16:17], 0x0
	s_waitcnt lgkmcnt(0)
	s_lshl_b64 s[8:9], s[8:9], 3
	s_add_u32 s20, s16, s8
	s_addc_u32 s21, s17, s9
.LBB131_6:
	s_load_dwordx4 s[16:19], s[0:1], 0x60
	s_waitcnt lgkmcnt(0)
	v_cmp_eq_f64_e64 s[8:9], s[10:11], 0
	s_and_b64 s[8:9], exec, s[8:9]
	v_cmp_neq_f64_e64 s[24:25], s[12:13], 0
	s_mov_b64 vcc, s[8:9]
	s_cbranch_vccnz .LBB131_8
; %bb.7:
	s_lshl_b64 s[14:15], s[6:7], 3
	s_add_u32 s14, s26, s14
	s_addc_u32 s15, s27, s15
	s_load_dwordx2 s[14:15], s[14:15], 0x0
	s_lshl_b64 s[16:17], s[16:17], 3
	s_waitcnt lgkmcnt(0)
	s_add_u32 s14, s14, s16
	s_addc_u32 s15, s15, s17
.LBB131_8:
	s_load_dword s26, s[0:1], 0x20
	s_load_dword s3, s[0:1], 0x0
	s_lshl_b64 s[6:7], s[6:7], 3
	v_and_b32_e32 v144, 0x3ff, v0
	v_bfe_u32 v145, v0, 10, 10
	s_waitcnt lgkmcnt(0)
	s_ashr_i32 s27, s26, 31
	s_add_u32 s16, s18, s6
	s_addc_u32 s17, s19, s7
	s_add_i32 s3, s3, -1
	s_ashr_i32 s6, s3, 31
	s_lshr_b32 s6, s6, 25
	s_add_i32 s3, s3, s6
	s_ashr_i32 s3, s3, 7
	s_add_i32 s6, s3, 1
	v_cvt_f32_u32_e32 v1, s6
	s_not_b32 s3, s3
	v_lshl_add_u32 v2, v145, 2, v144
	v_and_b32_e32 v138, 63, v2
	v_rcp_iflag_f32_e32 v0, v1
	v_mov_b64_e32 v[6:7], 0
	v_lshrrev_b32_e32 v146, 6, v2
	v_mov_b64_e32 v[8:9], 0
	v_mul_f32_e32 v0, 0x4f7ffffe, v0
	v_cvt_u32_f32_e32 v0, v0
	v_mov_b64_e32 v[10:11], 0
	v_readfirstlane_b32 s7, v0
	s_mul_i32 s3, s3, s7
	s_mul_hi_u32 s3, s7, s3
	s_add_i32 s7, s7, s3
	s_mul_hi_u32 s3, s2, s7
	s_mul_i32 s7, s3, s6
	s_sub_i32 s7, s2, s7
	s_add_i32 s18, s3, 1
	s_sub_i32 s19, s7, s6
	s_cmp_ge_u32 s7, s6
	s_cselect_b32 s3, s18, s3
	s_cselect_b32 s7, s19, s7
	s_add_i32 s18, s3, 1
	s_cmp_ge_u32 s7, s6
	s_cselect_b32 s3, s18, s3
	s_mul_i32 s6, s3, s6
	s_sub_i32 s2, s2, s6
	s_lshl_b32 s18, s2, 7
	v_cndmask_b32_e64 v0, 0, 1, s[24:25]
	v_cmp_ne_u32_e64 s[6:7], 1, v0
	v_or_b32_e32 v0, s18, v138
	s_andn2_b64 vcc, exec, s[24:25]
	v_ashrrev_i32_e32 v1, 31, v0
	s_cbranch_vccnz .LBB131_10
; %bb.9:
	v_mad_i64_i32 v[4:5], s[24:25], s26, v146, 0
	v_lshl_add_u64 v[4:5], v[4:5], 3, s[22:23]
	v_lshl_add_u64 v[4:5], v[0:1], 3, v[4:5]
	flat_load_dwordx2 v[8:9], v[4:5]
	flat_load_dwordx2 v[12:13], v[4:5] offset:512
	s_waitcnt vmcnt(0) lgkmcnt(0)
	v_mul_f64 v[10:11], s[12:13], v[8:9]
	v_mul_f64 v[8:9], s[12:13], v[12:13]
.LBB131_10:
	s_load_dword s24, s[0:1], 0x38
	v_lshrrev_b32_e32 v16, 2, v2
	s_lshl_b32 s19, s3, 7
	v_and_b32_e32 v147, 3, v144
	v_add_u32_e32 v140, s19, v16
	s_and_b64 vcc, exec, s[6:7]
	v_lshlrev_b32_e32 v12, 3, v147
	v_add_u32_e32 v139, 64, v140
	v_mov_b64_e32 v[14:15], 0
	s_cbranch_vccnz .LBB131_12
; %bb.11:
	v_mov_b32_e32 v13, 0
	v_lshl_add_u64 v[2:3], s[20:21], 0, v[12:13]
	s_waitcnt lgkmcnt(0)
	v_mad_i64_i32 v[4:5], s[2:3], v140, s24, 0
	v_lshl_add_u64 v[4:5], v[4:5], 3, v[2:3]
	v_mad_i64_i32 v[6:7], s[2:3], v139, s24, 0
	v_lshl_add_u64 v[2:3], v[6:7], 3, v[2:3]
	flat_load_dwordx2 v[6:7], v[4:5]
	flat_load_dwordx2 v[18:19], v[2:3]
	s_waitcnt vmcnt(0) lgkmcnt(0)
	v_mul_f64 v[14:15], s[12:13], v[6:7]
	v_mul_f64 v[6:7], s[12:13], v[18:19]
.LBB131_12:
	v_mov_b64_e32 v[134:135], 0
	s_and_b64 vcc, exec, s[6:7]
	v_add_u32_e32 v149, 4, v146
	v_mov_b64_e32 v[2:3], 0
	v_mov_b64_e32 v[4:5], 0
	s_cbranch_vccnz .LBB131_14
; %bb.13:
	v_mad_i64_i32 v[2:3], s[2:3], s26, v149, 0
	v_lshl_add_u64 v[2:3], v[2:3], 3, s[22:23]
	v_lshl_add_u64 v[2:3], v[0:1], 3, v[2:3]
	flat_load_dwordx2 v[4:5], v[2:3]
	flat_load_dwordx2 v[18:19], v[2:3] offset:512
	s_waitcnt vmcnt(0) lgkmcnt(0)
	v_mul_f64 v[4:5], s[12:13], v[4:5]
	v_mul_f64 v[2:3], s[12:13], v[18:19]
.LBB131_14:
	s_load_dwordx2 s[2:3], s[16:17], 0x0
	s_and_b64 vcc, exec, s[6:7]
	v_mov_b64_e32 v[136:137], 0
	s_cbranch_vccnz .LBB131_16
; %bb.15:
	v_mov_b32_e32 v13, 0
	v_lshl_add_u64 v[18:19], s[20:21], 0, v[12:13]
	s_waitcnt lgkmcnt(0)
	v_mad_i64_i32 v[20:21], s[6:7], v140, s24, 0
	v_lshl_add_u64 v[20:21], v[20:21], 3, v[18:19]
	v_mad_i64_i32 v[22:23], s[6:7], v139, s24, 0
	v_lshl_add_u64 v[18:19], v[22:23], 3, v[18:19]
	flat_load_dwordx2 v[22:23], v[20:21] offset:32
	flat_load_dwordx2 v[24:25], v[18:19] offset:32
	s_waitcnt vmcnt(0) lgkmcnt(0)
	v_mul_f64 v[136:137], s[12:13], v[22:23]
	v_mul_f64 v[134:135], s[12:13], v[24:25]
.LBB131_16:
	v_lshlrev_b32_e32 v13, 5, v138
	v_lshl_add_u32 v150, v146, 3, v13
	v_lshl_or_b32 v142, v16, 5, v12
	v_lshlrev_b32_e32 v141, 5, v145
	ds_write2st64_b64 v150, v[10:11], v[8:9] offset1:4
	v_add_u32_e32 v151, 0x2000, v142
	ds_write2st64_b64 v142, v[14:15], v[6:7] offset0:16 offset1:20
	v_lshlrev_b32_e32 v152, 5, v144
	v_add_u32_e32 v153, 0x2000, v141
	v_mov_b64_e32 v[132:133], 0
	s_mov_b32 s6, 0
	v_mov_b64_e32 v[130:131], 0
	v_mov_b64_e32 v[128:129], 0
	;; [unrolled: 1-line block ×63, first 2 shown]
	s_waitcnt lgkmcnt(0)
	s_barrier
.LBB131_17:                             ; =>This Inner Loop Header: Depth=1
	v_add_u32_e32 v143, s6, v152
	v_add_u32_e32 v148, s6, v153
	ds_read2_b64 v[154:157], v143 offset1:16
	ds_read2_b64 v[158:161], v143 offset0:32 offset1:48
	ds_read2_b64 v[162:165], v143 offset0:64 offset1:80
	;; [unrolled: 1-line block ×7, first 2 shown]
	ds_read2st64_b64 v[186:189], v148 offset1:4
	v_add_u32_e32 v143, 0x800, v143
	ds_read2_b64 v[190:193], v143 offset1:16
	ds_read2_b64 v[194:197], v143 offset0:32 offset1:48
	ds_read2_b64 v[198:201], v143 offset0:64 offset1:80
	;; [unrolled: 1-line block ×7, first 2 shown]
	s_waitcnt lgkmcnt(14)
	v_max_f64 v[154:155], v[154:155], v[154:155]
	v_max_f64 v[156:157], v[156:157], v[156:157]
	;; [unrolled: 1-line block ×6, first 2 shown]
	s_waitcnt lgkmcnt(13)
	v_max_f64 v[166:167], v[166:167], v[166:167]
	v_max_f64 v[168:169], v[168:169], v[168:169]
	s_waitcnt lgkmcnt(12)
	v_max_f64 v[170:171], v[170:171], v[170:171]
	v_max_f64 v[172:173], v[172:173], v[172:173]
	;; [unrolled: 3-line block ×14, first 2 shown]
	v_min_f64 v[222:223], v[154:155], v[186:187]
	v_min_f64 v[224:225], v[156:157], v[186:187]
	;; [unrolled: 1-line block ×32, first 2 shown]
	s_add_i32 s6, s6, 8
	v_add_f64 v[68:69], v[68:69], v[154:155]
	v_add_f64 v[66:67], v[66:67], v[156:157]
	;; [unrolled: 1-line block ×16, first 2 shown]
	v_min_f64 v[154:155], v[190:191], v[186:187]
	v_min_f64 v[156:157], v[192:193], v[186:187]
	;; [unrolled: 1-line block ×32, first 2 shown]
	s_cmp_eq_u32 s6, 32
	v_add_f64 v[132:133], v[132:133], v[222:223]
	v_add_f64 v[130:131], v[130:131], v[224:225]
	;; [unrolled: 1-line block ×48, first 2 shown]
	s_cbranch_scc0 .LBB131_17
; %bb.18:
	s_load_dword s16, s[0:1], 0x8
	v_lshlrev_b32_e32 v143, 3, v146
	v_lshl_add_u32 v138, v138, 5, v143
	ds_write2st64_b64 v138, v[4:5], v[2:3] offset0:8 offset1:12
	ds_write2st64_b64 v142, v[136:137], v[134:135] offset0:24 offset1:28
	s_waitcnt lgkmcnt(0)
	s_cmp_gt_i32 s16, 8
	s_barrier
	s_cbranch_scc1 .LBB131_20
; %bb.19:
	v_add_u32_e32 v148, 0x3000, v141
	s_cbranch_execz .LBB131_21
	s_branch .LBB131_43
.LBB131_20:
                                        ; implicit-def: $vgpr148
.LBB131_21:
	v_or_b32_e32 v154, 0x1000, v138
	v_mad_i64_i32 v[136:137], s[6:7], v139, s24, 0
	v_lshl_add_u64 v[138:139], v[0:1], 3, s[22:23]
	v_mov_b32_e32 v0, 0x1000
	v_add_u32_e32 v155, 0x3000, v142
	s_add_i32 s16, s16, -8
	v_mad_i64_i32 v[134:135], s[6:7], v140, s24, 0
	v_lshl_add_u32 v156, v144, 5, v0
	v_add_u32_e32 v148, 0x3000, v141
	s_mov_b32 s17, 8
	s_mov_b32 s22, 0
	v_mov_b32_e32 v141, 0
	s_mov_b32 s23, 0
.LBB131_22:                             ; =>This Loop Header: Depth=1
                                        ;     Child Loop BB131_28 Depth 2
                                        ;     Child Loop BB131_35 Depth 2
	s_mov_b64 s[6:7], -1
	s_mov_b64 vcc, s[4:5]
                                        ; implicit-def: $vgpr0_vgpr1_vgpr2_vgpr3
	s_cbranch_vccnz .LBB131_37
; %bb.23:                               ;   in Loop: Header=BB131_22 Depth=1
	s_andn2_b64 vcc, exec, s[6:7]
	v_mov_b64_e32 v[142:143], 0
	s_cbranch_vccz .LBB131_38
.LBB131_24:                             ;   in Loop: Header=BB131_22 Depth=1
	s_mov_b64 s[6:7], -1
	s_mov_b64 vcc, s[4:5]
                                        ; implicit-def: $vgpr2_vgpr3_vgpr4_vgpr5
	s_cbranch_vccnz .LBB131_39
.LBB131_25:                             ;   in Loop: Header=BB131_22 Depth=1
	s_andn2_b64 vcc, exec, s[6:7]
	v_mov_b64_e32 v[4:5], 0
	s_cbranch_vccnz .LBB131_27
.LBB131_26:                             ;   in Loop: Header=BB131_22 Depth=1
	v_or_b32_e32 v140, s17, v147
	v_lshl_add_u64 v[2:3], v[140:141], 3, s[20:21]
	v_lshl_add_u64 v[4:5], v[134:135], 3, v[2:3]
	;; [unrolled: 1-line block ×3, first 2 shown]
	flat_load_dwordx2 v[4:5], v[4:5]
	s_nop 0
	flat_load_dwordx2 v[158:159], v[2:3]
	s_waitcnt vmcnt(0) lgkmcnt(0)
	v_mul_f64 v[2:3], s[12:13], v[4:5]
	v_mul_f64 v[4:5], s[12:13], v[158:159]
.LBB131_27:                             ;   in Loop: Header=BB131_22 Depth=1
	s_mov_b32 s6, 0
.LBB131_28:                             ;   Parent Loop BB131_22 Depth=1
                                        ; =>  This Inner Loop Header: Depth=2
	v_add_u32_e32 v140, s6, v156
	ds_read2_b64 v[158:161], v140 offset1:16
	ds_read2_b64 v[162:165], v140 offset0:32 offset1:48
	ds_read2_b64 v[166:169], v140 offset0:64 offset1:80
	;; [unrolled: 1-line block ×7, first 2 shown]
	v_add_u32_e32 v140, 0x800, v140
	ds_read2_b64 v[190:193], v140 offset1:16
	ds_read2_b64 v[194:197], v140 offset0:32 offset1:48
	ds_read2_b64 v[198:201], v140 offset0:64 offset1:80
	ds_read2_b64 v[202:205], v140 offset0:96 offset1:112
	ds_read2_b64 v[206:209], v140 offset0:128 offset1:144
	ds_read2_b64 v[210:213], v140 offset0:160 offset1:176
	ds_read2_b64 v[214:217], v140 offset0:192 offset1:208
	ds_read2_b64 v[218:221], v140 offset0:224 offset1:240
	v_add_u32_e32 v140, s6, v148
	ds_read2st64_b64 v[222:225], v140 offset1:4
	s_waitcnt lgkmcnt(14)
	v_max_f64 v[158:159], v[158:159], v[158:159]
	v_max_f64 v[160:161], v[160:161], v[160:161]
	;; [unrolled: 1-line block ×4, first 2 shown]
	s_waitcnt lgkmcnt(0)
	v_max_f64 v[222:223], v[222:223], v[222:223]
	v_min_f64 v[226:227], v[158:159], v[222:223]
	v_add_f64 v[132:133], v[132:133], v[226:227]
	v_min_f64 v[226:227], v[160:161], v[222:223]
	v_add_f64 v[130:131], v[130:131], v[226:227]
	;; [unrolled: 2-line block ×3, first 2 shown]
	v_min_f64 v[226:227], v[164:165], v[222:223]
	v_max_f64 v[166:167], v[166:167], v[166:167]
	v_add_f64 v[126:127], v[126:127], v[226:227]
	v_min_f64 v[226:227], v[166:167], v[222:223]
	v_max_f64 v[168:169], v[168:169], v[168:169]
	v_add_f64 v[124:125], v[124:125], v[226:227]
	v_min_f64 v[226:227], v[168:169], v[222:223]
	v_max_f64 v[170:171], v[170:171], v[170:171]
	v_add_f64 v[122:123], v[122:123], v[226:227]
	v_min_f64 v[226:227], v[170:171], v[222:223]
	v_max_f64 v[172:173], v[172:173], v[172:173]
	v_add_f64 v[120:121], v[120:121], v[226:227]
	v_min_f64 v[226:227], v[172:173], v[222:223]
	v_max_f64 v[174:175], v[174:175], v[174:175]
	v_add_f64 v[118:119], v[118:119], v[226:227]
	v_min_f64 v[226:227], v[174:175], v[222:223]
	v_max_f64 v[176:177], v[176:177], v[176:177]
	v_add_f64 v[116:117], v[116:117], v[226:227]
	v_min_f64 v[226:227], v[176:177], v[222:223]
	v_max_f64 v[178:179], v[178:179], v[178:179]
	v_add_f64 v[114:115], v[114:115], v[226:227]
	v_min_f64 v[226:227], v[178:179], v[222:223]
	v_max_f64 v[180:181], v[180:181], v[180:181]
	v_add_f64 v[112:113], v[112:113], v[226:227]
	v_min_f64 v[226:227], v[180:181], v[222:223]
	v_max_f64 v[182:183], v[182:183], v[182:183]
	v_add_f64 v[110:111], v[110:111], v[226:227]
	v_min_f64 v[226:227], v[182:183], v[222:223]
	v_max_f64 v[184:185], v[184:185], v[184:185]
	v_add_f64 v[108:109], v[108:109], v[226:227]
	v_min_f64 v[226:227], v[184:185], v[222:223]
	v_max_f64 v[186:187], v[186:187], v[186:187]
	v_add_f64 v[106:107], v[106:107], v[226:227]
	v_min_f64 v[226:227], v[186:187], v[222:223]
	v_max_f64 v[188:189], v[188:189], v[188:189]
	v_add_f64 v[104:105], v[104:105], v[226:227]
	v_min_f64 v[226:227], v[188:189], v[222:223]
	v_max_f64 v[190:191], v[190:191], v[190:191]
	v_add_f64 v[102:103], v[102:103], v[226:227]
	v_min_f64 v[226:227], v[190:191], v[222:223]
	v_max_f64 v[192:193], v[192:193], v[192:193]
	v_add_f64 v[100:101], v[100:101], v[226:227]
	v_min_f64 v[226:227], v[192:193], v[222:223]
	v_max_f64 v[194:195], v[194:195], v[194:195]
	v_add_f64 v[98:99], v[98:99], v[226:227]
	v_min_f64 v[226:227], v[194:195], v[222:223]
	v_max_f64 v[196:197], v[196:197], v[196:197]
	v_add_f64 v[96:97], v[96:97], v[226:227]
	v_min_f64 v[226:227], v[196:197], v[222:223]
	v_max_f64 v[198:199], v[198:199], v[198:199]
	v_add_f64 v[94:95], v[94:95], v[226:227]
	v_min_f64 v[226:227], v[198:199], v[222:223]
	v_max_f64 v[200:201], v[200:201], v[200:201]
	v_add_f64 v[92:93], v[92:93], v[226:227]
	v_min_f64 v[226:227], v[200:201], v[222:223]
	v_max_f64 v[202:203], v[202:203], v[202:203]
	v_add_f64 v[90:91], v[90:91], v[226:227]
	v_min_f64 v[226:227], v[202:203], v[222:223]
	v_max_f64 v[204:205], v[204:205], v[204:205]
	v_add_f64 v[88:89], v[88:89], v[226:227]
	v_min_f64 v[226:227], v[204:205], v[222:223]
	v_max_f64 v[206:207], v[206:207], v[206:207]
	v_add_f64 v[86:87], v[86:87], v[226:227]
	v_min_f64 v[226:227], v[206:207], v[222:223]
	v_max_f64 v[208:209], v[208:209], v[208:209]
	v_add_f64 v[84:85], v[84:85], v[226:227]
	v_min_f64 v[226:227], v[208:209], v[222:223]
	v_max_f64 v[210:211], v[210:211], v[210:211]
	v_add_f64 v[82:83], v[82:83], v[226:227]
	v_min_f64 v[226:227], v[210:211], v[222:223]
	v_max_f64 v[212:213], v[212:213], v[212:213]
	v_add_f64 v[80:81], v[80:81], v[226:227]
	v_min_f64 v[226:227], v[212:213], v[222:223]
	v_max_f64 v[214:215], v[214:215], v[214:215]
	v_add_f64 v[78:79], v[78:79], v[226:227]
	v_min_f64 v[226:227], v[214:215], v[222:223]
	v_max_f64 v[216:217], v[216:217], v[216:217]
	v_add_f64 v[76:77], v[76:77], v[226:227]
	v_min_f64 v[226:227], v[216:217], v[222:223]
	v_max_f64 v[218:219], v[218:219], v[218:219]
	v_max_f64 v[220:221], v[220:221], v[220:221]
	v_add_f64 v[74:75], v[74:75], v[226:227]
	v_min_f64 v[226:227], v[218:219], v[222:223]
	v_min_f64 v[222:223], v[220:221], v[222:223]
	v_add_f64 v[70:71], v[70:71], v[222:223]
	v_max_f64 v[222:223], v[224:225], v[224:225]
	v_min_f64 v[158:159], v[158:159], v[222:223]
	v_add_f64 v[68:69], v[68:69], v[158:159]
	v_min_f64 v[158:159], v[160:161], v[222:223]
	v_add_f64 v[66:67], v[66:67], v[158:159]
	;; [unrolled: 2-line block ×31, first 2 shown]
	v_min_f64 v[158:159], v[220:221], v[222:223]
	s_add_i32 s6, s6, 8
	v_add_f64 v[72:73], v[72:73], v[226:227]
	v_add_f64 v[6:7], v[6:7], v[158:159]
	s_cmp_eq_u32 s6, 32
	s_cbranch_scc0 .LBB131_28
; %bb.29:                               ;   in Loop: Header=BB131_22 Depth=1
	s_mov_b64 s[6:7], -1
	s_mov_b64 vcc, s[4:5]
	ds_write2st64_b64 v150, v[0:1], v[142:143] offset1:4
	ds_write2st64_b64 v151, v[2:3], v[4:5] offset1:4
	s_waitcnt lgkmcnt(0)
	s_barrier
                                        ; implicit-def: $vgpr0_vgpr1_vgpr2_vgpr3
	s_cbranch_vccnz .LBB131_40
; %bb.30:                               ;   in Loop: Header=BB131_22 Depth=1
	s_andn2_b64 vcc, exec, s[6:7]
	v_mov_b64_e32 v[142:143], 0
	s_cbranch_vccz .LBB131_41
.LBB131_31:                             ;   in Loop: Header=BB131_22 Depth=1
	s_mov_b64 s[6:7], -1
	s_mov_b64 vcc, s[4:5]
                                        ; implicit-def: $vgpr2_vgpr3_vgpr4_vgpr5
	s_cbranch_vccnz .LBB131_42
.LBB131_32:                             ;   in Loop: Header=BB131_22 Depth=1
	s_andn2_b64 vcc, exec, s[6:7]
	v_mov_b64_e32 v[4:5], 0
	s_cbranch_vccnz .LBB131_34
.LBB131_33:                             ;   in Loop: Header=BB131_22 Depth=1
	v_or_b32_e32 v140, s17, v147
	v_lshl_add_u64 v[2:3], v[140:141], 3, s[20:21]
	v_lshl_add_u64 v[4:5], v[134:135], 3, v[2:3]
	;; [unrolled: 1-line block ×3, first 2 shown]
	flat_load_dwordx2 v[4:5], v[4:5] offset:32
	s_nop 0
	flat_load_dwordx2 v[158:159], v[2:3] offset:32
	s_waitcnt vmcnt(0) lgkmcnt(0)
	v_mul_f64 v[2:3], s[12:13], v[4:5]
	v_mul_f64 v[4:5], s[12:13], v[158:159]
.LBB131_34:                             ;   in Loop: Header=BB131_22 Depth=1
	s_mov_b32 s6, 0
.LBB131_35:                             ;   Parent Loop BB131_22 Depth=1
                                        ; =>  This Inner Loop Header: Depth=2
	v_add_u32_e32 v140, s6, v152
	ds_read2_b64 v[158:161], v140 offset1:16
	ds_read2_b64 v[162:165], v140 offset0:32 offset1:48
	ds_read2_b64 v[166:169], v140 offset0:64 offset1:80
	ds_read2_b64 v[170:173], v140 offset0:96 offset1:112
	ds_read2_b64 v[174:177], v140 offset0:128 offset1:144
	ds_read2_b64 v[178:181], v140 offset0:160 offset1:176
	ds_read2_b64 v[182:185], v140 offset0:192 offset1:208
	ds_read2_b64 v[186:189], v140 offset0:224 offset1:240
	v_add_u32_e32 v140, 0x800, v140
	ds_read2_b64 v[190:193], v140 offset1:16
	ds_read2_b64 v[194:197], v140 offset0:32 offset1:48
	ds_read2_b64 v[198:201], v140 offset0:64 offset1:80
	;; [unrolled: 1-line block ×7, first 2 shown]
	v_add_u32_e32 v140, s6, v153
	ds_read2st64_b64 v[222:225], v140 offset1:4
	s_waitcnt lgkmcnt(14)
	v_max_f64 v[158:159], v[158:159], v[158:159]
	v_max_f64 v[160:161], v[160:161], v[160:161]
	;; [unrolled: 1-line block ×4, first 2 shown]
	s_waitcnt lgkmcnt(0)
	v_max_f64 v[222:223], v[222:223], v[222:223]
	v_min_f64 v[226:227], v[158:159], v[222:223]
	v_add_f64 v[132:133], v[132:133], v[226:227]
	v_min_f64 v[226:227], v[160:161], v[222:223]
	v_add_f64 v[130:131], v[130:131], v[226:227]
	;; [unrolled: 2-line block ×3, first 2 shown]
	v_min_f64 v[226:227], v[164:165], v[222:223]
	v_max_f64 v[166:167], v[166:167], v[166:167]
	v_add_f64 v[126:127], v[126:127], v[226:227]
	v_min_f64 v[226:227], v[166:167], v[222:223]
	v_max_f64 v[168:169], v[168:169], v[168:169]
	v_add_f64 v[124:125], v[124:125], v[226:227]
	;; [unrolled: 3-line block ×26, first 2 shown]
	v_min_f64 v[226:227], v[216:217], v[222:223]
	v_max_f64 v[218:219], v[218:219], v[218:219]
	v_max_f64 v[220:221], v[220:221], v[220:221]
	v_add_f64 v[74:75], v[74:75], v[226:227]
	v_min_f64 v[226:227], v[218:219], v[222:223]
	v_min_f64 v[222:223], v[220:221], v[222:223]
	v_add_f64 v[70:71], v[70:71], v[222:223]
	v_max_f64 v[222:223], v[224:225], v[224:225]
	v_min_f64 v[158:159], v[158:159], v[222:223]
	v_add_f64 v[68:69], v[68:69], v[158:159]
	v_min_f64 v[158:159], v[160:161], v[222:223]
	v_add_f64 v[66:67], v[66:67], v[158:159]
	;; [unrolled: 2-line block ×31, first 2 shown]
	v_min_f64 v[158:159], v[220:221], v[222:223]
	s_add_i32 s6, s6, 8
	v_add_f64 v[72:73], v[72:73], v[226:227]
	v_add_f64 v[6:7], v[6:7], v[158:159]
	s_cmp_eq_u32 s6, 32
	s_cbranch_scc0 .LBB131_35
; %bb.36:                               ;   in Loop: Header=BB131_22 Depth=1
	s_add_i32 s17, s17, 8
	s_add_i32 s23, s23, 8
	s_cmp_ge_i32 s23, s16
	ds_write2st64_b64 v154, v[0:1], v[142:143] offset1:4
	ds_write2st64_b64 v155, v[2:3], v[4:5] offset1:4
	s_waitcnt lgkmcnt(0)
	s_barrier
	s_cbranch_scc0 .LBB131_22
	s_branch .LBB131_43
.LBB131_37:                             ;   in Loop: Header=BB131_22 Depth=1
	v_mov_b32_e32 v0, s22
	v_mov_b32_e32 v1, s22
	v_mov_b64_e32 v[142:143], 0
	s_cbranch_execnz .LBB131_24
.LBB131_38:                             ;   in Loop: Header=BB131_22 Depth=1
	v_add_u32_e32 v3, s17, v146
	v_mad_u64_u32 v[0:1], s[6:7], v3, s26, 0
	v_mov_b32_e32 v2, v1
	v_mad_u64_u32 v[2:3], s[6:7], v3, s27, v[2:3]
	v_mov_b32_e32 v1, v2
	v_lshl_add_u64 v[0:1], v[0:1], 3, v[138:139]
	flat_load_dwordx2 v[2:3], v[0:1]
	flat_load_dwordx2 v[4:5], v[0:1] offset:512
	s_waitcnt vmcnt(0) lgkmcnt(0)
	v_mul_f64 v[0:1], s[12:13], v[2:3]
	v_mul_f64 v[142:143], s[12:13], v[4:5]
	s_mov_b64 s[6:7], -1
	s_mov_b64 vcc, s[4:5]
                                        ; implicit-def: $vgpr2_vgpr3_vgpr4_vgpr5
	s_cbranch_vccz .LBB131_25
.LBB131_39:                             ;   in Loop: Header=BB131_22 Depth=1
	v_mov_b32_e32 v2, s22
	v_mov_b32_e32 v3, s22
	v_mov_b64_e32 v[4:5], 0
	s_cbranch_execz .LBB131_26
	s_branch .LBB131_27
.LBB131_40:                             ;   in Loop: Header=BB131_22 Depth=1
	v_mov_b32_e32 v0, s22
	v_mov_b32_e32 v1, s22
	v_mov_b64_e32 v[142:143], 0
	s_cbranch_execnz .LBB131_31
.LBB131_41:                             ;   in Loop: Header=BB131_22 Depth=1
	v_add_u32_e32 v3, s17, v149
	v_mad_u64_u32 v[0:1], s[6:7], v3, s26, 0
	v_mov_b32_e32 v2, v1
	v_mad_u64_u32 v[2:3], s[6:7], v3, s27, v[2:3]
	v_mov_b32_e32 v1, v2
	v_lshl_add_u64 v[0:1], v[0:1], 3, v[138:139]
	flat_load_dwordx2 v[2:3], v[0:1]
	flat_load_dwordx2 v[4:5], v[0:1] offset:512
	s_waitcnt vmcnt(0) lgkmcnt(0)
	v_mul_f64 v[0:1], s[12:13], v[2:3]
	v_mul_f64 v[142:143], s[12:13], v[4:5]
	s_mov_b64 s[6:7], -1
	s_mov_b64 vcc, s[4:5]
                                        ; implicit-def: $vgpr2_vgpr3_vgpr4_vgpr5
	s_cbranch_vccz .LBB131_32
.LBB131_42:                             ;   in Loop: Header=BB131_22 Depth=1
	v_mov_b32_e32 v2, s22
	v_mov_b32_e32 v3, s22
	v_mov_b64_e32 v[4:5], 0
	s_cbranch_execz .LBB131_33
	s_branch .LBB131_34
.LBB131_43:
	v_mov_b32_e32 v0, 0x1000
	v_lshl_add_u32 v0, v144, 5, v0
	s_mov_b32 s4, 0
.LBB131_44:                             ; =>This Inner Loop Header: Depth=1
	v_add_u32_e32 v1, s4, v0
	v_add_u32_e32 v142, s4, v148
	ds_read2_b64 v[2:5], v1 offset1:16
	ds_read2_b64 v[134:137], v1 offset0:32 offset1:48
	ds_read2_b64 v[138:141], v1 offset0:64 offset1:80
	;; [unrolled: 1-line block ×7, first 2 shown]
	v_add_u32_e32 v1, 0x800, v1
	ds_read2st64_b64 v[170:173], v142 offset1:4
	ds_read2_b64 v[174:177], v1 offset1:16
	ds_read2_b64 v[178:181], v1 offset0:32 offset1:48
	ds_read2_b64 v[182:185], v1 offset0:64 offset1:80
	ds_read2_b64 v[186:189], v1 offset0:96 offset1:112
	ds_read2_b64 v[190:193], v1 offset0:128 offset1:144
	ds_read2_b64 v[194:197], v1 offset0:160 offset1:176
	ds_read2_b64 v[198:201], v1 offset0:192 offset1:208
	ds_read2_b64 v[202:205], v1 offset0:224 offset1:240
	s_waitcnt lgkmcnt(14)
	v_max_f64 v[2:3], v[2:3], v[2:3]
	v_max_f64 v[4:5], v[4:5], v[4:5]
	;; [unrolled: 1-line block ×3, first 2 shown]
	s_waitcnt lgkmcnt(8)
	v_max_f64 v[142:143], v[170:171], v[170:171]
	v_max_f64 v[136:137], v[136:137], v[136:137]
	v_max_f64 v[138:139], v[138:139], v[138:139]
	v_max_f64 v[140:141], v[140:141], v[140:141]
	v_max_f64 v[146:147], v[150:151], v[150:151]
	v_max_f64 v[150:151], v[152:153], v[152:153]
	v_max_f64 v[152:153], v[154:155], v[154:155]
	v_max_f64 v[154:155], v[156:157], v[156:157]
	v_max_f64 v[156:157], v[158:159], v[158:159]
	v_max_f64 v[158:159], v[160:161], v[160:161]
	v_max_f64 v[160:161], v[162:163], v[162:163]
	v_max_f64 v[162:163], v[164:165], v[164:165]
	v_max_f64 v[164:165], v[166:167], v[166:167]
	v_max_f64 v[166:167], v[168:169], v[168:169]
	v_max_f64 v[168:169], v[172:173], v[172:173]
	v_min_f64 v[170:171], v[2:3], v[142:143]
	v_min_f64 v[172:173], v[4:5], v[142:143]
	;; [unrolled: 1-line block ×16, first 2 shown]
	s_waitcnt lgkmcnt(7)
	v_max_f64 v[174:175], v[174:175], v[174:175]
	v_max_f64 v[176:177], v[176:177], v[176:177]
	s_waitcnt lgkmcnt(6)
	v_max_f64 v[178:179], v[178:179], v[178:179]
	v_max_f64 v[180:181], v[180:181], v[180:181]
	;; [unrolled: 3-line block ×8, first 2 shown]
	v_min_f64 v[2:3], v[2:3], v[168:169]
	v_min_f64 v[4:5], v[4:5], v[168:169]
	;; [unrolled: 1-line block ×16, first 2 shown]
	s_add_i32 s4, s4, 8
	v_add_f64 v[132:133], v[132:133], v[170:171]
	v_add_f64 v[130:131], v[130:131], v[172:173]
	;; [unrolled: 1-line block ×15, first 2 shown]
	v_min_f64 v[170:171], v[174:175], v[142:143]
	v_min_f64 v[172:173], v[176:177], v[142:143]
	;; [unrolled: 1-line block ×16, first 2 shown]
	v_add_f64 v[68:69], v[68:69], v[2:3]
	v_add_f64 v[66:67], v[66:67], v[4:5]
	;; [unrolled: 1-line block ×16, first 2 shown]
	v_min_f64 v[2:3], v[174:175], v[168:169]
	v_min_f64 v[4:5], v[176:177], v[168:169]
	;; [unrolled: 1-line block ×16, first 2 shown]
	s_cmp_eq_u32 s4, 32
	v_add_f64 v[102:103], v[102:103], v[232:233]
	v_add_f64 v[100:101], v[100:101], v[170:171]
	;; [unrolled: 1-line block ×33, first 2 shown]
	s_cbranch_scc0 .LBB131_44
; %bb.45:
	s_load_dwordx2 s[6:7], s[0:1], 0x78
	s_load_dword s4, s[0:1], 0x58
	s_load_dword s5, s[0:1], 0x70
	v_add_u32_e32 v170, s19, v145
	v_add_u32_e32 v134, s18, v144
	s_waitcnt lgkmcnt(0)
	s_lshl_b64 s[0:1], s[6:7], 3
	s_add_u32 s0, s2, s0
	s_addc_u32 s1, s3, s1
	v_mad_i64_i32 v[2:3], s[2:3], v170, s5, 0
	v_add_u32_e32 v0, 4, v134
	v_lshl_add_u64 v[138:139], v[2:3], 3, s[0:1]
	v_mad_i64_i32 v[2:3], s[2:3], v170, s4, 0
	v_ashrrev_i32_e32 v135, 31, v134
	v_ashrrev_i32_e32 v1, 31, v0
	s_mov_b64 s[2:3], -1
	s_mov_b64 vcc, s[8:9]
	s_cbranch_vccz .LBB131_47
; %bb.46:
	v_add_f64 v[4:5], v[132:133], 0
	v_lshl_add_u64 v[136:137], v[134:135], 3, v[138:139]
	s_mov_b64 s[2:3], 0
	flat_store_dwordx2 v[136:137], v[4:5]
.LBB131_47:
	v_lshl_add_u64 v[146:147], v[2:3], 3, s[14:15]
	v_mov_b64_e32 v[4:5], 0
	s_andn2_b64 vcc, exec, s[2:3]
	v_lshlrev_b64 v[136:137], 3, v[134:135]
	s_cbranch_vccnz .LBB131_49
; %bb.48:
	v_lshl_add_u64 v[2:3], v[146:147], 0, v[136:137]
	flat_load_dwordx2 v[2:3], v[2:3]
	v_lshl_add_u64 v[4:5], v[138:139], 0, v[136:137]
	s_waitcnt vmcnt(0) lgkmcnt(0)
	v_fmac_f64_e32 v[132:133], s[10:11], v[2:3]
	flat_store_dwordx2 v[4:5], v[132:133]
	v_lshl_add_u64 v[2:3], v[0:1], 3, v[146:147]
	flat_load_dwordx2 v[2:3], v[2:3]
	s_waitcnt vmcnt(0) lgkmcnt(0)
	v_mul_f64 v[4:5], s[10:11], v[2:3]
.LBB131_49:
	v_add_u32_e32 v132, 8, v134
	v_add_u32_e32 v2, 12, v134
	v_ashrrev_i32_e32 v133, 31, v132
	v_ashrrev_i32_e32 v3, 31, v2
	v_add_f64 v[4:5], v[130:131], v[4:5]
	v_lshl_add_u64 v[130:131], v[0:1], 3, v[138:139]
	s_mov_b64 s[2:3], -1
	s_mov_b64 vcc, s[8:9]
	flat_store_dwordx2 v[130:131], v[4:5]
	s_cbranch_vccz .LBB131_51
; %bb.50:
	v_add_f64 v[4:5], v[128:129], 0
	v_lshl_add_u64 v[130:131], v[132:133], 3, v[138:139]
	s_mov_b64 s[2:3], 0
	flat_store_dwordx2 v[130:131], v[4:5]
.LBB131_51:
	v_mov_b64_e32 v[140:141], 0
	s_andn2_b64 vcc, exec, s[2:3]
	v_lshlrev_b64 v[130:131], 3, v[132:133]
	s_cbranch_vccnz .LBB131_53
; %bb.52:
	v_lshl_add_u64 v[4:5], v[146:147], 0, v[130:131]
	flat_load_dwordx2 v[4:5], v[4:5]
	v_lshl_add_u64 v[140:141], v[138:139], 0, v[130:131]
	s_waitcnt vmcnt(0) lgkmcnt(0)
	v_fmac_f64_e32 v[128:129], s[10:11], v[4:5]
	flat_store_dwordx2 v[140:141], v[128:129]
	v_lshl_add_u64 v[4:5], v[2:3], 3, v[146:147]
	flat_load_dwordx2 v[4:5], v[4:5]
	s_waitcnt vmcnt(0) lgkmcnt(0)
	v_mul_f64 v[140:141], s[10:11], v[4:5]
.LBB131_53:
	v_add_u32_e32 v128, 16, v134
	v_add_u32_e32 v4, 20, v134
	v_ashrrev_i32_e32 v129, 31, v128
	v_ashrrev_i32_e32 v5, 31, v4
	v_add_f64 v[126:127], v[126:127], v[140:141]
	v_lshl_add_u64 v[140:141], v[2:3], 3, v[138:139]
	s_mov_b64 s[2:3], -1
	s_mov_b64 vcc, s[8:9]
	flat_store_dwordx2 v[140:141], v[126:127]
	s_cbranch_vccz .LBB131_55
; %bb.54:
	v_add_f64 v[126:127], v[124:125], 0
	v_lshl_add_u64 v[140:141], v[128:129], 3, v[138:139]
	s_mov_b64 s[2:3], 0
	flat_store_dwordx2 v[140:141], v[126:127]
.LBB131_55:
	;; [unrolled: 32-line block ×15, first 2 shown]
	v_mov_b64_e32 v[168:169], 0
	s_andn2_b64 vcc, exec, s[2:3]
	v_lshlrev_b64 v[74:75], 3, v[78:79]
	s_cbranch_vccnz .LBB131_109
; %bb.108:
	v_lshl_add_u64 v[168:169], v[146:147], 0, v[74:75]
	flat_load_dwordx2 v[168:169], v[168:169]
	v_lshl_add_u64 v[172:173], v[138:139], 0, v[74:75]
	s_waitcnt vmcnt(0) lgkmcnt(0)
	v_fmac_f64_e32 v[72:73], s[10:11], v[168:169]
	flat_store_dwordx2 v[172:173], v[72:73]
	v_lshl_add_u64 v[72:73], v[76:77], 3, v[146:147]
	flat_load_dwordx2 v[72:73], v[72:73]
	s_waitcnt vmcnt(0) lgkmcnt(0)
	v_mul_f64 v[168:169], s[10:11], v[72:73]
.LBB131_109:
	v_add_f64 v[70:71], v[70:71], v[168:169]
	v_lshl_add_u64 v[72:73], v[76:77], 3, v[138:139]
	flat_store_dwordx2 v[72:73], v[70:71]
	v_add_u32_e32 v72, 64, v170
	v_mad_i64_i32 v[70:71], s[2:3], v72, s5, 0
	v_lshl_add_u64 v[70:71], v[70:71], 3, s[0:1]
	v_mad_i64_i32 v[72:73], s[0:1], v72, s4, 0
	s_mov_b64 s[0:1], -1
	s_mov_b64 vcc, s[8:9]
	s_cbranch_vccz .LBB131_111
; %bb.110:
	v_add_f64 v[138:139], v[68:69], 0
	v_lshl_add_u64 v[134:135], v[134:135], 3, v[70:71]
	s_mov_b64 s[0:1], 0
	flat_store_dwordx2 v[134:135], v[138:139]
.LBB131_111:
	v_lshl_add_u64 v[72:73], v[72:73], 3, s[14:15]
	s_andn2_b64 vcc, exec, s[0:1]
	v_mov_b64_e32 v[134:135], 0
	s_cbranch_vccnz .LBB131_113
; %bb.112:
	v_lshl_add_u64 v[134:135], v[72:73], 0, v[136:137]
	flat_load_dwordx2 v[134:135], v[134:135]
	v_lshl_add_u64 v[136:137], v[70:71], 0, v[136:137]
	s_waitcnt vmcnt(0) lgkmcnt(0)
	v_fmac_f64_e32 v[68:69], s[10:11], v[134:135]
	flat_store_dwordx2 v[136:137], v[68:69]
	v_lshl_add_u64 v[68:69], v[0:1], 3, v[72:73]
	flat_load_dwordx2 v[68:69], v[68:69]
	s_waitcnt vmcnt(0) lgkmcnt(0)
	v_mul_f64 v[134:135], s[10:11], v[68:69]
.LBB131_113:
	v_add_f64 v[66:67], v[66:67], v[134:135]
	v_lshl_add_u64 v[0:1], v[0:1], 3, v[70:71]
	s_mov_b64 s[0:1], -1
	s_mov_b64 vcc, s[8:9]
	flat_store_dwordx2 v[0:1], v[66:67]
	s_cbranch_vccz .LBB131_115
; %bb.114:
	v_add_f64 v[0:1], v[64:65], 0
	v_lshl_add_u64 v[66:67], v[132:133], 3, v[70:71]
	s_mov_b64 s[0:1], 0
	flat_store_dwordx2 v[66:67], v[0:1]
.LBB131_115:
	s_andn2_b64 vcc, exec, s[0:1]
	v_mov_b64_e32 v[0:1], 0
	s_cbranch_vccnz .LBB131_117
; %bb.116:
	v_lshl_add_u64 v[0:1], v[72:73], 0, v[130:131]
	flat_load_dwordx2 v[0:1], v[0:1]
	v_lshl_add_u64 v[66:67], v[70:71], 0, v[130:131]
	s_waitcnt vmcnt(0) lgkmcnt(0)
	v_fmac_f64_e32 v[64:65], s[10:11], v[0:1]
	flat_store_dwordx2 v[66:67], v[64:65]
	v_lshl_add_u64 v[0:1], v[2:3], 3, v[72:73]
	flat_load_dwordx2 v[0:1], v[0:1]
	s_waitcnt vmcnt(0) lgkmcnt(0)
	v_mul_f64 v[0:1], s[10:11], v[0:1]
.LBB131_117:
	v_add_f64 v[0:1], v[62:63], v[0:1]
	v_lshl_add_u64 v[2:3], v[2:3], 3, v[70:71]
	s_mov_b64 s[0:1], -1
	s_mov_b64 vcc, s[8:9]
	flat_store_dwordx2 v[2:3], v[0:1]
	s_cbranch_vccz .LBB131_119
; %bb.118:
	v_add_f64 v[0:1], v[60:61], 0
	v_lshl_add_u64 v[2:3], v[128:129], 3, v[70:71]
	s_mov_b64 s[0:1], 0
	flat_store_dwordx2 v[2:3], v[0:1]
.LBB131_119:
	;; [unrolled: 27-line block ×14, first 2 shown]
	s_andn2_b64 vcc, exec, s[0:1]
	v_mov_b64_e32 v[0:1], 0
	s_cbranch_vccnz .LBB131_169
; %bb.168:
	v_lshl_add_u64 v[0:1], v[72:73], 0, v[166:167]
	flat_load_dwordx2 v[0:1], v[0:1]
	v_lshl_add_u64 v[2:3], v[70:71], 0, v[166:167]
	s_waitcnt vmcnt(0) lgkmcnt(0)
	v_fmac_f64_e32 v[12:13], s[10:11], v[0:1]
	flat_store_dwordx2 v[2:3], v[12:13]
	v_lshl_add_u64 v[0:1], v[80:81], 3, v[72:73]
	flat_load_dwordx2 v[0:1], v[0:1]
	s_waitcnt vmcnt(0) lgkmcnt(0)
	v_mul_f64 v[0:1], s[10:11], v[0:1]
.LBB131_169:
	v_add_f64 v[0:1], v[10:11], v[0:1]
	v_lshl_add_u64 v[2:3], v[80:81], 3, v[70:71]
	s_mov_b64 s[0:1], -1
	s_mov_b64 vcc, s[8:9]
	flat_store_dwordx2 v[2:3], v[0:1]
	s_cbranch_vccnz .LBB131_172
; %bb.170:
	s_andn2_b64 vcc, exec, s[0:1]
	v_mov_b64_e32 v[0:1], 0
	s_cbranch_vccz .LBB131_173
.LBB131_171:
	v_add_f64 v[0:1], v[6:7], v[0:1]
	v_lshl_add_u64 v[2:3], v[76:77], 3, v[70:71]
	flat_store_dwordx2 v[2:3], v[0:1]
	s_endpgm
.LBB131_172:
	v_add_f64 v[0:1], v[8:9], 0
	v_lshl_add_u64 v[2:3], v[78:79], 3, v[70:71]
	flat_store_dwordx2 v[2:3], v[0:1]
	v_mov_b64_e32 v[0:1], 0
	s_cbranch_execnz .LBB131_171
.LBB131_173:
	v_lshl_add_u64 v[0:1], v[72:73], 0, v[74:75]
	flat_load_dwordx2 v[0:1], v[0:1]
	v_lshl_add_u64 v[2:3], v[70:71], 0, v[74:75]
	s_waitcnt vmcnt(0) lgkmcnt(0)
	v_fmac_f64_e32 v[8:9], s[10:11], v[0:1]
	flat_store_dwordx2 v[2:3], v[8:9]
	v_lshl_add_u64 v[0:1], v[76:77], 3, v[72:73]
	flat_load_dwordx2 v[0:1], v[0:1]
	s_waitcnt vmcnt(0) lgkmcnt(0)
	v_mul_f64 v[0:1], s[10:11], v[0:1]
	v_add_f64 v[0:1], v[6:7], v[0:1]
	v_lshl_add_u64 v[2:3], v[76:77], 3, v[70:71]
	flat_store_dwordx2 v[2:3], v[0:1]
	s_endpgm
	.section	.rodata,"a",@progbits
	.p2align	6, 0x0
	.amdhsa_kernel _ZN12_GLOBAL__N_120geam_min_plus_kernelIdddLi4ELi64ELi128ELi128ELi4ELi64ELi4ELi4ELi64ELc78ELc78ELb0ELb0ELb0EdKPKdKPdEEviiiT16_PT17_ilS8_ilS6_S8_ilPT18_ili26rocblas_geam_ex_operation_
		.amdhsa_group_segment_fixed_size 16384
		.amdhsa_private_segment_fixed_size 0
		.amdhsa_kernarg_size 136
		.amdhsa_user_sgpr_count 2
		.amdhsa_user_sgpr_dispatch_ptr 0
		.amdhsa_user_sgpr_queue_ptr 0
		.amdhsa_user_sgpr_kernarg_segment_ptr 1
		.amdhsa_user_sgpr_dispatch_id 0
		.amdhsa_user_sgpr_kernarg_preload_length 0
		.amdhsa_user_sgpr_kernarg_preload_offset 0
		.amdhsa_user_sgpr_private_segment_size 0
		.amdhsa_uses_dynamic_stack 0
		.amdhsa_enable_private_segment 0
		.amdhsa_system_sgpr_workgroup_id_x 1
		.amdhsa_system_sgpr_workgroup_id_y 0
		.amdhsa_system_sgpr_workgroup_id_z 1
		.amdhsa_system_sgpr_workgroup_info 0
		.amdhsa_system_vgpr_workitem_id 1
		.amdhsa_next_free_vgpr 254
		.amdhsa_next_free_sgpr 28
		.amdhsa_accum_offset 256
		.amdhsa_reserve_vcc 1
		.amdhsa_float_round_mode_32 0
		.amdhsa_float_round_mode_16_64 0
		.amdhsa_float_denorm_mode_32 3
		.amdhsa_float_denorm_mode_16_64 3
		.amdhsa_dx10_clamp 1
		.amdhsa_ieee_mode 1
		.amdhsa_fp16_overflow 0
		.amdhsa_tg_split 0
		.amdhsa_exception_fp_ieee_invalid_op 0
		.amdhsa_exception_fp_denorm_src 0
		.amdhsa_exception_fp_ieee_div_zero 0
		.amdhsa_exception_fp_ieee_overflow 0
		.amdhsa_exception_fp_ieee_underflow 0
		.amdhsa_exception_fp_ieee_inexact 0
		.amdhsa_exception_int_div_zero 0
	.end_amdhsa_kernel
	.section	.text._ZN12_GLOBAL__N_120geam_min_plus_kernelIdddLi4ELi64ELi128ELi128ELi4ELi64ELi4ELi4ELi64ELc78ELc78ELb0ELb0ELb0EdKPKdKPdEEviiiT16_PT17_ilS8_ilS6_S8_ilPT18_ili26rocblas_geam_ex_operation_,"axG",@progbits,_ZN12_GLOBAL__N_120geam_min_plus_kernelIdddLi4ELi64ELi128ELi128ELi4ELi64ELi4ELi4ELi64ELc78ELc78ELb0ELb0ELb0EdKPKdKPdEEviiiT16_PT17_ilS8_ilS6_S8_ilPT18_ili26rocblas_geam_ex_operation_,comdat
.Lfunc_end131:
	.size	_ZN12_GLOBAL__N_120geam_min_plus_kernelIdddLi4ELi64ELi128ELi128ELi4ELi64ELi4ELi4ELi64ELc78ELc78ELb0ELb0ELb0EdKPKdKPdEEviiiT16_PT17_ilS8_ilS6_S8_ilPT18_ili26rocblas_geam_ex_operation_, .Lfunc_end131-_ZN12_GLOBAL__N_120geam_min_plus_kernelIdddLi4ELi64ELi128ELi128ELi4ELi64ELi4ELi4ELi64ELc78ELc78ELb0ELb0ELb0EdKPKdKPdEEviiiT16_PT17_ilS8_ilS6_S8_ilPT18_ili26rocblas_geam_ex_operation_
                                        ; -- End function
	.set _ZN12_GLOBAL__N_120geam_min_plus_kernelIdddLi4ELi64ELi128ELi128ELi4ELi64ELi4ELi4ELi64ELc78ELc78ELb0ELb0ELb0EdKPKdKPdEEviiiT16_PT17_ilS8_ilS6_S8_ilPT18_ili26rocblas_geam_ex_operation_.num_vgpr, 254
	.set _ZN12_GLOBAL__N_120geam_min_plus_kernelIdddLi4ELi64ELi128ELi128ELi4ELi64ELi4ELi4ELi64ELc78ELc78ELb0ELb0ELb0EdKPKdKPdEEviiiT16_PT17_ilS8_ilS6_S8_ilPT18_ili26rocblas_geam_ex_operation_.num_agpr, 0
	.set _ZN12_GLOBAL__N_120geam_min_plus_kernelIdddLi4ELi64ELi128ELi128ELi4ELi64ELi4ELi4ELi64ELc78ELc78ELb0ELb0ELb0EdKPKdKPdEEviiiT16_PT17_ilS8_ilS6_S8_ilPT18_ili26rocblas_geam_ex_operation_.numbered_sgpr, 28
	.set _ZN12_GLOBAL__N_120geam_min_plus_kernelIdddLi4ELi64ELi128ELi128ELi4ELi64ELi4ELi4ELi64ELc78ELc78ELb0ELb0ELb0EdKPKdKPdEEviiiT16_PT17_ilS8_ilS6_S8_ilPT18_ili26rocblas_geam_ex_operation_.num_named_barrier, 0
	.set _ZN12_GLOBAL__N_120geam_min_plus_kernelIdddLi4ELi64ELi128ELi128ELi4ELi64ELi4ELi4ELi64ELc78ELc78ELb0ELb0ELb0EdKPKdKPdEEviiiT16_PT17_ilS8_ilS6_S8_ilPT18_ili26rocblas_geam_ex_operation_.private_seg_size, 0
	.set _ZN12_GLOBAL__N_120geam_min_plus_kernelIdddLi4ELi64ELi128ELi128ELi4ELi64ELi4ELi4ELi64ELc78ELc78ELb0ELb0ELb0EdKPKdKPdEEviiiT16_PT17_ilS8_ilS6_S8_ilPT18_ili26rocblas_geam_ex_operation_.uses_vcc, 1
	.set _ZN12_GLOBAL__N_120geam_min_plus_kernelIdddLi4ELi64ELi128ELi128ELi4ELi64ELi4ELi4ELi64ELc78ELc78ELb0ELb0ELb0EdKPKdKPdEEviiiT16_PT17_ilS8_ilS6_S8_ilPT18_ili26rocblas_geam_ex_operation_.uses_flat_scratch, 0
	.set _ZN12_GLOBAL__N_120geam_min_plus_kernelIdddLi4ELi64ELi128ELi128ELi4ELi64ELi4ELi4ELi64ELc78ELc78ELb0ELb0ELb0EdKPKdKPdEEviiiT16_PT17_ilS8_ilS6_S8_ilPT18_ili26rocblas_geam_ex_operation_.has_dyn_sized_stack, 0
	.set _ZN12_GLOBAL__N_120geam_min_plus_kernelIdddLi4ELi64ELi128ELi128ELi4ELi64ELi4ELi4ELi64ELc78ELc78ELb0ELb0ELb0EdKPKdKPdEEviiiT16_PT17_ilS8_ilS6_S8_ilPT18_ili26rocblas_geam_ex_operation_.has_recursion, 0
	.set _ZN12_GLOBAL__N_120geam_min_plus_kernelIdddLi4ELi64ELi128ELi128ELi4ELi64ELi4ELi4ELi64ELc78ELc78ELb0ELb0ELb0EdKPKdKPdEEviiiT16_PT17_ilS8_ilS6_S8_ilPT18_ili26rocblas_geam_ex_operation_.has_indirect_call, 0
	.section	.AMDGPU.csdata,"",@progbits
; Kernel info:
; codeLenInByte = 13064
; TotalNumSgprs: 34
; NumVgprs: 254
; NumAgprs: 0
; TotalNumVgprs: 254
; ScratchSize: 0
; MemoryBound: 0
; FloatMode: 240
; IeeeMode: 1
; LDSByteSize: 16384 bytes/workgroup (compile time only)
; SGPRBlocks: 4
; VGPRBlocks: 31
; NumSGPRsForWavesPerEU: 34
; NumVGPRsForWavesPerEU: 254
; AccumOffset: 256
; Occupancy: 2
; WaveLimiterHint : 1
; COMPUTE_PGM_RSRC2:SCRATCH_EN: 0
; COMPUTE_PGM_RSRC2:USER_SGPR: 2
; COMPUTE_PGM_RSRC2:TRAP_HANDLER: 0
; COMPUTE_PGM_RSRC2:TGID_X_EN: 1
; COMPUTE_PGM_RSRC2:TGID_Y_EN: 0
; COMPUTE_PGM_RSRC2:TGID_Z_EN: 1
; COMPUTE_PGM_RSRC2:TIDIG_COMP_CNT: 1
; COMPUTE_PGM_RSRC3_GFX90A:ACCUM_OFFSET: 63
; COMPUTE_PGM_RSRC3_GFX90A:TG_SPLIT: 0
	.section	.text._ZN12_GLOBAL__N_120geam_min_plus_kernelIdddLi4ELi64ELi128ELi128ELi4ELi64ELi4ELi4ELi64ELc78ELc78ELb0ELb1ELb0EPKdKS2_KPdEEviiiT16_PT17_ilS8_ilS6_S8_ilPT18_ili26rocblas_geam_ex_operation_,"axG",@progbits,_ZN12_GLOBAL__N_120geam_min_plus_kernelIdddLi4ELi64ELi128ELi128ELi4ELi64ELi4ELi4ELi64ELc78ELc78ELb0ELb1ELb0EPKdKS2_KPdEEviiiT16_PT17_ilS8_ilS6_S8_ilPT18_ili26rocblas_geam_ex_operation_,comdat
	.globl	_ZN12_GLOBAL__N_120geam_min_plus_kernelIdddLi4ELi64ELi128ELi128ELi4ELi64ELi4ELi4ELi64ELc78ELc78ELb0ELb1ELb0EPKdKS2_KPdEEviiiT16_PT17_ilS8_ilS6_S8_ilPT18_ili26rocblas_geam_ex_operation_ ; -- Begin function _ZN12_GLOBAL__N_120geam_min_plus_kernelIdddLi4ELi64ELi128ELi128ELi4ELi64ELi4ELi4ELi64ELc78ELc78ELb0ELb1ELb0EPKdKS2_KPdEEviiiT16_PT17_ilS8_ilS6_S8_ilPT18_ili26rocblas_geam_ex_operation_
	.p2align	8
	.type	_ZN12_GLOBAL__N_120geam_min_plus_kernelIdddLi4ELi64ELi128ELi128ELi4ELi64ELi4ELi4ELi64ELc78ELc78ELb0ELb1ELb0EPKdKS2_KPdEEviiiT16_PT17_ilS8_ilS6_S8_ilPT18_ili26rocblas_geam_ex_operation_,@function
_ZN12_GLOBAL__N_120geam_min_plus_kernelIdddLi4ELi64ELi128ELi128ELi4ELi64ELi4ELi4ELi64ELc78ELc78ELb0ELb1ELb0EPKdKS2_KPdEEviiiT16_PT17_ilS8_ilS6_S8_ilPT18_ili26rocblas_geam_ex_operation_: ; @_ZN12_GLOBAL__N_120geam_min_plus_kernelIdddLi4ELi64ELi128ELi128ELi4ELi64ELi4ELi4ELi64ELc78ELc78ELb0ELb1ELb0EPKdKS2_KPdEEviiiT16_PT17_ilS8_ilS6_S8_ilPT18_ili26rocblas_geam_ex_operation_
; %bb.0:
	s_load_dwordx4 s[12:15], s[0:1], 0x10
	s_load_dwordx4 s[8:11], s[0:1], 0x28
	;; [unrolled: 1-line block ×3, first 2 shown]
	s_mov_b32 s16, s3
	s_mov_b32 s17, 0
	s_lshl_b64 s[22:23], s[16:17], 3
	s_waitcnt lgkmcnt(0)
	s_add_u32 s18, s12, s22
	s_addc_u32 s19, s13, s23
	s_load_dwordx2 s[16:17], s[18:19], 0x0
	s_load_dwordx2 s[12:13], s[0:1], 0x50
	s_add_u32 s6, s6, s22
	s_addc_u32 s7, s7, s23
	s_mov_b64 s[18:19], 0
	s_waitcnt lgkmcnt(0)
	v_cmp_eq_f64_e64 s[20:21], s[16:17], 0
	v_cmp_neq_f64_e64 s[24:25], s[16:17], 0
	s_and_b64 vcc, exec, s[20:21]
	s_mov_b64 s[20:21], 0
	s_cbranch_vccnz .LBB132_2
; %bb.1:
	s_add_u32 s14, s14, s22
	s_addc_u32 s15, s15, s23
	s_load_dwordx2 s[14:15], s[14:15], 0x0
	s_lshl_b64 s[8:9], s[8:9], 3
	s_waitcnt lgkmcnt(0)
	s_add_u32 s20, s14, s8
	s_addc_u32 s21, s15, s9
.LBB132_2:
	s_load_dwordx2 s[70:71], s[6:7], 0x0
	s_andn2_b64 vcc, exec, s[24:25]
	s_cbranch_vccnz .LBB132_4
; %bb.3:
	s_add_u32 s6, s10, s22
	s_addc_u32 s7, s11, s23
	s_load_dwordx2 s[6:7], s[6:7], 0x0
	s_lshl_b64 s[4:5], s[4:5], 3
	s_waitcnt lgkmcnt(0)
	s_add_u32 s18, s6, s4
	s_addc_u32 s19, s7, s5
.LBB132_4:
	s_load_dwordx4 s[4:7], s[0:1], 0x60
	s_waitcnt lgkmcnt(0)
	v_cmp_eq_f64_e64 s[8:9], s[70:71], 0
	s_mov_b64 s[76:77], 0
	v_cmp_neq_f64_e64 s[10:11], s[70:71], 0
	s_and_b64 vcc, exec, s[8:9]
	s_cbranch_vccnz .LBB132_6
; %bb.5:
	s_add_u32 s8, s12, s22
	s_addc_u32 s9, s13, s23
	s_load_dwordx2 s[8:9], s[8:9], 0x0
	s_lshl_b64 s[4:5], s[4:5], 3
	s_waitcnt lgkmcnt(0)
	s_add_u32 s76, s8, s4
	s_addc_u32 s77, s9, s5
.LBB132_6:
	s_load_dwordx4 s[72:75], s[0:1], 0x0
	s_load_dword s26, s[0:1], 0x20
	s_add_u32 s12, s6, s22
	s_addc_u32 s13, s7, s23
	v_and_b32_e32 v144, 0x3ff, v0
	s_waitcnt lgkmcnt(0)
	s_add_i32 s3, s72, -1
	s_ashr_i32 s4, s3, 31
	s_lshr_b32 s4, s4, 25
	s_add_i32 s3, s3, s4
	s_ashr_i32 s3, s3, 7
	s_add_i32 s4, s3, 1
	v_cvt_f32_u32_e32 v1, s4
	v_bfe_u32 v145, v0, 10, 10
	s_not_b32 s3, s3
	v_lshl_add_u32 v6, v145, 2, v144
	v_rcp_iflag_f32_e32 v1, v1
	v_lshrrev_b32_e32 v146, 6, v6
	v_and_b32_e32 v138, 63, v6
	v_cmp_le_i32_e32 vcc, s74, v146
	v_mul_f32_e32 v0, 0x4f7ffffe, v1
	v_cvt_u32_f32_e32 v0, v0
	v_cmp_eq_f64_e64 s[14:15], s[16:17], 0
	v_readfirstlane_b32 s5, v0
	s_mul_i32 s3, s3, s5
	s_mul_hi_u32 s3, s5, s3
	s_add_i32 s5, s5, s3
	s_mul_hi_u32 s3, s2, s5
	s_mul_i32 s5, s3, s4
	s_sub_i32 s5, s2, s5
	s_add_i32 s6, s3, 1
	s_sub_i32 s7, s5, s4
	s_cmp_ge_u32 s5, s4
	s_cselect_b32 s3, s6, s3
	s_cselect_b32 s5, s7, s5
	s_add_i32 s6, s3, 1
	s_cmp_ge_u32 s5, s4
	s_cselect_b32 s8, s6, s3
	s_mul_i32 s3, s8, s4
	s_add_i32 s27, s74, -1
	s_sub_i32 s2, s2, s3
	s_lshl_b32 s24, s2, 7
	v_min_i32_e32 v2, s27, v146
	v_or_b32_e32 v128, s24, v138
	v_mad_i64_i32 v[2:3], s[2:3], s26, v2, 0
	v_cmp_le_i32_e64 s[2:3], s72, v128
	s_or_b64 s[4:5], s[2:3], vcc
	v_mov_b64_e32 v[0:1], 0
	v_lshl_add_u64 v[4:5], v[2:3], 3, s[20:21]
	s_nor_b64 s[6:7], s[14:15], s[4:5]
	v_ashrrev_i32_e32 v129, 31, v128
	v_mov_b64_e32 v[2:3], 0
	s_and_saveexec_b64 s[4:5], s[6:7]
	s_cbranch_execz .LBB132_8
; %bb.7:
	v_lshl_add_u64 v[2:3], v[128:129], 3, v[4:5]
	flat_load_dwordx2 v[2:3], v[2:3]
	s_waitcnt vmcnt(0) lgkmcnt(0)
	v_mul_f64 v[2:3], s[16:17], v[2:3]
.LBB132_8:
	s_or_b64 exec, exec, s[4:5]
	v_or_b32_e32 v7, 64, v128
	v_cmp_le_i32_e64 s[4:5], s72, v7
	s_or_b64 s[6:7], s[4:5], vcc
	s_nor_b64 s[22:23], s[14:15], s[6:7]
	s_and_saveexec_b64 s[6:7], s[22:23]
	s_cbranch_execz .LBB132_10
; %bb.9:
	v_lshl_add_u64 v[0:1], v[128:129], 3, v[4:5]
	flat_load_dwordx2 v[0:1], v[0:1] offset:512
	s_waitcnt vmcnt(0) lgkmcnt(0)
	v_mul_f64 v[0:1], s[16:17], v[0:1]
.LBB132_10:
	s_or_b64 exec, exec, s[6:7]
	s_load_dword s29, s[0:1], 0x38
	v_lshrrev_b32_e32 v10, 2, v6
	s_lshl_b32 s25, s8, 7
	v_and_b32_e32 v147, 3, v144
	v_add_u32_e32 v139, s25, v10
	v_cmp_le_i32_e32 vcc, s74, v147
	v_min_i32_e32 v4, s27, v147
	v_cmp_le_i32_e64 s[6:7], s73, v139
	v_ashrrev_i32_e32 v5, 31, v4
	s_or_b64 s[8:9], vcc, s[6:7]
	v_lshl_add_u64 v[8:9], v[4:5], 3, s[18:19]
	s_nor_b64 s[22:23], s[14:15], s[8:9]
	v_mov_b64_e32 v[4:5], 0
	v_mov_b64_e32 v[6:7], 0
	s_and_saveexec_b64 s[8:9], s[22:23]
	s_cbranch_execz .LBB132_12
; %bb.11:
	s_waitcnt lgkmcnt(0)
	v_mad_i64_i32 v[6:7], s[22:23], v139, s29, 0
	v_lshl_add_u64 v[6:7], v[6:7], 3, v[8:9]
	flat_load_dwordx2 v[6:7], v[6:7]
	s_waitcnt vmcnt(0) lgkmcnt(0)
	v_mul_f64 v[6:7], s[16:17], v[6:7]
.LBB132_12:
	s_or_b64 exec, exec, s[8:9]
	v_add_u32_e32 v140, 64, v139
	v_cmp_le_i32_e64 s[8:9], s73, v140
	s_or_b64 s[22:23], vcc, s[8:9]
	s_nor_b64 s[30:31], s[14:15], s[22:23]
	s_and_saveexec_b64 s[22:23], s[30:31]
	s_cbranch_execz .LBB132_14
; %bb.13:
	s_waitcnt lgkmcnt(0)
	v_mad_i64_i32 v[4:5], s[30:31], v140, s29, 0
	v_lshl_add_u64 v[4:5], v[4:5], 3, v[8:9]
	flat_load_dwordx2 v[4:5], v[4:5]
	s_waitcnt vmcnt(0) lgkmcnt(0)
	v_mul_f64 v[4:5], s[16:17], v[4:5]
.LBB132_14:
	s_or_b64 exec, exec, s[22:23]
	v_add_u32_e32 v8, 4, v146
	v_cmp_le_i32_e32 vcc, s74, v8
	v_min_i32_e32 v8, s27, v8
	v_mad_i64_i32 v[8:9], s[22:23], s26, v8, 0
	s_or_b64 s[22:23], s[2:3], vcc
	v_lshl_add_u64 v[8:9], v[8:9], 3, s[20:21]
	s_nor_b64 s[30:31], s[14:15], s[22:23]
	v_mov_b64_e32 v[130:131], 0
	v_mov_b64_e32 v[132:133], 0
	s_and_saveexec_b64 s[22:23], s[30:31]
	s_cbranch_execz .LBB132_16
; %bb.15:
	v_lshl_add_u64 v[12:13], v[128:129], 3, v[8:9]
	flat_load_dwordx2 v[12:13], v[12:13]
	s_waitcnt vmcnt(0) lgkmcnt(0)
	v_mul_f64 v[132:133], s[16:17], v[12:13]
.LBB132_16:
	s_or_b64 exec, exec, s[22:23]
	s_or_b64 s[22:23], s[4:5], vcc
	s_nor_b64 s[30:31], s[14:15], s[22:23]
	s_and_saveexec_b64 s[22:23], s[30:31]
	s_cbranch_execz .LBB132_18
; %bb.17:
	v_lshl_add_u64 v[8:9], v[128:129], 3, v[8:9]
	flat_load_dwordx2 v[8:9], v[8:9] offset:512
	s_waitcnt vmcnt(0) lgkmcnt(0)
	v_mul_f64 v[130:131], s[16:17], v[8:9]
.LBB132_18:
	s_or_b64 exec, exec, s[22:23]
	v_or_b32_e32 v8, 4, v147
	v_cmp_le_i32_e32 vcc, s74, v8
	v_min_i32_e32 v8, s27, v8
	v_ashrrev_i32_e32 v9, 31, v8
	s_or_b64 s[22:23], vcc, s[6:7]
	v_lshl_add_u64 v[8:9], v[8:9], 3, s[18:19]
	s_nor_b64 s[30:31], s[14:15], s[22:23]
	v_mov_b64_e32 v[134:135], 0
	v_mov_b64_e32 v[136:137], 0
	s_and_saveexec_b64 s[22:23], s[30:31]
	s_cbranch_execz .LBB132_20
; %bb.19:
	s_waitcnt lgkmcnt(0)
	v_mad_i64_i32 v[12:13], s[30:31], v139, s29, 0
	v_lshl_add_u64 v[12:13], v[12:13], 3, v[8:9]
	flat_load_dwordx2 v[12:13], v[12:13]
	s_waitcnt vmcnt(0) lgkmcnt(0)
	v_mul_f64 v[136:137], s[16:17], v[12:13]
.LBB132_20:
	s_or_b64 exec, exec, s[22:23]
	s_load_dwordx2 s[12:13], s[12:13], 0x0
	s_or_b64 s[22:23], vcc, s[8:9]
	s_nor_b64 s[30:31], s[14:15], s[22:23]
	s_and_saveexec_b64 s[22:23], s[30:31]
	s_cbranch_execz .LBB132_22
; %bb.21:
	s_waitcnt lgkmcnt(0)
	v_mad_i64_i32 v[12:13], s[30:31], v140, s29, 0
	v_lshl_add_u64 v[8:9], v[12:13], 3, v[8:9]
	flat_load_dwordx2 v[8:9], v[8:9]
	s_waitcnt vmcnt(0) lgkmcnt(0)
	v_mul_f64 v[134:135], s[16:17], v[8:9]
.LBB132_22:
	s_or_b64 exec, exec, s[22:23]
	v_lshlrev_b32_e32 v8, 5, v138
	v_lshl_add_u32 v149, v146, 3, v8
	ds_write2st64_b64 v149, v[2:3], v[0:1] offset1:4
	v_lshlrev_b32_e32 v0, 3, v147
	v_lshl_or_b32 v142, v10, 5, v0
	v_lshlrev_b32_e32 v141, 5, v145
	v_add_u32_e32 v150, 0x2000, v142
	ds_write2st64_b64 v142, v[6:7], v[4:5] offset0:16 offset1:20
	v_lshlrev_b32_e32 v151, 5, v144
	v_add_u32_e32 v152, 0x2000, v141
	v_mov_b64_e32 v[126:127], 0
	s_mov_b32 s22, 0
	v_mov_b64_e32 v[124:125], 0
	v_mov_b64_e32 v[122:123], 0
	;; [unrolled: 1-line block ×63, first 2 shown]
	s_waitcnt lgkmcnt(0)
	s_barrier
.LBB132_23:                             ; =>This Inner Loop Header: Depth=1
	v_add_u32_e32 v143, s22, v151
	v_add_u32_e32 v148, s22, v152
	ds_read2_b64 v[154:157], v143 offset1:16
	ds_read2_b64 v[158:161], v143 offset0:32 offset1:48
	ds_read2_b64 v[162:165], v143 offset0:64 offset1:80
	ds_read2_b64 v[166:169], v143 offset0:96 offset1:112
	ds_read2_b64 v[170:173], v143 offset0:128 offset1:144
	ds_read2_b64 v[174:177], v143 offset0:160 offset1:176
	ds_read2_b64 v[178:181], v143 offset0:192 offset1:208
	ds_read2_b64 v[182:185], v143 offset0:224 offset1:240
	ds_read2st64_b64 v[186:189], v148 offset1:4
	v_add_u32_e32 v143, 0x800, v143
	ds_read2_b64 v[190:193], v143 offset1:16
	ds_read2_b64 v[194:197], v143 offset0:32 offset1:48
	ds_read2_b64 v[198:201], v143 offset0:64 offset1:80
	;; [unrolled: 1-line block ×7, first 2 shown]
	s_waitcnt lgkmcnt(14)
	v_max_f64 v[154:155], v[154:155], v[154:155]
	v_max_f64 v[156:157], v[156:157], v[156:157]
	;; [unrolled: 1-line block ×6, first 2 shown]
	s_waitcnt lgkmcnt(13)
	v_max_f64 v[166:167], v[166:167], v[166:167]
	v_max_f64 v[168:169], v[168:169], v[168:169]
	s_waitcnt lgkmcnt(12)
	v_max_f64 v[170:171], v[170:171], v[170:171]
	v_max_f64 v[172:173], v[172:173], v[172:173]
	;; [unrolled: 3-line block ×14, first 2 shown]
	v_min_f64 v[222:223], v[154:155], v[186:187]
	v_min_f64 v[224:225], v[156:157], v[186:187]
	;; [unrolled: 1-line block ×32, first 2 shown]
	s_add_i32 s22, s22, 8
	v_add_f64 v[62:63], v[62:63], v[154:155]
	v_add_f64 v[60:61], v[60:61], v[156:157]
	;; [unrolled: 1-line block ×16, first 2 shown]
	v_min_f64 v[154:155], v[190:191], v[186:187]
	v_min_f64 v[156:157], v[192:193], v[186:187]
	;; [unrolled: 1-line block ×32, first 2 shown]
	s_cmp_eq_u32 s22, 32
	v_add_f64 v[126:127], v[126:127], v[222:223]
	v_add_f64 v[124:125], v[124:125], v[224:225]
	;; [unrolled: 1-line block ×48, first 2 shown]
	s_cbranch_scc0 .LBB132_23
; %bb.24:
	v_lshlrev_b32_e32 v143, 3, v146
	v_lshl_add_u32 v138, v138, 5, v143
	s_cmp_gt_i32 s74, 8
	ds_write2st64_b64 v138, v[132:133], v[130:131] offset0:8 offset1:12
	ds_write2st64_b64 v142, v[136:137], v[134:135] offset0:24 offset1:28
	s_waitcnt lgkmcnt(0)
	s_barrier
	s_cbranch_scc1 .LBB132_26
; %bb.25:
	v_add_u32_e32 v148, 0x3000, v141
	s_cbranch_execz .LBB132_27
	s_branch .LBB132_49
.LBB132_26:
                                        ; implicit-def: $vgpr148
.LBB132_27:
	v_mov_b32_e32 v134, 0x1000
	v_or_b32_e32 v153, 0x1000, v138
	v_add_u32_e32 v154, 0x3000, v142
	s_add_i32 s28, s74, -8
	s_or_b64 s[6:7], s[6:7], s[14:15]
	s_or_b64 s[8:9], s[8:9], s[14:15]
	v_mad_i64_i32 v[130:131], s[22:23], v139, s29, 0
	v_mad_i64_i32 v[132:133], s[22:23], v140, s29, 0
	v_lshl_add_u32 v155, v144, 5, v134
	v_add_u32_e32 v148, 0x3000, v141
	s_mov_b32 s29, 8
	s_mov_b32 s30, 0
.LBB132_28:                             ; =>This Loop Header: Depth=1
                                        ;     Child Loop BB132_37 Depth 2
                                        ;     Child Loop BB132_47 Depth 2
	v_add_u32_e32 v134, s29, v146
	v_cmp_le_i32_e32 vcc, s74, v134
	v_min_i32_e32 v134, s27, v134
	v_mad_i64_i32 v[134:135], s[22:23], v134, s26, 0
	v_lshl_add_u64 v[136:137], v[134:135], 3, s[20:21]
	s_or_b64 s[22:23], s[2:3], vcc
	s_nor_b64 s[34:35], s[14:15], s[22:23]
	v_mov_b64_e32 v[134:135], 0
	v_lshl_add_u64 v[138:139], v[128:129], 3, v[136:137]
	v_mov_b64_e32 v[136:137], 0
	s_and_saveexec_b64 s[22:23], s[34:35]
	s_cbranch_execz .LBB132_30
; %bb.29:                               ;   in Loop: Header=BB132_28 Depth=1
	flat_load_dwordx2 v[136:137], v[138:139]
	s_waitcnt vmcnt(0) lgkmcnt(0)
	v_mul_f64 v[136:137], s[16:17], v[136:137]
.LBB132_30:                             ;   in Loop: Header=BB132_28 Depth=1
	s_or_b64 exec, exec, s[22:23]
	s_or_b64 s[22:23], s[4:5], vcc
	s_nor_b64 s[34:35], s[14:15], s[22:23]
	s_and_saveexec_b64 s[22:23], s[34:35]
	s_cbranch_execz .LBB132_32
; %bb.31:                               ;   in Loop: Header=BB132_28 Depth=1
	flat_load_dwordx2 v[134:135], v[138:139] offset:512
	s_waitcnt vmcnt(0) lgkmcnt(0)
	v_mul_f64 v[134:135], s[16:17], v[134:135]
.LBB132_32:                             ;   in Loop: Header=BB132_28 Depth=1
	s_or_b64 exec, exec, s[22:23]
	v_or_b32_e32 v156, s29, v147
	v_min_i32_e32 v138, s27, v156
	v_cmp_le_i32_e32 vcc, s74, v156
	v_ashrrev_i32_e32 v139, 31, v138
	v_lshl_add_u64 v[142:143], v[138:139], 3, s[18:19]
	s_nor_b64 s[34:35], vcc, s[6:7]
	v_mov_b64_e32 v[138:139], 0
	v_mov_b64_e32 v[140:141], 0
	s_and_saveexec_b64 s[22:23], s[34:35]
	s_cbranch_execz .LBB132_34
; %bb.33:                               ;   in Loop: Header=BB132_28 Depth=1
	v_lshl_add_u64 v[140:141], v[130:131], 3, v[142:143]
	flat_load_dwordx2 v[140:141], v[140:141]
	s_waitcnt vmcnt(0) lgkmcnt(0)
	v_mul_f64 v[140:141], s[16:17], v[140:141]
.LBB132_34:                             ;   in Loop: Header=BB132_28 Depth=1
	s_or_b64 exec, exec, s[22:23]
	s_nor_b64 s[34:35], vcc, s[8:9]
	s_and_saveexec_b64 s[22:23], s[34:35]
	s_cbranch_execz .LBB132_36
; %bb.35:                               ;   in Loop: Header=BB132_28 Depth=1
	v_lshl_add_u64 v[138:139], v[132:133], 3, v[142:143]
	flat_load_dwordx2 v[138:139], v[138:139]
	s_waitcnt vmcnt(0) lgkmcnt(0)
	v_mul_f64 v[138:139], s[16:17], v[138:139]
.LBB132_36:                             ;   in Loop: Header=BB132_28 Depth=1
	s_or_b64 exec, exec, s[22:23]
	s_mov_b32 s22, 0
.LBB132_37:                             ;   Parent Loop BB132_28 Depth=1
                                        ; =>  This Inner Loop Header: Depth=2
	v_add_u32_e32 v142, s22, v155
	ds_read2_b64 v[158:161], v142 offset1:16
	ds_read2_b64 v[162:165], v142 offset0:32 offset1:48
	ds_read2_b64 v[166:169], v142 offset0:64 offset1:80
	;; [unrolled: 1-line block ×7, first 2 shown]
	v_add_u32_e32 v142, 0x800, v142
	ds_read2_b64 v[190:193], v142 offset1:16
	ds_read2_b64 v[194:197], v142 offset0:32 offset1:48
	ds_read2_b64 v[198:201], v142 offset0:64 offset1:80
	;; [unrolled: 1-line block ×7, first 2 shown]
	v_add_u32_e32 v142, s22, v148
	ds_read2st64_b64 v[222:225], v142 offset1:4
	s_waitcnt lgkmcnt(14)
	v_max_f64 v[158:159], v[158:159], v[158:159]
	v_max_f64 v[160:161], v[160:161], v[160:161]
	;; [unrolled: 1-line block ×4, first 2 shown]
	s_waitcnt lgkmcnt(0)
	v_max_f64 v[142:143], v[222:223], v[222:223]
	v_min_f64 v[222:223], v[158:159], v[142:143]
	v_add_f64 v[126:127], v[126:127], v[222:223]
	v_min_f64 v[222:223], v[160:161], v[142:143]
	v_add_f64 v[124:125], v[124:125], v[222:223]
	;; [unrolled: 2-line block ×3, first 2 shown]
	v_min_f64 v[222:223], v[164:165], v[142:143]
	v_max_f64 v[166:167], v[166:167], v[166:167]
	v_add_f64 v[120:121], v[120:121], v[222:223]
	v_min_f64 v[222:223], v[166:167], v[142:143]
	v_max_f64 v[168:169], v[168:169], v[168:169]
	v_add_f64 v[118:119], v[118:119], v[222:223]
	;; [unrolled: 3-line block ×26, first 2 shown]
	v_min_f64 v[222:223], v[216:217], v[142:143]
	v_max_f64 v[218:219], v[218:219], v[218:219]
	v_max_f64 v[220:221], v[220:221], v[220:221]
	v_add_f64 v[68:69], v[68:69], v[222:223]
	v_min_f64 v[222:223], v[218:219], v[142:143]
	v_min_f64 v[142:143], v[220:221], v[142:143]
	v_add_f64 v[64:65], v[64:65], v[142:143]
	v_max_f64 v[142:143], v[224:225], v[224:225]
	v_min_f64 v[158:159], v[158:159], v[142:143]
	v_add_f64 v[62:63], v[62:63], v[158:159]
	v_min_f64 v[158:159], v[160:161], v[142:143]
	v_add_f64 v[60:61], v[60:61], v[158:159]
	;; [unrolled: 2-line block ×30, first 2 shown]
	v_min_f64 v[158:159], v[218:219], v[142:143]
	v_min_f64 v[142:143], v[220:221], v[142:143]
	s_add_i32 s22, s22, 8
	v_add_f64 v[66:67], v[66:67], v[222:223]
	v_add_f64 v[2:3], v[2:3], v[158:159]
	;; [unrolled: 1-line block ×3, first 2 shown]
	s_cmp_eq_u32 s22, 32
	s_cbranch_scc0 .LBB132_37
; %bb.38:                               ;   in Loop: Header=BB132_28 Depth=1
	ds_write2st64_b64 v149, v[136:137], v[134:135] offset1:4
	ds_write2st64_b64 v150, v[140:141], v[138:139] offset1:4
	v_add3_u32 v134, v146, s29, 4
	v_cmp_le_i32_e32 vcc, s74, v134
	v_min_i32_e32 v134, s27, v134
	v_mad_i64_i32 v[134:135], s[22:23], v134, s26, 0
	v_lshl_add_u64 v[136:137], v[134:135], 3, s[20:21]
	s_or_b64 s[22:23], s[2:3], vcc
	s_nor_b64 s[34:35], s[14:15], s[22:23]
	v_mov_b64_e32 v[134:135], 0
	v_lshl_add_u64 v[138:139], v[128:129], 3, v[136:137]
	v_mov_b64_e32 v[136:137], 0
	s_waitcnt lgkmcnt(0)
	s_barrier
	s_and_saveexec_b64 s[22:23], s[34:35]
	s_cbranch_execz .LBB132_40
; %bb.39:                               ;   in Loop: Header=BB132_28 Depth=1
	flat_load_dwordx2 v[136:137], v[138:139]
	s_waitcnt vmcnt(0) lgkmcnt(0)
	v_mul_f64 v[136:137], s[16:17], v[136:137]
.LBB132_40:                             ;   in Loop: Header=BB132_28 Depth=1
	s_or_b64 exec, exec, s[22:23]
	s_or_b64 s[22:23], s[4:5], vcc
	s_nor_b64 s[34:35], s[14:15], s[22:23]
	s_and_saveexec_b64 s[22:23], s[34:35]
	s_cbranch_execz .LBB132_42
; %bb.41:                               ;   in Loop: Header=BB132_28 Depth=1
	flat_load_dwordx2 v[134:135], v[138:139] offset:512
	s_waitcnt vmcnt(0) lgkmcnt(0)
	v_mul_f64 v[134:135], s[16:17], v[134:135]
.LBB132_42:                             ;   in Loop: Header=BB132_28 Depth=1
	s_or_b64 exec, exec, s[22:23]
	v_or_b32_e32 v138, 4, v156
	v_cmp_le_i32_e32 vcc, s74, v138
	v_min_i32_e32 v138, s27, v138
	v_ashrrev_i32_e32 v139, 31, v138
	v_lshl_add_u64 v[142:143], v[138:139], 3, s[18:19]
	s_nor_b64 s[34:35], vcc, s[6:7]
	v_mov_b64_e32 v[138:139], 0
	v_mov_b64_e32 v[140:141], 0
	s_and_saveexec_b64 s[22:23], s[34:35]
	s_cbranch_execz .LBB132_44
; %bb.43:                               ;   in Loop: Header=BB132_28 Depth=1
	v_lshl_add_u64 v[140:141], v[130:131], 3, v[142:143]
	flat_load_dwordx2 v[140:141], v[140:141]
	s_waitcnt vmcnt(0) lgkmcnt(0)
	v_mul_f64 v[140:141], s[16:17], v[140:141]
.LBB132_44:                             ;   in Loop: Header=BB132_28 Depth=1
	s_or_b64 exec, exec, s[22:23]
	s_nor_b64 s[34:35], vcc, s[8:9]
	s_and_saveexec_b64 s[22:23], s[34:35]
	s_cbranch_execz .LBB132_46
; %bb.45:                               ;   in Loop: Header=BB132_28 Depth=1
	v_lshl_add_u64 v[138:139], v[132:133], 3, v[142:143]
	flat_load_dwordx2 v[138:139], v[138:139]
	s_waitcnt vmcnt(0) lgkmcnt(0)
	v_mul_f64 v[138:139], s[16:17], v[138:139]
.LBB132_46:                             ;   in Loop: Header=BB132_28 Depth=1
	s_or_b64 exec, exec, s[22:23]
	s_mov_b32 s22, 0
.LBB132_47:                             ;   Parent Loop BB132_28 Depth=1
                                        ; =>  This Inner Loop Header: Depth=2
	v_add_u32_e32 v142, s22, v151
	v_add_u32_e32 v143, s22, v152
	ds_read2_b64 v[156:159], v142 offset1:16
	ds_read2_b64 v[160:163], v142 offset0:32 offset1:48
	ds_read2_b64 v[164:167], v142 offset0:64 offset1:80
	;; [unrolled: 1-line block ×7, first 2 shown]
	v_add_u32_e32 v142, 0x800, v142
	ds_read2st64_b64 v[188:191], v143 offset1:4
	ds_read2_b64 v[192:195], v142 offset1:16
	ds_read2_b64 v[196:199], v142 offset0:32 offset1:48
	ds_read2_b64 v[200:203], v142 offset0:64 offset1:80
	;; [unrolled: 1-line block ×7, first 2 shown]
	s_waitcnt lgkmcnt(14)
	v_max_f64 v[156:157], v[156:157], v[156:157]
	v_max_f64 v[158:159], v[158:159], v[158:159]
	;; [unrolled: 1-line block ×3, first 2 shown]
	s_waitcnt lgkmcnt(8)
	v_max_f64 v[142:143], v[188:189], v[188:189]
	v_max_f64 v[162:163], v[162:163], v[162:163]
	v_max_f64 v[164:165], v[164:165], v[164:165]
	v_max_f64 v[166:167], v[166:167], v[166:167]
	v_max_f64 v[168:169], v[168:169], v[168:169]
	v_max_f64 v[170:171], v[170:171], v[170:171]
	v_max_f64 v[172:173], v[172:173], v[172:173]
	v_max_f64 v[174:175], v[174:175], v[174:175]
	v_max_f64 v[176:177], v[176:177], v[176:177]
	v_max_f64 v[178:179], v[178:179], v[178:179]
	v_max_f64 v[180:181], v[180:181], v[180:181]
	v_max_f64 v[182:183], v[182:183], v[182:183]
	v_max_f64 v[184:185], v[184:185], v[184:185]
	v_max_f64 v[186:187], v[186:187], v[186:187]
	v_max_f64 v[188:189], v[190:191], v[190:191]
	v_min_f64 v[190:191], v[156:157], v[142:143]
	v_min_f64 v[224:225], v[158:159], v[142:143]
	;; [unrolled: 1-line block ×16, first 2 shown]
	s_waitcnt lgkmcnt(7)
	v_max_f64 v[192:193], v[192:193], v[192:193]
	v_max_f64 v[194:195], v[194:195], v[194:195]
	s_waitcnt lgkmcnt(6)
	v_max_f64 v[196:197], v[196:197], v[196:197]
	v_max_f64 v[198:199], v[198:199], v[198:199]
	;; [unrolled: 3-line block ×8, first 2 shown]
	v_min_f64 v[156:157], v[156:157], v[188:189]
	v_min_f64 v[158:159], v[158:159], v[188:189]
	;; [unrolled: 1-line block ×16, first 2 shown]
	s_add_i32 s22, s22, 8
	v_add_f64 v[126:127], v[126:127], v[190:191]
	v_add_f64 v[124:125], v[124:125], v[224:225]
	;; [unrolled: 1-line block ×15, first 2 shown]
	v_min_f64 v[190:191], v[192:193], v[142:143]
	v_min_f64 v[224:225], v[194:195], v[142:143]
	;; [unrolled: 1-line block ×16, first 2 shown]
	v_add_f64 v[62:63], v[62:63], v[156:157]
	v_add_f64 v[60:61], v[60:61], v[158:159]
	;; [unrolled: 1-line block ×16, first 2 shown]
	v_min_f64 v[156:157], v[192:193], v[188:189]
	v_min_f64 v[158:159], v[194:195], v[188:189]
	;; [unrolled: 1-line block ×16, first 2 shown]
	s_cmp_eq_u32 s22, 32
	v_add_f64 v[96:97], v[96:97], v[252:253]
	v_add_f64 v[94:95], v[94:95], v[190:191]
	;; [unrolled: 1-line block ×33, first 2 shown]
	s_cbranch_scc0 .LBB132_47
; %bb.48:                               ;   in Loop: Header=BB132_28 Depth=1
	s_add_i32 s29, s29, 8
	s_add_i32 s30, s30, 8
	s_cmp_ge_i32 s30, s28
	ds_write2st64_b64 v153, v[136:137], v[134:135] offset1:4
	ds_write2st64_b64 v154, v[140:141], v[138:139] offset1:4
	s_waitcnt lgkmcnt(0)
	s_barrier
	s_cbranch_scc0 .LBB132_28
.LBB132_49:
	v_mov_b32_e32 v128, 0x1000
	v_lshl_add_u32 v128, v144, 5, v128
	s_mov_b32 s2, 0
.LBB132_50:                             ; =>This Inner Loop Header: Depth=1
	v_add_u32_e32 v129, s2, v128
	v_add_u32_e32 v142, s2, v148
	ds_read2_b64 v[130:133], v129 offset1:16
	ds_read2_b64 v[134:137], v129 offset0:32 offset1:48
	ds_read2_b64 v[138:141], v129 offset0:64 offset1:80
	;; [unrolled: 1-line block ×7, first 2 shown]
	v_add_u32_e32 v129, 0x800, v129
	ds_read2st64_b64 v[170:173], v142 offset1:4
	ds_read2_b64 v[174:177], v129 offset1:16
	ds_read2_b64 v[178:181], v129 offset0:32 offset1:48
	ds_read2_b64 v[182:185], v129 offset0:64 offset1:80
	;; [unrolled: 1-line block ×7, first 2 shown]
	s_waitcnt lgkmcnt(14)
	v_max_f64 v[130:131], v[130:131], v[130:131]
	v_max_f64 v[132:133], v[132:133], v[132:133]
	;; [unrolled: 1-line block ×3, first 2 shown]
	s_waitcnt lgkmcnt(8)
	v_max_f64 v[142:143], v[170:171], v[170:171]
	v_max_f64 v[136:137], v[136:137], v[136:137]
	;; [unrolled: 1-line block ×15, first 2 shown]
	v_min_f64 v[170:171], v[130:131], v[142:143]
	v_min_f64 v[172:173], v[132:133], v[142:143]
	;; [unrolled: 1-line block ×16, first 2 shown]
	s_waitcnt lgkmcnt(7)
	v_max_f64 v[174:175], v[174:175], v[174:175]
	v_max_f64 v[176:177], v[176:177], v[176:177]
	s_waitcnt lgkmcnt(6)
	v_max_f64 v[178:179], v[178:179], v[178:179]
	v_max_f64 v[180:181], v[180:181], v[180:181]
	;; [unrolled: 3-line block ×8, first 2 shown]
	v_min_f64 v[130:131], v[130:131], v[168:169]
	v_min_f64 v[132:133], v[132:133], v[168:169]
	;; [unrolled: 1-line block ×16, first 2 shown]
	s_add_i32 s2, s2, 8
	v_add_f64 v[126:127], v[126:127], v[170:171]
	v_add_f64 v[124:125], v[124:125], v[172:173]
	;; [unrolled: 1-line block ×15, first 2 shown]
	v_min_f64 v[170:171], v[174:175], v[142:143]
	v_min_f64 v[172:173], v[176:177], v[142:143]
	;; [unrolled: 1-line block ×16, first 2 shown]
	v_add_f64 v[62:63], v[62:63], v[130:131]
	v_add_f64 v[60:61], v[60:61], v[132:133]
	;; [unrolled: 1-line block ×16, first 2 shown]
	v_min_f64 v[130:131], v[174:175], v[168:169]
	v_min_f64 v[132:133], v[176:177], v[168:169]
	;; [unrolled: 1-line block ×16, first 2 shown]
	s_cmp_eq_u32 s2, 32
	v_add_f64 v[96:97], v[96:97], v[232:233]
	v_add_f64 v[94:95], v[94:95], v[170:171]
	;; [unrolled: 1-line block ×33, first 2 shown]
	s_cbranch_scc0 .LBB132_50
; %bb.51:
	s_load_dwordx2 s[2:3], s[0:1], 0x78
	s_load_dword s78, s[0:1], 0x58
	s_load_dword s33, s[0:1], 0x70
	v_add_u32_e32 v136, s25, v145
	v_add_u32_e32 v128, s24, v144
	s_waitcnt lgkmcnt(0)
	s_lshl_b64 s[0:1], s[2:3], 3
	s_add_u32 s74, s12, s0
	s_addc_u32 s75, s13, s1
	v_mad_i64_i32 v[130:131], s[0:1], v136, s78, 0
	v_cmp_gt_i32_e64 s[24:25], s73, v136
	v_lshl_add_u64 v[132:133], v[130:131], 3, s[76:77]
	v_mad_i64_i32 v[130:131], s[0:1], v136, s33, 0
	v_cmp_gt_i32_e64 s[2:3], s72, v128
	v_cndmask_b32_e64 v134, 0, 1, s[10:11]
	v_lshl_add_u64 v[130:131], v[130:131], 3, s[74:75]
	s_and_b64 s[6:7], s[24:25], s[2:3]
	v_ashrrev_i32_e32 v129, 31, v128
	v_cmp_ne_u32_e64 s[0:1], 1, v134
	s_and_saveexec_b64 s[4:5], s[6:7]
	s_cbranch_execz .LBB132_56
; %bb.52:
	s_and_b64 vcc, exec, s[0:1]
	s_cbranch_vccnz .LBB132_54
; %bb.53:
	v_lshl_add_u64 v[134:135], v[128:129], 3, v[132:133]
	flat_load_dwordx2 v[134:135], v[134:135]
	s_waitcnt vmcnt(0) lgkmcnt(0)
	v_mul_f64 v[134:135], s[70:71], v[134:135]
	s_branch .LBB132_55
.LBB132_54:
	v_mov_b64_e32 v[134:135], 0
.LBB132_55:
	v_add_f64 v[126:127], v[126:127], v[134:135]
	v_lshl_add_u64 v[134:135], v[128:129], 3, v[130:131]
	flat_store_dwordx2 v[134:135], v[126:127]
.LBB132_56:
	s_or_b64 exec, exec, s[4:5]
	v_add_u32_e32 v126, 4, v128
	v_cmp_gt_i32_e64 s[4:5], s72, v126
	s_and_b64 s[8:9], s[24:25], s[4:5]
	v_ashrrev_i32_e32 v127, 31, v126
	s_and_saveexec_b64 s[6:7], s[8:9]
	s_cbranch_execz .LBB132_61
; %bb.57:
	s_and_b64 vcc, exec, s[0:1]
	s_cbranch_vccnz .LBB132_59
; %bb.58:
	v_lshl_add_u64 v[134:135], v[126:127], 3, v[132:133]
	flat_load_dwordx2 v[134:135], v[134:135]
	s_waitcnt vmcnt(0) lgkmcnt(0)
	v_mul_f64 v[134:135], s[70:71], v[134:135]
	s_branch .LBB132_60
.LBB132_59:
	v_mov_b64_e32 v[134:135], 0
.LBB132_60:
	v_add_f64 v[124:125], v[124:125], v[134:135]
	v_lshl_add_u64 v[134:135], v[126:127], 3, v[130:131]
	flat_store_dwordx2 v[134:135], v[124:125]
.LBB132_61:
	s_or_b64 exec, exec, s[6:7]
	v_add_u32_e32 v124, 8, v128
	v_cmp_gt_i32_e64 s[6:7], s72, v124
	s_and_b64 s[10:11], s[24:25], s[6:7]
	v_ashrrev_i32_e32 v125, 31, v124
	;; [unrolled: 23-line block ×31, first 2 shown]
	s_and_saveexec_b64 s[24:25], s[80:81]
	s_cbranch_execz .LBB132_211
; %bb.207:
	s_and_b64 vcc, exec, s[0:1]
	s_cbranch_vccnz .LBB132_209
; %bb.208:
	v_lshl_add_u64 v[132:133], v[66:67], 3, v[132:133]
	flat_load_dwordx2 v[132:133], v[132:133]
	s_waitcnt vmcnt(0) lgkmcnt(0)
	v_mul_f64 v[132:133], s[70:71], v[132:133]
	s_branch .LBB132_210
.LBB132_209:
	v_mov_b64_e32 v[132:133], 0
.LBB132_210:
	v_add_f64 v[64:65], v[64:65], v[132:133]
	v_lshl_add_u64 v[130:131], v[66:67], 3, v[130:131]
	flat_store_dwordx2 v[130:131], v[64:65]
.LBB132_211:
	s_or_b64 exec, exec, s[24:25]
	v_add_u32_e32 v132, 64, v136
	v_cmp_gt_i32_e64 s[24:25], s73, v132
	v_mad_i64_i32 v[64:65], s[72:73], v132, s78, 0
	v_lshl_add_u64 v[130:131], v[64:65], 3, s[76:77]
	v_mad_i64_i32 v[64:65], s[72:73], v132, s33, 0
	v_lshl_add_u64 v[64:65], v[64:65], 3, s[74:75]
	s_and_b64 s[2:3], s[24:25], s[2:3]
	s_and_saveexec_b64 s[72:73], s[2:3]
	s_xor_b64 s[2:3], exec, s[72:73]
	s_cbranch_execnz .LBB132_244
; %bb.212:
	s_or_b64 exec, exec, s[2:3]
	s_and_b64 s[4:5], s[24:25], s[4:5]
	s_and_saveexec_b64 s[2:3], s[4:5]
	s_cbranch_execnz .LBB132_248
.LBB132_213:
	s_or_b64 exec, exec, s[2:3]
	s_and_b64 s[4:5], s[24:25], s[6:7]
	s_and_saveexec_b64 s[2:3], s[4:5]
	s_cbranch_execnz .LBB132_252
.LBB132_214:
	s_or_b64 exec, exec, s[2:3]
	s_and_b64 s[4:5], s[24:25], s[8:9]
	s_and_saveexec_b64 s[2:3], s[4:5]
	s_cbranch_execnz .LBB132_256
.LBB132_215:
	s_or_b64 exec, exec, s[2:3]
	s_and_b64 s[4:5], s[24:25], s[10:11]
	s_and_saveexec_b64 s[2:3], s[4:5]
	s_cbranch_execnz .LBB132_260
.LBB132_216:
	s_or_b64 exec, exec, s[2:3]
	s_and_b64 s[4:5], s[24:25], s[12:13]
	s_and_saveexec_b64 s[2:3], s[4:5]
	s_cbranch_execnz .LBB132_264
.LBB132_217:
	s_or_b64 exec, exec, s[2:3]
	s_and_b64 s[4:5], s[24:25], s[14:15]
	s_and_saveexec_b64 s[2:3], s[4:5]
	s_cbranch_execnz .LBB132_268
.LBB132_218:
	s_or_b64 exec, exec, s[2:3]
	s_and_b64 s[4:5], s[24:25], s[16:17]
	s_and_saveexec_b64 s[2:3], s[4:5]
	s_cbranch_execnz .LBB132_272
.LBB132_219:
	s_or_b64 exec, exec, s[2:3]
	s_and_b64 s[4:5], s[24:25], s[18:19]
	s_and_saveexec_b64 s[2:3], s[4:5]
	s_cbranch_execnz .LBB132_276
.LBB132_220:
	s_or_b64 exec, exec, s[2:3]
	s_and_b64 s[4:5], s[24:25], s[20:21]
	s_and_saveexec_b64 s[2:3], s[4:5]
	s_cbranch_execnz .LBB132_280
.LBB132_221:
	s_or_b64 exec, exec, s[2:3]
	s_and_b64 s[4:5], s[24:25], s[22:23]
	s_and_saveexec_b64 s[2:3], s[4:5]
	s_cbranch_execnz .LBB132_284
.LBB132_222:
	s_or_b64 exec, exec, s[2:3]
	s_and_b64 s[4:5], s[24:25], s[26:27]
	s_and_saveexec_b64 s[2:3], s[4:5]
	s_cbranch_execnz .LBB132_288
.LBB132_223:
	s_or_b64 exec, exec, s[2:3]
	s_and_b64 s[4:5], s[24:25], s[28:29]
	s_and_saveexec_b64 s[2:3], s[4:5]
	s_cbranch_execnz .LBB132_292
.LBB132_224:
	s_or_b64 exec, exec, s[2:3]
	s_and_b64 s[4:5], s[24:25], s[30:31]
	s_and_saveexec_b64 s[2:3], s[4:5]
	s_cbranch_execnz .LBB132_296
.LBB132_225:
	s_or_b64 exec, exec, s[2:3]
	s_and_b64 s[4:5], s[24:25], s[34:35]
	s_and_saveexec_b64 s[2:3], s[4:5]
	s_cbranch_execnz .LBB132_300
.LBB132_226:
	s_or_b64 exec, exec, s[2:3]
	s_and_b64 s[4:5], s[24:25], s[36:37]
	s_and_saveexec_b64 s[2:3], s[4:5]
	s_cbranch_execnz .LBB132_304
.LBB132_227:
	s_or_b64 exec, exec, s[2:3]
	s_and_b64 s[4:5], s[24:25], s[38:39]
	s_and_saveexec_b64 s[2:3], s[4:5]
	s_cbranch_execnz .LBB132_308
.LBB132_228:
	s_or_b64 exec, exec, s[2:3]
	s_and_b64 s[4:5], s[24:25], s[40:41]
	s_and_saveexec_b64 s[2:3], s[4:5]
	s_cbranch_execnz .LBB132_312
.LBB132_229:
	s_or_b64 exec, exec, s[2:3]
	s_and_b64 s[4:5], s[24:25], s[42:43]
	s_and_saveexec_b64 s[2:3], s[4:5]
	s_cbranch_execnz .LBB132_316
.LBB132_230:
	s_or_b64 exec, exec, s[2:3]
	s_and_b64 s[4:5], s[24:25], s[44:45]
	s_and_saveexec_b64 s[2:3], s[4:5]
	s_cbranch_execnz .LBB132_320
.LBB132_231:
	s_or_b64 exec, exec, s[2:3]
	s_and_b64 s[4:5], s[24:25], s[46:47]
	s_and_saveexec_b64 s[2:3], s[4:5]
	s_cbranch_execnz .LBB132_324
.LBB132_232:
	s_or_b64 exec, exec, s[2:3]
	s_and_b64 s[4:5], s[24:25], s[48:49]
	s_and_saveexec_b64 s[2:3], s[4:5]
	s_cbranch_execnz .LBB132_328
.LBB132_233:
	s_or_b64 exec, exec, s[2:3]
	s_and_b64 s[4:5], s[24:25], s[50:51]
	s_and_saveexec_b64 s[2:3], s[4:5]
	s_cbranch_execnz .LBB132_332
.LBB132_234:
	s_or_b64 exec, exec, s[2:3]
	s_and_b64 s[4:5], s[24:25], s[52:53]
	s_and_saveexec_b64 s[2:3], s[4:5]
	s_cbranch_execnz .LBB132_336
.LBB132_235:
	s_or_b64 exec, exec, s[2:3]
	s_and_b64 s[4:5], s[24:25], s[54:55]
	s_and_saveexec_b64 s[2:3], s[4:5]
	s_cbranch_execnz .LBB132_340
.LBB132_236:
	s_or_b64 exec, exec, s[2:3]
	s_and_b64 s[4:5], s[24:25], s[56:57]
	s_and_saveexec_b64 s[2:3], s[4:5]
	s_cbranch_execnz .LBB132_344
.LBB132_237:
	s_or_b64 exec, exec, s[2:3]
	s_and_b64 s[4:5], s[24:25], s[58:59]
	s_and_saveexec_b64 s[2:3], s[4:5]
	s_cbranch_execnz .LBB132_348
.LBB132_238:
	s_or_b64 exec, exec, s[2:3]
	s_and_b64 s[4:5], s[24:25], s[60:61]
	s_and_saveexec_b64 s[2:3], s[4:5]
	s_cbranch_execnz .LBB132_352
.LBB132_239:
	s_or_b64 exec, exec, s[2:3]
	s_and_b64 s[4:5], s[24:25], s[62:63]
	s_and_saveexec_b64 s[2:3], s[4:5]
	s_cbranch_execnz .LBB132_356
.LBB132_240:
	s_or_b64 exec, exec, s[2:3]
	s_and_b64 s[4:5], s[24:25], s[64:65]
	s_and_saveexec_b64 s[2:3], s[4:5]
	s_cbranch_execnz .LBB132_360
.LBB132_241:
	s_or_b64 exec, exec, s[2:3]
	s_and_b64 s[4:5], s[24:25], s[66:67]
	s_and_saveexec_b64 s[2:3], s[4:5]
	s_cbranch_execnz .LBB132_364
.LBB132_242:
	s_or_b64 exec, exec, s[2:3]
	s_and_b64 s[2:3], s[24:25], s[68:69]
	s_and_saveexec_b64 s[4:5], s[2:3]
	s_cbranch_execnz .LBB132_368
.LBB132_243:
	s_endpgm
.LBB132_244:
	s_and_b64 vcc, exec, s[0:1]
	s_cbranch_vccnz .LBB132_246
; %bb.245:
	v_lshl_add_u64 v[132:133], v[128:129], 3, v[130:131]
	flat_load_dwordx2 v[132:133], v[132:133]
	s_waitcnt vmcnt(0) lgkmcnt(0)
	v_mul_f64 v[132:133], s[70:71], v[132:133]
	s_branch .LBB132_247
.LBB132_246:
	v_mov_b64_e32 v[132:133], 0
.LBB132_247:
	v_add_f64 v[62:63], v[62:63], v[132:133]
	v_lshl_add_u64 v[128:129], v[128:129], 3, v[64:65]
	flat_store_dwordx2 v[128:129], v[62:63]
	s_or_b64 exec, exec, s[2:3]
	s_and_b64 s[4:5], s[24:25], s[4:5]
	s_and_saveexec_b64 s[2:3], s[4:5]
	s_cbranch_execz .LBB132_213
.LBB132_248:
	s_and_b64 vcc, exec, s[0:1]
	s_cbranch_vccnz .LBB132_250
; %bb.249:
	v_lshl_add_u64 v[62:63], v[126:127], 3, v[130:131]
	flat_load_dwordx2 v[62:63], v[62:63]
	s_waitcnt vmcnt(0) lgkmcnt(0)
	v_mul_f64 v[62:63], s[70:71], v[62:63]
	s_branch .LBB132_251
.LBB132_250:
	v_mov_b64_e32 v[62:63], 0
.LBB132_251:
	v_add_f64 v[60:61], v[60:61], v[62:63]
	v_lshl_add_u64 v[62:63], v[126:127], 3, v[64:65]
	flat_store_dwordx2 v[62:63], v[60:61]
	s_or_b64 exec, exec, s[2:3]
	s_and_b64 s[4:5], s[24:25], s[6:7]
	s_and_saveexec_b64 s[2:3], s[4:5]
	s_cbranch_execz .LBB132_214
.LBB132_252:
	s_and_b64 vcc, exec, s[0:1]
	s_cbranch_vccnz .LBB132_254
; %bb.253:
	v_lshl_add_u64 v[60:61], v[124:125], 3, v[130:131]
	flat_load_dwordx2 v[60:61], v[60:61]
	s_waitcnt vmcnt(0) lgkmcnt(0)
	v_mul_f64 v[60:61], s[70:71], v[60:61]
	s_branch .LBB132_255
.LBB132_254:
	v_mov_b64_e32 v[60:61], 0
.LBB132_255:
	v_add_f64 v[58:59], v[58:59], v[60:61]
	v_lshl_add_u64 v[60:61], v[124:125], 3, v[64:65]
	flat_store_dwordx2 v[60:61], v[58:59]
	s_or_b64 exec, exec, s[2:3]
	s_and_b64 s[4:5], s[24:25], s[8:9]
	s_and_saveexec_b64 s[2:3], s[4:5]
	s_cbranch_execz .LBB132_215
.LBB132_256:
	s_and_b64 vcc, exec, s[0:1]
	s_cbranch_vccnz .LBB132_258
; %bb.257:
	v_lshl_add_u64 v[58:59], v[122:123], 3, v[130:131]
	flat_load_dwordx2 v[58:59], v[58:59]
	s_waitcnt vmcnt(0) lgkmcnt(0)
	v_mul_f64 v[58:59], s[70:71], v[58:59]
	s_branch .LBB132_259
.LBB132_258:
	v_mov_b64_e32 v[58:59], 0
.LBB132_259:
	v_add_f64 v[56:57], v[56:57], v[58:59]
	v_lshl_add_u64 v[58:59], v[122:123], 3, v[64:65]
	flat_store_dwordx2 v[58:59], v[56:57]
	s_or_b64 exec, exec, s[2:3]
	s_and_b64 s[4:5], s[24:25], s[10:11]
	s_and_saveexec_b64 s[2:3], s[4:5]
	s_cbranch_execz .LBB132_216
.LBB132_260:
	s_and_b64 vcc, exec, s[0:1]
	s_cbranch_vccnz .LBB132_262
; %bb.261:
	v_lshl_add_u64 v[56:57], v[120:121], 3, v[130:131]
	flat_load_dwordx2 v[56:57], v[56:57]
	s_waitcnt vmcnt(0) lgkmcnt(0)
	v_mul_f64 v[56:57], s[70:71], v[56:57]
	s_branch .LBB132_263
.LBB132_262:
	v_mov_b64_e32 v[56:57], 0
.LBB132_263:
	v_add_f64 v[54:55], v[54:55], v[56:57]
	v_lshl_add_u64 v[56:57], v[120:121], 3, v[64:65]
	flat_store_dwordx2 v[56:57], v[54:55]
	s_or_b64 exec, exec, s[2:3]
	s_and_b64 s[4:5], s[24:25], s[12:13]
	s_and_saveexec_b64 s[2:3], s[4:5]
	s_cbranch_execz .LBB132_217
.LBB132_264:
	s_and_b64 vcc, exec, s[0:1]
	s_cbranch_vccnz .LBB132_266
; %bb.265:
	v_lshl_add_u64 v[54:55], v[118:119], 3, v[130:131]
	flat_load_dwordx2 v[54:55], v[54:55]
	s_waitcnt vmcnt(0) lgkmcnt(0)
	v_mul_f64 v[54:55], s[70:71], v[54:55]
	s_branch .LBB132_267
.LBB132_266:
	v_mov_b64_e32 v[54:55], 0
.LBB132_267:
	v_add_f64 v[52:53], v[52:53], v[54:55]
	v_lshl_add_u64 v[54:55], v[118:119], 3, v[64:65]
	flat_store_dwordx2 v[54:55], v[52:53]
	s_or_b64 exec, exec, s[2:3]
	s_and_b64 s[4:5], s[24:25], s[14:15]
	s_and_saveexec_b64 s[2:3], s[4:5]
	s_cbranch_execz .LBB132_218
.LBB132_268:
	s_and_b64 vcc, exec, s[0:1]
	s_cbranch_vccnz .LBB132_270
; %bb.269:
	v_lshl_add_u64 v[52:53], v[116:117], 3, v[130:131]
	flat_load_dwordx2 v[52:53], v[52:53]
	s_waitcnt vmcnt(0) lgkmcnt(0)
	v_mul_f64 v[52:53], s[70:71], v[52:53]
	s_branch .LBB132_271
.LBB132_270:
	v_mov_b64_e32 v[52:53], 0
.LBB132_271:
	v_add_f64 v[50:51], v[50:51], v[52:53]
	v_lshl_add_u64 v[52:53], v[116:117], 3, v[64:65]
	flat_store_dwordx2 v[52:53], v[50:51]
	s_or_b64 exec, exec, s[2:3]
	s_and_b64 s[4:5], s[24:25], s[16:17]
	s_and_saveexec_b64 s[2:3], s[4:5]
	s_cbranch_execz .LBB132_219
.LBB132_272:
	s_and_b64 vcc, exec, s[0:1]
	s_cbranch_vccnz .LBB132_274
; %bb.273:
	v_lshl_add_u64 v[50:51], v[114:115], 3, v[130:131]
	flat_load_dwordx2 v[50:51], v[50:51]
	s_waitcnt vmcnt(0) lgkmcnt(0)
	v_mul_f64 v[50:51], s[70:71], v[50:51]
	s_branch .LBB132_275
.LBB132_274:
	v_mov_b64_e32 v[50:51], 0
.LBB132_275:
	v_add_f64 v[48:49], v[48:49], v[50:51]
	v_lshl_add_u64 v[50:51], v[114:115], 3, v[64:65]
	flat_store_dwordx2 v[50:51], v[48:49]
	s_or_b64 exec, exec, s[2:3]
	s_and_b64 s[4:5], s[24:25], s[18:19]
	s_and_saveexec_b64 s[2:3], s[4:5]
	s_cbranch_execz .LBB132_220
.LBB132_276:
	s_and_b64 vcc, exec, s[0:1]
	s_cbranch_vccnz .LBB132_278
; %bb.277:
	v_lshl_add_u64 v[48:49], v[112:113], 3, v[130:131]
	flat_load_dwordx2 v[48:49], v[48:49]
	s_waitcnt vmcnt(0) lgkmcnt(0)
	v_mul_f64 v[48:49], s[70:71], v[48:49]
	s_branch .LBB132_279
.LBB132_278:
	v_mov_b64_e32 v[48:49], 0
.LBB132_279:
	v_add_f64 v[46:47], v[46:47], v[48:49]
	v_lshl_add_u64 v[48:49], v[112:113], 3, v[64:65]
	flat_store_dwordx2 v[48:49], v[46:47]
	s_or_b64 exec, exec, s[2:3]
	s_and_b64 s[4:5], s[24:25], s[20:21]
	s_and_saveexec_b64 s[2:3], s[4:5]
	s_cbranch_execz .LBB132_221
.LBB132_280:
	s_and_b64 vcc, exec, s[0:1]
	s_cbranch_vccnz .LBB132_282
; %bb.281:
	v_lshl_add_u64 v[46:47], v[110:111], 3, v[130:131]
	flat_load_dwordx2 v[46:47], v[46:47]
	s_waitcnt vmcnt(0) lgkmcnt(0)
	v_mul_f64 v[46:47], s[70:71], v[46:47]
	s_branch .LBB132_283
.LBB132_282:
	v_mov_b64_e32 v[46:47], 0
.LBB132_283:
	v_add_f64 v[44:45], v[44:45], v[46:47]
	v_lshl_add_u64 v[46:47], v[110:111], 3, v[64:65]
	flat_store_dwordx2 v[46:47], v[44:45]
	s_or_b64 exec, exec, s[2:3]
	s_and_b64 s[4:5], s[24:25], s[22:23]
	s_and_saveexec_b64 s[2:3], s[4:5]
	s_cbranch_execz .LBB132_222
.LBB132_284:
	s_and_b64 vcc, exec, s[0:1]
	s_cbranch_vccnz .LBB132_286
; %bb.285:
	v_lshl_add_u64 v[44:45], v[108:109], 3, v[130:131]
	flat_load_dwordx2 v[44:45], v[44:45]
	s_waitcnt vmcnt(0) lgkmcnt(0)
	v_mul_f64 v[44:45], s[70:71], v[44:45]
	s_branch .LBB132_287
.LBB132_286:
	v_mov_b64_e32 v[44:45], 0
.LBB132_287:
	v_add_f64 v[42:43], v[42:43], v[44:45]
	v_lshl_add_u64 v[44:45], v[108:109], 3, v[64:65]
	flat_store_dwordx2 v[44:45], v[42:43]
	s_or_b64 exec, exec, s[2:3]
	s_and_b64 s[4:5], s[24:25], s[26:27]
	s_and_saveexec_b64 s[2:3], s[4:5]
	s_cbranch_execz .LBB132_223
.LBB132_288:
	s_and_b64 vcc, exec, s[0:1]
	s_cbranch_vccnz .LBB132_290
; %bb.289:
	v_lshl_add_u64 v[42:43], v[106:107], 3, v[130:131]
	flat_load_dwordx2 v[42:43], v[42:43]
	s_waitcnt vmcnt(0) lgkmcnt(0)
	v_mul_f64 v[42:43], s[70:71], v[42:43]
	s_branch .LBB132_291
.LBB132_290:
	v_mov_b64_e32 v[42:43], 0
.LBB132_291:
	v_add_f64 v[40:41], v[40:41], v[42:43]
	v_lshl_add_u64 v[42:43], v[106:107], 3, v[64:65]
	flat_store_dwordx2 v[42:43], v[40:41]
	s_or_b64 exec, exec, s[2:3]
	s_and_b64 s[4:5], s[24:25], s[28:29]
	s_and_saveexec_b64 s[2:3], s[4:5]
	s_cbranch_execz .LBB132_224
.LBB132_292:
	s_and_b64 vcc, exec, s[0:1]
	s_cbranch_vccnz .LBB132_294
; %bb.293:
	v_lshl_add_u64 v[40:41], v[104:105], 3, v[130:131]
	flat_load_dwordx2 v[40:41], v[40:41]
	s_waitcnt vmcnt(0) lgkmcnt(0)
	v_mul_f64 v[40:41], s[70:71], v[40:41]
	s_branch .LBB132_295
.LBB132_294:
	v_mov_b64_e32 v[40:41], 0
.LBB132_295:
	v_add_f64 v[38:39], v[38:39], v[40:41]
	v_lshl_add_u64 v[40:41], v[104:105], 3, v[64:65]
	flat_store_dwordx2 v[40:41], v[38:39]
	s_or_b64 exec, exec, s[2:3]
	s_and_b64 s[4:5], s[24:25], s[30:31]
	s_and_saveexec_b64 s[2:3], s[4:5]
	s_cbranch_execz .LBB132_225
.LBB132_296:
	s_and_b64 vcc, exec, s[0:1]
	s_cbranch_vccnz .LBB132_298
; %bb.297:
	v_lshl_add_u64 v[38:39], v[102:103], 3, v[130:131]
	flat_load_dwordx2 v[38:39], v[38:39]
	s_waitcnt vmcnt(0) lgkmcnt(0)
	v_mul_f64 v[38:39], s[70:71], v[38:39]
	s_branch .LBB132_299
.LBB132_298:
	v_mov_b64_e32 v[38:39], 0
.LBB132_299:
	v_add_f64 v[36:37], v[36:37], v[38:39]
	v_lshl_add_u64 v[38:39], v[102:103], 3, v[64:65]
	flat_store_dwordx2 v[38:39], v[36:37]
	s_or_b64 exec, exec, s[2:3]
	s_and_b64 s[4:5], s[24:25], s[34:35]
	s_and_saveexec_b64 s[2:3], s[4:5]
	s_cbranch_execz .LBB132_226
.LBB132_300:
	s_and_b64 vcc, exec, s[0:1]
	s_cbranch_vccnz .LBB132_302
; %bb.301:
	v_lshl_add_u64 v[36:37], v[100:101], 3, v[130:131]
	flat_load_dwordx2 v[36:37], v[36:37]
	s_waitcnt vmcnt(0) lgkmcnt(0)
	v_mul_f64 v[36:37], s[70:71], v[36:37]
	s_branch .LBB132_303
.LBB132_302:
	v_mov_b64_e32 v[36:37], 0
.LBB132_303:
	v_add_f64 v[34:35], v[34:35], v[36:37]
	v_lshl_add_u64 v[36:37], v[100:101], 3, v[64:65]
	flat_store_dwordx2 v[36:37], v[34:35]
	s_or_b64 exec, exec, s[2:3]
	s_and_b64 s[4:5], s[24:25], s[36:37]
	s_and_saveexec_b64 s[2:3], s[4:5]
	s_cbranch_execz .LBB132_227
.LBB132_304:
	s_and_b64 vcc, exec, s[0:1]
	s_cbranch_vccnz .LBB132_306
; %bb.305:
	v_lshl_add_u64 v[34:35], v[98:99], 3, v[130:131]
	flat_load_dwordx2 v[34:35], v[34:35]
	s_waitcnt vmcnt(0) lgkmcnt(0)
	v_mul_f64 v[34:35], s[70:71], v[34:35]
	s_branch .LBB132_307
.LBB132_306:
	v_mov_b64_e32 v[34:35], 0
.LBB132_307:
	v_add_f64 v[32:33], v[32:33], v[34:35]
	v_lshl_add_u64 v[34:35], v[98:99], 3, v[64:65]
	flat_store_dwordx2 v[34:35], v[32:33]
	s_or_b64 exec, exec, s[2:3]
	s_and_b64 s[4:5], s[24:25], s[38:39]
	s_and_saveexec_b64 s[2:3], s[4:5]
	s_cbranch_execz .LBB132_228
.LBB132_308:
	s_and_b64 vcc, exec, s[0:1]
	s_cbranch_vccnz .LBB132_310
; %bb.309:
	v_lshl_add_u64 v[32:33], v[96:97], 3, v[130:131]
	flat_load_dwordx2 v[32:33], v[32:33]
	s_waitcnt vmcnt(0) lgkmcnt(0)
	v_mul_f64 v[32:33], s[70:71], v[32:33]
	s_branch .LBB132_311
.LBB132_310:
	v_mov_b64_e32 v[32:33], 0
.LBB132_311:
	v_add_f64 v[30:31], v[30:31], v[32:33]
	v_lshl_add_u64 v[32:33], v[96:97], 3, v[64:65]
	flat_store_dwordx2 v[32:33], v[30:31]
	s_or_b64 exec, exec, s[2:3]
	s_and_b64 s[4:5], s[24:25], s[40:41]
	s_and_saveexec_b64 s[2:3], s[4:5]
	s_cbranch_execz .LBB132_229
.LBB132_312:
	s_and_b64 vcc, exec, s[0:1]
	s_cbranch_vccnz .LBB132_314
; %bb.313:
	v_lshl_add_u64 v[30:31], v[94:95], 3, v[130:131]
	flat_load_dwordx2 v[30:31], v[30:31]
	s_waitcnt vmcnt(0) lgkmcnt(0)
	v_mul_f64 v[30:31], s[70:71], v[30:31]
	s_branch .LBB132_315
.LBB132_314:
	v_mov_b64_e32 v[30:31], 0
.LBB132_315:
	v_add_f64 v[28:29], v[28:29], v[30:31]
	v_lshl_add_u64 v[30:31], v[94:95], 3, v[64:65]
	flat_store_dwordx2 v[30:31], v[28:29]
	s_or_b64 exec, exec, s[2:3]
	s_and_b64 s[4:5], s[24:25], s[42:43]
	s_and_saveexec_b64 s[2:3], s[4:5]
	s_cbranch_execz .LBB132_230
.LBB132_316:
	s_and_b64 vcc, exec, s[0:1]
	s_cbranch_vccnz .LBB132_318
; %bb.317:
	v_lshl_add_u64 v[28:29], v[92:93], 3, v[130:131]
	flat_load_dwordx2 v[28:29], v[28:29]
	s_waitcnt vmcnt(0) lgkmcnt(0)
	v_mul_f64 v[28:29], s[70:71], v[28:29]
	s_branch .LBB132_319
.LBB132_318:
	v_mov_b64_e32 v[28:29], 0
.LBB132_319:
	v_add_f64 v[26:27], v[26:27], v[28:29]
	v_lshl_add_u64 v[28:29], v[92:93], 3, v[64:65]
	flat_store_dwordx2 v[28:29], v[26:27]
	s_or_b64 exec, exec, s[2:3]
	s_and_b64 s[4:5], s[24:25], s[44:45]
	s_and_saveexec_b64 s[2:3], s[4:5]
	s_cbranch_execz .LBB132_231
.LBB132_320:
	s_and_b64 vcc, exec, s[0:1]
	s_cbranch_vccnz .LBB132_322
; %bb.321:
	v_lshl_add_u64 v[26:27], v[90:91], 3, v[130:131]
	flat_load_dwordx2 v[26:27], v[26:27]
	s_waitcnt vmcnt(0) lgkmcnt(0)
	v_mul_f64 v[26:27], s[70:71], v[26:27]
	s_branch .LBB132_323
.LBB132_322:
	v_mov_b64_e32 v[26:27], 0
.LBB132_323:
	v_add_f64 v[24:25], v[24:25], v[26:27]
	v_lshl_add_u64 v[26:27], v[90:91], 3, v[64:65]
	flat_store_dwordx2 v[26:27], v[24:25]
	s_or_b64 exec, exec, s[2:3]
	s_and_b64 s[4:5], s[24:25], s[46:47]
	s_and_saveexec_b64 s[2:3], s[4:5]
	s_cbranch_execz .LBB132_232
.LBB132_324:
	s_and_b64 vcc, exec, s[0:1]
	s_cbranch_vccnz .LBB132_326
; %bb.325:
	v_lshl_add_u64 v[24:25], v[88:89], 3, v[130:131]
	flat_load_dwordx2 v[24:25], v[24:25]
	s_waitcnt vmcnt(0) lgkmcnt(0)
	v_mul_f64 v[24:25], s[70:71], v[24:25]
	s_branch .LBB132_327
.LBB132_326:
	v_mov_b64_e32 v[24:25], 0
.LBB132_327:
	v_add_f64 v[22:23], v[22:23], v[24:25]
	v_lshl_add_u64 v[24:25], v[88:89], 3, v[64:65]
	flat_store_dwordx2 v[24:25], v[22:23]
	s_or_b64 exec, exec, s[2:3]
	s_and_b64 s[4:5], s[24:25], s[48:49]
	s_and_saveexec_b64 s[2:3], s[4:5]
	s_cbranch_execz .LBB132_233
.LBB132_328:
	s_and_b64 vcc, exec, s[0:1]
	s_cbranch_vccnz .LBB132_330
; %bb.329:
	v_lshl_add_u64 v[22:23], v[86:87], 3, v[130:131]
	flat_load_dwordx2 v[22:23], v[22:23]
	s_waitcnt vmcnt(0) lgkmcnt(0)
	v_mul_f64 v[22:23], s[70:71], v[22:23]
	s_branch .LBB132_331
.LBB132_330:
	v_mov_b64_e32 v[22:23], 0
.LBB132_331:
	v_add_f64 v[20:21], v[20:21], v[22:23]
	v_lshl_add_u64 v[22:23], v[86:87], 3, v[64:65]
	flat_store_dwordx2 v[22:23], v[20:21]
	s_or_b64 exec, exec, s[2:3]
	s_and_b64 s[4:5], s[24:25], s[50:51]
	s_and_saveexec_b64 s[2:3], s[4:5]
	s_cbranch_execz .LBB132_234
.LBB132_332:
	s_and_b64 vcc, exec, s[0:1]
	s_cbranch_vccnz .LBB132_334
; %bb.333:
	v_lshl_add_u64 v[20:21], v[84:85], 3, v[130:131]
	flat_load_dwordx2 v[20:21], v[20:21]
	s_waitcnt vmcnt(0) lgkmcnt(0)
	v_mul_f64 v[20:21], s[70:71], v[20:21]
	s_branch .LBB132_335
.LBB132_334:
	v_mov_b64_e32 v[20:21], 0
.LBB132_335:
	v_add_f64 v[18:19], v[18:19], v[20:21]
	v_lshl_add_u64 v[20:21], v[84:85], 3, v[64:65]
	flat_store_dwordx2 v[20:21], v[18:19]
	s_or_b64 exec, exec, s[2:3]
	s_and_b64 s[4:5], s[24:25], s[52:53]
	s_and_saveexec_b64 s[2:3], s[4:5]
	s_cbranch_execz .LBB132_235
.LBB132_336:
	s_and_b64 vcc, exec, s[0:1]
	s_cbranch_vccnz .LBB132_338
; %bb.337:
	v_lshl_add_u64 v[18:19], v[82:83], 3, v[130:131]
	flat_load_dwordx2 v[18:19], v[18:19]
	s_waitcnt vmcnt(0) lgkmcnt(0)
	v_mul_f64 v[18:19], s[70:71], v[18:19]
	s_branch .LBB132_339
.LBB132_338:
	v_mov_b64_e32 v[18:19], 0
.LBB132_339:
	v_add_f64 v[16:17], v[16:17], v[18:19]
	v_lshl_add_u64 v[18:19], v[82:83], 3, v[64:65]
	flat_store_dwordx2 v[18:19], v[16:17]
	s_or_b64 exec, exec, s[2:3]
	s_and_b64 s[4:5], s[24:25], s[54:55]
	s_and_saveexec_b64 s[2:3], s[4:5]
	s_cbranch_execz .LBB132_236
.LBB132_340:
	s_and_b64 vcc, exec, s[0:1]
	s_cbranch_vccnz .LBB132_342
; %bb.341:
	v_lshl_add_u64 v[16:17], v[80:81], 3, v[130:131]
	flat_load_dwordx2 v[16:17], v[16:17]
	s_waitcnt vmcnt(0) lgkmcnt(0)
	v_mul_f64 v[16:17], s[70:71], v[16:17]
	s_branch .LBB132_343
.LBB132_342:
	v_mov_b64_e32 v[16:17], 0
.LBB132_343:
	v_add_f64 v[14:15], v[14:15], v[16:17]
	v_lshl_add_u64 v[16:17], v[80:81], 3, v[64:65]
	flat_store_dwordx2 v[16:17], v[14:15]
	s_or_b64 exec, exec, s[2:3]
	s_and_b64 s[4:5], s[24:25], s[56:57]
	s_and_saveexec_b64 s[2:3], s[4:5]
	s_cbranch_execz .LBB132_237
.LBB132_344:
	s_and_b64 vcc, exec, s[0:1]
	s_cbranch_vccnz .LBB132_346
; %bb.345:
	v_lshl_add_u64 v[14:15], v[78:79], 3, v[130:131]
	flat_load_dwordx2 v[14:15], v[14:15]
	s_waitcnt vmcnt(0) lgkmcnt(0)
	v_mul_f64 v[14:15], s[70:71], v[14:15]
	s_branch .LBB132_347
.LBB132_346:
	v_mov_b64_e32 v[14:15], 0
.LBB132_347:
	v_add_f64 v[12:13], v[12:13], v[14:15]
	v_lshl_add_u64 v[14:15], v[78:79], 3, v[64:65]
	flat_store_dwordx2 v[14:15], v[12:13]
	s_or_b64 exec, exec, s[2:3]
	s_and_b64 s[4:5], s[24:25], s[58:59]
	s_and_saveexec_b64 s[2:3], s[4:5]
	s_cbranch_execz .LBB132_238
.LBB132_348:
	s_and_b64 vcc, exec, s[0:1]
	s_cbranch_vccnz .LBB132_350
; %bb.349:
	v_lshl_add_u64 v[12:13], v[76:77], 3, v[130:131]
	flat_load_dwordx2 v[12:13], v[12:13]
	s_waitcnt vmcnt(0) lgkmcnt(0)
	v_mul_f64 v[12:13], s[70:71], v[12:13]
	s_branch .LBB132_351
.LBB132_350:
	v_mov_b64_e32 v[12:13], 0
.LBB132_351:
	v_add_f64 v[10:11], v[10:11], v[12:13]
	v_lshl_add_u64 v[12:13], v[76:77], 3, v[64:65]
	flat_store_dwordx2 v[12:13], v[10:11]
	s_or_b64 exec, exec, s[2:3]
	s_and_b64 s[4:5], s[24:25], s[60:61]
	s_and_saveexec_b64 s[2:3], s[4:5]
	s_cbranch_execz .LBB132_239
.LBB132_352:
	s_and_b64 vcc, exec, s[0:1]
	s_cbranch_vccnz .LBB132_354
; %bb.353:
	v_lshl_add_u64 v[10:11], v[74:75], 3, v[130:131]
	flat_load_dwordx2 v[10:11], v[10:11]
	s_waitcnt vmcnt(0) lgkmcnt(0)
	v_mul_f64 v[10:11], s[70:71], v[10:11]
	s_branch .LBB132_355
.LBB132_354:
	v_mov_b64_e32 v[10:11], 0
.LBB132_355:
	v_add_f64 v[8:9], v[8:9], v[10:11]
	v_lshl_add_u64 v[10:11], v[74:75], 3, v[64:65]
	flat_store_dwordx2 v[10:11], v[8:9]
	s_or_b64 exec, exec, s[2:3]
	s_and_b64 s[4:5], s[24:25], s[62:63]
	s_and_saveexec_b64 s[2:3], s[4:5]
	s_cbranch_execz .LBB132_240
.LBB132_356:
	s_and_b64 vcc, exec, s[0:1]
	s_cbranch_vccnz .LBB132_358
; %bb.357:
	v_lshl_add_u64 v[8:9], v[72:73], 3, v[130:131]
	flat_load_dwordx2 v[8:9], v[8:9]
	s_waitcnt vmcnt(0) lgkmcnt(0)
	v_mul_f64 v[8:9], s[70:71], v[8:9]
	s_branch .LBB132_359
.LBB132_358:
	v_mov_b64_e32 v[8:9], 0
.LBB132_359:
	v_add_f64 v[6:7], v[6:7], v[8:9]
	v_lshl_add_u64 v[8:9], v[72:73], 3, v[64:65]
	flat_store_dwordx2 v[8:9], v[6:7]
	s_or_b64 exec, exec, s[2:3]
	s_and_b64 s[4:5], s[24:25], s[64:65]
	s_and_saveexec_b64 s[2:3], s[4:5]
	s_cbranch_execz .LBB132_241
.LBB132_360:
	s_and_b64 vcc, exec, s[0:1]
	s_cbranch_vccnz .LBB132_362
; %bb.361:
	v_lshl_add_u64 v[6:7], v[70:71], 3, v[130:131]
	flat_load_dwordx2 v[6:7], v[6:7]
	s_waitcnt vmcnt(0) lgkmcnt(0)
	v_mul_f64 v[6:7], s[70:71], v[6:7]
	s_branch .LBB132_363
.LBB132_362:
	v_mov_b64_e32 v[6:7], 0
.LBB132_363:
	v_add_f64 v[4:5], v[4:5], v[6:7]
	v_lshl_add_u64 v[6:7], v[70:71], 3, v[64:65]
	flat_store_dwordx2 v[6:7], v[4:5]
	s_or_b64 exec, exec, s[2:3]
	s_and_b64 s[4:5], s[24:25], s[66:67]
	s_and_saveexec_b64 s[2:3], s[4:5]
	s_cbranch_execz .LBB132_242
.LBB132_364:
	s_and_b64 vcc, exec, s[0:1]
	s_cbranch_vccnz .LBB132_366
; %bb.365:
	v_lshl_add_u64 v[4:5], v[68:69], 3, v[130:131]
	flat_load_dwordx2 v[4:5], v[4:5]
	s_waitcnt vmcnt(0) lgkmcnt(0)
	v_mul_f64 v[4:5], s[70:71], v[4:5]
	s_branch .LBB132_367
.LBB132_366:
	v_mov_b64_e32 v[4:5], 0
.LBB132_367:
	v_add_f64 v[2:3], v[2:3], v[4:5]
	v_lshl_add_u64 v[4:5], v[68:69], 3, v[64:65]
	flat_store_dwordx2 v[4:5], v[2:3]
	s_or_b64 exec, exec, s[2:3]
	s_and_b64 s[2:3], s[24:25], s[68:69]
	s_and_saveexec_b64 s[4:5], s[2:3]
	s_cbranch_execz .LBB132_243
.LBB132_368:
	s_and_b64 vcc, exec, s[0:1]
	s_cbranch_vccnz .LBB132_370
; %bb.369:
	v_lshl_add_u64 v[2:3], v[66:67], 3, v[130:131]
	flat_load_dwordx2 v[2:3], v[2:3]
	s_waitcnt vmcnt(0) lgkmcnt(0)
	v_mul_f64 v[2:3], s[70:71], v[2:3]
	v_add_f64 v[0:1], v[0:1], v[2:3]
	v_lshl_add_u64 v[2:3], v[66:67], 3, v[64:65]
	flat_store_dwordx2 v[2:3], v[0:1]
	s_endpgm
.LBB132_370:
	v_mov_b64_e32 v[2:3], 0
	v_add_f64 v[0:1], v[0:1], v[2:3]
	v_lshl_add_u64 v[2:3], v[66:67], 3, v[64:65]
	flat_store_dwordx2 v[2:3], v[0:1]
	s_endpgm
	.section	.rodata,"a",@progbits
	.p2align	6, 0x0
	.amdhsa_kernel _ZN12_GLOBAL__N_120geam_min_plus_kernelIdddLi4ELi64ELi128ELi128ELi4ELi64ELi4ELi4ELi64ELc78ELc78ELb0ELb1ELb0EPKdKS2_KPdEEviiiT16_PT17_ilS8_ilS6_S8_ilPT18_ili26rocblas_geam_ex_operation_
		.amdhsa_group_segment_fixed_size 16384
		.amdhsa_private_segment_fixed_size 0
		.amdhsa_kernarg_size 136
		.amdhsa_user_sgpr_count 2
		.amdhsa_user_sgpr_dispatch_ptr 0
		.amdhsa_user_sgpr_queue_ptr 0
		.amdhsa_user_sgpr_kernarg_segment_ptr 1
		.amdhsa_user_sgpr_dispatch_id 0
		.amdhsa_user_sgpr_kernarg_preload_length 0
		.amdhsa_user_sgpr_kernarg_preload_offset 0
		.amdhsa_user_sgpr_private_segment_size 0
		.amdhsa_uses_dynamic_stack 0
		.amdhsa_enable_private_segment 0
		.amdhsa_system_sgpr_workgroup_id_x 1
		.amdhsa_system_sgpr_workgroup_id_y 0
		.amdhsa_system_sgpr_workgroup_id_z 1
		.amdhsa_system_sgpr_workgroup_info 0
		.amdhsa_system_vgpr_workitem_id 1
		.amdhsa_next_free_vgpr 254
		.amdhsa_next_free_sgpr 82
		.amdhsa_accum_offset 256
		.amdhsa_reserve_vcc 1
		.amdhsa_float_round_mode_32 0
		.amdhsa_float_round_mode_16_64 0
		.amdhsa_float_denorm_mode_32 3
		.amdhsa_float_denorm_mode_16_64 3
		.amdhsa_dx10_clamp 1
		.amdhsa_ieee_mode 1
		.amdhsa_fp16_overflow 0
		.amdhsa_tg_split 0
		.amdhsa_exception_fp_ieee_invalid_op 0
		.amdhsa_exception_fp_denorm_src 0
		.amdhsa_exception_fp_ieee_div_zero 0
		.amdhsa_exception_fp_ieee_overflow 0
		.amdhsa_exception_fp_ieee_underflow 0
		.amdhsa_exception_fp_ieee_inexact 0
		.amdhsa_exception_int_div_zero 0
	.end_amdhsa_kernel
	.section	.text._ZN12_GLOBAL__N_120geam_min_plus_kernelIdddLi4ELi64ELi128ELi128ELi4ELi64ELi4ELi4ELi64ELc78ELc78ELb0ELb1ELb0EPKdKS2_KPdEEviiiT16_PT17_ilS8_ilS6_S8_ilPT18_ili26rocblas_geam_ex_operation_,"axG",@progbits,_ZN12_GLOBAL__N_120geam_min_plus_kernelIdddLi4ELi64ELi128ELi128ELi4ELi64ELi4ELi4ELi64ELc78ELc78ELb0ELb1ELb0EPKdKS2_KPdEEviiiT16_PT17_ilS8_ilS6_S8_ilPT18_ili26rocblas_geam_ex_operation_,comdat
.Lfunc_end132:
	.size	_ZN12_GLOBAL__N_120geam_min_plus_kernelIdddLi4ELi64ELi128ELi128ELi4ELi64ELi4ELi4ELi64ELc78ELc78ELb0ELb1ELb0EPKdKS2_KPdEEviiiT16_PT17_ilS8_ilS6_S8_ilPT18_ili26rocblas_geam_ex_operation_, .Lfunc_end132-_ZN12_GLOBAL__N_120geam_min_plus_kernelIdddLi4ELi64ELi128ELi128ELi4ELi64ELi4ELi4ELi64ELc78ELc78ELb0ELb1ELb0EPKdKS2_KPdEEviiiT16_PT17_ilS8_ilS6_S8_ilPT18_ili26rocblas_geam_ex_operation_
                                        ; -- End function
	.set _ZN12_GLOBAL__N_120geam_min_plus_kernelIdddLi4ELi64ELi128ELi128ELi4ELi64ELi4ELi4ELi64ELc78ELc78ELb0ELb1ELb0EPKdKS2_KPdEEviiiT16_PT17_ilS8_ilS6_S8_ilPT18_ili26rocblas_geam_ex_operation_.num_vgpr, 254
	.set _ZN12_GLOBAL__N_120geam_min_plus_kernelIdddLi4ELi64ELi128ELi128ELi4ELi64ELi4ELi4ELi64ELc78ELc78ELb0ELb1ELb0EPKdKS2_KPdEEviiiT16_PT17_ilS8_ilS6_S8_ilPT18_ili26rocblas_geam_ex_operation_.num_agpr, 0
	.set _ZN12_GLOBAL__N_120geam_min_plus_kernelIdddLi4ELi64ELi128ELi128ELi4ELi64ELi4ELi4ELi64ELc78ELc78ELb0ELb1ELb0EPKdKS2_KPdEEviiiT16_PT17_ilS8_ilS6_S8_ilPT18_ili26rocblas_geam_ex_operation_.numbered_sgpr, 82
	.set _ZN12_GLOBAL__N_120geam_min_plus_kernelIdddLi4ELi64ELi128ELi128ELi4ELi64ELi4ELi4ELi64ELc78ELc78ELb0ELb1ELb0EPKdKS2_KPdEEviiiT16_PT17_ilS8_ilS6_S8_ilPT18_ili26rocblas_geam_ex_operation_.num_named_barrier, 0
	.set _ZN12_GLOBAL__N_120geam_min_plus_kernelIdddLi4ELi64ELi128ELi128ELi4ELi64ELi4ELi4ELi64ELc78ELc78ELb0ELb1ELb0EPKdKS2_KPdEEviiiT16_PT17_ilS8_ilS6_S8_ilPT18_ili26rocblas_geam_ex_operation_.private_seg_size, 0
	.set _ZN12_GLOBAL__N_120geam_min_plus_kernelIdddLi4ELi64ELi128ELi128ELi4ELi64ELi4ELi4ELi64ELc78ELc78ELb0ELb1ELb0EPKdKS2_KPdEEviiiT16_PT17_ilS8_ilS6_S8_ilPT18_ili26rocblas_geam_ex_operation_.uses_vcc, 1
	.set _ZN12_GLOBAL__N_120geam_min_plus_kernelIdddLi4ELi64ELi128ELi128ELi4ELi64ELi4ELi4ELi64ELc78ELc78ELb0ELb1ELb0EPKdKS2_KPdEEviiiT16_PT17_ilS8_ilS6_S8_ilPT18_ili26rocblas_geam_ex_operation_.uses_flat_scratch, 0
	.set _ZN12_GLOBAL__N_120geam_min_plus_kernelIdddLi4ELi64ELi128ELi128ELi4ELi64ELi4ELi4ELi64ELc78ELc78ELb0ELb1ELb0EPKdKS2_KPdEEviiiT16_PT17_ilS8_ilS6_S8_ilPT18_ili26rocblas_geam_ex_operation_.has_dyn_sized_stack, 0
	.set _ZN12_GLOBAL__N_120geam_min_plus_kernelIdddLi4ELi64ELi128ELi128ELi4ELi64ELi4ELi4ELi64ELc78ELc78ELb0ELb1ELb0EPKdKS2_KPdEEviiiT16_PT17_ilS8_ilS6_S8_ilPT18_ili26rocblas_geam_ex_operation_.has_recursion, 0
	.set _ZN12_GLOBAL__N_120geam_min_plus_kernelIdddLi4ELi64ELi128ELi128ELi4ELi64ELi4ELi4ELi64ELc78ELc78ELb0ELb1ELb0EPKdKS2_KPdEEviiiT16_PT17_ilS8_ilS6_S8_ilPT18_ili26rocblas_geam_ex_operation_.has_indirect_call, 0
	.section	.AMDGPU.csdata,"",@progbits
; Kernel info:
; codeLenInByte = 14752
; TotalNumSgprs: 88
; NumVgprs: 254
; NumAgprs: 0
; TotalNumVgprs: 254
; ScratchSize: 0
; MemoryBound: 0
; FloatMode: 240
; IeeeMode: 1
; LDSByteSize: 16384 bytes/workgroup (compile time only)
; SGPRBlocks: 10
; VGPRBlocks: 31
; NumSGPRsForWavesPerEU: 88
; NumVGPRsForWavesPerEU: 254
; AccumOffset: 256
; Occupancy: 2
; WaveLimiterHint : 1
; COMPUTE_PGM_RSRC2:SCRATCH_EN: 0
; COMPUTE_PGM_RSRC2:USER_SGPR: 2
; COMPUTE_PGM_RSRC2:TRAP_HANDLER: 0
; COMPUTE_PGM_RSRC2:TGID_X_EN: 1
; COMPUTE_PGM_RSRC2:TGID_Y_EN: 0
; COMPUTE_PGM_RSRC2:TGID_Z_EN: 1
; COMPUTE_PGM_RSRC2:TIDIG_COMP_CNT: 1
; COMPUTE_PGM_RSRC3_GFX90A:ACCUM_OFFSET: 63
; COMPUTE_PGM_RSRC3_GFX90A:TG_SPLIT: 0
	.section	.text._ZN12_GLOBAL__N_120geam_min_plus_kernelIdddLi4ELi64ELi128ELi128ELi4ELi64ELi4ELi4ELi64ELc78ELc78ELb1ELb1ELb0EdKPKdKPdEEviiiT16_PT17_ilS8_ilS6_S8_ilPT18_ili26rocblas_geam_ex_operation_,"axG",@progbits,_ZN12_GLOBAL__N_120geam_min_plus_kernelIdddLi4ELi64ELi128ELi128ELi4ELi64ELi4ELi4ELi64ELc78ELc78ELb1ELb1ELb0EdKPKdKPdEEviiiT16_PT17_ilS8_ilS6_S8_ilPT18_ili26rocblas_geam_ex_operation_,comdat
	.globl	_ZN12_GLOBAL__N_120geam_min_plus_kernelIdddLi4ELi64ELi128ELi128ELi4ELi64ELi4ELi4ELi64ELc78ELc78ELb1ELb1ELb0EdKPKdKPdEEviiiT16_PT17_ilS8_ilS6_S8_ilPT18_ili26rocblas_geam_ex_operation_ ; -- Begin function _ZN12_GLOBAL__N_120geam_min_plus_kernelIdddLi4ELi64ELi128ELi128ELi4ELi64ELi4ELi4ELi64ELc78ELc78ELb1ELb1ELb0EdKPKdKPdEEviiiT16_PT17_ilS8_ilS6_S8_ilPT18_ili26rocblas_geam_ex_operation_
	.p2align	8
	.type	_ZN12_GLOBAL__N_120geam_min_plus_kernelIdddLi4ELi64ELi128ELi128ELi4ELi64ELi4ELi4ELi64ELc78ELc78ELb1ELb1ELb0EdKPKdKPdEEviiiT16_PT17_ilS8_ilS6_S8_ilPT18_ili26rocblas_geam_ex_operation_,@function
_ZN12_GLOBAL__N_120geam_min_plus_kernelIdddLi4ELi64ELi128ELi128ELi4ELi64ELi4ELi4ELi64ELc78ELc78ELb1ELb1ELb0EdKPKdKPdEEviiiT16_PT17_ilS8_ilS6_S8_ilPT18_ili26rocblas_geam_ex_operation_: ; @_ZN12_GLOBAL__N_120geam_min_plus_kernelIdddLi4ELi64ELi128ELi128ELi4ELi64ELi4ELi4ELi64ELc78ELc78ELb1ELb1ELb0EdKPKdKPdEEviiiT16_PT17_ilS8_ilS6_S8_ilPT18_ili26rocblas_geam_ex_operation_
; %bb.0:
	s_load_dwordx4 s[8:11], s[0:1], 0x10
	s_load_dwordx4 s[4:7], s[0:1], 0x28
	s_mov_b32 s12, s3
	s_mov_b64 s[14:15], 0
	s_waitcnt lgkmcnt(0)
	v_cmp_eq_f64_e64 s[16:17], s[8:9], 0
	s_and_b64 vcc, exec, s[16:17]
	s_cbranch_vccnz .LBB133_2
; %bb.1:
	s_mov_b32 s13, 0
	s_lshl_b64 s[8:9], s[12:13], 3
	s_add_u32 s8, s10, s8
	s_addc_u32 s9, s11, s9
	s_load_dwordx2 s[8:9], s[8:9], 0x0
	s_lshl_b64 s[4:5], s[4:5], 3
	s_waitcnt lgkmcnt(0)
	s_add_u32 s14, s8, s4
	s_addc_u32 s15, s9, s5
.LBB133_2:
	s_load_dwordx4 s[68:71], s[0:1], 0x40
	s_load_dwordx2 s[8:9], s[0:1], 0x50
	s_andn2_b64 vcc, exec, s[16:17]
	s_mov_b32 s13, 0
	s_cbranch_vccnz .LBB133_4
; %bb.3:
	s_mov_b64 s[76:77], 0
	s_mov_b64 s[16:17], 0
	s_cbranch_execz .LBB133_5
	s_branch .LBB133_6
.LBB133_4:
	s_mov_b64 s[76:77], 0
	s_mov_b64 s[16:17], 0
.LBB133_5:
	s_lshl_b64 s[4:5], s[12:13], 3
	s_add_u32 s4, s6, s4
	s_addc_u32 s5, s7, s5
	s_load_dwordx2 s[4:5], s[4:5], 0x0
	s_waitcnt lgkmcnt(0)
	s_lshl_b64 s[6:7], s[68:69], 3
	s_add_u32 s16, s4, s6
	s_addc_u32 s17, s5, s7
.LBB133_6:
	s_load_dwordx4 s[4:7], s[0:1], 0x60
	s_waitcnt lgkmcnt(0)
	v_cmp_eq_f64_e64 s[18:19], s[70:71], 0
	v_cmp_neq_f64_e64 s[10:11], s[70:71], 0
	s_and_b64 vcc, exec, s[18:19]
	s_cbranch_vccnz .LBB133_8
; %bb.7:
	s_lshl_b64 s[18:19], s[12:13], 3
	s_add_u32 s8, s8, s18
	s_addc_u32 s9, s9, s19
	s_load_dwordx2 s[8:9], s[8:9], 0x0
	s_lshl_b64 s[4:5], s[4:5], 3
	s_waitcnt lgkmcnt(0)
	s_add_u32 s76, s8, s4
	s_addc_u32 s77, s9, s5
.LBB133_8:
	s_load_dwordx4 s[72:75], s[0:1], 0x0
	s_load_dword s22, s[0:1], 0x20
	s_lshl_b64 s[4:5], s[12:13], 3
	s_add_u32 s12, s6, s4
	s_addc_u32 s13, s7, s5
	s_waitcnt lgkmcnt(0)
	s_add_i32 s3, s72, -1
	s_ashr_i32 s4, s3, 31
	s_lshr_b32 s4, s4, 25
	s_add_i32 s3, s3, s4
	s_ashr_i32 s3, s3, 7
	s_add_i32 s4, s3, 1
	v_cvt_f32_u32_e32 v1, s4
	v_and_b32_e32 v148, 0x3ff, v0
	v_bfe_u32 v149, v0, 10, 10
	s_not_b32 s3, s3
	v_rcp_iflag_f32_e32 v1, v1
	v_lshl_add_u32 v6, v149, 2, v148
	v_and_b32_e32 v138, 63, v6
	v_lshrrev_b32_e32 v150, 6, v6
	v_mul_f32_e32 v0, 0x4f7ffffe, v1
	v_cvt_u32_f32_e32 v0, v0
	v_cmp_le_i32_e32 vcc, s74, v150
	v_mov_b64_e32 v[2:3], 0
	v_readfirstlane_b32 s5, v0
	s_mul_i32 s3, s3, s5
	s_mul_hi_u32 s3, s5, s3
	s_add_i32 s5, s5, s3
	s_mul_hi_u32 s3, s2, s5
	s_mul_i32 s5, s3, s4
	s_sub_i32 s5, s2, s5
	s_add_i32 s6, s3, 1
	s_sub_i32 s7, s5, s4
	s_cmp_ge_u32 s5, s4
	s_cselect_b32 s3, s6, s3
	s_cselect_b32 s5, s7, s5
	s_add_i32 s6, s3, 1
	s_cmp_ge_u32 s5, s4
	s_cselect_b32 s8, s6, s3
	s_mul_i32 s3, s8, s4
	s_sub_i32 s2, s2, s3
	s_lshl_b32 s20, s2, 7
	v_or_b32_e32 v128, s20, v138
	v_mad_i64_i32 v[0:1], s[2:3], s22, v150, 0
	v_cmp_le_i32_e64 s[2:3], s72, v128
	v_lshl_add_u64 v[4:5], v[0:1], 3, s[14:15]
	s_nor_b64 s[6:7], s[2:3], vcc
	v_mov_b64_e32 v[0:1], 0
	v_ashrrev_i32_e32 v129, 31, v128
	s_and_saveexec_b64 s[4:5], s[6:7]
	s_cbranch_execz .LBB133_10
; %bb.9:
	v_lshl_add_u64 v[2:3], v[128:129], 3, v[4:5]
	flat_load_dwordx2 v[2:3], v[2:3]
.LBB133_10:
	s_or_b64 exec, exec, s[4:5]
	v_or_b32_e32 v7, 64, v128
	v_cmp_le_i32_e64 s[4:5], s72, v7
	s_ashr_i32 s23, s22, 31
	s_nor_b64 s[18:19], s[4:5], vcc
	s_and_saveexec_b64 s[6:7], s[18:19]
	s_cbranch_execz .LBB133_12
; %bb.11:
	v_lshl_add_u64 v[0:1], v[128:129], 3, v[4:5]
	flat_load_dwordx2 v[0:1], v[0:1] offset:512
.LBB133_12:
	s_or_b64 exec, exec, s[6:7]
	s_load_dword s25, s[0:1], 0x38
	v_lshrrev_b32_e32 v14, 2, v6
	s_lshl_b32 s21, s8, 7
	v_and_b32_e32 v151, 3, v148
	v_add_u32_e32 v139, s21, v14
	v_cmp_le_i32_e32 vcc, s74, v151
	v_lshlrev_b32_e32 v4, 3, v151
	v_mov_b32_e32 v5, 0
	v_cmp_le_i32_e64 s[6:7], s73, v139
	v_lshl_add_u64 v[10:11], s[16:17], 0, v[4:5]
	s_nor_b64 s[18:19], vcc, s[6:7]
	v_mov_b64_e32 v[6:7], 0
	v_mov_b64_e32 v[8:9], 0
	s_and_saveexec_b64 s[8:9], s[18:19]
	s_cbranch_execz .LBB133_14
; %bb.13:
	s_waitcnt lgkmcnt(0)
	v_mad_i64_i32 v[8:9], s[18:19], v139, s25, 0
	v_lshl_add_u64 v[8:9], v[8:9], 3, v[10:11]
	flat_load_dwordx2 v[8:9], v[8:9]
.LBB133_14:
	s_or_b64 exec, exec, s[8:9]
	v_add_u32_e32 v140, 64, v139
	v_cmp_le_i32_e64 s[8:9], s73, v140
	s_nor_b64 s[26:27], vcc, s[8:9]
	s_and_saveexec_b64 s[18:19], s[26:27]
	s_cbranch_execz .LBB133_16
; %bb.15:
	s_waitcnt lgkmcnt(0)
	v_mad_i64_i32 v[6:7], s[26:27], v140, s25, 0
	v_lshl_add_u64 v[6:7], v[6:7], 3, v[10:11]
	flat_load_dwordx2 v[6:7], v[6:7]
.LBB133_16:
	s_or_b64 exec, exec, s[18:19]
	v_add_u32_e32 v5, 4, v150
	v_cmp_le_i32_e32 vcc, s74, v5
	v_mad_i64_i32 v[12:13], s[18:19], s22, v5, 0
	v_lshl_add_u64 v[12:13], v[12:13], 3, s[14:15]
	s_nor_b64 s[26:27], s[2:3], vcc
	v_mov_b64_e32 v[130:131], 0
	v_mov_b64_e32 v[132:133], 0
	s_and_saveexec_b64 s[18:19], s[26:27]
	s_cbranch_execz .LBB133_18
; %bb.17:
	v_lshl_add_u64 v[16:17], v[128:129], 3, v[12:13]
	flat_load_dwordx2 v[132:133], v[16:17]
.LBB133_18:
	s_or_b64 exec, exec, s[18:19]
	s_nor_b64 s[26:27], s[4:5], vcc
	s_and_saveexec_b64 s[18:19], s[26:27]
	s_cbranch_execz .LBB133_20
; %bb.19:
	v_lshl_add_u64 v[12:13], v[128:129], 3, v[12:13]
	flat_load_dwordx2 v[130:131], v[12:13] offset:512
.LBB133_20:
	s_or_b64 exec, exec, s[18:19]
	v_or_b32_e32 v5, 4, v151
	v_cmp_le_i32_e32 vcc, s74, v5
	s_nor_b64 s[26:27], vcc, s[6:7]
	v_mov_b64_e32 v[134:135], 0
	v_mov_b64_e32 v[136:137], 0
	s_and_saveexec_b64 s[18:19], s[26:27]
	s_cbranch_execz .LBB133_22
; %bb.21:
	s_waitcnt lgkmcnt(0)
	v_mad_i64_i32 v[12:13], s[26:27], v139, s25, 0
	v_lshl_add_u64 v[12:13], v[12:13], 3, v[10:11]
	flat_load_dwordx2 v[136:137], v[12:13] offset:32
.LBB133_22:
	s_or_b64 exec, exec, s[18:19]
	s_load_dwordx2 s[12:13], s[12:13], 0x0
	s_nor_b64 s[26:27], vcc, s[8:9]
	s_and_saveexec_b64 s[18:19], s[26:27]
	s_cbranch_execz .LBB133_24
; %bb.23:
	s_waitcnt lgkmcnt(0)
	v_mad_i64_i32 v[12:13], s[26:27], v140, s25, 0
	v_lshl_add_u64 v[10:11], v[12:13], 3, v[10:11]
	flat_load_dwordx2 v[134:135], v[10:11] offset:32
.LBB133_24:
	s_or_b64 exec, exec, s[18:19]
	v_lshlrev_b32_e32 v5, 5, v138
	v_lshl_add_u32 v153, v150, 3, v5
	v_lshl_or_b32 v142, v14, 5, v4
	v_lshlrev_b32_e32 v141, 5, v149
	s_waitcnt vmcnt(0) lgkmcnt(0)
	ds_write2st64_b64 v153, v[2:3], v[0:1] offset1:4
	v_add_u32_e32 v154, 0x2000, v142
	ds_write2st64_b64 v142, v[8:9], v[6:7] offset0:16 offset1:20
	v_lshlrev_b32_e32 v155, 5, v148
	v_add_u32_e32 v156, 0x2000, v141
	v_mov_b64_e32 v[126:127], 0
	s_mov_b32 s18, 0
	v_mov_b64_e32 v[124:125], 0
	v_mov_b64_e32 v[122:123], 0
	;; [unrolled: 1-line block ×63, first 2 shown]
	s_waitcnt lgkmcnt(0)
	s_barrier
.LBB133_25:                             ; =>This Inner Loop Header: Depth=1
	v_add_u32_e32 v143, s18, v155
	v_add_u32_e32 v152, s18, v156
	ds_read2_b64 v[144:147], v143 offset1:16
	ds_read2_b64 v[158:161], v143 offset0:32 offset1:48
	ds_read2_b64 v[162:165], v143 offset0:64 offset1:80
	ds_read2_b64 v[166:169], v143 offset0:96 offset1:112
	ds_read2_b64 v[170:173], v143 offset0:128 offset1:144
	ds_read2_b64 v[174:177], v143 offset0:160 offset1:176
	ds_read2_b64 v[178:181], v143 offset0:192 offset1:208
	ds_read2_b64 v[182:185], v143 offset0:224 offset1:240
	ds_read2st64_b64 v[186:189], v152 offset1:4
	v_add_u32_e32 v143, 0x800, v143
	ds_read2_b64 v[190:193], v143 offset1:16
	ds_read2_b64 v[194:197], v143 offset0:32 offset1:48
	ds_read2_b64 v[198:201], v143 offset0:64 offset1:80
	ds_read2_b64 v[202:205], v143 offset0:96 offset1:112
	ds_read2_b64 v[206:209], v143 offset0:128 offset1:144
	ds_read2_b64 v[210:213], v143 offset0:160 offset1:176
	ds_read2_b64 v[214:217], v143 offset0:192 offset1:208
	ds_read2_b64 v[218:221], v143 offset0:224 offset1:240
	s_waitcnt lgkmcnt(14)
	v_max_f64 v[144:145], v[144:145], v[144:145]
	v_max_f64 v[146:147], v[146:147], v[146:147]
	;; [unrolled: 1-line block ×6, first 2 shown]
	s_waitcnt lgkmcnt(13)
	v_max_f64 v[166:167], v[166:167], v[166:167]
	v_max_f64 v[168:169], v[168:169], v[168:169]
	s_waitcnt lgkmcnt(12)
	v_max_f64 v[170:171], v[170:171], v[170:171]
	v_max_f64 v[172:173], v[172:173], v[172:173]
	;; [unrolled: 3-line block ×14, first 2 shown]
	v_min_f64 v[222:223], v[144:145], v[186:187]
	v_min_f64 v[224:225], v[146:147], v[186:187]
	v_min_f64 v[226:227], v[158:159], v[186:187]
	v_min_f64 v[228:229], v[160:161], v[186:187]
	v_min_f64 v[230:231], v[162:163], v[186:187]
	v_min_f64 v[232:233], v[164:165], v[186:187]
	v_min_f64 v[234:235], v[166:167], v[186:187]
	v_min_f64 v[236:237], v[168:169], v[186:187]
	v_min_f64 v[238:239], v[170:171], v[186:187]
	v_min_f64 v[240:241], v[172:173], v[186:187]
	v_min_f64 v[242:243], v[174:175], v[186:187]
	v_min_f64 v[244:245], v[176:177], v[186:187]
	v_min_f64 v[246:247], v[178:179], v[186:187]
	v_min_f64 v[248:249], v[180:181], v[186:187]
	v_min_f64 v[250:251], v[182:183], v[186:187]
	v_min_f64 v[252:253], v[184:185], v[186:187]
	v_min_f64 v[144:145], v[144:145], v[188:189]
	v_min_f64 v[146:147], v[146:147], v[188:189]
	v_min_f64 v[158:159], v[158:159], v[188:189]
	v_min_f64 v[160:161], v[160:161], v[188:189]
	v_min_f64 v[162:163], v[162:163], v[188:189]
	v_min_f64 v[164:165], v[164:165], v[188:189]
	v_min_f64 v[166:167], v[166:167], v[188:189]
	v_min_f64 v[168:169], v[168:169], v[188:189]
	v_min_f64 v[170:171], v[170:171], v[188:189]
	v_min_f64 v[172:173], v[172:173], v[188:189]
	v_min_f64 v[174:175], v[174:175], v[188:189]
	v_min_f64 v[176:177], v[176:177], v[188:189]
	v_min_f64 v[178:179], v[178:179], v[188:189]
	v_min_f64 v[180:181], v[180:181], v[188:189]
	v_min_f64 v[182:183], v[182:183], v[188:189]
	v_min_f64 v[184:185], v[184:185], v[188:189]
	s_add_i32 s18, s18, 8
	v_add_f64 v[62:63], v[62:63], v[144:145]
	v_add_f64 v[60:61], v[60:61], v[146:147]
	;; [unrolled: 1-line block ×16, first 2 shown]
	v_min_f64 v[144:145], v[190:191], v[186:187]
	v_min_f64 v[146:147], v[192:193], v[186:187]
	;; [unrolled: 1-line block ×32, first 2 shown]
	s_cmp_eq_u32 s18, 32
	v_add_f64 v[126:127], v[126:127], v[222:223]
	v_add_f64 v[124:125], v[124:125], v[224:225]
	;; [unrolled: 1-line block ×48, first 2 shown]
	s_cbranch_scc0 .LBB133_25
; %bb.26:
	v_lshlrev_b32_e32 v143, 3, v150
	v_lshl_add_u32 v138, v138, 5, v143
	s_cmp_gt_i32 s74, 8
	ds_write2st64_b64 v138, v[132:133], v[130:131] offset0:8 offset1:12
	ds_write2st64_b64 v142, v[136:137], v[134:135] offset0:24 offset1:28
	s_waitcnt lgkmcnt(0)
	s_barrier
	s_cbranch_scc1 .LBB133_28
; %bb.27:
	v_add_u32_e32 v152, 0x3000, v141
	s_cbranch_execz .LBB133_29
	s_branch .LBB133_51
.LBB133_28:
                                        ; implicit-def: $vgpr152
.LBB133_29:
	v_mov_b32_e32 v134, 0x1000
	v_or_b32_e32 v157, 0x1000, v138
	v_add_u32_e32 v158, 0x3000, v142
	s_add_i32 s24, s74, -8
	v_mad_i64_i32 v[130:131], s[18:19], v139, s25, 0
	v_mad_i64_i32 v[132:133], s[18:19], v140, s25, 0
	v_lshl_add_u32 v159, v148, 5, v134
	v_add_u32_e32 v152, 0x3000, v141
	s_mov_b32 s25, 8
	s_mov_b32 s26, 0
	v_mov_b32_e32 v135, 0
.LBB133_30:                             ; =>This Loop Header: Depth=1
                                        ;     Child Loop BB133_39 Depth 2
                                        ;     Child Loop BB133_49 Depth 2
	v_add_u32_e32 v138, s25, v150
	v_mad_u64_u32 v[136:137], s[18:19], v138, s22, 0
	v_mov_b32_e32 v134, v137
	v_cmp_le_i32_e32 vcc, s74, v138
	v_mad_u64_u32 v[138:139], s[18:19], v138, s23, v[134:135]
	v_mov_b32_e32 v137, v138
	v_lshl_add_u64 v[136:137], v[136:137], 3, s[14:15]
	s_nor_b64 s[28:29], s[2:3], vcc
	v_mov_b64_e32 v[140:141], 0
	v_lshl_add_u64 v[136:137], v[128:129], 3, v[136:137]
	v_mov_b64_e32 v[142:143], 0
	s_and_saveexec_b64 s[18:19], s[28:29]
	s_cbranch_execz .LBB133_32
; %bb.31:                               ;   in Loop: Header=BB133_30 Depth=1
	flat_load_dwordx2 v[142:143], v[136:137]
.LBB133_32:                             ;   in Loop: Header=BB133_30 Depth=1
	s_or_b64 exec, exec, s[18:19]
	s_nor_b64 s[28:29], s[4:5], vcc
	s_and_saveexec_b64 s[18:19], s[28:29]
	s_cbranch_execz .LBB133_34
; %bb.33:                               ;   in Loop: Header=BB133_30 Depth=1
	flat_load_dwordx2 v[140:141], v[136:137] offset:512
.LBB133_34:                             ;   in Loop: Header=BB133_30 Depth=1
	s_or_b64 exec, exec, s[18:19]
	v_or_b32_e32 v134, s25, v151
	v_cmp_le_i32_e32 vcc, s74, v134
	v_lshl_add_u64 v[138:139], v[134:135], 3, s[16:17]
	s_nor_b64 s[28:29], s[6:7], vcc
	v_mov_b64_e32 v[144:145], 0
	v_lshl_add_u64 v[136:137], v[130:131], 3, v[138:139]
	v_mov_b64_e32 v[146:147], 0
	s_and_saveexec_b64 s[18:19], s[28:29]
	s_cbranch_execz .LBB133_36
; %bb.35:                               ;   in Loop: Header=BB133_30 Depth=1
	flat_load_dwordx2 v[146:147], v[136:137]
.LBB133_36:                             ;   in Loop: Header=BB133_30 Depth=1
	s_or_b64 exec, exec, s[18:19]
	s_nor_b64 s[28:29], s[8:9], vcc
	v_lshl_add_u64 v[138:139], v[132:133], 3, v[138:139]
	s_and_saveexec_b64 s[18:19], s[28:29]
	s_cbranch_execz .LBB133_38
; %bb.37:                               ;   in Loop: Header=BB133_30 Depth=1
	flat_load_dwordx2 v[144:145], v[138:139]
.LBB133_38:                             ;   in Loop: Header=BB133_30 Depth=1
	s_or_b64 exec, exec, s[18:19]
	s_mov_b32 s18, 0
.LBB133_39:                             ;   Parent Loop BB133_30 Depth=1
                                        ; =>  This Inner Loop Header: Depth=2
	v_add_u32_e32 v192, s18, v159
	v_add_u32_e32 v220, 0x800, v192
	;; [unrolled: 1-line block ×3, first 2 shown]
	ds_read2_b64 v[160:163], v192 offset1:16
	ds_read2_b64 v[164:167], v192 offset0:32 offset1:48
	ds_read2_b64 v[168:171], v192 offset0:64 offset1:80
	ds_read2_b64 v[172:175], v192 offset0:96 offset1:112
	ds_read2_b64 v[176:179], v192 offset0:128 offset1:144
	ds_read2_b64 v[180:183], v192 offset0:160 offset1:176
	ds_read2_b64 v[184:187], v192 offset0:192 offset1:208
	ds_read2_b64 v[188:191], v192 offset0:224 offset1:240
	ds_read2_b64 v[192:195], v220 offset1:16
	ds_read2_b64 v[196:199], v220 offset0:32 offset1:48
	ds_read2_b64 v[200:203], v220 offset0:64 offset1:80
	;; [unrolled: 1-line block ×7, first 2 shown]
	ds_read2st64_b64 v[224:227], v224 offset1:4
	s_waitcnt lgkmcnt(0)
	v_max_f64 v[160:161], v[160:161], v[160:161]
	v_max_f64 v[162:163], v[162:163], v[162:163]
	;; [unrolled: 1-line block ×5, first 2 shown]
	v_min_f64 v[228:229], v[160:161], v[224:225]
	v_add_f64 v[126:127], v[126:127], v[228:229]
	v_min_f64 v[228:229], v[162:163], v[224:225]
	v_add_f64 v[124:125], v[124:125], v[228:229]
	;; [unrolled: 2-line block ×3, first 2 shown]
	v_min_f64 v[228:229], v[166:167], v[224:225]
	v_max_f64 v[168:169], v[168:169], v[168:169]
	v_add_f64 v[120:121], v[120:121], v[228:229]
	v_min_f64 v[228:229], v[168:169], v[224:225]
	v_max_f64 v[170:171], v[170:171], v[170:171]
	v_add_f64 v[118:119], v[118:119], v[228:229]
	;; [unrolled: 3-line block ×26, first 2 shown]
	v_min_f64 v[228:229], v[218:219], v[224:225]
	v_max_f64 v[220:221], v[220:221], v[220:221]
	v_max_f64 v[222:223], v[222:223], v[222:223]
	v_add_f64 v[68:69], v[68:69], v[228:229]
	v_min_f64 v[228:229], v[220:221], v[224:225]
	v_min_f64 v[224:225], v[222:223], v[224:225]
	v_add_f64 v[64:65], v[64:65], v[224:225]
	v_max_f64 v[224:225], v[226:227], v[226:227]
	v_min_f64 v[160:161], v[160:161], v[224:225]
	v_add_f64 v[62:63], v[62:63], v[160:161]
	v_min_f64 v[160:161], v[162:163], v[224:225]
	v_add_f64 v[60:61], v[60:61], v[160:161]
	;; [unrolled: 2-line block ×31, first 2 shown]
	v_min_f64 v[160:161], v[222:223], v[224:225]
	s_add_i32 s18, s18, 8
	v_add_f64 v[66:67], v[66:67], v[228:229]
	v_add_f64 v[0:1], v[0:1], v[160:161]
	s_cmp_eq_u32 s18, 32
	s_cbranch_scc0 .LBB133_39
; %bb.40:                               ;   in Loop: Header=BB133_30 Depth=1
	s_waitcnt vmcnt(0)
	ds_write2st64_b64 v153, v[142:143], v[140:141] offset1:4
	ds_write2st64_b64 v154, v[146:147], v[144:145] offset1:4
	v_add3_u32 v143, v150, s25, 4
	v_mad_u64_u32 v[140:141], s[18:19], v143, s22, 0
	v_mov_b32_e32 v142, v141
	v_cmp_le_i32_e32 vcc, s74, v143
	v_mad_u64_u32 v[142:143], s[18:19], v143, s23, v[142:143]
	v_mov_b32_e32 v141, v142
	v_lshl_add_u64 v[142:143], v[140:141], 3, s[14:15]
	s_nor_b64 s[28:29], s[2:3], vcc
	v_mov_b64_e32 v[140:141], 0
	v_lshl_add_u64 v[144:145], v[128:129], 3, v[142:143]
	v_mov_b64_e32 v[142:143], 0
	s_waitcnt lgkmcnt(0)
	s_barrier
	s_and_saveexec_b64 s[18:19], s[28:29]
	s_cbranch_execz .LBB133_42
; %bb.41:                               ;   in Loop: Header=BB133_30 Depth=1
	flat_load_dwordx2 v[142:143], v[144:145]
.LBB133_42:                             ;   in Loop: Header=BB133_30 Depth=1
	s_or_b64 exec, exec, s[18:19]
	s_nor_b64 s[28:29], s[4:5], vcc
	s_and_saveexec_b64 s[18:19], s[28:29]
	s_cbranch_execz .LBB133_44
; %bb.43:                               ;   in Loop: Header=BB133_30 Depth=1
	flat_load_dwordx2 v[140:141], v[144:145] offset:512
.LBB133_44:                             ;   in Loop: Header=BB133_30 Depth=1
	s_or_b64 exec, exec, s[18:19]
	v_or_b32_e32 v134, 4, v134
	v_cmp_le_i32_e32 vcc, s74, v134
	s_nor_b64 s[28:29], s[6:7], vcc
	v_mov_b64_e32 v[144:145], 0
	v_mov_b64_e32 v[146:147], 0
	s_and_saveexec_b64 s[18:19], s[28:29]
	s_cbranch_execz .LBB133_46
; %bb.45:                               ;   in Loop: Header=BB133_30 Depth=1
	flat_load_dwordx2 v[146:147], v[136:137] offset:32
.LBB133_46:                             ;   in Loop: Header=BB133_30 Depth=1
	s_or_b64 exec, exec, s[18:19]
	s_nor_b64 s[28:29], s[8:9], vcc
	s_and_saveexec_b64 s[18:19], s[28:29]
	s_cbranch_execz .LBB133_48
; %bb.47:                               ;   in Loop: Header=BB133_30 Depth=1
	flat_load_dwordx2 v[144:145], v[138:139] offset:32
.LBB133_48:                             ;   in Loop: Header=BB133_30 Depth=1
	s_or_b64 exec, exec, s[18:19]
	s_mov_b32 s18, 0
.LBB133_49:                             ;   Parent Loop BB133_30 Depth=1
                                        ; =>  This Inner Loop Header: Depth=2
	v_add_u32_e32 v134, s18, v155
	ds_read2_b64 v[136:139], v134 offset1:16
	ds_read2_b64 v[160:163], v134 offset0:32 offset1:48
	ds_read2_b64 v[164:167], v134 offset0:64 offset1:80
	ds_read2_b64 v[168:171], v134 offset0:96 offset1:112
	ds_read2_b64 v[172:175], v134 offset0:128 offset1:144
	ds_read2_b64 v[176:179], v134 offset0:160 offset1:176
	ds_read2_b64 v[180:183], v134 offset0:192 offset1:208
	ds_read2_b64 v[184:187], v134 offset0:224 offset1:240
	v_add_u32_e32 v134, 0x800, v134
	ds_read2_b64 v[188:191], v134 offset1:16
	ds_read2_b64 v[192:195], v134 offset0:32 offset1:48
	ds_read2_b64 v[196:199], v134 offset0:64 offset1:80
	;; [unrolled: 1-line block ×7, first 2 shown]
	v_add_u32_e32 v134, s18, v156
	ds_read2st64_b64 v[220:223], v134 offset1:4
	s_waitcnt lgkmcnt(0)
	v_max_f64 v[136:137], v[136:137], v[136:137]
	v_max_f64 v[138:139], v[138:139], v[138:139]
	;; [unrolled: 1-line block ×5, first 2 shown]
	v_min_f64 v[224:225], v[136:137], v[220:221]
	v_add_f64 v[126:127], v[126:127], v[224:225]
	v_min_f64 v[224:225], v[138:139], v[220:221]
	v_add_f64 v[124:125], v[124:125], v[224:225]
	;; [unrolled: 2-line block ×3, first 2 shown]
	v_min_f64 v[224:225], v[162:163], v[220:221]
	v_max_f64 v[164:165], v[164:165], v[164:165]
	v_add_f64 v[120:121], v[120:121], v[224:225]
	v_min_f64 v[224:225], v[164:165], v[220:221]
	v_max_f64 v[166:167], v[166:167], v[166:167]
	v_add_f64 v[118:119], v[118:119], v[224:225]
	;; [unrolled: 3-line block ×26, first 2 shown]
	v_min_f64 v[224:225], v[214:215], v[220:221]
	v_max_f64 v[216:217], v[216:217], v[216:217]
	v_max_f64 v[218:219], v[218:219], v[218:219]
	v_add_f64 v[68:69], v[68:69], v[224:225]
	v_min_f64 v[224:225], v[216:217], v[220:221]
	v_min_f64 v[220:221], v[218:219], v[220:221]
	v_add_f64 v[64:65], v[64:65], v[220:221]
	v_max_f64 v[220:221], v[222:223], v[222:223]
	v_min_f64 v[136:137], v[136:137], v[220:221]
	v_add_f64 v[62:63], v[62:63], v[136:137]
	v_min_f64 v[136:137], v[138:139], v[220:221]
	v_add_f64 v[60:61], v[60:61], v[136:137]
	;; [unrolled: 2-line block ×31, first 2 shown]
	v_min_f64 v[136:137], v[218:219], v[220:221]
	s_add_i32 s18, s18, 8
	v_add_f64 v[66:67], v[66:67], v[224:225]
	v_add_f64 v[0:1], v[0:1], v[136:137]
	s_cmp_eq_u32 s18, 32
	s_cbranch_scc0 .LBB133_49
; %bb.50:                               ;   in Loop: Header=BB133_30 Depth=1
	s_add_i32 s25, s25, 8
	s_add_i32 s26, s26, 8
	s_cmp_ge_i32 s26, s24
	s_waitcnt vmcnt(0)
	ds_write2st64_b64 v157, v[142:143], v[140:141] offset1:4
	ds_write2st64_b64 v158, v[146:147], v[144:145] offset1:4
	s_waitcnt lgkmcnt(0)
	s_barrier
	s_cbranch_scc0 .LBB133_30
.LBB133_51:
	v_mov_b32_e32 v128, 0x1000
	v_lshl_add_u32 v128, v148, 5, v128
	s_mov_b32 s2, 0
.LBB133_52:                             ; =>This Inner Loop Header: Depth=1
	v_add_u32_e32 v129, s2, v128
	v_add_u32_e32 v146, s2, v152
	ds_read2_b64 v[130:133], v129 offset1:16
	ds_read2_b64 v[134:137], v129 offset0:32 offset1:48
	ds_read2_b64 v[138:141], v129 offset0:64 offset1:80
	;; [unrolled: 1-line block ×7, first 2 shown]
	v_add_u32_e32 v129, 0x800, v129
	ds_read2st64_b64 v[170:173], v146 offset1:4
	ds_read2_b64 v[174:177], v129 offset1:16
	ds_read2_b64 v[178:181], v129 offset0:32 offset1:48
	ds_read2_b64 v[182:185], v129 offset0:64 offset1:80
	;; [unrolled: 1-line block ×7, first 2 shown]
	s_waitcnt lgkmcnt(14)
	v_max_f64 v[130:131], v[130:131], v[130:131]
	v_max_f64 v[132:133], v[132:133], v[132:133]
	;; [unrolled: 1-line block ×3, first 2 shown]
	s_waitcnt lgkmcnt(8)
	v_max_f64 v[146:147], v[170:171], v[170:171]
	v_max_f64 v[136:137], v[136:137], v[136:137]
	;; [unrolled: 1-line block ×15, first 2 shown]
	v_min_f64 v[170:171], v[130:131], v[146:147]
	v_min_f64 v[172:173], v[132:133], v[146:147]
	;; [unrolled: 1-line block ×16, first 2 shown]
	s_waitcnt lgkmcnt(7)
	v_max_f64 v[174:175], v[174:175], v[174:175]
	v_max_f64 v[176:177], v[176:177], v[176:177]
	s_waitcnt lgkmcnt(6)
	v_max_f64 v[178:179], v[178:179], v[178:179]
	v_max_f64 v[180:181], v[180:181], v[180:181]
	;; [unrolled: 3-line block ×8, first 2 shown]
	v_min_f64 v[130:131], v[130:131], v[168:169]
	v_min_f64 v[132:133], v[132:133], v[168:169]
	;; [unrolled: 1-line block ×16, first 2 shown]
	s_add_i32 s2, s2, 8
	v_add_f64 v[126:127], v[126:127], v[170:171]
	v_add_f64 v[124:125], v[124:125], v[172:173]
	;; [unrolled: 1-line block ×15, first 2 shown]
	v_min_f64 v[170:171], v[174:175], v[146:147]
	v_min_f64 v[172:173], v[176:177], v[146:147]
	;; [unrolled: 1-line block ×16, first 2 shown]
	v_add_f64 v[62:63], v[62:63], v[130:131]
	v_add_f64 v[60:61], v[60:61], v[132:133]
	;; [unrolled: 1-line block ×16, first 2 shown]
	v_min_f64 v[130:131], v[174:175], v[168:169]
	v_min_f64 v[132:133], v[176:177], v[168:169]
	;; [unrolled: 1-line block ×16, first 2 shown]
	s_cmp_eq_u32 s2, 32
	v_add_f64 v[96:97], v[96:97], v[232:233]
	v_add_f64 v[94:95], v[94:95], v[170:171]
	;; [unrolled: 1-line block ×33, first 2 shown]
	s_cbranch_scc0 .LBB133_52
; %bb.53:
	s_load_dwordx2 s[2:3], s[0:1], 0x78
	s_load_dword s78, s[0:1], 0x58
	s_load_dword s33, s[0:1], 0x70
	v_add_u32_e32 v136, s21, v149
	v_add_u32_e32 v128, s20, v148
	s_waitcnt lgkmcnt(0)
	s_lshl_b64 s[0:1], s[2:3], 3
	s_add_u32 s74, s12, s0
	s_addc_u32 s75, s13, s1
	v_mad_i64_i32 v[130:131], s[0:1], v136, s78, 0
	v_cmp_gt_i32_e64 s[24:25], s73, v136
	v_lshl_add_u64 v[132:133], v[130:131], 3, s[76:77]
	v_mad_i64_i32 v[130:131], s[0:1], v136, s33, 0
	v_cmp_gt_i32_e64 s[2:3], s72, v128
	v_cndmask_b32_e64 v134, 0, 1, s[10:11]
	v_lshl_add_u64 v[130:131], v[130:131], 3, s[74:75]
	s_and_b64 s[6:7], s[24:25], s[2:3]
	v_ashrrev_i32_e32 v129, 31, v128
	v_cmp_ne_u32_e64 s[0:1], 1, v134
	s_and_saveexec_b64 s[4:5], s[6:7]
	s_cbranch_execz .LBB133_58
; %bb.54:
	s_and_b64 vcc, exec, s[0:1]
	s_cbranch_vccnz .LBB133_56
; %bb.55:
	v_lshl_add_u64 v[134:135], v[128:129], 3, v[132:133]
	flat_load_dwordx2 v[134:135], v[134:135]
	s_waitcnt vmcnt(0) lgkmcnt(0)
	v_mul_f64 v[134:135], s[70:71], v[134:135]
	s_branch .LBB133_57
.LBB133_56:
	v_mov_b64_e32 v[134:135], 0
.LBB133_57:
	v_add_f64 v[126:127], v[126:127], v[134:135]
	v_lshl_add_u64 v[134:135], v[128:129], 3, v[130:131]
	flat_store_dwordx2 v[134:135], v[126:127]
.LBB133_58:
	s_or_b64 exec, exec, s[4:5]
	v_add_u32_e32 v126, 4, v128
	v_cmp_gt_i32_e64 s[4:5], s72, v126
	s_and_b64 s[8:9], s[24:25], s[4:5]
	v_ashrrev_i32_e32 v127, 31, v126
	s_and_saveexec_b64 s[6:7], s[8:9]
	s_cbranch_execz .LBB133_63
; %bb.59:
	s_and_b64 vcc, exec, s[0:1]
	s_cbranch_vccnz .LBB133_61
; %bb.60:
	v_lshl_add_u64 v[134:135], v[126:127], 3, v[132:133]
	flat_load_dwordx2 v[134:135], v[134:135]
	s_waitcnt vmcnt(0) lgkmcnt(0)
	v_mul_f64 v[134:135], s[70:71], v[134:135]
	s_branch .LBB133_62
.LBB133_61:
	v_mov_b64_e32 v[134:135], 0
.LBB133_62:
	v_add_f64 v[124:125], v[124:125], v[134:135]
	v_lshl_add_u64 v[134:135], v[126:127], 3, v[130:131]
	flat_store_dwordx2 v[134:135], v[124:125]
.LBB133_63:
	s_or_b64 exec, exec, s[6:7]
	v_add_u32_e32 v124, 8, v128
	v_cmp_gt_i32_e64 s[6:7], s72, v124
	s_and_b64 s[10:11], s[24:25], s[6:7]
	v_ashrrev_i32_e32 v125, 31, v124
	;; [unrolled: 23-line block ×31, first 2 shown]
	s_and_saveexec_b64 s[24:25], s[80:81]
	s_cbranch_execz .LBB133_213
; %bb.209:
	s_and_b64 vcc, exec, s[0:1]
	s_cbranch_vccnz .LBB133_211
; %bb.210:
	v_lshl_add_u64 v[132:133], v[66:67], 3, v[132:133]
	flat_load_dwordx2 v[132:133], v[132:133]
	s_waitcnt vmcnt(0) lgkmcnt(0)
	v_mul_f64 v[132:133], s[70:71], v[132:133]
	s_branch .LBB133_212
.LBB133_211:
	v_mov_b64_e32 v[132:133], 0
.LBB133_212:
	v_add_f64 v[64:65], v[64:65], v[132:133]
	v_lshl_add_u64 v[130:131], v[66:67], 3, v[130:131]
	flat_store_dwordx2 v[130:131], v[64:65]
.LBB133_213:
	s_or_b64 exec, exec, s[24:25]
	v_add_u32_e32 v132, 64, v136
	v_cmp_gt_i32_e64 s[24:25], s73, v132
	v_mad_i64_i32 v[64:65], s[72:73], v132, s78, 0
	v_lshl_add_u64 v[130:131], v[64:65], 3, s[76:77]
	v_mad_i64_i32 v[64:65], s[72:73], v132, s33, 0
	v_lshl_add_u64 v[64:65], v[64:65], 3, s[74:75]
	s_and_b64 s[2:3], s[24:25], s[2:3]
	s_and_saveexec_b64 s[72:73], s[2:3]
	s_xor_b64 s[2:3], exec, s[72:73]
	s_cbranch_execnz .LBB133_246
; %bb.214:
	s_or_b64 exec, exec, s[2:3]
	s_and_b64 s[4:5], s[24:25], s[4:5]
	s_and_saveexec_b64 s[2:3], s[4:5]
	s_cbranch_execnz .LBB133_250
.LBB133_215:
	s_or_b64 exec, exec, s[2:3]
	s_and_b64 s[4:5], s[24:25], s[6:7]
	s_and_saveexec_b64 s[2:3], s[4:5]
	s_cbranch_execnz .LBB133_254
.LBB133_216:
	s_or_b64 exec, exec, s[2:3]
	s_and_b64 s[4:5], s[24:25], s[8:9]
	s_and_saveexec_b64 s[2:3], s[4:5]
	s_cbranch_execnz .LBB133_258
.LBB133_217:
	s_or_b64 exec, exec, s[2:3]
	s_and_b64 s[4:5], s[24:25], s[10:11]
	s_and_saveexec_b64 s[2:3], s[4:5]
	s_cbranch_execnz .LBB133_262
.LBB133_218:
	s_or_b64 exec, exec, s[2:3]
	s_and_b64 s[4:5], s[24:25], s[12:13]
	s_and_saveexec_b64 s[2:3], s[4:5]
	s_cbranch_execnz .LBB133_266
.LBB133_219:
	s_or_b64 exec, exec, s[2:3]
	s_and_b64 s[4:5], s[24:25], s[14:15]
	s_and_saveexec_b64 s[2:3], s[4:5]
	s_cbranch_execnz .LBB133_270
.LBB133_220:
	s_or_b64 exec, exec, s[2:3]
	s_and_b64 s[4:5], s[24:25], s[16:17]
	s_and_saveexec_b64 s[2:3], s[4:5]
	s_cbranch_execnz .LBB133_274
.LBB133_221:
	s_or_b64 exec, exec, s[2:3]
	s_and_b64 s[4:5], s[24:25], s[18:19]
	s_and_saveexec_b64 s[2:3], s[4:5]
	s_cbranch_execnz .LBB133_278
.LBB133_222:
	s_or_b64 exec, exec, s[2:3]
	s_and_b64 s[4:5], s[24:25], s[20:21]
	s_and_saveexec_b64 s[2:3], s[4:5]
	s_cbranch_execnz .LBB133_282
.LBB133_223:
	s_or_b64 exec, exec, s[2:3]
	s_and_b64 s[4:5], s[24:25], s[22:23]
	s_and_saveexec_b64 s[2:3], s[4:5]
	s_cbranch_execnz .LBB133_286
.LBB133_224:
	s_or_b64 exec, exec, s[2:3]
	s_and_b64 s[4:5], s[24:25], s[26:27]
	s_and_saveexec_b64 s[2:3], s[4:5]
	s_cbranch_execnz .LBB133_290
.LBB133_225:
	s_or_b64 exec, exec, s[2:3]
	s_and_b64 s[4:5], s[24:25], s[28:29]
	s_and_saveexec_b64 s[2:3], s[4:5]
	s_cbranch_execnz .LBB133_294
.LBB133_226:
	s_or_b64 exec, exec, s[2:3]
	s_and_b64 s[4:5], s[24:25], s[30:31]
	s_and_saveexec_b64 s[2:3], s[4:5]
	s_cbranch_execnz .LBB133_298
.LBB133_227:
	s_or_b64 exec, exec, s[2:3]
	s_and_b64 s[4:5], s[24:25], s[34:35]
	s_and_saveexec_b64 s[2:3], s[4:5]
	s_cbranch_execnz .LBB133_302
.LBB133_228:
	s_or_b64 exec, exec, s[2:3]
	s_and_b64 s[4:5], s[24:25], s[36:37]
	s_and_saveexec_b64 s[2:3], s[4:5]
	s_cbranch_execnz .LBB133_306
.LBB133_229:
	s_or_b64 exec, exec, s[2:3]
	s_and_b64 s[4:5], s[24:25], s[38:39]
	s_and_saveexec_b64 s[2:3], s[4:5]
	s_cbranch_execnz .LBB133_310
.LBB133_230:
	s_or_b64 exec, exec, s[2:3]
	s_and_b64 s[4:5], s[24:25], s[40:41]
	s_and_saveexec_b64 s[2:3], s[4:5]
	s_cbranch_execnz .LBB133_314
.LBB133_231:
	s_or_b64 exec, exec, s[2:3]
	s_and_b64 s[4:5], s[24:25], s[42:43]
	s_and_saveexec_b64 s[2:3], s[4:5]
	s_cbranch_execnz .LBB133_318
.LBB133_232:
	s_or_b64 exec, exec, s[2:3]
	s_and_b64 s[4:5], s[24:25], s[44:45]
	s_and_saveexec_b64 s[2:3], s[4:5]
	s_cbranch_execnz .LBB133_322
.LBB133_233:
	s_or_b64 exec, exec, s[2:3]
	s_and_b64 s[4:5], s[24:25], s[46:47]
	s_and_saveexec_b64 s[2:3], s[4:5]
	s_cbranch_execnz .LBB133_326
.LBB133_234:
	s_or_b64 exec, exec, s[2:3]
	s_and_b64 s[4:5], s[24:25], s[48:49]
	s_and_saveexec_b64 s[2:3], s[4:5]
	s_cbranch_execnz .LBB133_330
.LBB133_235:
	s_or_b64 exec, exec, s[2:3]
	s_and_b64 s[4:5], s[24:25], s[50:51]
	s_and_saveexec_b64 s[2:3], s[4:5]
	s_cbranch_execnz .LBB133_334
.LBB133_236:
	s_or_b64 exec, exec, s[2:3]
	s_and_b64 s[4:5], s[24:25], s[52:53]
	s_and_saveexec_b64 s[2:3], s[4:5]
	s_cbranch_execnz .LBB133_338
.LBB133_237:
	s_or_b64 exec, exec, s[2:3]
	s_and_b64 s[4:5], s[24:25], s[54:55]
	s_and_saveexec_b64 s[2:3], s[4:5]
	s_cbranch_execnz .LBB133_342
.LBB133_238:
	s_or_b64 exec, exec, s[2:3]
	s_and_b64 s[4:5], s[24:25], s[56:57]
	s_and_saveexec_b64 s[2:3], s[4:5]
	s_cbranch_execnz .LBB133_346
.LBB133_239:
	s_or_b64 exec, exec, s[2:3]
	s_and_b64 s[4:5], s[24:25], s[58:59]
	s_and_saveexec_b64 s[2:3], s[4:5]
	s_cbranch_execnz .LBB133_350
.LBB133_240:
	s_or_b64 exec, exec, s[2:3]
	s_and_b64 s[4:5], s[24:25], s[60:61]
	s_and_saveexec_b64 s[2:3], s[4:5]
	s_cbranch_execnz .LBB133_354
.LBB133_241:
	s_or_b64 exec, exec, s[2:3]
	s_and_b64 s[4:5], s[24:25], s[62:63]
	s_and_saveexec_b64 s[2:3], s[4:5]
	s_cbranch_execnz .LBB133_358
.LBB133_242:
	s_or_b64 exec, exec, s[2:3]
	s_and_b64 s[4:5], s[24:25], s[64:65]
	s_and_saveexec_b64 s[2:3], s[4:5]
	s_cbranch_execnz .LBB133_362
.LBB133_243:
	s_or_b64 exec, exec, s[2:3]
	s_and_b64 s[4:5], s[24:25], s[66:67]
	s_and_saveexec_b64 s[2:3], s[4:5]
	s_cbranch_execnz .LBB133_366
.LBB133_244:
	s_or_b64 exec, exec, s[2:3]
	s_and_b64 s[2:3], s[24:25], s[68:69]
	s_and_saveexec_b64 s[4:5], s[2:3]
	s_cbranch_execnz .LBB133_370
.LBB133_245:
	s_endpgm
.LBB133_246:
	s_and_b64 vcc, exec, s[0:1]
	s_cbranch_vccnz .LBB133_248
; %bb.247:
	v_lshl_add_u64 v[132:133], v[128:129], 3, v[130:131]
	flat_load_dwordx2 v[132:133], v[132:133]
	s_waitcnt vmcnt(0) lgkmcnt(0)
	v_mul_f64 v[132:133], s[70:71], v[132:133]
	s_branch .LBB133_249
.LBB133_248:
	v_mov_b64_e32 v[132:133], 0
.LBB133_249:
	v_add_f64 v[62:63], v[62:63], v[132:133]
	v_lshl_add_u64 v[128:129], v[128:129], 3, v[64:65]
	flat_store_dwordx2 v[128:129], v[62:63]
	s_or_b64 exec, exec, s[2:3]
	s_and_b64 s[4:5], s[24:25], s[4:5]
	s_and_saveexec_b64 s[2:3], s[4:5]
	s_cbranch_execz .LBB133_215
.LBB133_250:
	s_and_b64 vcc, exec, s[0:1]
	s_cbranch_vccnz .LBB133_252
; %bb.251:
	v_lshl_add_u64 v[62:63], v[126:127], 3, v[130:131]
	flat_load_dwordx2 v[62:63], v[62:63]
	s_waitcnt vmcnt(0) lgkmcnt(0)
	v_mul_f64 v[62:63], s[70:71], v[62:63]
	s_branch .LBB133_253
.LBB133_252:
	v_mov_b64_e32 v[62:63], 0
.LBB133_253:
	v_add_f64 v[60:61], v[60:61], v[62:63]
	v_lshl_add_u64 v[62:63], v[126:127], 3, v[64:65]
	flat_store_dwordx2 v[62:63], v[60:61]
	s_or_b64 exec, exec, s[2:3]
	s_and_b64 s[4:5], s[24:25], s[6:7]
	s_and_saveexec_b64 s[2:3], s[4:5]
	s_cbranch_execz .LBB133_216
.LBB133_254:
	s_and_b64 vcc, exec, s[0:1]
	s_cbranch_vccnz .LBB133_256
; %bb.255:
	v_lshl_add_u64 v[60:61], v[124:125], 3, v[130:131]
	flat_load_dwordx2 v[60:61], v[60:61]
	s_waitcnt vmcnt(0) lgkmcnt(0)
	v_mul_f64 v[60:61], s[70:71], v[60:61]
	s_branch .LBB133_257
.LBB133_256:
	v_mov_b64_e32 v[60:61], 0
.LBB133_257:
	v_add_f64 v[58:59], v[58:59], v[60:61]
	v_lshl_add_u64 v[60:61], v[124:125], 3, v[64:65]
	flat_store_dwordx2 v[60:61], v[58:59]
	s_or_b64 exec, exec, s[2:3]
	s_and_b64 s[4:5], s[24:25], s[8:9]
	s_and_saveexec_b64 s[2:3], s[4:5]
	s_cbranch_execz .LBB133_217
.LBB133_258:
	s_and_b64 vcc, exec, s[0:1]
	s_cbranch_vccnz .LBB133_260
; %bb.259:
	v_lshl_add_u64 v[58:59], v[122:123], 3, v[130:131]
	flat_load_dwordx2 v[58:59], v[58:59]
	s_waitcnt vmcnt(0) lgkmcnt(0)
	v_mul_f64 v[58:59], s[70:71], v[58:59]
	s_branch .LBB133_261
.LBB133_260:
	v_mov_b64_e32 v[58:59], 0
.LBB133_261:
	v_add_f64 v[56:57], v[56:57], v[58:59]
	v_lshl_add_u64 v[58:59], v[122:123], 3, v[64:65]
	flat_store_dwordx2 v[58:59], v[56:57]
	s_or_b64 exec, exec, s[2:3]
	s_and_b64 s[4:5], s[24:25], s[10:11]
	s_and_saveexec_b64 s[2:3], s[4:5]
	s_cbranch_execz .LBB133_218
.LBB133_262:
	s_and_b64 vcc, exec, s[0:1]
	s_cbranch_vccnz .LBB133_264
; %bb.263:
	v_lshl_add_u64 v[56:57], v[120:121], 3, v[130:131]
	flat_load_dwordx2 v[56:57], v[56:57]
	s_waitcnt vmcnt(0) lgkmcnt(0)
	v_mul_f64 v[56:57], s[70:71], v[56:57]
	s_branch .LBB133_265
.LBB133_264:
	v_mov_b64_e32 v[56:57], 0
.LBB133_265:
	v_add_f64 v[54:55], v[54:55], v[56:57]
	v_lshl_add_u64 v[56:57], v[120:121], 3, v[64:65]
	flat_store_dwordx2 v[56:57], v[54:55]
	s_or_b64 exec, exec, s[2:3]
	s_and_b64 s[4:5], s[24:25], s[12:13]
	s_and_saveexec_b64 s[2:3], s[4:5]
	s_cbranch_execz .LBB133_219
.LBB133_266:
	s_and_b64 vcc, exec, s[0:1]
	s_cbranch_vccnz .LBB133_268
; %bb.267:
	v_lshl_add_u64 v[54:55], v[118:119], 3, v[130:131]
	flat_load_dwordx2 v[54:55], v[54:55]
	s_waitcnt vmcnt(0) lgkmcnt(0)
	v_mul_f64 v[54:55], s[70:71], v[54:55]
	s_branch .LBB133_269
.LBB133_268:
	v_mov_b64_e32 v[54:55], 0
.LBB133_269:
	v_add_f64 v[52:53], v[52:53], v[54:55]
	v_lshl_add_u64 v[54:55], v[118:119], 3, v[64:65]
	flat_store_dwordx2 v[54:55], v[52:53]
	s_or_b64 exec, exec, s[2:3]
	s_and_b64 s[4:5], s[24:25], s[14:15]
	s_and_saveexec_b64 s[2:3], s[4:5]
	s_cbranch_execz .LBB133_220
.LBB133_270:
	s_and_b64 vcc, exec, s[0:1]
	s_cbranch_vccnz .LBB133_272
; %bb.271:
	v_lshl_add_u64 v[52:53], v[116:117], 3, v[130:131]
	flat_load_dwordx2 v[52:53], v[52:53]
	s_waitcnt vmcnt(0) lgkmcnt(0)
	v_mul_f64 v[52:53], s[70:71], v[52:53]
	s_branch .LBB133_273
.LBB133_272:
	v_mov_b64_e32 v[52:53], 0
.LBB133_273:
	v_add_f64 v[50:51], v[50:51], v[52:53]
	v_lshl_add_u64 v[52:53], v[116:117], 3, v[64:65]
	flat_store_dwordx2 v[52:53], v[50:51]
	s_or_b64 exec, exec, s[2:3]
	s_and_b64 s[4:5], s[24:25], s[16:17]
	s_and_saveexec_b64 s[2:3], s[4:5]
	s_cbranch_execz .LBB133_221
.LBB133_274:
	s_and_b64 vcc, exec, s[0:1]
	s_cbranch_vccnz .LBB133_276
; %bb.275:
	v_lshl_add_u64 v[50:51], v[114:115], 3, v[130:131]
	flat_load_dwordx2 v[50:51], v[50:51]
	s_waitcnt vmcnt(0) lgkmcnt(0)
	v_mul_f64 v[50:51], s[70:71], v[50:51]
	s_branch .LBB133_277
.LBB133_276:
	v_mov_b64_e32 v[50:51], 0
.LBB133_277:
	v_add_f64 v[48:49], v[48:49], v[50:51]
	v_lshl_add_u64 v[50:51], v[114:115], 3, v[64:65]
	flat_store_dwordx2 v[50:51], v[48:49]
	s_or_b64 exec, exec, s[2:3]
	s_and_b64 s[4:5], s[24:25], s[18:19]
	s_and_saveexec_b64 s[2:3], s[4:5]
	s_cbranch_execz .LBB133_222
.LBB133_278:
	s_and_b64 vcc, exec, s[0:1]
	s_cbranch_vccnz .LBB133_280
; %bb.279:
	v_lshl_add_u64 v[48:49], v[112:113], 3, v[130:131]
	flat_load_dwordx2 v[48:49], v[48:49]
	s_waitcnt vmcnt(0) lgkmcnt(0)
	v_mul_f64 v[48:49], s[70:71], v[48:49]
	s_branch .LBB133_281
.LBB133_280:
	v_mov_b64_e32 v[48:49], 0
.LBB133_281:
	v_add_f64 v[46:47], v[46:47], v[48:49]
	v_lshl_add_u64 v[48:49], v[112:113], 3, v[64:65]
	flat_store_dwordx2 v[48:49], v[46:47]
	s_or_b64 exec, exec, s[2:3]
	s_and_b64 s[4:5], s[24:25], s[20:21]
	s_and_saveexec_b64 s[2:3], s[4:5]
	s_cbranch_execz .LBB133_223
.LBB133_282:
	s_and_b64 vcc, exec, s[0:1]
	s_cbranch_vccnz .LBB133_284
; %bb.283:
	v_lshl_add_u64 v[46:47], v[110:111], 3, v[130:131]
	flat_load_dwordx2 v[46:47], v[46:47]
	s_waitcnt vmcnt(0) lgkmcnt(0)
	v_mul_f64 v[46:47], s[70:71], v[46:47]
	s_branch .LBB133_285
.LBB133_284:
	v_mov_b64_e32 v[46:47], 0
.LBB133_285:
	v_add_f64 v[44:45], v[44:45], v[46:47]
	v_lshl_add_u64 v[46:47], v[110:111], 3, v[64:65]
	flat_store_dwordx2 v[46:47], v[44:45]
	s_or_b64 exec, exec, s[2:3]
	s_and_b64 s[4:5], s[24:25], s[22:23]
	s_and_saveexec_b64 s[2:3], s[4:5]
	s_cbranch_execz .LBB133_224
.LBB133_286:
	s_and_b64 vcc, exec, s[0:1]
	s_cbranch_vccnz .LBB133_288
; %bb.287:
	v_lshl_add_u64 v[44:45], v[108:109], 3, v[130:131]
	flat_load_dwordx2 v[44:45], v[44:45]
	s_waitcnt vmcnt(0) lgkmcnt(0)
	v_mul_f64 v[44:45], s[70:71], v[44:45]
	s_branch .LBB133_289
.LBB133_288:
	v_mov_b64_e32 v[44:45], 0
.LBB133_289:
	v_add_f64 v[42:43], v[42:43], v[44:45]
	v_lshl_add_u64 v[44:45], v[108:109], 3, v[64:65]
	flat_store_dwordx2 v[44:45], v[42:43]
	s_or_b64 exec, exec, s[2:3]
	s_and_b64 s[4:5], s[24:25], s[26:27]
	s_and_saveexec_b64 s[2:3], s[4:5]
	s_cbranch_execz .LBB133_225
.LBB133_290:
	s_and_b64 vcc, exec, s[0:1]
	s_cbranch_vccnz .LBB133_292
; %bb.291:
	v_lshl_add_u64 v[42:43], v[106:107], 3, v[130:131]
	flat_load_dwordx2 v[42:43], v[42:43]
	s_waitcnt vmcnt(0) lgkmcnt(0)
	v_mul_f64 v[42:43], s[70:71], v[42:43]
	s_branch .LBB133_293
.LBB133_292:
	v_mov_b64_e32 v[42:43], 0
.LBB133_293:
	v_add_f64 v[40:41], v[40:41], v[42:43]
	v_lshl_add_u64 v[42:43], v[106:107], 3, v[64:65]
	flat_store_dwordx2 v[42:43], v[40:41]
	s_or_b64 exec, exec, s[2:3]
	s_and_b64 s[4:5], s[24:25], s[28:29]
	s_and_saveexec_b64 s[2:3], s[4:5]
	s_cbranch_execz .LBB133_226
.LBB133_294:
	s_and_b64 vcc, exec, s[0:1]
	s_cbranch_vccnz .LBB133_296
; %bb.295:
	v_lshl_add_u64 v[40:41], v[104:105], 3, v[130:131]
	flat_load_dwordx2 v[40:41], v[40:41]
	s_waitcnt vmcnt(0) lgkmcnt(0)
	v_mul_f64 v[40:41], s[70:71], v[40:41]
	s_branch .LBB133_297
.LBB133_296:
	v_mov_b64_e32 v[40:41], 0
.LBB133_297:
	v_add_f64 v[38:39], v[38:39], v[40:41]
	v_lshl_add_u64 v[40:41], v[104:105], 3, v[64:65]
	flat_store_dwordx2 v[40:41], v[38:39]
	s_or_b64 exec, exec, s[2:3]
	s_and_b64 s[4:5], s[24:25], s[30:31]
	s_and_saveexec_b64 s[2:3], s[4:5]
	s_cbranch_execz .LBB133_227
.LBB133_298:
	s_and_b64 vcc, exec, s[0:1]
	s_cbranch_vccnz .LBB133_300
; %bb.299:
	v_lshl_add_u64 v[38:39], v[102:103], 3, v[130:131]
	flat_load_dwordx2 v[38:39], v[38:39]
	s_waitcnt vmcnt(0) lgkmcnt(0)
	v_mul_f64 v[38:39], s[70:71], v[38:39]
	s_branch .LBB133_301
.LBB133_300:
	v_mov_b64_e32 v[38:39], 0
.LBB133_301:
	v_add_f64 v[36:37], v[36:37], v[38:39]
	v_lshl_add_u64 v[38:39], v[102:103], 3, v[64:65]
	flat_store_dwordx2 v[38:39], v[36:37]
	s_or_b64 exec, exec, s[2:3]
	s_and_b64 s[4:5], s[24:25], s[34:35]
	s_and_saveexec_b64 s[2:3], s[4:5]
	s_cbranch_execz .LBB133_228
.LBB133_302:
	s_and_b64 vcc, exec, s[0:1]
	s_cbranch_vccnz .LBB133_304
; %bb.303:
	v_lshl_add_u64 v[36:37], v[100:101], 3, v[130:131]
	flat_load_dwordx2 v[36:37], v[36:37]
	s_waitcnt vmcnt(0) lgkmcnt(0)
	v_mul_f64 v[36:37], s[70:71], v[36:37]
	s_branch .LBB133_305
.LBB133_304:
	v_mov_b64_e32 v[36:37], 0
.LBB133_305:
	v_add_f64 v[34:35], v[34:35], v[36:37]
	v_lshl_add_u64 v[36:37], v[100:101], 3, v[64:65]
	flat_store_dwordx2 v[36:37], v[34:35]
	s_or_b64 exec, exec, s[2:3]
	s_and_b64 s[4:5], s[24:25], s[36:37]
	s_and_saveexec_b64 s[2:3], s[4:5]
	s_cbranch_execz .LBB133_229
.LBB133_306:
	s_and_b64 vcc, exec, s[0:1]
	s_cbranch_vccnz .LBB133_308
; %bb.307:
	v_lshl_add_u64 v[34:35], v[98:99], 3, v[130:131]
	flat_load_dwordx2 v[34:35], v[34:35]
	s_waitcnt vmcnt(0) lgkmcnt(0)
	v_mul_f64 v[34:35], s[70:71], v[34:35]
	s_branch .LBB133_309
.LBB133_308:
	v_mov_b64_e32 v[34:35], 0
.LBB133_309:
	v_add_f64 v[32:33], v[32:33], v[34:35]
	v_lshl_add_u64 v[34:35], v[98:99], 3, v[64:65]
	flat_store_dwordx2 v[34:35], v[32:33]
	s_or_b64 exec, exec, s[2:3]
	s_and_b64 s[4:5], s[24:25], s[38:39]
	s_and_saveexec_b64 s[2:3], s[4:5]
	s_cbranch_execz .LBB133_230
.LBB133_310:
	s_and_b64 vcc, exec, s[0:1]
	s_cbranch_vccnz .LBB133_312
; %bb.311:
	v_lshl_add_u64 v[32:33], v[96:97], 3, v[130:131]
	flat_load_dwordx2 v[32:33], v[32:33]
	s_waitcnt vmcnt(0) lgkmcnt(0)
	v_mul_f64 v[32:33], s[70:71], v[32:33]
	s_branch .LBB133_313
.LBB133_312:
	v_mov_b64_e32 v[32:33], 0
.LBB133_313:
	v_add_f64 v[30:31], v[30:31], v[32:33]
	v_lshl_add_u64 v[32:33], v[96:97], 3, v[64:65]
	flat_store_dwordx2 v[32:33], v[30:31]
	s_or_b64 exec, exec, s[2:3]
	s_and_b64 s[4:5], s[24:25], s[40:41]
	s_and_saveexec_b64 s[2:3], s[4:5]
	s_cbranch_execz .LBB133_231
.LBB133_314:
	s_and_b64 vcc, exec, s[0:1]
	s_cbranch_vccnz .LBB133_316
; %bb.315:
	v_lshl_add_u64 v[30:31], v[94:95], 3, v[130:131]
	flat_load_dwordx2 v[30:31], v[30:31]
	s_waitcnt vmcnt(0) lgkmcnt(0)
	v_mul_f64 v[30:31], s[70:71], v[30:31]
	s_branch .LBB133_317
.LBB133_316:
	v_mov_b64_e32 v[30:31], 0
.LBB133_317:
	v_add_f64 v[28:29], v[28:29], v[30:31]
	v_lshl_add_u64 v[30:31], v[94:95], 3, v[64:65]
	flat_store_dwordx2 v[30:31], v[28:29]
	s_or_b64 exec, exec, s[2:3]
	s_and_b64 s[4:5], s[24:25], s[42:43]
	s_and_saveexec_b64 s[2:3], s[4:5]
	s_cbranch_execz .LBB133_232
.LBB133_318:
	s_and_b64 vcc, exec, s[0:1]
	s_cbranch_vccnz .LBB133_320
; %bb.319:
	v_lshl_add_u64 v[28:29], v[92:93], 3, v[130:131]
	flat_load_dwordx2 v[28:29], v[28:29]
	s_waitcnt vmcnt(0) lgkmcnt(0)
	v_mul_f64 v[28:29], s[70:71], v[28:29]
	s_branch .LBB133_321
.LBB133_320:
	v_mov_b64_e32 v[28:29], 0
.LBB133_321:
	v_add_f64 v[26:27], v[26:27], v[28:29]
	v_lshl_add_u64 v[28:29], v[92:93], 3, v[64:65]
	flat_store_dwordx2 v[28:29], v[26:27]
	s_or_b64 exec, exec, s[2:3]
	s_and_b64 s[4:5], s[24:25], s[44:45]
	s_and_saveexec_b64 s[2:3], s[4:5]
	s_cbranch_execz .LBB133_233
.LBB133_322:
	s_and_b64 vcc, exec, s[0:1]
	s_cbranch_vccnz .LBB133_324
; %bb.323:
	v_lshl_add_u64 v[26:27], v[90:91], 3, v[130:131]
	flat_load_dwordx2 v[26:27], v[26:27]
	s_waitcnt vmcnt(0) lgkmcnt(0)
	v_mul_f64 v[26:27], s[70:71], v[26:27]
	s_branch .LBB133_325
.LBB133_324:
	v_mov_b64_e32 v[26:27], 0
.LBB133_325:
	v_add_f64 v[24:25], v[24:25], v[26:27]
	v_lshl_add_u64 v[26:27], v[90:91], 3, v[64:65]
	flat_store_dwordx2 v[26:27], v[24:25]
	s_or_b64 exec, exec, s[2:3]
	s_and_b64 s[4:5], s[24:25], s[46:47]
	s_and_saveexec_b64 s[2:3], s[4:5]
	s_cbranch_execz .LBB133_234
.LBB133_326:
	s_and_b64 vcc, exec, s[0:1]
	s_cbranch_vccnz .LBB133_328
; %bb.327:
	v_lshl_add_u64 v[24:25], v[88:89], 3, v[130:131]
	flat_load_dwordx2 v[24:25], v[24:25]
	s_waitcnt vmcnt(0) lgkmcnt(0)
	v_mul_f64 v[24:25], s[70:71], v[24:25]
	s_branch .LBB133_329
.LBB133_328:
	v_mov_b64_e32 v[24:25], 0
.LBB133_329:
	v_add_f64 v[22:23], v[22:23], v[24:25]
	v_lshl_add_u64 v[24:25], v[88:89], 3, v[64:65]
	flat_store_dwordx2 v[24:25], v[22:23]
	s_or_b64 exec, exec, s[2:3]
	s_and_b64 s[4:5], s[24:25], s[48:49]
	s_and_saveexec_b64 s[2:3], s[4:5]
	s_cbranch_execz .LBB133_235
.LBB133_330:
	s_and_b64 vcc, exec, s[0:1]
	s_cbranch_vccnz .LBB133_332
; %bb.331:
	v_lshl_add_u64 v[22:23], v[86:87], 3, v[130:131]
	flat_load_dwordx2 v[22:23], v[22:23]
	s_waitcnt vmcnt(0) lgkmcnt(0)
	v_mul_f64 v[22:23], s[70:71], v[22:23]
	s_branch .LBB133_333
.LBB133_332:
	v_mov_b64_e32 v[22:23], 0
.LBB133_333:
	v_add_f64 v[20:21], v[20:21], v[22:23]
	v_lshl_add_u64 v[22:23], v[86:87], 3, v[64:65]
	flat_store_dwordx2 v[22:23], v[20:21]
	s_or_b64 exec, exec, s[2:3]
	s_and_b64 s[4:5], s[24:25], s[50:51]
	s_and_saveexec_b64 s[2:3], s[4:5]
	s_cbranch_execz .LBB133_236
.LBB133_334:
	s_and_b64 vcc, exec, s[0:1]
	s_cbranch_vccnz .LBB133_336
; %bb.335:
	v_lshl_add_u64 v[20:21], v[84:85], 3, v[130:131]
	flat_load_dwordx2 v[20:21], v[20:21]
	s_waitcnt vmcnt(0) lgkmcnt(0)
	v_mul_f64 v[20:21], s[70:71], v[20:21]
	s_branch .LBB133_337
.LBB133_336:
	v_mov_b64_e32 v[20:21], 0
.LBB133_337:
	v_add_f64 v[18:19], v[18:19], v[20:21]
	v_lshl_add_u64 v[20:21], v[84:85], 3, v[64:65]
	flat_store_dwordx2 v[20:21], v[18:19]
	s_or_b64 exec, exec, s[2:3]
	s_and_b64 s[4:5], s[24:25], s[52:53]
	s_and_saveexec_b64 s[2:3], s[4:5]
	s_cbranch_execz .LBB133_237
.LBB133_338:
	s_and_b64 vcc, exec, s[0:1]
	s_cbranch_vccnz .LBB133_340
; %bb.339:
	v_lshl_add_u64 v[18:19], v[82:83], 3, v[130:131]
	flat_load_dwordx2 v[18:19], v[18:19]
	s_waitcnt vmcnt(0) lgkmcnt(0)
	v_mul_f64 v[18:19], s[70:71], v[18:19]
	s_branch .LBB133_341
.LBB133_340:
	v_mov_b64_e32 v[18:19], 0
.LBB133_341:
	v_add_f64 v[16:17], v[16:17], v[18:19]
	v_lshl_add_u64 v[18:19], v[82:83], 3, v[64:65]
	flat_store_dwordx2 v[18:19], v[16:17]
	s_or_b64 exec, exec, s[2:3]
	s_and_b64 s[4:5], s[24:25], s[54:55]
	s_and_saveexec_b64 s[2:3], s[4:5]
	s_cbranch_execz .LBB133_238
.LBB133_342:
	s_and_b64 vcc, exec, s[0:1]
	s_cbranch_vccnz .LBB133_344
; %bb.343:
	v_lshl_add_u64 v[16:17], v[80:81], 3, v[130:131]
	flat_load_dwordx2 v[16:17], v[16:17]
	s_waitcnt vmcnt(0) lgkmcnt(0)
	v_mul_f64 v[16:17], s[70:71], v[16:17]
	s_branch .LBB133_345
.LBB133_344:
	v_mov_b64_e32 v[16:17], 0
.LBB133_345:
	v_add_f64 v[14:15], v[14:15], v[16:17]
	v_lshl_add_u64 v[16:17], v[80:81], 3, v[64:65]
	flat_store_dwordx2 v[16:17], v[14:15]
	s_or_b64 exec, exec, s[2:3]
	s_and_b64 s[4:5], s[24:25], s[56:57]
	s_and_saveexec_b64 s[2:3], s[4:5]
	s_cbranch_execz .LBB133_239
.LBB133_346:
	s_and_b64 vcc, exec, s[0:1]
	s_cbranch_vccnz .LBB133_348
; %bb.347:
	v_lshl_add_u64 v[14:15], v[78:79], 3, v[130:131]
	flat_load_dwordx2 v[14:15], v[14:15]
	s_waitcnt vmcnt(0) lgkmcnt(0)
	v_mul_f64 v[14:15], s[70:71], v[14:15]
	s_branch .LBB133_349
.LBB133_348:
	v_mov_b64_e32 v[14:15], 0
.LBB133_349:
	v_add_f64 v[12:13], v[12:13], v[14:15]
	v_lshl_add_u64 v[14:15], v[78:79], 3, v[64:65]
	flat_store_dwordx2 v[14:15], v[12:13]
	s_or_b64 exec, exec, s[2:3]
	s_and_b64 s[4:5], s[24:25], s[58:59]
	s_and_saveexec_b64 s[2:3], s[4:5]
	s_cbranch_execz .LBB133_240
.LBB133_350:
	s_and_b64 vcc, exec, s[0:1]
	s_cbranch_vccnz .LBB133_352
; %bb.351:
	v_lshl_add_u64 v[12:13], v[76:77], 3, v[130:131]
	flat_load_dwordx2 v[12:13], v[12:13]
	s_waitcnt vmcnt(0) lgkmcnt(0)
	v_mul_f64 v[12:13], s[70:71], v[12:13]
	s_branch .LBB133_353
.LBB133_352:
	v_mov_b64_e32 v[12:13], 0
.LBB133_353:
	v_add_f64 v[10:11], v[10:11], v[12:13]
	v_lshl_add_u64 v[12:13], v[76:77], 3, v[64:65]
	flat_store_dwordx2 v[12:13], v[10:11]
	s_or_b64 exec, exec, s[2:3]
	s_and_b64 s[4:5], s[24:25], s[60:61]
	s_and_saveexec_b64 s[2:3], s[4:5]
	s_cbranch_execz .LBB133_241
.LBB133_354:
	s_and_b64 vcc, exec, s[0:1]
	s_cbranch_vccnz .LBB133_356
; %bb.355:
	v_lshl_add_u64 v[10:11], v[74:75], 3, v[130:131]
	flat_load_dwordx2 v[10:11], v[10:11]
	s_waitcnt vmcnt(0) lgkmcnt(0)
	v_mul_f64 v[10:11], s[70:71], v[10:11]
	s_branch .LBB133_357
.LBB133_356:
	v_mov_b64_e32 v[10:11], 0
.LBB133_357:
	v_add_f64 v[8:9], v[8:9], v[10:11]
	v_lshl_add_u64 v[10:11], v[74:75], 3, v[64:65]
	flat_store_dwordx2 v[10:11], v[8:9]
	s_or_b64 exec, exec, s[2:3]
	s_and_b64 s[4:5], s[24:25], s[62:63]
	s_and_saveexec_b64 s[2:3], s[4:5]
	s_cbranch_execz .LBB133_242
.LBB133_358:
	s_and_b64 vcc, exec, s[0:1]
	s_cbranch_vccnz .LBB133_360
; %bb.359:
	v_lshl_add_u64 v[8:9], v[72:73], 3, v[130:131]
	flat_load_dwordx2 v[8:9], v[8:9]
	s_waitcnt vmcnt(0) lgkmcnt(0)
	v_mul_f64 v[8:9], s[70:71], v[8:9]
	s_branch .LBB133_361
.LBB133_360:
	v_mov_b64_e32 v[8:9], 0
.LBB133_361:
	v_add_f64 v[6:7], v[6:7], v[8:9]
	v_lshl_add_u64 v[8:9], v[72:73], 3, v[64:65]
	flat_store_dwordx2 v[8:9], v[6:7]
	s_or_b64 exec, exec, s[2:3]
	s_and_b64 s[4:5], s[24:25], s[64:65]
	s_and_saveexec_b64 s[2:3], s[4:5]
	s_cbranch_execz .LBB133_243
.LBB133_362:
	s_and_b64 vcc, exec, s[0:1]
	s_cbranch_vccnz .LBB133_364
; %bb.363:
	v_lshl_add_u64 v[6:7], v[70:71], 3, v[130:131]
	flat_load_dwordx2 v[6:7], v[6:7]
	s_waitcnt vmcnt(0) lgkmcnt(0)
	v_mul_f64 v[6:7], s[70:71], v[6:7]
	s_branch .LBB133_365
.LBB133_364:
	v_mov_b64_e32 v[6:7], 0
.LBB133_365:
	v_add_f64 v[4:5], v[4:5], v[6:7]
	v_lshl_add_u64 v[6:7], v[70:71], 3, v[64:65]
	flat_store_dwordx2 v[6:7], v[4:5]
	s_or_b64 exec, exec, s[2:3]
	s_and_b64 s[4:5], s[24:25], s[66:67]
	s_and_saveexec_b64 s[2:3], s[4:5]
	s_cbranch_execz .LBB133_244
.LBB133_366:
	s_and_b64 vcc, exec, s[0:1]
	s_cbranch_vccnz .LBB133_368
; %bb.367:
	v_lshl_add_u64 v[4:5], v[68:69], 3, v[130:131]
	flat_load_dwordx2 v[4:5], v[4:5]
	s_waitcnt vmcnt(0) lgkmcnt(0)
	v_mul_f64 v[4:5], s[70:71], v[4:5]
	s_branch .LBB133_369
.LBB133_368:
	v_mov_b64_e32 v[4:5], 0
.LBB133_369:
	v_add_f64 v[2:3], v[2:3], v[4:5]
	v_lshl_add_u64 v[4:5], v[68:69], 3, v[64:65]
	flat_store_dwordx2 v[4:5], v[2:3]
	s_or_b64 exec, exec, s[2:3]
	s_and_b64 s[2:3], s[24:25], s[68:69]
	s_and_saveexec_b64 s[4:5], s[2:3]
	s_cbranch_execz .LBB133_245
.LBB133_370:
	s_and_b64 vcc, exec, s[0:1]
	s_cbranch_vccnz .LBB133_372
; %bb.371:
	v_lshl_add_u64 v[2:3], v[66:67], 3, v[130:131]
	flat_load_dwordx2 v[2:3], v[2:3]
	s_waitcnt vmcnt(0) lgkmcnt(0)
	v_mul_f64 v[2:3], s[70:71], v[2:3]
	v_add_f64 v[0:1], v[0:1], v[2:3]
	v_lshl_add_u64 v[2:3], v[66:67], 3, v[64:65]
	flat_store_dwordx2 v[2:3], v[0:1]
	s_endpgm
.LBB133_372:
	v_mov_b64_e32 v[2:3], 0
	v_add_f64 v[0:1], v[0:1], v[2:3]
	v_lshl_add_u64 v[2:3], v[66:67], 3, v[64:65]
	flat_store_dwordx2 v[2:3], v[0:1]
	s_endpgm
	.section	.rodata,"a",@progbits
	.p2align	6, 0x0
	.amdhsa_kernel _ZN12_GLOBAL__N_120geam_min_plus_kernelIdddLi4ELi64ELi128ELi128ELi4ELi64ELi4ELi4ELi64ELc78ELc78ELb1ELb1ELb0EdKPKdKPdEEviiiT16_PT17_ilS8_ilS6_S8_ilPT18_ili26rocblas_geam_ex_operation_
		.amdhsa_group_segment_fixed_size 16384
		.amdhsa_private_segment_fixed_size 0
		.amdhsa_kernarg_size 136
		.amdhsa_user_sgpr_count 2
		.amdhsa_user_sgpr_dispatch_ptr 0
		.amdhsa_user_sgpr_queue_ptr 0
		.amdhsa_user_sgpr_kernarg_segment_ptr 1
		.amdhsa_user_sgpr_dispatch_id 0
		.amdhsa_user_sgpr_kernarg_preload_length 0
		.amdhsa_user_sgpr_kernarg_preload_offset 0
		.amdhsa_user_sgpr_private_segment_size 0
		.amdhsa_uses_dynamic_stack 0
		.amdhsa_enable_private_segment 0
		.amdhsa_system_sgpr_workgroup_id_x 1
		.amdhsa_system_sgpr_workgroup_id_y 0
		.amdhsa_system_sgpr_workgroup_id_z 1
		.amdhsa_system_sgpr_workgroup_info 0
		.amdhsa_system_vgpr_workitem_id 1
		.amdhsa_next_free_vgpr 254
		.amdhsa_next_free_sgpr 82
		.amdhsa_accum_offset 256
		.amdhsa_reserve_vcc 1
		.amdhsa_float_round_mode_32 0
		.amdhsa_float_round_mode_16_64 0
		.amdhsa_float_denorm_mode_32 3
		.amdhsa_float_denorm_mode_16_64 3
		.amdhsa_dx10_clamp 1
		.amdhsa_ieee_mode 1
		.amdhsa_fp16_overflow 0
		.amdhsa_tg_split 0
		.amdhsa_exception_fp_ieee_invalid_op 0
		.amdhsa_exception_fp_denorm_src 0
		.amdhsa_exception_fp_ieee_div_zero 0
		.amdhsa_exception_fp_ieee_overflow 0
		.amdhsa_exception_fp_ieee_underflow 0
		.amdhsa_exception_fp_ieee_inexact 0
		.amdhsa_exception_int_div_zero 0
	.end_amdhsa_kernel
	.section	.text._ZN12_GLOBAL__N_120geam_min_plus_kernelIdddLi4ELi64ELi128ELi128ELi4ELi64ELi4ELi4ELi64ELc78ELc78ELb1ELb1ELb0EdKPKdKPdEEviiiT16_PT17_ilS8_ilS6_S8_ilPT18_ili26rocblas_geam_ex_operation_,"axG",@progbits,_ZN12_GLOBAL__N_120geam_min_plus_kernelIdddLi4ELi64ELi128ELi128ELi4ELi64ELi4ELi4ELi64ELc78ELc78ELb1ELb1ELb0EdKPKdKPdEEviiiT16_PT17_ilS8_ilS6_S8_ilPT18_ili26rocblas_geam_ex_operation_,comdat
.Lfunc_end133:
	.size	_ZN12_GLOBAL__N_120geam_min_plus_kernelIdddLi4ELi64ELi128ELi128ELi4ELi64ELi4ELi4ELi64ELc78ELc78ELb1ELb1ELb0EdKPKdKPdEEviiiT16_PT17_ilS8_ilS6_S8_ilPT18_ili26rocblas_geam_ex_operation_, .Lfunc_end133-_ZN12_GLOBAL__N_120geam_min_plus_kernelIdddLi4ELi64ELi128ELi128ELi4ELi64ELi4ELi4ELi64ELc78ELc78ELb1ELb1ELb0EdKPKdKPdEEviiiT16_PT17_ilS8_ilS6_S8_ilPT18_ili26rocblas_geam_ex_operation_
                                        ; -- End function
	.set _ZN12_GLOBAL__N_120geam_min_plus_kernelIdddLi4ELi64ELi128ELi128ELi4ELi64ELi4ELi4ELi64ELc78ELc78ELb1ELb1ELb0EdKPKdKPdEEviiiT16_PT17_ilS8_ilS6_S8_ilPT18_ili26rocblas_geam_ex_operation_.num_vgpr, 254
	.set _ZN12_GLOBAL__N_120geam_min_plus_kernelIdddLi4ELi64ELi128ELi128ELi4ELi64ELi4ELi4ELi64ELc78ELc78ELb1ELb1ELb0EdKPKdKPdEEviiiT16_PT17_ilS8_ilS6_S8_ilPT18_ili26rocblas_geam_ex_operation_.num_agpr, 0
	.set _ZN12_GLOBAL__N_120geam_min_plus_kernelIdddLi4ELi64ELi128ELi128ELi4ELi64ELi4ELi4ELi64ELc78ELc78ELb1ELb1ELb0EdKPKdKPdEEviiiT16_PT17_ilS8_ilS6_S8_ilPT18_ili26rocblas_geam_ex_operation_.numbered_sgpr, 82
	.set _ZN12_GLOBAL__N_120geam_min_plus_kernelIdddLi4ELi64ELi128ELi128ELi4ELi64ELi4ELi4ELi64ELc78ELc78ELb1ELb1ELb0EdKPKdKPdEEviiiT16_PT17_ilS8_ilS6_S8_ilPT18_ili26rocblas_geam_ex_operation_.num_named_barrier, 0
	.set _ZN12_GLOBAL__N_120geam_min_plus_kernelIdddLi4ELi64ELi128ELi128ELi4ELi64ELi4ELi4ELi64ELc78ELc78ELb1ELb1ELb0EdKPKdKPdEEviiiT16_PT17_ilS8_ilS6_S8_ilPT18_ili26rocblas_geam_ex_operation_.private_seg_size, 0
	.set _ZN12_GLOBAL__N_120geam_min_plus_kernelIdddLi4ELi64ELi128ELi128ELi4ELi64ELi4ELi4ELi64ELc78ELc78ELb1ELb1ELb0EdKPKdKPdEEviiiT16_PT17_ilS8_ilS6_S8_ilPT18_ili26rocblas_geam_ex_operation_.uses_vcc, 1
	.set _ZN12_GLOBAL__N_120geam_min_plus_kernelIdddLi4ELi64ELi128ELi128ELi4ELi64ELi4ELi4ELi64ELc78ELc78ELb1ELb1ELb0EdKPKdKPdEEviiiT16_PT17_ilS8_ilS6_S8_ilPT18_ili26rocblas_geam_ex_operation_.uses_flat_scratch, 0
	.set _ZN12_GLOBAL__N_120geam_min_plus_kernelIdddLi4ELi64ELi128ELi128ELi4ELi64ELi4ELi4ELi64ELc78ELc78ELb1ELb1ELb0EdKPKdKPdEEviiiT16_PT17_ilS8_ilS6_S8_ilPT18_ili26rocblas_geam_ex_operation_.has_dyn_sized_stack, 0
	.set _ZN12_GLOBAL__N_120geam_min_plus_kernelIdddLi4ELi64ELi128ELi128ELi4ELi64ELi4ELi4ELi64ELc78ELc78ELb1ELb1ELb0EdKPKdKPdEEviiiT16_PT17_ilS8_ilS6_S8_ilPT18_ili26rocblas_geam_ex_operation_.has_recursion, 0
	.set _ZN12_GLOBAL__N_120geam_min_plus_kernelIdddLi4ELi64ELi128ELi128ELi4ELi64ELi4ELi4ELi64ELc78ELc78ELb1ELb1ELb0EdKPKdKPdEEviiiT16_PT17_ilS8_ilS6_S8_ilPT18_ili26rocblas_geam_ex_operation_.has_indirect_call, 0
	.section	.AMDGPU.csdata,"",@progbits
; Kernel info:
; codeLenInByte = 14416
; TotalNumSgprs: 88
; NumVgprs: 254
; NumAgprs: 0
; TotalNumVgprs: 254
; ScratchSize: 0
; MemoryBound: 0
; FloatMode: 240
; IeeeMode: 1
; LDSByteSize: 16384 bytes/workgroup (compile time only)
; SGPRBlocks: 10
; VGPRBlocks: 31
; NumSGPRsForWavesPerEU: 88
; NumVGPRsForWavesPerEU: 254
; AccumOffset: 256
; Occupancy: 2
; WaveLimiterHint : 1
; COMPUTE_PGM_RSRC2:SCRATCH_EN: 0
; COMPUTE_PGM_RSRC2:USER_SGPR: 2
; COMPUTE_PGM_RSRC2:TRAP_HANDLER: 0
; COMPUTE_PGM_RSRC2:TGID_X_EN: 1
; COMPUTE_PGM_RSRC2:TGID_Y_EN: 0
; COMPUTE_PGM_RSRC2:TGID_Z_EN: 1
; COMPUTE_PGM_RSRC2:TIDIG_COMP_CNT: 1
; COMPUTE_PGM_RSRC3_GFX90A:ACCUM_OFFSET: 63
; COMPUTE_PGM_RSRC3_GFX90A:TG_SPLIT: 0
	.section	.text._ZN12_GLOBAL__N_120geam_min_plus_kernelIdddLi4ELi64ELi128ELi128ELi4ELi64ELi4ELi4ELi64ELc78ELc78ELb0ELb1ELb0EdKPKdKPdEEviiiT16_PT17_ilS8_ilS6_S8_ilPT18_ili26rocblas_geam_ex_operation_,"axG",@progbits,_ZN12_GLOBAL__N_120geam_min_plus_kernelIdddLi4ELi64ELi128ELi128ELi4ELi64ELi4ELi4ELi64ELc78ELc78ELb0ELb1ELb0EdKPKdKPdEEviiiT16_PT17_ilS8_ilS6_S8_ilPT18_ili26rocblas_geam_ex_operation_,comdat
	.globl	_ZN12_GLOBAL__N_120geam_min_plus_kernelIdddLi4ELi64ELi128ELi128ELi4ELi64ELi4ELi4ELi64ELc78ELc78ELb0ELb1ELb0EdKPKdKPdEEviiiT16_PT17_ilS8_ilS6_S8_ilPT18_ili26rocblas_geam_ex_operation_ ; -- Begin function _ZN12_GLOBAL__N_120geam_min_plus_kernelIdddLi4ELi64ELi128ELi128ELi4ELi64ELi4ELi4ELi64ELc78ELc78ELb0ELb1ELb0EdKPKdKPdEEviiiT16_PT17_ilS8_ilS6_S8_ilPT18_ili26rocblas_geam_ex_operation_
	.p2align	8
	.type	_ZN12_GLOBAL__N_120geam_min_plus_kernelIdddLi4ELi64ELi128ELi128ELi4ELi64ELi4ELi4ELi64ELc78ELc78ELb0ELb1ELb0EdKPKdKPdEEviiiT16_PT17_ilS8_ilS6_S8_ilPT18_ili26rocblas_geam_ex_operation_,@function
_ZN12_GLOBAL__N_120geam_min_plus_kernelIdddLi4ELi64ELi128ELi128ELi4ELi64ELi4ELi4ELi64ELc78ELc78ELb0ELb1ELb0EdKPKdKPdEEviiiT16_PT17_ilS8_ilS6_S8_ilPT18_ili26rocblas_geam_ex_operation_: ; @_ZN12_GLOBAL__N_120geam_min_plus_kernelIdddLi4ELi64ELi128ELi128ELi4ELi64ELi4ELi4ELi64ELc78ELc78ELb0ELb1ELb0EdKPKdKPdEEviiiT16_PT17_ilS8_ilS6_S8_ilPT18_ili26rocblas_geam_ex_operation_
; %bb.0:
	s_load_dwordx4 s[12:15], s[0:1], 0x10
	s_load_dwordx4 s[4:7], s[0:1], 0x28
	s_mov_b32 s8, s3
	s_mov_b64 s[16:17], 0
	s_waitcnt lgkmcnt(0)
	v_cmp_eq_f64_e64 s[10:11], s[12:13], 0
	s_and_b64 vcc, exec, s[10:11]
	s_cbranch_vccnz .LBB134_2
; %bb.1:
	s_mov_b32 s9, 0
	s_lshl_b64 s[16:17], s[8:9], 3
	s_add_u32 s14, s14, s16
	s_addc_u32 s15, s15, s17
	s_load_dwordx2 s[14:15], s[14:15], 0x0
	s_lshl_b64 s[4:5], s[4:5], 3
	s_waitcnt lgkmcnt(0)
	s_add_u32 s16, s14, s4
	s_addc_u32 s17, s15, s5
.LBB134_2:
	s_load_dwordx4 s[68:71], s[0:1], 0x40
	s_load_dwordx2 s[14:15], s[0:1], 0x50
	s_andn2_b64 vcc, exec, s[10:11]
	s_mov_b32 s9, 0
	s_cbranch_vccnz .LBB134_4
; %bb.3:
	s_mov_b64 s[76:77], 0
	s_mov_b64 s[18:19], 0
	s_cbranch_execz .LBB134_5
	s_branch .LBB134_6
.LBB134_4:
	s_mov_b64 s[76:77], 0
	s_mov_b64 s[18:19], 0
.LBB134_5:
	s_lshl_b64 s[4:5], s[8:9], 3
	s_add_u32 s4, s6, s4
	s_addc_u32 s5, s7, s5
	s_load_dwordx2 s[4:5], s[4:5], 0x0
	s_waitcnt lgkmcnt(0)
	s_lshl_b64 s[6:7], s[68:69], 3
	s_add_u32 s18, s4, s6
	s_addc_u32 s19, s5, s7
.LBB134_6:
	s_load_dwordx4 s[4:7], s[0:1], 0x60
	s_waitcnt lgkmcnt(0)
	v_cmp_eq_f64_e64 s[20:21], s[70:71], 0
	v_cmp_neq_f64_e64 s[10:11], s[70:71], 0
	s_and_b64 vcc, exec, s[20:21]
	s_cbranch_vccnz .LBB134_8
; %bb.7:
	s_lshl_b64 s[20:21], s[8:9], 3
	s_add_u32 s14, s14, s20
	s_addc_u32 s15, s15, s21
	s_load_dwordx2 s[14:15], s[14:15], 0x0
	s_lshl_b64 s[4:5], s[4:5], 3
	s_waitcnt lgkmcnt(0)
	s_add_u32 s76, s14, s4
	s_addc_u32 s77, s15, s5
.LBB134_8:
	s_load_dwordx4 s[72:75], s[0:1], 0x0
	s_load_dword s26, s[0:1], 0x20
	s_lshl_b64 s[4:5], s[8:9], 3
	s_add_u32 s14, s6, s4
	s_addc_u32 s15, s7, s5
	s_waitcnt lgkmcnt(0)
	s_add_i32 s3, s72, -1
	s_ashr_i32 s4, s3, 31
	s_lshr_b32 s4, s4, 25
	s_add_i32 s3, s3, s4
	s_ashr_i32 s3, s3, 7
	s_add_i32 s4, s3, 1
	v_cvt_f32_u32_e32 v1, s4
	v_and_b32_e32 v144, 0x3ff, v0
	v_bfe_u32 v145, v0, 10, 10
	s_not_b32 s3, s3
	v_rcp_iflag_f32_e32 v1, v1
	v_lshl_add_u32 v6, v145, 2, v144
	v_lshrrev_b32_e32 v146, 6, v6
	v_and_b32_e32 v138, 63, v6
	v_mul_f32_e32 v0, 0x4f7ffffe, v1
	v_cvt_u32_f32_e32 v0, v0
	v_cmp_le_i32_e32 vcc, s74, v146
	v_cmp_eq_f64_e64 s[20:21], s[12:13], 0
	v_readfirstlane_b32 s5, v0
	s_mul_i32 s3, s3, s5
	s_mul_hi_u32 s3, s5, s3
	s_add_i32 s5, s5, s3
	s_mul_hi_u32 s3, s2, s5
	s_mul_i32 s5, s3, s4
	s_sub_i32 s5, s2, s5
	s_add_i32 s6, s3, 1
	s_sub_i32 s7, s5, s4
	s_cmp_ge_u32 s5, s4
	s_cselect_b32 s3, s6, s3
	s_cselect_b32 s5, s7, s5
	s_add_i32 s6, s3, 1
	s_cmp_ge_u32 s5, s4
	s_cselect_b32 s8, s6, s3
	s_mul_i32 s3, s8, s4
	s_sub_i32 s2, s2, s3
	s_add_i32 s27, s74, -1
	s_lshl_b32 s24, s2, 7
	v_min_i32_e32 v2, s27, v146
	v_or_b32_e32 v128, s24, v138
	v_mad_i64_i32 v[2:3], s[2:3], s26, v2, 0
	v_cmp_le_i32_e64 s[2:3], s72, v128
	s_or_b64 s[4:5], s[2:3], vcc
	v_mov_b64_e32 v[0:1], 0
	v_lshl_add_u64 v[4:5], v[2:3], 3, s[16:17]
	s_nor_b64 s[6:7], s[20:21], s[4:5]
	v_ashrrev_i32_e32 v129, 31, v128
	v_mov_b64_e32 v[2:3], 0
	s_and_saveexec_b64 s[4:5], s[6:7]
	s_cbranch_execz .LBB134_10
; %bb.9:
	v_lshl_add_u64 v[2:3], v[128:129], 3, v[4:5]
	flat_load_dwordx2 v[2:3], v[2:3]
	s_waitcnt vmcnt(0) lgkmcnt(0)
	v_mul_f64 v[2:3], s[12:13], v[2:3]
.LBB134_10:
	s_or_b64 exec, exec, s[4:5]
	v_or_b32_e32 v7, 64, v128
	v_cmp_le_i32_e64 s[4:5], s72, v7
	s_or_b64 s[6:7], s[4:5], vcc
	s_nor_b64 s[22:23], s[20:21], s[6:7]
	s_and_saveexec_b64 s[6:7], s[22:23]
	s_cbranch_execz .LBB134_12
; %bb.11:
	v_lshl_add_u64 v[0:1], v[128:129], 3, v[4:5]
	flat_load_dwordx2 v[0:1], v[0:1] offset:512
	s_waitcnt vmcnt(0) lgkmcnt(0)
	v_mul_f64 v[0:1], s[12:13], v[0:1]
.LBB134_12:
	s_or_b64 exec, exec, s[6:7]
	s_load_dword s29, s[0:1], 0x38
	v_lshrrev_b32_e32 v10, 2, v6
	s_lshl_b32 s25, s8, 7
	v_and_b32_e32 v147, 3, v144
	v_add_u32_e32 v139, s25, v10
	v_cmp_le_i32_e32 vcc, s74, v147
	v_min_i32_e32 v4, s27, v147
	v_cmp_le_i32_e64 s[6:7], s73, v139
	v_ashrrev_i32_e32 v5, 31, v4
	s_or_b64 s[8:9], vcc, s[6:7]
	v_lshl_add_u64 v[8:9], v[4:5], 3, s[18:19]
	s_nor_b64 s[22:23], s[20:21], s[8:9]
	v_mov_b64_e32 v[4:5], 0
	v_mov_b64_e32 v[6:7], 0
	s_and_saveexec_b64 s[8:9], s[22:23]
	s_cbranch_execz .LBB134_14
; %bb.13:
	s_waitcnt lgkmcnt(0)
	v_mad_i64_i32 v[6:7], s[22:23], v139, s29, 0
	v_lshl_add_u64 v[6:7], v[6:7], 3, v[8:9]
	flat_load_dwordx2 v[6:7], v[6:7]
	s_waitcnt vmcnt(0) lgkmcnt(0)
	v_mul_f64 v[6:7], s[12:13], v[6:7]
.LBB134_14:
	s_or_b64 exec, exec, s[8:9]
	v_add_u32_e32 v140, 64, v139
	v_cmp_le_i32_e64 s[8:9], s73, v140
	s_or_b64 s[22:23], vcc, s[8:9]
	s_nor_b64 s[30:31], s[20:21], s[22:23]
	s_and_saveexec_b64 s[22:23], s[30:31]
	s_cbranch_execz .LBB134_16
; %bb.15:
	s_waitcnt lgkmcnt(0)
	v_mad_i64_i32 v[4:5], s[30:31], v140, s29, 0
	v_lshl_add_u64 v[4:5], v[4:5], 3, v[8:9]
	flat_load_dwordx2 v[4:5], v[4:5]
	s_waitcnt vmcnt(0) lgkmcnt(0)
	v_mul_f64 v[4:5], s[12:13], v[4:5]
.LBB134_16:
	s_or_b64 exec, exec, s[22:23]
	v_add_u32_e32 v8, 4, v146
	v_cmp_le_i32_e32 vcc, s74, v8
	v_min_i32_e32 v8, s27, v8
	v_mad_i64_i32 v[8:9], s[22:23], s26, v8, 0
	s_or_b64 s[22:23], s[2:3], vcc
	v_lshl_add_u64 v[8:9], v[8:9], 3, s[16:17]
	s_nor_b64 s[30:31], s[20:21], s[22:23]
	v_mov_b64_e32 v[130:131], 0
	v_mov_b64_e32 v[132:133], 0
	s_and_saveexec_b64 s[22:23], s[30:31]
	s_cbranch_execz .LBB134_18
; %bb.17:
	v_lshl_add_u64 v[12:13], v[128:129], 3, v[8:9]
	flat_load_dwordx2 v[12:13], v[12:13]
	s_waitcnt vmcnt(0) lgkmcnt(0)
	v_mul_f64 v[132:133], s[12:13], v[12:13]
.LBB134_18:
	s_or_b64 exec, exec, s[22:23]
	s_or_b64 s[22:23], s[4:5], vcc
	s_nor_b64 s[30:31], s[20:21], s[22:23]
	s_and_saveexec_b64 s[22:23], s[30:31]
	s_cbranch_execz .LBB134_20
; %bb.19:
	v_lshl_add_u64 v[8:9], v[128:129], 3, v[8:9]
	flat_load_dwordx2 v[8:9], v[8:9] offset:512
	s_waitcnt vmcnt(0) lgkmcnt(0)
	v_mul_f64 v[130:131], s[12:13], v[8:9]
.LBB134_20:
	s_or_b64 exec, exec, s[22:23]
	v_or_b32_e32 v8, 4, v147
	v_cmp_le_i32_e32 vcc, s74, v8
	v_min_i32_e32 v8, s27, v8
	v_ashrrev_i32_e32 v9, 31, v8
	s_or_b64 s[22:23], vcc, s[6:7]
	v_lshl_add_u64 v[8:9], v[8:9], 3, s[18:19]
	s_nor_b64 s[30:31], s[20:21], s[22:23]
	v_mov_b64_e32 v[134:135], 0
	v_mov_b64_e32 v[136:137], 0
	s_and_saveexec_b64 s[22:23], s[30:31]
	s_cbranch_execz .LBB134_22
; %bb.21:
	s_waitcnt lgkmcnt(0)
	v_mad_i64_i32 v[12:13], s[30:31], v139, s29, 0
	v_lshl_add_u64 v[12:13], v[12:13], 3, v[8:9]
	flat_load_dwordx2 v[12:13], v[12:13]
	s_waitcnt vmcnt(0) lgkmcnt(0)
	v_mul_f64 v[136:137], s[12:13], v[12:13]
.LBB134_22:
	s_or_b64 exec, exec, s[22:23]
	s_load_dwordx2 s[14:15], s[14:15], 0x0
	s_or_b64 s[22:23], vcc, s[8:9]
	s_nor_b64 s[30:31], s[20:21], s[22:23]
	s_and_saveexec_b64 s[22:23], s[30:31]
	s_cbranch_execz .LBB134_24
; %bb.23:
	s_waitcnt lgkmcnt(0)
	v_mad_i64_i32 v[12:13], s[30:31], v140, s29, 0
	v_lshl_add_u64 v[8:9], v[12:13], 3, v[8:9]
	flat_load_dwordx2 v[8:9], v[8:9]
	s_waitcnt vmcnt(0) lgkmcnt(0)
	v_mul_f64 v[134:135], s[12:13], v[8:9]
.LBB134_24:
	s_or_b64 exec, exec, s[22:23]
	v_lshlrev_b32_e32 v8, 5, v138
	v_lshl_add_u32 v149, v146, 3, v8
	ds_write2st64_b64 v149, v[2:3], v[0:1] offset1:4
	v_lshlrev_b32_e32 v0, 3, v147
	v_lshl_or_b32 v142, v10, 5, v0
	v_lshlrev_b32_e32 v141, 5, v145
	v_add_u32_e32 v150, 0x2000, v142
	ds_write2st64_b64 v142, v[6:7], v[4:5] offset0:16 offset1:20
	v_lshlrev_b32_e32 v151, 5, v144
	v_add_u32_e32 v152, 0x2000, v141
	v_mov_b64_e32 v[126:127], 0
	s_mov_b32 s22, 0
	v_mov_b64_e32 v[124:125], 0
	v_mov_b64_e32 v[122:123], 0
	;; [unrolled: 1-line block ×63, first 2 shown]
	s_waitcnt lgkmcnt(0)
	s_barrier
.LBB134_25:                             ; =>This Inner Loop Header: Depth=1
	v_add_u32_e32 v143, s22, v151
	v_add_u32_e32 v148, s22, v152
	ds_read2_b64 v[154:157], v143 offset1:16
	ds_read2_b64 v[158:161], v143 offset0:32 offset1:48
	ds_read2_b64 v[162:165], v143 offset0:64 offset1:80
	;; [unrolled: 1-line block ×7, first 2 shown]
	ds_read2st64_b64 v[186:189], v148 offset1:4
	v_add_u32_e32 v143, 0x800, v143
	ds_read2_b64 v[190:193], v143 offset1:16
	ds_read2_b64 v[194:197], v143 offset0:32 offset1:48
	ds_read2_b64 v[198:201], v143 offset0:64 offset1:80
	;; [unrolled: 1-line block ×7, first 2 shown]
	s_waitcnt lgkmcnt(14)
	v_max_f64 v[154:155], v[154:155], v[154:155]
	v_max_f64 v[156:157], v[156:157], v[156:157]
	;; [unrolled: 1-line block ×6, first 2 shown]
	s_waitcnt lgkmcnt(13)
	v_max_f64 v[166:167], v[166:167], v[166:167]
	v_max_f64 v[168:169], v[168:169], v[168:169]
	s_waitcnt lgkmcnt(12)
	v_max_f64 v[170:171], v[170:171], v[170:171]
	v_max_f64 v[172:173], v[172:173], v[172:173]
	;; [unrolled: 3-line block ×14, first 2 shown]
	v_min_f64 v[222:223], v[154:155], v[186:187]
	v_min_f64 v[224:225], v[156:157], v[186:187]
	;; [unrolled: 1-line block ×32, first 2 shown]
	s_add_i32 s22, s22, 8
	v_add_f64 v[62:63], v[62:63], v[154:155]
	v_add_f64 v[60:61], v[60:61], v[156:157]
	;; [unrolled: 1-line block ×16, first 2 shown]
	v_min_f64 v[154:155], v[190:191], v[186:187]
	v_min_f64 v[156:157], v[192:193], v[186:187]
	;; [unrolled: 1-line block ×32, first 2 shown]
	s_cmp_eq_u32 s22, 32
	v_add_f64 v[126:127], v[126:127], v[222:223]
	v_add_f64 v[124:125], v[124:125], v[224:225]
	;; [unrolled: 1-line block ×48, first 2 shown]
	s_cbranch_scc0 .LBB134_25
; %bb.26:
	v_lshlrev_b32_e32 v143, 3, v146
	v_lshl_add_u32 v138, v138, 5, v143
	s_cmp_gt_i32 s74, 8
	ds_write2st64_b64 v138, v[132:133], v[130:131] offset0:8 offset1:12
	ds_write2st64_b64 v142, v[136:137], v[134:135] offset0:24 offset1:28
	s_waitcnt lgkmcnt(0)
	s_barrier
	s_cbranch_scc1 .LBB134_28
; %bb.27:
	v_add_u32_e32 v148, 0x3000, v141
	s_cbranch_execz .LBB134_29
	s_branch .LBB134_51
.LBB134_28:
                                        ; implicit-def: $vgpr148
.LBB134_29:
	v_mov_b32_e32 v134, 0x1000
	v_or_b32_e32 v153, 0x1000, v138
	v_add_u32_e32 v154, 0x3000, v142
	s_add_i32 s28, s74, -8
	s_or_b64 s[6:7], s[6:7], s[20:21]
	s_or_b64 s[8:9], s[8:9], s[20:21]
	v_mad_i64_i32 v[130:131], s[22:23], v139, s29, 0
	v_mad_i64_i32 v[132:133], s[22:23], v140, s29, 0
	v_lshl_add_u32 v155, v144, 5, v134
	v_add_u32_e32 v148, 0x3000, v141
	s_mov_b32 s29, 8
	s_mov_b32 s30, 0
.LBB134_30:                             ; =>This Loop Header: Depth=1
                                        ;     Child Loop BB134_39 Depth 2
                                        ;     Child Loop BB134_49 Depth 2
	v_add_u32_e32 v134, s29, v146
	v_cmp_le_i32_e32 vcc, s74, v134
	v_min_i32_e32 v134, s27, v134
	v_mad_i64_i32 v[134:135], s[22:23], v134, s26, 0
	v_lshl_add_u64 v[136:137], v[134:135], 3, s[16:17]
	s_or_b64 s[22:23], s[2:3], vcc
	s_nor_b64 s[34:35], s[20:21], s[22:23]
	v_mov_b64_e32 v[134:135], 0
	v_lshl_add_u64 v[138:139], v[128:129], 3, v[136:137]
	v_mov_b64_e32 v[136:137], 0
	s_and_saveexec_b64 s[22:23], s[34:35]
	s_cbranch_execz .LBB134_32
; %bb.31:                               ;   in Loop: Header=BB134_30 Depth=1
	flat_load_dwordx2 v[136:137], v[138:139]
	s_waitcnt vmcnt(0) lgkmcnt(0)
	v_mul_f64 v[136:137], s[12:13], v[136:137]
.LBB134_32:                             ;   in Loop: Header=BB134_30 Depth=1
	s_or_b64 exec, exec, s[22:23]
	s_or_b64 s[22:23], s[4:5], vcc
	s_nor_b64 s[34:35], s[20:21], s[22:23]
	s_and_saveexec_b64 s[22:23], s[34:35]
	s_cbranch_execz .LBB134_34
; %bb.33:                               ;   in Loop: Header=BB134_30 Depth=1
	flat_load_dwordx2 v[134:135], v[138:139] offset:512
	s_waitcnt vmcnt(0) lgkmcnt(0)
	v_mul_f64 v[134:135], s[12:13], v[134:135]
.LBB134_34:                             ;   in Loop: Header=BB134_30 Depth=1
	s_or_b64 exec, exec, s[22:23]
	v_or_b32_e32 v156, s29, v147
	v_min_i32_e32 v138, s27, v156
	v_cmp_le_i32_e32 vcc, s74, v156
	v_ashrrev_i32_e32 v139, 31, v138
	v_lshl_add_u64 v[142:143], v[138:139], 3, s[18:19]
	s_nor_b64 s[34:35], vcc, s[6:7]
	v_mov_b64_e32 v[138:139], 0
	v_mov_b64_e32 v[140:141], 0
	s_and_saveexec_b64 s[22:23], s[34:35]
	s_cbranch_execz .LBB134_36
; %bb.35:                               ;   in Loop: Header=BB134_30 Depth=1
	v_lshl_add_u64 v[140:141], v[130:131], 3, v[142:143]
	flat_load_dwordx2 v[140:141], v[140:141]
	s_waitcnt vmcnt(0) lgkmcnt(0)
	v_mul_f64 v[140:141], s[12:13], v[140:141]
.LBB134_36:                             ;   in Loop: Header=BB134_30 Depth=1
	s_or_b64 exec, exec, s[22:23]
	s_nor_b64 s[34:35], vcc, s[8:9]
	s_and_saveexec_b64 s[22:23], s[34:35]
	s_cbranch_execz .LBB134_38
; %bb.37:                               ;   in Loop: Header=BB134_30 Depth=1
	v_lshl_add_u64 v[138:139], v[132:133], 3, v[142:143]
	flat_load_dwordx2 v[138:139], v[138:139]
	s_waitcnt vmcnt(0) lgkmcnt(0)
	v_mul_f64 v[138:139], s[12:13], v[138:139]
.LBB134_38:                             ;   in Loop: Header=BB134_30 Depth=1
	s_or_b64 exec, exec, s[22:23]
	s_mov_b32 s22, 0
.LBB134_39:                             ;   Parent Loop BB134_30 Depth=1
                                        ; =>  This Inner Loop Header: Depth=2
	v_add_u32_e32 v142, s22, v155
	ds_read2_b64 v[158:161], v142 offset1:16
	ds_read2_b64 v[162:165], v142 offset0:32 offset1:48
	ds_read2_b64 v[166:169], v142 offset0:64 offset1:80
	ds_read2_b64 v[170:173], v142 offset0:96 offset1:112
	ds_read2_b64 v[174:177], v142 offset0:128 offset1:144
	ds_read2_b64 v[178:181], v142 offset0:160 offset1:176
	ds_read2_b64 v[182:185], v142 offset0:192 offset1:208
	ds_read2_b64 v[186:189], v142 offset0:224 offset1:240
	v_add_u32_e32 v142, 0x800, v142
	ds_read2_b64 v[190:193], v142 offset1:16
	ds_read2_b64 v[194:197], v142 offset0:32 offset1:48
	ds_read2_b64 v[198:201], v142 offset0:64 offset1:80
	ds_read2_b64 v[202:205], v142 offset0:96 offset1:112
	ds_read2_b64 v[206:209], v142 offset0:128 offset1:144
	ds_read2_b64 v[210:213], v142 offset0:160 offset1:176
	ds_read2_b64 v[214:217], v142 offset0:192 offset1:208
	ds_read2_b64 v[218:221], v142 offset0:224 offset1:240
	v_add_u32_e32 v142, s22, v148
	ds_read2st64_b64 v[222:225], v142 offset1:4
	s_waitcnt lgkmcnt(14)
	v_max_f64 v[158:159], v[158:159], v[158:159]
	v_max_f64 v[160:161], v[160:161], v[160:161]
	;; [unrolled: 1-line block ×4, first 2 shown]
	s_waitcnt lgkmcnt(0)
	v_max_f64 v[142:143], v[222:223], v[222:223]
	v_min_f64 v[222:223], v[158:159], v[142:143]
	v_add_f64 v[126:127], v[126:127], v[222:223]
	v_min_f64 v[222:223], v[160:161], v[142:143]
	v_add_f64 v[124:125], v[124:125], v[222:223]
	;; [unrolled: 2-line block ×3, first 2 shown]
	v_min_f64 v[222:223], v[164:165], v[142:143]
	v_max_f64 v[166:167], v[166:167], v[166:167]
	v_add_f64 v[120:121], v[120:121], v[222:223]
	v_min_f64 v[222:223], v[166:167], v[142:143]
	v_max_f64 v[168:169], v[168:169], v[168:169]
	v_add_f64 v[118:119], v[118:119], v[222:223]
	;; [unrolled: 3-line block ×26, first 2 shown]
	v_min_f64 v[222:223], v[216:217], v[142:143]
	v_max_f64 v[218:219], v[218:219], v[218:219]
	v_max_f64 v[220:221], v[220:221], v[220:221]
	v_add_f64 v[68:69], v[68:69], v[222:223]
	v_min_f64 v[222:223], v[218:219], v[142:143]
	v_min_f64 v[142:143], v[220:221], v[142:143]
	v_add_f64 v[64:65], v[64:65], v[142:143]
	v_max_f64 v[142:143], v[224:225], v[224:225]
	v_min_f64 v[158:159], v[158:159], v[142:143]
	v_add_f64 v[62:63], v[62:63], v[158:159]
	v_min_f64 v[158:159], v[160:161], v[142:143]
	v_add_f64 v[60:61], v[60:61], v[158:159]
	;; [unrolled: 2-line block ×30, first 2 shown]
	v_min_f64 v[158:159], v[218:219], v[142:143]
	v_min_f64 v[142:143], v[220:221], v[142:143]
	s_add_i32 s22, s22, 8
	v_add_f64 v[66:67], v[66:67], v[222:223]
	v_add_f64 v[2:3], v[2:3], v[158:159]
	v_add_f64 v[0:1], v[0:1], v[142:143]
	s_cmp_eq_u32 s22, 32
	s_cbranch_scc0 .LBB134_39
; %bb.40:                               ;   in Loop: Header=BB134_30 Depth=1
	ds_write2st64_b64 v149, v[136:137], v[134:135] offset1:4
	ds_write2st64_b64 v150, v[140:141], v[138:139] offset1:4
	v_add3_u32 v134, v146, s29, 4
	v_cmp_le_i32_e32 vcc, s74, v134
	v_min_i32_e32 v134, s27, v134
	v_mad_i64_i32 v[134:135], s[22:23], v134, s26, 0
	v_lshl_add_u64 v[136:137], v[134:135], 3, s[16:17]
	s_or_b64 s[22:23], s[2:3], vcc
	s_nor_b64 s[34:35], s[20:21], s[22:23]
	v_mov_b64_e32 v[134:135], 0
	v_lshl_add_u64 v[138:139], v[128:129], 3, v[136:137]
	v_mov_b64_e32 v[136:137], 0
	s_waitcnt lgkmcnt(0)
	s_barrier
	s_and_saveexec_b64 s[22:23], s[34:35]
	s_cbranch_execz .LBB134_42
; %bb.41:                               ;   in Loop: Header=BB134_30 Depth=1
	flat_load_dwordx2 v[136:137], v[138:139]
	s_waitcnt vmcnt(0) lgkmcnt(0)
	v_mul_f64 v[136:137], s[12:13], v[136:137]
.LBB134_42:                             ;   in Loop: Header=BB134_30 Depth=1
	s_or_b64 exec, exec, s[22:23]
	s_or_b64 s[22:23], s[4:5], vcc
	s_nor_b64 s[34:35], s[20:21], s[22:23]
	s_and_saveexec_b64 s[22:23], s[34:35]
	s_cbranch_execz .LBB134_44
; %bb.43:                               ;   in Loop: Header=BB134_30 Depth=1
	flat_load_dwordx2 v[134:135], v[138:139] offset:512
	s_waitcnt vmcnt(0) lgkmcnt(0)
	v_mul_f64 v[134:135], s[12:13], v[134:135]
.LBB134_44:                             ;   in Loop: Header=BB134_30 Depth=1
	s_or_b64 exec, exec, s[22:23]
	v_or_b32_e32 v138, 4, v156
	v_cmp_le_i32_e32 vcc, s74, v138
	v_min_i32_e32 v138, s27, v138
	v_ashrrev_i32_e32 v139, 31, v138
	v_lshl_add_u64 v[142:143], v[138:139], 3, s[18:19]
	s_nor_b64 s[34:35], vcc, s[6:7]
	v_mov_b64_e32 v[138:139], 0
	v_mov_b64_e32 v[140:141], 0
	s_and_saveexec_b64 s[22:23], s[34:35]
	s_cbranch_execz .LBB134_46
; %bb.45:                               ;   in Loop: Header=BB134_30 Depth=1
	v_lshl_add_u64 v[140:141], v[130:131], 3, v[142:143]
	flat_load_dwordx2 v[140:141], v[140:141]
	s_waitcnt vmcnt(0) lgkmcnt(0)
	v_mul_f64 v[140:141], s[12:13], v[140:141]
.LBB134_46:                             ;   in Loop: Header=BB134_30 Depth=1
	s_or_b64 exec, exec, s[22:23]
	s_nor_b64 s[34:35], vcc, s[8:9]
	s_and_saveexec_b64 s[22:23], s[34:35]
	s_cbranch_execz .LBB134_48
; %bb.47:                               ;   in Loop: Header=BB134_30 Depth=1
	v_lshl_add_u64 v[138:139], v[132:133], 3, v[142:143]
	flat_load_dwordx2 v[138:139], v[138:139]
	s_waitcnt vmcnt(0) lgkmcnt(0)
	v_mul_f64 v[138:139], s[12:13], v[138:139]
.LBB134_48:                             ;   in Loop: Header=BB134_30 Depth=1
	s_or_b64 exec, exec, s[22:23]
	s_mov_b32 s22, 0
.LBB134_49:                             ;   Parent Loop BB134_30 Depth=1
                                        ; =>  This Inner Loop Header: Depth=2
	v_add_u32_e32 v142, s22, v151
	v_add_u32_e32 v143, s22, v152
	ds_read2_b64 v[156:159], v142 offset1:16
	ds_read2_b64 v[160:163], v142 offset0:32 offset1:48
	ds_read2_b64 v[164:167], v142 offset0:64 offset1:80
	;; [unrolled: 1-line block ×7, first 2 shown]
	v_add_u32_e32 v142, 0x800, v142
	ds_read2st64_b64 v[188:191], v143 offset1:4
	ds_read2_b64 v[192:195], v142 offset1:16
	ds_read2_b64 v[196:199], v142 offset0:32 offset1:48
	ds_read2_b64 v[200:203], v142 offset0:64 offset1:80
	;; [unrolled: 1-line block ×7, first 2 shown]
	s_waitcnt lgkmcnt(14)
	v_max_f64 v[156:157], v[156:157], v[156:157]
	v_max_f64 v[158:159], v[158:159], v[158:159]
	;; [unrolled: 1-line block ×3, first 2 shown]
	s_waitcnt lgkmcnt(8)
	v_max_f64 v[142:143], v[188:189], v[188:189]
	v_max_f64 v[162:163], v[162:163], v[162:163]
	;; [unrolled: 1-line block ×15, first 2 shown]
	v_min_f64 v[190:191], v[156:157], v[142:143]
	v_min_f64 v[224:225], v[158:159], v[142:143]
	;; [unrolled: 1-line block ×16, first 2 shown]
	s_waitcnt lgkmcnt(7)
	v_max_f64 v[192:193], v[192:193], v[192:193]
	v_max_f64 v[194:195], v[194:195], v[194:195]
	s_waitcnt lgkmcnt(6)
	v_max_f64 v[196:197], v[196:197], v[196:197]
	v_max_f64 v[198:199], v[198:199], v[198:199]
	s_waitcnt lgkmcnt(5)
	v_max_f64 v[200:201], v[200:201], v[200:201]
	v_max_f64 v[202:203], v[202:203], v[202:203]
	s_waitcnt lgkmcnt(4)
	v_max_f64 v[204:205], v[204:205], v[204:205]
	v_max_f64 v[206:207], v[206:207], v[206:207]
	s_waitcnt lgkmcnt(3)
	v_max_f64 v[208:209], v[208:209], v[208:209]
	v_max_f64 v[210:211], v[210:211], v[210:211]
	s_waitcnt lgkmcnt(2)
	v_max_f64 v[212:213], v[212:213], v[212:213]
	v_max_f64 v[214:215], v[214:215], v[214:215]
	s_waitcnt lgkmcnt(1)
	v_max_f64 v[216:217], v[216:217], v[216:217]
	v_max_f64 v[218:219], v[218:219], v[218:219]
	s_waitcnt lgkmcnt(0)
	v_max_f64 v[220:221], v[220:221], v[220:221]
	v_max_f64 v[222:223], v[222:223], v[222:223]
	v_min_f64 v[156:157], v[156:157], v[188:189]
	v_min_f64 v[158:159], v[158:159], v[188:189]
	;; [unrolled: 1-line block ×16, first 2 shown]
	s_add_i32 s22, s22, 8
	v_add_f64 v[126:127], v[126:127], v[190:191]
	v_add_f64 v[124:125], v[124:125], v[224:225]
	;; [unrolled: 1-line block ×15, first 2 shown]
	v_min_f64 v[190:191], v[192:193], v[142:143]
	v_min_f64 v[224:225], v[194:195], v[142:143]
	;; [unrolled: 1-line block ×16, first 2 shown]
	v_add_f64 v[62:63], v[62:63], v[156:157]
	v_add_f64 v[60:61], v[60:61], v[158:159]
	;; [unrolled: 1-line block ×16, first 2 shown]
	v_min_f64 v[156:157], v[192:193], v[188:189]
	v_min_f64 v[158:159], v[194:195], v[188:189]
	v_min_f64 v[160:161], v[196:197], v[188:189]
	v_min_f64 v[162:163], v[198:199], v[188:189]
	v_min_f64 v[164:165], v[200:201], v[188:189]
	v_min_f64 v[166:167], v[202:203], v[188:189]
	v_min_f64 v[168:169], v[204:205], v[188:189]
	v_min_f64 v[170:171], v[206:207], v[188:189]
	v_min_f64 v[172:173], v[208:209], v[188:189]
	v_min_f64 v[174:175], v[210:211], v[188:189]
	v_min_f64 v[176:177], v[212:213], v[188:189]
	v_min_f64 v[178:179], v[214:215], v[188:189]
	v_min_f64 v[180:181], v[216:217], v[188:189]
	v_min_f64 v[182:183], v[218:219], v[188:189]
	v_min_f64 v[184:185], v[220:221], v[188:189]
	v_min_f64 v[186:187], v[222:223], v[188:189]
	s_cmp_eq_u32 s22, 32
	v_add_f64 v[96:97], v[96:97], v[252:253]
	v_add_f64 v[94:95], v[94:95], v[190:191]
	;; [unrolled: 1-line block ×33, first 2 shown]
	s_cbranch_scc0 .LBB134_49
; %bb.50:                               ;   in Loop: Header=BB134_30 Depth=1
	s_add_i32 s29, s29, 8
	s_add_i32 s30, s30, 8
	s_cmp_ge_i32 s30, s28
	ds_write2st64_b64 v153, v[136:137], v[134:135] offset1:4
	ds_write2st64_b64 v154, v[140:141], v[138:139] offset1:4
	s_waitcnt lgkmcnt(0)
	s_barrier
	s_cbranch_scc0 .LBB134_30
.LBB134_51:
	v_mov_b32_e32 v128, 0x1000
	v_lshl_add_u32 v128, v144, 5, v128
	s_mov_b32 s2, 0
.LBB134_52:                             ; =>This Inner Loop Header: Depth=1
	v_add_u32_e32 v129, s2, v128
	v_add_u32_e32 v142, s2, v148
	ds_read2_b64 v[130:133], v129 offset1:16
	ds_read2_b64 v[134:137], v129 offset0:32 offset1:48
	ds_read2_b64 v[138:141], v129 offset0:64 offset1:80
	;; [unrolled: 1-line block ×7, first 2 shown]
	v_add_u32_e32 v129, 0x800, v129
	ds_read2st64_b64 v[170:173], v142 offset1:4
	ds_read2_b64 v[174:177], v129 offset1:16
	ds_read2_b64 v[178:181], v129 offset0:32 offset1:48
	ds_read2_b64 v[182:185], v129 offset0:64 offset1:80
	;; [unrolled: 1-line block ×7, first 2 shown]
	s_waitcnt lgkmcnt(14)
	v_max_f64 v[130:131], v[130:131], v[130:131]
	v_max_f64 v[132:133], v[132:133], v[132:133]
	;; [unrolled: 1-line block ×3, first 2 shown]
	s_waitcnt lgkmcnt(8)
	v_max_f64 v[142:143], v[170:171], v[170:171]
	v_max_f64 v[136:137], v[136:137], v[136:137]
	;; [unrolled: 1-line block ×15, first 2 shown]
	v_min_f64 v[170:171], v[130:131], v[142:143]
	v_min_f64 v[172:173], v[132:133], v[142:143]
	;; [unrolled: 1-line block ×16, first 2 shown]
	s_waitcnt lgkmcnt(7)
	v_max_f64 v[174:175], v[174:175], v[174:175]
	v_max_f64 v[176:177], v[176:177], v[176:177]
	s_waitcnt lgkmcnt(6)
	v_max_f64 v[178:179], v[178:179], v[178:179]
	v_max_f64 v[180:181], v[180:181], v[180:181]
	;; [unrolled: 3-line block ×8, first 2 shown]
	v_min_f64 v[130:131], v[130:131], v[168:169]
	v_min_f64 v[132:133], v[132:133], v[168:169]
	;; [unrolled: 1-line block ×16, first 2 shown]
	s_add_i32 s2, s2, 8
	v_add_f64 v[126:127], v[126:127], v[170:171]
	v_add_f64 v[124:125], v[124:125], v[172:173]
	;; [unrolled: 1-line block ×15, first 2 shown]
	v_min_f64 v[170:171], v[174:175], v[142:143]
	v_min_f64 v[172:173], v[176:177], v[142:143]
	;; [unrolled: 1-line block ×16, first 2 shown]
	v_add_f64 v[62:63], v[62:63], v[130:131]
	v_add_f64 v[60:61], v[60:61], v[132:133]
	;; [unrolled: 1-line block ×16, first 2 shown]
	v_min_f64 v[130:131], v[174:175], v[168:169]
	v_min_f64 v[132:133], v[176:177], v[168:169]
	;; [unrolled: 1-line block ×16, first 2 shown]
	s_cmp_eq_u32 s2, 32
	v_add_f64 v[96:97], v[96:97], v[232:233]
	v_add_f64 v[94:95], v[94:95], v[170:171]
	;; [unrolled: 1-line block ×33, first 2 shown]
	s_cbranch_scc0 .LBB134_52
; %bb.53:
	s_load_dwordx2 s[2:3], s[0:1], 0x78
	s_load_dword s78, s[0:1], 0x58
	s_load_dword s33, s[0:1], 0x70
	v_add_u32_e32 v136, s25, v145
	v_add_u32_e32 v128, s24, v144
	s_waitcnt lgkmcnt(0)
	s_lshl_b64 s[0:1], s[2:3], 3
	s_add_u32 s74, s14, s0
	s_addc_u32 s75, s15, s1
	v_mad_i64_i32 v[130:131], s[0:1], v136, s78, 0
	v_cmp_gt_i32_e64 s[24:25], s73, v136
	v_lshl_add_u64 v[132:133], v[130:131], 3, s[76:77]
	v_mad_i64_i32 v[130:131], s[0:1], v136, s33, 0
	v_cmp_gt_i32_e64 s[2:3], s72, v128
	v_cndmask_b32_e64 v134, 0, 1, s[10:11]
	v_lshl_add_u64 v[130:131], v[130:131], 3, s[74:75]
	s_and_b64 s[6:7], s[24:25], s[2:3]
	v_ashrrev_i32_e32 v129, 31, v128
	v_cmp_ne_u32_e64 s[0:1], 1, v134
	s_and_saveexec_b64 s[4:5], s[6:7]
	s_cbranch_execz .LBB134_58
; %bb.54:
	s_and_b64 vcc, exec, s[0:1]
	s_cbranch_vccnz .LBB134_56
; %bb.55:
	v_lshl_add_u64 v[134:135], v[128:129], 3, v[132:133]
	flat_load_dwordx2 v[134:135], v[134:135]
	s_waitcnt vmcnt(0) lgkmcnt(0)
	v_mul_f64 v[134:135], s[70:71], v[134:135]
	s_branch .LBB134_57
.LBB134_56:
	v_mov_b64_e32 v[134:135], 0
.LBB134_57:
	v_add_f64 v[126:127], v[126:127], v[134:135]
	v_lshl_add_u64 v[134:135], v[128:129], 3, v[130:131]
	flat_store_dwordx2 v[134:135], v[126:127]
.LBB134_58:
	s_or_b64 exec, exec, s[4:5]
	v_add_u32_e32 v126, 4, v128
	v_cmp_gt_i32_e64 s[4:5], s72, v126
	s_and_b64 s[8:9], s[24:25], s[4:5]
	v_ashrrev_i32_e32 v127, 31, v126
	s_and_saveexec_b64 s[6:7], s[8:9]
	s_cbranch_execz .LBB134_63
; %bb.59:
	s_and_b64 vcc, exec, s[0:1]
	s_cbranch_vccnz .LBB134_61
; %bb.60:
	v_lshl_add_u64 v[134:135], v[126:127], 3, v[132:133]
	flat_load_dwordx2 v[134:135], v[134:135]
	s_waitcnt vmcnt(0) lgkmcnt(0)
	v_mul_f64 v[134:135], s[70:71], v[134:135]
	s_branch .LBB134_62
.LBB134_61:
	v_mov_b64_e32 v[134:135], 0
.LBB134_62:
	v_add_f64 v[124:125], v[124:125], v[134:135]
	v_lshl_add_u64 v[134:135], v[126:127], 3, v[130:131]
	flat_store_dwordx2 v[134:135], v[124:125]
.LBB134_63:
	s_or_b64 exec, exec, s[6:7]
	v_add_u32_e32 v124, 8, v128
	v_cmp_gt_i32_e64 s[6:7], s72, v124
	s_and_b64 s[10:11], s[24:25], s[6:7]
	v_ashrrev_i32_e32 v125, 31, v124
	;; [unrolled: 23-line block ×31, first 2 shown]
	s_and_saveexec_b64 s[24:25], s[80:81]
	s_cbranch_execz .LBB134_213
; %bb.209:
	s_and_b64 vcc, exec, s[0:1]
	s_cbranch_vccnz .LBB134_211
; %bb.210:
	v_lshl_add_u64 v[132:133], v[66:67], 3, v[132:133]
	flat_load_dwordx2 v[132:133], v[132:133]
	s_waitcnt vmcnt(0) lgkmcnt(0)
	v_mul_f64 v[132:133], s[70:71], v[132:133]
	s_branch .LBB134_212
.LBB134_211:
	v_mov_b64_e32 v[132:133], 0
.LBB134_212:
	v_add_f64 v[64:65], v[64:65], v[132:133]
	v_lshl_add_u64 v[130:131], v[66:67], 3, v[130:131]
	flat_store_dwordx2 v[130:131], v[64:65]
.LBB134_213:
	s_or_b64 exec, exec, s[24:25]
	v_add_u32_e32 v132, 64, v136
	v_cmp_gt_i32_e64 s[24:25], s73, v132
	v_mad_i64_i32 v[64:65], s[72:73], v132, s78, 0
	v_lshl_add_u64 v[130:131], v[64:65], 3, s[76:77]
	v_mad_i64_i32 v[64:65], s[72:73], v132, s33, 0
	v_lshl_add_u64 v[64:65], v[64:65], 3, s[74:75]
	s_and_b64 s[2:3], s[24:25], s[2:3]
	s_and_saveexec_b64 s[72:73], s[2:3]
	s_xor_b64 s[2:3], exec, s[72:73]
	s_cbranch_execnz .LBB134_246
; %bb.214:
	s_or_b64 exec, exec, s[2:3]
	s_and_b64 s[4:5], s[24:25], s[4:5]
	s_and_saveexec_b64 s[2:3], s[4:5]
	s_cbranch_execnz .LBB134_250
.LBB134_215:
	s_or_b64 exec, exec, s[2:3]
	s_and_b64 s[4:5], s[24:25], s[6:7]
	s_and_saveexec_b64 s[2:3], s[4:5]
	s_cbranch_execnz .LBB134_254
.LBB134_216:
	s_or_b64 exec, exec, s[2:3]
	s_and_b64 s[4:5], s[24:25], s[8:9]
	s_and_saveexec_b64 s[2:3], s[4:5]
	s_cbranch_execnz .LBB134_258
.LBB134_217:
	s_or_b64 exec, exec, s[2:3]
	s_and_b64 s[4:5], s[24:25], s[10:11]
	s_and_saveexec_b64 s[2:3], s[4:5]
	s_cbranch_execnz .LBB134_262
.LBB134_218:
	s_or_b64 exec, exec, s[2:3]
	s_and_b64 s[4:5], s[24:25], s[12:13]
	s_and_saveexec_b64 s[2:3], s[4:5]
	s_cbranch_execnz .LBB134_266
.LBB134_219:
	s_or_b64 exec, exec, s[2:3]
	s_and_b64 s[4:5], s[24:25], s[14:15]
	s_and_saveexec_b64 s[2:3], s[4:5]
	s_cbranch_execnz .LBB134_270
.LBB134_220:
	s_or_b64 exec, exec, s[2:3]
	s_and_b64 s[4:5], s[24:25], s[16:17]
	s_and_saveexec_b64 s[2:3], s[4:5]
	s_cbranch_execnz .LBB134_274
.LBB134_221:
	s_or_b64 exec, exec, s[2:3]
	s_and_b64 s[4:5], s[24:25], s[18:19]
	s_and_saveexec_b64 s[2:3], s[4:5]
	s_cbranch_execnz .LBB134_278
.LBB134_222:
	s_or_b64 exec, exec, s[2:3]
	s_and_b64 s[4:5], s[24:25], s[20:21]
	s_and_saveexec_b64 s[2:3], s[4:5]
	s_cbranch_execnz .LBB134_282
.LBB134_223:
	s_or_b64 exec, exec, s[2:3]
	s_and_b64 s[4:5], s[24:25], s[22:23]
	s_and_saveexec_b64 s[2:3], s[4:5]
	s_cbranch_execnz .LBB134_286
.LBB134_224:
	s_or_b64 exec, exec, s[2:3]
	s_and_b64 s[4:5], s[24:25], s[26:27]
	s_and_saveexec_b64 s[2:3], s[4:5]
	s_cbranch_execnz .LBB134_290
.LBB134_225:
	s_or_b64 exec, exec, s[2:3]
	s_and_b64 s[4:5], s[24:25], s[28:29]
	s_and_saveexec_b64 s[2:3], s[4:5]
	s_cbranch_execnz .LBB134_294
.LBB134_226:
	s_or_b64 exec, exec, s[2:3]
	s_and_b64 s[4:5], s[24:25], s[30:31]
	s_and_saveexec_b64 s[2:3], s[4:5]
	s_cbranch_execnz .LBB134_298
.LBB134_227:
	s_or_b64 exec, exec, s[2:3]
	s_and_b64 s[4:5], s[24:25], s[34:35]
	s_and_saveexec_b64 s[2:3], s[4:5]
	s_cbranch_execnz .LBB134_302
.LBB134_228:
	s_or_b64 exec, exec, s[2:3]
	s_and_b64 s[4:5], s[24:25], s[36:37]
	s_and_saveexec_b64 s[2:3], s[4:5]
	s_cbranch_execnz .LBB134_306
.LBB134_229:
	s_or_b64 exec, exec, s[2:3]
	s_and_b64 s[4:5], s[24:25], s[38:39]
	s_and_saveexec_b64 s[2:3], s[4:5]
	s_cbranch_execnz .LBB134_310
.LBB134_230:
	s_or_b64 exec, exec, s[2:3]
	s_and_b64 s[4:5], s[24:25], s[40:41]
	s_and_saveexec_b64 s[2:3], s[4:5]
	s_cbranch_execnz .LBB134_314
.LBB134_231:
	s_or_b64 exec, exec, s[2:3]
	s_and_b64 s[4:5], s[24:25], s[42:43]
	s_and_saveexec_b64 s[2:3], s[4:5]
	s_cbranch_execnz .LBB134_318
.LBB134_232:
	s_or_b64 exec, exec, s[2:3]
	s_and_b64 s[4:5], s[24:25], s[44:45]
	s_and_saveexec_b64 s[2:3], s[4:5]
	s_cbranch_execnz .LBB134_322
.LBB134_233:
	s_or_b64 exec, exec, s[2:3]
	s_and_b64 s[4:5], s[24:25], s[46:47]
	s_and_saveexec_b64 s[2:3], s[4:5]
	s_cbranch_execnz .LBB134_326
.LBB134_234:
	s_or_b64 exec, exec, s[2:3]
	s_and_b64 s[4:5], s[24:25], s[48:49]
	s_and_saveexec_b64 s[2:3], s[4:5]
	s_cbranch_execnz .LBB134_330
.LBB134_235:
	s_or_b64 exec, exec, s[2:3]
	s_and_b64 s[4:5], s[24:25], s[50:51]
	s_and_saveexec_b64 s[2:3], s[4:5]
	s_cbranch_execnz .LBB134_334
.LBB134_236:
	s_or_b64 exec, exec, s[2:3]
	s_and_b64 s[4:5], s[24:25], s[52:53]
	s_and_saveexec_b64 s[2:3], s[4:5]
	s_cbranch_execnz .LBB134_338
.LBB134_237:
	s_or_b64 exec, exec, s[2:3]
	s_and_b64 s[4:5], s[24:25], s[54:55]
	s_and_saveexec_b64 s[2:3], s[4:5]
	s_cbranch_execnz .LBB134_342
.LBB134_238:
	s_or_b64 exec, exec, s[2:3]
	s_and_b64 s[4:5], s[24:25], s[56:57]
	s_and_saveexec_b64 s[2:3], s[4:5]
	s_cbranch_execnz .LBB134_346
.LBB134_239:
	s_or_b64 exec, exec, s[2:3]
	s_and_b64 s[4:5], s[24:25], s[58:59]
	s_and_saveexec_b64 s[2:3], s[4:5]
	s_cbranch_execnz .LBB134_350
.LBB134_240:
	s_or_b64 exec, exec, s[2:3]
	s_and_b64 s[4:5], s[24:25], s[60:61]
	s_and_saveexec_b64 s[2:3], s[4:5]
	s_cbranch_execnz .LBB134_354
.LBB134_241:
	s_or_b64 exec, exec, s[2:3]
	s_and_b64 s[4:5], s[24:25], s[62:63]
	s_and_saveexec_b64 s[2:3], s[4:5]
	s_cbranch_execnz .LBB134_358
.LBB134_242:
	s_or_b64 exec, exec, s[2:3]
	s_and_b64 s[4:5], s[24:25], s[64:65]
	s_and_saveexec_b64 s[2:3], s[4:5]
	s_cbranch_execnz .LBB134_362
.LBB134_243:
	s_or_b64 exec, exec, s[2:3]
	s_and_b64 s[4:5], s[24:25], s[66:67]
	s_and_saveexec_b64 s[2:3], s[4:5]
	s_cbranch_execnz .LBB134_366
.LBB134_244:
	s_or_b64 exec, exec, s[2:3]
	s_and_b64 s[2:3], s[24:25], s[68:69]
	s_and_saveexec_b64 s[4:5], s[2:3]
	s_cbranch_execnz .LBB134_370
.LBB134_245:
	s_endpgm
.LBB134_246:
	s_and_b64 vcc, exec, s[0:1]
	s_cbranch_vccnz .LBB134_248
; %bb.247:
	v_lshl_add_u64 v[132:133], v[128:129], 3, v[130:131]
	flat_load_dwordx2 v[132:133], v[132:133]
	s_waitcnt vmcnt(0) lgkmcnt(0)
	v_mul_f64 v[132:133], s[70:71], v[132:133]
	s_branch .LBB134_249
.LBB134_248:
	v_mov_b64_e32 v[132:133], 0
.LBB134_249:
	v_add_f64 v[62:63], v[62:63], v[132:133]
	v_lshl_add_u64 v[128:129], v[128:129], 3, v[64:65]
	flat_store_dwordx2 v[128:129], v[62:63]
	s_or_b64 exec, exec, s[2:3]
	s_and_b64 s[4:5], s[24:25], s[4:5]
	s_and_saveexec_b64 s[2:3], s[4:5]
	s_cbranch_execz .LBB134_215
.LBB134_250:
	s_and_b64 vcc, exec, s[0:1]
	s_cbranch_vccnz .LBB134_252
; %bb.251:
	v_lshl_add_u64 v[62:63], v[126:127], 3, v[130:131]
	flat_load_dwordx2 v[62:63], v[62:63]
	s_waitcnt vmcnt(0) lgkmcnt(0)
	v_mul_f64 v[62:63], s[70:71], v[62:63]
	s_branch .LBB134_253
.LBB134_252:
	v_mov_b64_e32 v[62:63], 0
.LBB134_253:
	v_add_f64 v[60:61], v[60:61], v[62:63]
	v_lshl_add_u64 v[62:63], v[126:127], 3, v[64:65]
	flat_store_dwordx2 v[62:63], v[60:61]
	s_or_b64 exec, exec, s[2:3]
	s_and_b64 s[4:5], s[24:25], s[6:7]
	s_and_saveexec_b64 s[2:3], s[4:5]
	s_cbranch_execz .LBB134_216
.LBB134_254:
	s_and_b64 vcc, exec, s[0:1]
	s_cbranch_vccnz .LBB134_256
; %bb.255:
	v_lshl_add_u64 v[60:61], v[124:125], 3, v[130:131]
	flat_load_dwordx2 v[60:61], v[60:61]
	s_waitcnt vmcnt(0) lgkmcnt(0)
	v_mul_f64 v[60:61], s[70:71], v[60:61]
	s_branch .LBB134_257
.LBB134_256:
	v_mov_b64_e32 v[60:61], 0
.LBB134_257:
	v_add_f64 v[58:59], v[58:59], v[60:61]
	v_lshl_add_u64 v[60:61], v[124:125], 3, v[64:65]
	flat_store_dwordx2 v[60:61], v[58:59]
	s_or_b64 exec, exec, s[2:3]
	s_and_b64 s[4:5], s[24:25], s[8:9]
	s_and_saveexec_b64 s[2:3], s[4:5]
	s_cbranch_execz .LBB134_217
.LBB134_258:
	s_and_b64 vcc, exec, s[0:1]
	s_cbranch_vccnz .LBB134_260
; %bb.259:
	v_lshl_add_u64 v[58:59], v[122:123], 3, v[130:131]
	flat_load_dwordx2 v[58:59], v[58:59]
	s_waitcnt vmcnt(0) lgkmcnt(0)
	v_mul_f64 v[58:59], s[70:71], v[58:59]
	s_branch .LBB134_261
.LBB134_260:
	v_mov_b64_e32 v[58:59], 0
.LBB134_261:
	v_add_f64 v[56:57], v[56:57], v[58:59]
	v_lshl_add_u64 v[58:59], v[122:123], 3, v[64:65]
	flat_store_dwordx2 v[58:59], v[56:57]
	s_or_b64 exec, exec, s[2:3]
	s_and_b64 s[4:5], s[24:25], s[10:11]
	s_and_saveexec_b64 s[2:3], s[4:5]
	s_cbranch_execz .LBB134_218
.LBB134_262:
	s_and_b64 vcc, exec, s[0:1]
	s_cbranch_vccnz .LBB134_264
; %bb.263:
	v_lshl_add_u64 v[56:57], v[120:121], 3, v[130:131]
	flat_load_dwordx2 v[56:57], v[56:57]
	s_waitcnt vmcnt(0) lgkmcnt(0)
	v_mul_f64 v[56:57], s[70:71], v[56:57]
	s_branch .LBB134_265
.LBB134_264:
	v_mov_b64_e32 v[56:57], 0
.LBB134_265:
	v_add_f64 v[54:55], v[54:55], v[56:57]
	v_lshl_add_u64 v[56:57], v[120:121], 3, v[64:65]
	flat_store_dwordx2 v[56:57], v[54:55]
	s_or_b64 exec, exec, s[2:3]
	s_and_b64 s[4:5], s[24:25], s[12:13]
	s_and_saveexec_b64 s[2:3], s[4:5]
	s_cbranch_execz .LBB134_219
.LBB134_266:
	s_and_b64 vcc, exec, s[0:1]
	s_cbranch_vccnz .LBB134_268
; %bb.267:
	v_lshl_add_u64 v[54:55], v[118:119], 3, v[130:131]
	flat_load_dwordx2 v[54:55], v[54:55]
	s_waitcnt vmcnt(0) lgkmcnt(0)
	v_mul_f64 v[54:55], s[70:71], v[54:55]
	s_branch .LBB134_269
.LBB134_268:
	v_mov_b64_e32 v[54:55], 0
.LBB134_269:
	v_add_f64 v[52:53], v[52:53], v[54:55]
	v_lshl_add_u64 v[54:55], v[118:119], 3, v[64:65]
	flat_store_dwordx2 v[54:55], v[52:53]
	s_or_b64 exec, exec, s[2:3]
	s_and_b64 s[4:5], s[24:25], s[14:15]
	s_and_saveexec_b64 s[2:3], s[4:5]
	s_cbranch_execz .LBB134_220
.LBB134_270:
	s_and_b64 vcc, exec, s[0:1]
	s_cbranch_vccnz .LBB134_272
; %bb.271:
	v_lshl_add_u64 v[52:53], v[116:117], 3, v[130:131]
	flat_load_dwordx2 v[52:53], v[52:53]
	s_waitcnt vmcnt(0) lgkmcnt(0)
	v_mul_f64 v[52:53], s[70:71], v[52:53]
	s_branch .LBB134_273
.LBB134_272:
	v_mov_b64_e32 v[52:53], 0
.LBB134_273:
	v_add_f64 v[50:51], v[50:51], v[52:53]
	v_lshl_add_u64 v[52:53], v[116:117], 3, v[64:65]
	flat_store_dwordx2 v[52:53], v[50:51]
	s_or_b64 exec, exec, s[2:3]
	s_and_b64 s[4:5], s[24:25], s[16:17]
	s_and_saveexec_b64 s[2:3], s[4:5]
	s_cbranch_execz .LBB134_221
.LBB134_274:
	s_and_b64 vcc, exec, s[0:1]
	s_cbranch_vccnz .LBB134_276
; %bb.275:
	v_lshl_add_u64 v[50:51], v[114:115], 3, v[130:131]
	flat_load_dwordx2 v[50:51], v[50:51]
	s_waitcnt vmcnt(0) lgkmcnt(0)
	v_mul_f64 v[50:51], s[70:71], v[50:51]
	s_branch .LBB134_277
.LBB134_276:
	v_mov_b64_e32 v[50:51], 0
.LBB134_277:
	v_add_f64 v[48:49], v[48:49], v[50:51]
	v_lshl_add_u64 v[50:51], v[114:115], 3, v[64:65]
	flat_store_dwordx2 v[50:51], v[48:49]
	s_or_b64 exec, exec, s[2:3]
	s_and_b64 s[4:5], s[24:25], s[18:19]
	s_and_saveexec_b64 s[2:3], s[4:5]
	s_cbranch_execz .LBB134_222
.LBB134_278:
	s_and_b64 vcc, exec, s[0:1]
	s_cbranch_vccnz .LBB134_280
; %bb.279:
	v_lshl_add_u64 v[48:49], v[112:113], 3, v[130:131]
	flat_load_dwordx2 v[48:49], v[48:49]
	s_waitcnt vmcnt(0) lgkmcnt(0)
	v_mul_f64 v[48:49], s[70:71], v[48:49]
	s_branch .LBB134_281
.LBB134_280:
	v_mov_b64_e32 v[48:49], 0
.LBB134_281:
	v_add_f64 v[46:47], v[46:47], v[48:49]
	v_lshl_add_u64 v[48:49], v[112:113], 3, v[64:65]
	flat_store_dwordx2 v[48:49], v[46:47]
	s_or_b64 exec, exec, s[2:3]
	s_and_b64 s[4:5], s[24:25], s[20:21]
	s_and_saveexec_b64 s[2:3], s[4:5]
	s_cbranch_execz .LBB134_223
.LBB134_282:
	s_and_b64 vcc, exec, s[0:1]
	s_cbranch_vccnz .LBB134_284
; %bb.283:
	v_lshl_add_u64 v[46:47], v[110:111], 3, v[130:131]
	flat_load_dwordx2 v[46:47], v[46:47]
	s_waitcnt vmcnt(0) lgkmcnt(0)
	v_mul_f64 v[46:47], s[70:71], v[46:47]
	s_branch .LBB134_285
.LBB134_284:
	v_mov_b64_e32 v[46:47], 0
.LBB134_285:
	v_add_f64 v[44:45], v[44:45], v[46:47]
	v_lshl_add_u64 v[46:47], v[110:111], 3, v[64:65]
	flat_store_dwordx2 v[46:47], v[44:45]
	s_or_b64 exec, exec, s[2:3]
	s_and_b64 s[4:5], s[24:25], s[22:23]
	s_and_saveexec_b64 s[2:3], s[4:5]
	s_cbranch_execz .LBB134_224
.LBB134_286:
	s_and_b64 vcc, exec, s[0:1]
	s_cbranch_vccnz .LBB134_288
; %bb.287:
	v_lshl_add_u64 v[44:45], v[108:109], 3, v[130:131]
	flat_load_dwordx2 v[44:45], v[44:45]
	s_waitcnt vmcnt(0) lgkmcnt(0)
	v_mul_f64 v[44:45], s[70:71], v[44:45]
	s_branch .LBB134_289
.LBB134_288:
	v_mov_b64_e32 v[44:45], 0
.LBB134_289:
	v_add_f64 v[42:43], v[42:43], v[44:45]
	v_lshl_add_u64 v[44:45], v[108:109], 3, v[64:65]
	flat_store_dwordx2 v[44:45], v[42:43]
	s_or_b64 exec, exec, s[2:3]
	s_and_b64 s[4:5], s[24:25], s[26:27]
	s_and_saveexec_b64 s[2:3], s[4:5]
	s_cbranch_execz .LBB134_225
.LBB134_290:
	s_and_b64 vcc, exec, s[0:1]
	s_cbranch_vccnz .LBB134_292
; %bb.291:
	v_lshl_add_u64 v[42:43], v[106:107], 3, v[130:131]
	flat_load_dwordx2 v[42:43], v[42:43]
	s_waitcnt vmcnt(0) lgkmcnt(0)
	v_mul_f64 v[42:43], s[70:71], v[42:43]
	s_branch .LBB134_293
.LBB134_292:
	v_mov_b64_e32 v[42:43], 0
.LBB134_293:
	v_add_f64 v[40:41], v[40:41], v[42:43]
	v_lshl_add_u64 v[42:43], v[106:107], 3, v[64:65]
	flat_store_dwordx2 v[42:43], v[40:41]
	s_or_b64 exec, exec, s[2:3]
	s_and_b64 s[4:5], s[24:25], s[28:29]
	s_and_saveexec_b64 s[2:3], s[4:5]
	s_cbranch_execz .LBB134_226
.LBB134_294:
	s_and_b64 vcc, exec, s[0:1]
	s_cbranch_vccnz .LBB134_296
; %bb.295:
	v_lshl_add_u64 v[40:41], v[104:105], 3, v[130:131]
	flat_load_dwordx2 v[40:41], v[40:41]
	s_waitcnt vmcnt(0) lgkmcnt(0)
	v_mul_f64 v[40:41], s[70:71], v[40:41]
	s_branch .LBB134_297
.LBB134_296:
	v_mov_b64_e32 v[40:41], 0
.LBB134_297:
	v_add_f64 v[38:39], v[38:39], v[40:41]
	v_lshl_add_u64 v[40:41], v[104:105], 3, v[64:65]
	flat_store_dwordx2 v[40:41], v[38:39]
	s_or_b64 exec, exec, s[2:3]
	s_and_b64 s[4:5], s[24:25], s[30:31]
	s_and_saveexec_b64 s[2:3], s[4:5]
	s_cbranch_execz .LBB134_227
.LBB134_298:
	s_and_b64 vcc, exec, s[0:1]
	s_cbranch_vccnz .LBB134_300
; %bb.299:
	v_lshl_add_u64 v[38:39], v[102:103], 3, v[130:131]
	flat_load_dwordx2 v[38:39], v[38:39]
	s_waitcnt vmcnt(0) lgkmcnt(0)
	v_mul_f64 v[38:39], s[70:71], v[38:39]
	s_branch .LBB134_301
.LBB134_300:
	v_mov_b64_e32 v[38:39], 0
.LBB134_301:
	v_add_f64 v[36:37], v[36:37], v[38:39]
	v_lshl_add_u64 v[38:39], v[102:103], 3, v[64:65]
	flat_store_dwordx2 v[38:39], v[36:37]
	s_or_b64 exec, exec, s[2:3]
	s_and_b64 s[4:5], s[24:25], s[34:35]
	s_and_saveexec_b64 s[2:3], s[4:5]
	s_cbranch_execz .LBB134_228
.LBB134_302:
	s_and_b64 vcc, exec, s[0:1]
	s_cbranch_vccnz .LBB134_304
; %bb.303:
	v_lshl_add_u64 v[36:37], v[100:101], 3, v[130:131]
	flat_load_dwordx2 v[36:37], v[36:37]
	s_waitcnt vmcnt(0) lgkmcnt(0)
	v_mul_f64 v[36:37], s[70:71], v[36:37]
	s_branch .LBB134_305
.LBB134_304:
	v_mov_b64_e32 v[36:37], 0
.LBB134_305:
	v_add_f64 v[34:35], v[34:35], v[36:37]
	v_lshl_add_u64 v[36:37], v[100:101], 3, v[64:65]
	flat_store_dwordx2 v[36:37], v[34:35]
	s_or_b64 exec, exec, s[2:3]
	s_and_b64 s[4:5], s[24:25], s[36:37]
	s_and_saveexec_b64 s[2:3], s[4:5]
	s_cbranch_execz .LBB134_229
.LBB134_306:
	s_and_b64 vcc, exec, s[0:1]
	s_cbranch_vccnz .LBB134_308
; %bb.307:
	v_lshl_add_u64 v[34:35], v[98:99], 3, v[130:131]
	flat_load_dwordx2 v[34:35], v[34:35]
	s_waitcnt vmcnt(0) lgkmcnt(0)
	v_mul_f64 v[34:35], s[70:71], v[34:35]
	s_branch .LBB134_309
.LBB134_308:
	v_mov_b64_e32 v[34:35], 0
.LBB134_309:
	v_add_f64 v[32:33], v[32:33], v[34:35]
	v_lshl_add_u64 v[34:35], v[98:99], 3, v[64:65]
	flat_store_dwordx2 v[34:35], v[32:33]
	s_or_b64 exec, exec, s[2:3]
	s_and_b64 s[4:5], s[24:25], s[38:39]
	s_and_saveexec_b64 s[2:3], s[4:5]
	s_cbranch_execz .LBB134_230
.LBB134_310:
	s_and_b64 vcc, exec, s[0:1]
	s_cbranch_vccnz .LBB134_312
; %bb.311:
	v_lshl_add_u64 v[32:33], v[96:97], 3, v[130:131]
	flat_load_dwordx2 v[32:33], v[32:33]
	s_waitcnt vmcnt(0) lgkmcnt(0)
	v_mul_f64 v[32:33], s[70:71], v[32:33]
	s_branch .LBB134_313
.LBB134_312:
	v_mov_b64_e32 v[32:33], 0
.LBB134_313:
	v_add_f64 v[30:31], v[30:31], v[32:33]
	v_lshl_add_u64 v[32:33], v[96:97], 3, v[64:65]
	flat_store_dwordx2 v[32:33], v[30:31]
	s_or_b64 exec, exec, s[2:3]
	s_and_b64 s[4:5], s[24:25], s[40:41]
	s_and_saveexec_b64 s[2:3], s[4:5]
	s_cbranch_execz .LBB134_231
.LBB134_314:
	s_and_b64 vcc, exec, s[0:1]
	s_cbranch_vccnz .LBB134_316
; %bb.315:
	v_lshl_add_u64 v[30:31], v[94:95], 3, v[130:131]
	flat_load_dwordx2 v[30:31], v[30:31]
	s_waitcnt vmcnt(0) lgkmcnt(0)
	v_mul_f64 v[30:31], s[70:71], v[30:31]
	s_branch .LBB134_317
.LBB134_316:
	v_mov_b64_e32 v[30:31], 0
.LBB134_317:
	v_add_f64 v[28:29], v[28:29], v[30:31]
	v_lshl_add_u64 v[30:31], v[94:95], 3, v[64:65]
	flat_store_dwordx2 v[30:31], v[28:29]
	s_or_b64 exec, exec, s[2:3]
	s_and_b64 s[4:5], s[24:25], s[42:43]
	s_and_saveexec_b64 s[2:3], s[4:5]
	s_cbranch_execz .LBB134_232
.LBB134_318:
	s_and_b64 vcc, exec, s[0:1]
	s_cbranch_vccnz .LBB134_320
; %bb.319:
	v_lshl_add_u64 v[28:29], v[92:93], 3, v[130:131]
	flat_load_dwordx2 v[28:29], v[28:29]
	s_waitcnt vmcnt(0) lgkmcnt(0)
	v_mul_f64 v[28:29], s[70:71], v[28:29]
	s_branch .LBB134_321
.LBB134_320:
	v_mov_b64_e32 v[28:29], 0
.LBB134_321:
	v_add_f64 v[26:27], v[26:27], v[28:29]
	v_lshl_add_u64 v[28:29], v[92:93], 3, v[64:65]
	flat_store_dwordx2 v[28:29], v[26:27]
	s_or_b64 exec, exec, s[2:3]
	s_and_b64 s[4:5], s[24:25], s[44:45]
	s_and_saveexec_b64 s[2:3], s[4:5]
	s_cbranch_execz .LBB134_233
.LBB134_322:
	s_and_b64 vcc, exec, s[0:1]
	s_cbranch_vccnz .LBB134_324
; %bb.323:
	v_lshl_add_u64 v[26:27], v[90:91], 3, v[130:131]
	flat_load_dwordx2 v[26:27], v[26:27]
	s_waitcnt vmcnt(0) lgkmcnt(0)
	v_mul_f64 v[26:27], s[70:71], v[26:27]
	s_branch .LBB134_325
.LBB134_324:
	v_mov_b64_e32 v[26:27], 0
.LBB134_325:
	v_add_f64 v[24:25], v[24:25], v[26:27]
	v_lshl_add_u64 v[26:27], v[90:91], 3, v[64:65]
	flat_store_dwordx2 v[26:27], v[24:25]
	s_or_b64 exec, exec, s[2:3]
	s_and_b64 s[4:5], s[24:25], s[46:47]
	s_and_saveexec_b64 s[2:3], s[4:5]
	s_cbranch_execz .LBB134_234
.LBB134_326:
	s_and_b64 vcc, exec, s[0:1]
	s_cbranch_vccnz .LBB134_328
; %bb.327:
	v_lshl_add_u64 v[24:25], v[88:89], 3, v[130:131]
	flat_load_dwordx2 v[24:25], v[24:25]
	s_waitcnt vmcnt(0) lgkmcnt(0)
	v_mul_f64 v[24:25], s[70:71], v[24:25]
	s_branch .LBB134_329
.LBB134_328:
	v_mov_b64_e32 v[24:25], 0
.LBB134_329:
	v_add_f64 v[22:23], v[22:23], v[24:25]
	v_lshl_add_u64 v[24:25], v[88:89], 3, v[64:65]
	flat_store_dwordx2 v[24:25], v[22:23]
	s_or_b64 exec, exec, s[2:3]
	s_and_b64 s[4:5], s[24:25], s[48:49]
	s_and_saveexec_b64 s[2:3], s[4:5]
	s_cbranch_execz .LBB134_235
.LBB134_330:
	s_and_b64 vcc, exec, s[0:1]
	s_cbranch_vccnz .LBB134_332
; %bb.331:
	v_lshl_add_u64 v[22:23], v[86:87], 3, v[130:131]
	flat_load_dwordx2 v[22:23], v[22:23]
	s_waitcnt vmcnt(0) lgkmcnt(0)
	v_mul_f64 v[22:23], s[70:71], v[22:23]
	s_branch .LBB134_333
.LBB134_332:
	v_mov_b64_e32 v[22:23], 0
.LBB134_333:
	v_add_f64 v[20:21], v[20:21], v[22:23]
	v_lshl_add_u64 v[22:23], v[86:87], 3, v[64:65]
	flat_store_dwordx2 v[22:23], v[20:21]
	s_or_b64 exec, exec, s[2:3]
	s_and_b64 s[4:5], s[24:25], s[50:51]
	s_and_saveexec_b64 s[2:3], s[4:5]
	s_cbranch_execz .LBB134_236
.LBB134_334:
	s_and_b64 vcc, exec, s[0:1]
	s_cbranch_vccnz .LBB134_336
; %bb.335:
	v_lshl_add_u64 v[20:21], v[84:85], 3, v[130:131]
	flat_load_dwordx2 v[20:21], v[20:21]
	s_waitcnt vmcnt(0) lgkmcnt(0)
	v_mul_f64 v[20:21], s[70:71], v[20:21]
	s_branch .LBB134_337
.LBB134_336:
	v_mov_b64_e32 v[20:21], 0
.LBB134_337:
	v_add_f64 v[18:19], v[18:19], v[20:21]
	v_lshl_add_u64 v[20:21], v[84:85], 3, v[64:65]
	flat_store_dwordx2 v[20:21], v[18:19]
	s_or_b64 exec, exec, s[2:3]
	s_and_b64 s[4:5], s[24:25], s[52:53]
	s_and_saveexec_b64 s[2:3], s[4:5]
	s_cbranch_execz .LBB134_237
.LBB134_338:
	s_and_b64 vcc, exec, s[0:1]
	s_cbranch_vccnz .LBB134_340
; %bb.339:
	v_lshl_add_u64 v[18:19], v[82:83], 3, v[130:131]
	flat_load_dwordx2 v[18:19], v[18:19]
	s_waitcnt vmcnt(0) lgkmcnt(0)
	v_mul_f64 v[18:19], s[70:71], v[18:19]
	s_branch .LBB134_341
.LBB134_340:
	v_mov_b64_e32 v[18:19], 0
.LBB134_341:
	v_add_f64 v[16:17], v[16:17], v[18:19]
	v_lshl_add_u64 v[18:19], v[82:83], 3, v[64:65]
	flat_store_dwordx2 v[18:19], v[16:17]
	s_or_b64 exec, exec, s[2:3]
	s_and_b64 s[4:5], s[24:25], s[54:55]
	s_and_saveexec_b64 s[2:3], s[4:5]
	s_cbranch_execz .LBB134_238
.LBB134_342:
	s_and_b64 vcc, exec, s[0:1]
	s_cbranch_vccnz .LBB134_344
; %bb.343:
	v_lshl_add_u64 v[16:17], v[80:81], 3, v[130:131]
	flat_load_dwordx2 v[16:17], v[16:17]
	s_waitcnt vmcnt(0) lgkmcnt(0)
	v_mul_f64 v[16:17], s[70:71], v[16:17]
	s_branch .LBB134_345
.LBB134_344:
	v_mov_b64_e32 v[16:17], 0
.LBB134_345:
	v_add_f64 v[14:15], v[14:15], v[16:17]
	v_lshl_add_u64 v[16:17], v[80:81], 3, v[64:65]
	flat_store_dwordx2 v[16:17], v[14:15]
	s_or_b64 exec, exec, s[2:3]
	s_and_b64 s[4:5], s[24:25], s[56:57]
	s_and_saveexec_b64 s[2:3], s[4:5]
	s_cbranch_execz .LBB134_239
.LBB134_346:
	s_and_b64 vcc, exec, s[0:1]
	s_cbranch_vccnz .LBB134_348
; %bb.347:
	v_lshl_add_u64 v[14:15], v[78:79], 3, v[130:131]
	flat_load_dwordx2 v[14:15], v[14:15]
	s_waitcnt vmcnt(0) lgkmcnt(0)
	v_mul_f64 v[14:15], s[70:71], v[14:15]
	s_branch .LBB134_349
.LBB134_348:
	v_mov_b64_e32 v[14:15], 0
.LBB134_349:
	v_add_f64 v[12:13], v[12:13], v[14:15]
	v_lshl_add_u64 v[14:15], v[78:79], 3, v[64:65]
	flat_store_dwordx2 v[14:15], v[12:13]
	s_or_b64 exec, exec, s[2:3]
	s_and_b64 s[4:5], s[24:25], s[58:59]
	s_and_saveexec_b64 s[2:3], s[4:5]
	s_cbranch_execz .LBB134_240
.LBB134_350:
	s_and_b64 vcc, exec, s[0:1]
	s_cbranch_vccnz .LBB134_352
; %bb.351:
	v_lshl_add_u64 v[12:13], v[76:77], 3, v[130:131]
	flat_load_dwordx2 v[12:13], v[12:13]
	s_waitcnt vmcnt(0) lgkmcnt(0)
	v_mul_f64 v[12:13], s[70:71], v[12:13]
	s_branch .LBB134_353
.LBB134_352:
	v_mov_b64_e32 v[12:13], 0
.LBB134_353:
	v_add_f64 v[10:11], v[10:11], v[12:13]
	v_lshl_add_u64 v[12:13], v[76:77], 3, v[64:65]
	flat_store_dwordx2 v[12:13], v[10:11]
	s_or_b64 exec, exec, s[2:3]
	s_and_b64 s[4:5], s[24:25], s[60:61]
	s_and_saveexec_b64 s[2:3], s[4:5]
	s_cbranch_execz .LBB134_241
.LBB134_354:
	s_and_b64 vcc, exec, s[0:1]
	s_cbranch_vccnz .LBB134_356
; %bb.355:
	v_lshl_add_u64 v[10:11], v[74:75], 3, v[130:131]
	flat_load_dwordx2 v[10:11], v[10:11]
	s_waitcnt vmcnt(0) lgkmcnt(0)
	v_mul_f64 v[10:11], s[70:71], v[10:11]
	s_branch .LBB134_357
.LBB134_356:
	v_mov_b64_e32 v[10:11], 0
.LBB134_357:
	v_add_f64 v[8:9], v[8:9], v[10:11]
	v_lshl_add_u64 v[10:11], v[74:75], 3, v[64:65]
	flat_store_dwordx2 v[10:11], v[8:9]
	s_or_b64 exec, exec, s[2:3]
	s_and_b64 s[4:5], s[24:25], s[62:63]
	s_and_saveexec_b64 s[2:3], s[4:5]
	s_cbranch_execz .LBB134_242
.LBB134_358:
	s_and_b64 vcc, exec, s[0:1]
	s_cbranch_vccnz .LBB134_360
; %bb.359:
	v_lshl_add_u64 v[8:9], v[72:73], 3, v[130:131]
	flat_load_dwordx2 v[8:9], v[8:9]
	s_waitcnt vmcnt(0) lgkmcnt(0)
	v_mul_f64 v[8:9], s[70:71], v[8:9]
	s_branch .LBB134_361
.LBB134_360:
	v_mov_b64_e32 v[8:9], 0
.LBB134_361:
	v_add_f64 v[6:7], v[6:7], v[8:9]
	v_lshl_add_u64 v[8:9], v[72:73], 3, v[64:65]
	flat_store_dwordx2 v[8:9], v[6:7]
	s_or_b64 exec, exec, s[2:3]
	s_and_b64 s[4:5], s[24:25], s[64:65]
	s_and_saveexec_b64 s[2:3], s[4:5]
	s_cbranch_execz .LBB134_243
.LBB134_362:
	s_and_b64 vcc, exec, s[0:1]
	s_cbranch_vccnz .LBB134_364
; %bb.363:
	v_lshl_add_u64 v[6:7], v[70:71], 3, v[130:131]
	flat_load_dwordx2 v[6:7], v[6:7]
	s_waitcnt vmcnt(0) lgkmcnt(0)
	v_mul_f64 v[6:7], s[70:71], v[6:7]
	s_branch .LBB134_365
.LBB134_364:
	v_mov_b64_e32 v[6:7], 0
.LBB134_365:
	v_add_f64 v[4:5], v[4:5], v[6:7]
	v_lshl_add_u64 v[6:7], v[70:71], 3, v[64:65]
	flat_store_dwordx2 v[6:7], v[4:5]
	s_or_b64 exec, exec, s[2:3]
	s_and_b64 s[4:5], s[24:25], s[66:67]
	s_and_saveexec_b64 s[2:3], s[4:5]
	s_cbranch_execz .LBB134_244
.LBB134_366:
	s_and_b64 vcc, exec, s[0:1]
	s_cbranch_vccnz .LBB134_368
; %bb.367:
	v_lshl_add_u64 v[4:5], v[68:69], 3, v[130:131]
	flat_load_dwordx2 v[4:5], v[4:5]
	s_waitcnt vmcnt(0) lgkmcnt(0)
	v_mul_f64 v[4:5], s[70:71], v[4:5]
	s_branch .LBB134_369
.LBB134_368:
	v_mov_b64_e32 v[4:5], 0
.LBB134_369:
	v_add_f64 v[2:3], v[2:3], v[4:5]
	v_lshl_add_u64 v[4:5], v[68:69], 3, v[64:65]
	flat_store_dwordx2 v[4:5], v[2:3]
	s_or_b64 exec, exec, s[2:3]
	s_and_b64 s[2:3], s[24:25], s[68:69]
	s_and_saveexec_b64 s[4:5], s[2:3]
	s_cbranch_execz .LBB134_245
.LBB134_370:
	s_and_b64 vcc, exec, s[0:1]
	s_cbranch_vccnz .LBB134_372
; %bb.371:
	v_lshl_add_u64 v[2:3], v[66:67], 3, v[130:131]
	flat_load_dwordx2 v[2:3], v[2:3]
	s_waitcnt vmcnt(0) lgkmcnt(0)
	v_mul_f64 v[2:3], s[70:71], v[2:3]
	v_add_f64 v[0:1], v[0:1], v[2:3]
	v_lshl_add_u64 v[2:3], v[66:67], 3, v[64:65]
	flat_store_dwordx2 v[2:3], v[0:1]
	s_endpgm
.LBB134_372:
	v_mov_b64_e32 v[2:3], 0
	v_add_f64 v[0:1], v[0:1], v[2:3]
	v_lshl_add_u64 v[2:3], v[66:67], 3, v[64:65]
	flat_store_dwordx2 v[2:3], v[0:1]
	s_endpgm
	.section	.rodata,"a",@progbits
	.p2align	6, 0x0
	.amdhsa_kernel _ZN12_GLOBAL__N_120geam_min_plus_kernelIdddLi4ELi64ELi128ELi128ELi4ELi64ELi4ELi4ELi64ELc78ELc78ELb0ELb1ELb0EdKPKdKPdEEviiiT16_PT17_ilS8_ilS6_S8_ilPT18_ili26rocblas_geam_ex_operation_
		.amdhsa_group_segment_fixed_size 16384
		.amdhsa_private_segment_fixed_size 0
		.amdhsa_kernarg_size 136
		.amdhsa_user_sgpr_count 2
		.amdhsa_user_sgpr_dispatch_ptr 0
		.amdhsa_user_sgpr_queue_ptr 0
		.amdhsa_user_sgpr_kernarg_segment_ptr 1
		.amdhsa_user_sgpr_dispatch_id 0
		.amdhsa_user_sgpr_kernarg_preload_length 0
		.amdhsa_user_sgpr_kernarg_preload_offset 0
		.amdhsa_user_sgpr_private_segment_size 0
		.amdhsa_uses_dynamic_stack 0
		.amdhsa_enable_private_segment 0
		.amdhsa_system_sgpr_workgroup_id_x 1
		.amdhsa_system_sgpr_workgroup_id_y 0
		.amdhsa_system_sgpr_workgroup_id_z 1
		.amdhsa_system_sgpr_workgroup_info 0
		.amdhsa_system_vgpr_workitem_id 1
		.amdhsa_next_free_vgpr 254
		.amdhsa_next_free_sgpr 82
		.amdhsa_accum_offset 256
		.amdhsa_reserve_vcc 1
		.amdhsa_float_round_mode_32 0
		.amdhsa_float_round_mode_16_64 0
		.amdhsa_float_denorm_mode_32 3
		.amdhsa_float_denorm_mode_16_64 3
		.amdhsa_dx10_clamp 1
		.amdhsa_ieee_mode 1
		.amdhsa_fp16_overflow 0
		.amdhsa_tg_split 0
		.amdhsa_exception_fp_ieee_invalid_op 0
		.amdhsa_exception_fp_denorm_src 0
		.amdhsa_exception_fp_ieee_div_zero 0
		.amdhsa_exception_fp_ieee_overflow 0
		.amdhsa_exception_fp_ieee_underflow 0
		.amdhsa_exception_fp_ieee_inexact 0
		.amdhsa_exception_int_div_zero 0
	.end_amdhsa_kernel
	.section	.text._ZN12_GLOBAL__N_120geam_min_plus_kernelIdddLi4ELi64ELi128ELi128ELi4ELi64ELi4ELi4ELi64ELc78ELc78ELb0ELb1ELb0EdKPKdKPdEEviiiT16_PT17_ilS8_ilS6_S8_ilPT18_ili26rocblas_geam_ex_operation_,"axG",@progbits,_ZN12_GLOBAL__N_120geam_min_plus_kernelIdddLi4ELi64ELi128ELi128ELi4ELi64ELi4ELi4ELi64ELc78ELc78ELb0ELb1ELb0EdKPKdKPdEEviiiT16_PT17_ilS8_ilS6_S8_ilPT18_ili26rocblas_geam_ex_operation_,comdat
.Lfunc_end134:
	.size	_ZN12_GLOBAL__N_120geam_min_plus_kernelIdddLi4ELi64ELi128ELi128ELi4ELi64ELi4ELi4ELi64ELc78ELc78ELb0ELb1ELb0EdKPKdKPdEEviiiT16_PT17_ilS8_ilS6_S8_ilPT18_ili26rocblas_geam_ex_operation_, .Lfunc_end134-_ZN12_GLOBAL__N_120geam_min_plus_kernelIdddLi4ELi64ELi128ELi128ELi4ELi64ELi4ELi4ELi64ELc78ELc78ELb0ELb1ELb0EdKPKdKPdEEviiiT16_PT17_ilS8_ilS6_S8_ilPT18_ili26rocblas_geam_ex_operation_
                                        ; -- End function
	.set _ZN12_GLOBAL__N_120geam_min_plus_kernelIdddLi4ELi64ELi128ELi128ELi4ELi64ELi4ELi4ELi64ELc78ELc78ELb0ELb1ELb0EdKPKdKPdEEviiiT16_PT17_ilS8_ilS6_S8_ilPT18_ili26rocblas_geam_ex_operation_.num_vgpr, 254
	.set _ZN12_GLOBAL__N_120geam_min_plus_kernelIdddLi4ELi64ELi128ELi128ELi4ELi64ELi4ELi4ELi64ELc78ELc78ELb0ELb1ELb0EdKPKdKPdEEviiiT16_PT17_ilS8_ilS6_S8_ilPT18_ili26rocblas_geam_ex_operation_.num_agpr, 0
	.set _ZN12_GLOBAL__N_120geam_min_plus_kernelIdddLi4ELi64ELi128ELi128ELi4ELi64ELi4ELi4ELi64ELc78ELc78ELb0ELb1ELb0EdKPKdKPdEEviiiT16_PT17_ilS8_ilS6_S8_ilPT18_ili26rocblas_geam_ex_operation_.numbered_sgpr, 82
	.set _ZN12_GLOBAL__N_120geam_min_plus_kernelIdddLi4ELi64ELi128ELi128ELi4ELi64ELi4ELi4ELi64ELc78ELc78ELb0ELb1ELb0EdKPKdKPdEEviiiT16_PT17_ilS8_ilS6_S8_ilPT18_ili26rocblas_geam_ex_operation_.num_named_barrier, 0
	.set _ZN12_GLOBAL__N_120geam_min_plus_kernelIdddLi4ELi64ELi128ELi128ELi4ELi64ELi4ELi4ELi64ELc78ELc78ELb0ELb1ELb0EdKPKdKPdEEviiiT16_PT17_ilS8_ilS6_S8_ilPT18_ili26rocblas_geam_ex_operation_.private_seg_size, 0
	.set _ZN12_GLOBAL__N_120geam_min_plus_kernelIdddLi4ELi64ELi128ELi128ELi4ELi64ELi4ELi4ELi64ELc78ELc78ELb0ELb1ELb0EdKPKdKPdEEviiiT16_PT17_ilS8_ilS6_S8_ilPT18_ili26rocblas_geam_ex_operation_.uses_vcc, 1
	.set _ZN12_GLOBAL__N_120geam_min_plus_kernelIdddLi4ELi64ELi128ELi128ELi4ELi64ELi4ELi4ELi64ELc78ELc78ELb0ELb1ELb0EdKPKdKPdEEviiiT16_PT17_ilS8_ilS6_S8_ilPT18_ili26rocblas_geam_ex_operation_.uses_flat_scratch, 0
	.set _ZN12_GLOBAL__N_120geam_min_plus_kernelIdddLi4ELi64ELi128ELi128ELi4ELi64ELi4ELi4ELi64ELc78ELc78ELb0ELb1ELb0EdKPKdKPdEEviiiT16_PT17_ilS8_ilS6_S8_ilPT18_ili26rocblas_geam_ex_operation_.has_dyn_sized_stack, 0
	.set _ZN12_GLOBAL__N_120geam_min_plus_kernelIdddLi4ELi64ELi128ELi128ELi4ELi64ELi4ELi4ELi64ELc78ELc78ELb0ELb1ELb0EdKPKdKPdEEviiiT16_PT17_ilS8_ilS6_S8_ilPT18_ili26rocblas_geam_ex_operation_.has_recursion, 0
	.set _ZN12_GLOBAL__N_120geam_min_plus_kernelIdddLi4ELi64ELi128ELi128ELi4ELi64ELi4ELi4ELi64ELc78ELc78ELb0ELb1ELb0EdKPKdKPdEEviiiT16_PT17_ilS8_ilS6_S8_ilPT18_ili26rocblas_geam_ex_operation_.has_indirect_call, 0
	.section	.AMDGPU.csdata,"",@progbits
; Kernel info:
; codeLenInByte = 14740
; TotalNumSgprs: 88
; NumVgprs: 254
; NumAgprs: 0
; TotalNumVgprs: 254
; ScratchSize: 0
; MemoryBound: 0
; FloatMode: 240
; IeeeMode: 1
; LDSByteSize: 16384 bytes/workgroup (compile time only)
; SGPRBlocks: 10
; VGPRBlocks: 31
; NumSGPRsForWavesPerEU: 88
; NumVGPRsForWavesPerEU: 254
; AccumOffset: 256
; Occupancy: 2
; WaveLimiterHint : 1
; COMPUTE_PGM_RSRC2:SCRATCH_EN: 0
; COMPUTE_PGM_RSRC2:USER_SGPR: 2
; COMPUTE_PGM_RSRC2:TRAP_HANDLER: 0
; COMPUTE_PGM_RSRC2:TGID_X_EN: 1
; COMPUTE_PGM_RSRC2:TGID_Y_EN: 0
; COMPUTE_PGM_RSRC2:TGID_Z_EN: 1
; COMPUTE_PGM_RSRC2:TIDIG_COMP_CNT: 1
; COMPUTE_PGM_RSRC3_GFX90A:ACCUM_OFFSET: 63
; COMPUTE_PGM_RSRC3_GFX90A:TG_SPLIT: 0
	.section	.text._ZN12_GLOBAL__N_120geam_min_plus_kernelIdddLi4ELi64ELi128ELi128ELi4ELi4ELi64ELi4ELi64ELc84ELc78ELb0ELb0ELb0EPKdKS2_KPdEEviiiT16_PT17_ilS8_ilS6_S8_ilPT18_ili26rocblas_geam_ex_operation_,"axG",@progbits,_ZN12_GLOBAL__N_120geam_min_plus_kernelIdddLi4ELi64ELi128ELi128ELi4ELi4ELi64ELi4ELi64ELc84ELc78ELb0ELb0ELb0EPKdKS2_KPdEEviiiT16_PT17_ilS8_ilS6_S8_ilPT18_ili26rocblas_geam_ex_operation_,comdat
	.globl	_ZN12_GLOBAL__N_120geam_min_plus_kernelIdddLi4ELi64ELi128ELi128ELi4ELi4ELi64ELi4ELi64ELc84ELc78ELb0ELb0ELb0EPKdKS2_KPdEEviiiT16_PT17_ilS8_ilS6_S8_ilPT18_ili26rocblas_geam_ex_operation_ ; -- Begin function _ZN12_GLOBAL__N_120geam_min_plus_kernelIdddLi4ELi64ELi128ELi128ELi4ELi4ELi64ELi4ELi64ELc84ELc78ELb0ELb0ELb0EPKdKS2_KPdEEviiiT16_PT17_ilS8_ilS6_S8_ilPT18_ili26rocblas_geam_ex_operation_
	.p2align	8
	.type	_ZN12_GLOBAL__N_120geam_min_plus_kernelIdddLi4ELi64ELi128ELi128ELi4ELi4ELi64ELi4ELi64ELc84ELc78ELb0ELb0ELb0EPKdKS2_KPdEEviiiT16_PT17_ilS8_ilS6_S8_ilPT18_ili26rocblas_geam_ex_operation_,@function
_ZN12_GLOBAL__N_120geam_min_plus_kernelIdddLi4ELi64ELi128ELi128ELi4ELi4ELi64ELi4ELi64ELc84ELc78ELb0ELb0ELb0EPKdKS2_KPdEEviiiT16_PT17_ilS8_ilS6_S8_ilPT18_ili26rocblas_geam_ex_operation_: ; @_ZN12_GLOBAL__N_120geam_min_plus_kernelIdddLi4ELi64ELi128ELi128ELi4ELi4ELi64ELi4ELi64ELc84ELc78ELb0ELb0ELb0EPKdKS2_KPdEEviiiT16_PT17_ilS8_ilS6_S8_ilPT18_ili26rocblas_geam_ex_operation_
; %bb.0:
	s_load_dwordx4 s[4:7], s[0:1], 0x10
	s_load_dwordx4 s[12:15], s[0:1], 0x28
	;; [unrolled: 1-line block ×3, first 2 shown]
	s_mov_b32 s16, s3
	s_mov_b32 s17, 0
	s_lshl_b64 s[24:25], s[16:17], 3
	s_waitcnt lgkmcnt(0)
	s_add_u32 s4, s4, s24
	s_addc_u32 s5, s5, s25
	s_load_dwordx2 s[18:19], s[4:5], 0x0
	s_load_dwordx2 s[26:27], s[0:1], 0x50
	s_add_u32 s10, s10, s24
	s_addc_u32 s11, s11, s25
	s_mov_b64 s[20:21], 0
	s_waitcnt lgkmcnt(0)
	v_cmp_eq_f64_e64 s[4:5], s[18:19], 0
	s_and_b64 s[4:5], exec, s[4:5]
	v_cmp_neq_f64_e64 s[16:17], s[18:19], 0
	s_mov_b64 s[22:23], 0
	s_mov_b64 vcc, s[4:5]
	s_cbranch_vccnz .LBB135_2
; %bb.1:
	s_add_u32 s6, s6, s24
	s_addc_u32 s7, s7, s25
	s_load_dwordx2 s[6:7], s[6:7], 0x0
	s_lshl_b64 s[12:13], s[12:13], 3
	s_waitcnt lgkmcnt(0)
	s_add_u32 s22, s6, s12
	s_addc_u32 s23, s7, s13
.LBB135_2:
	s_load_dwordx2 s[10:11], s[10:11], 0x0
	v_cndmask_b32_e64 v1, 0, 1, s[16:17]
	v_cmp_ne_u32_e64 s[6:7], 1, v1
	s_andn2_b64 vcc, exec, s[16:17]
	s_cbranch_vccnz .LBB135_4
; %bb.3:
	s_add_u32 s12, s14, s24
	s_addc_u32 s13, s15, s25
	s_load_dwordx2 s[12:13], s[12:13], 0x0
	s_lshl_b64 s[8:9], s[8:9], 3
	s_waitcnt lgkmcnt(0)
	s_add_u32 s20, s12, s8
	s_addc_u32 s21, s13, s9
.LBB135_4:
	s_load_dwordx4 s[12:15], s[0:1], 0x60
	s_waitcnt lgkmcnt(0)
	v_cmp_eq_f64_e64 s[8:9], s[10:11], 0
	s_and_b64 s[8:9], exec, s[8:9]
	s_mov_b64 s[16:17], 0
	s_mov_b64 vcc, s[8:9]
	s_cbranch_vccnz .LBB135_6
; %bb.5:
	s_add_u32 s16, s26, s24
	s_addc_u32 s17, s27, s25
	s_load_dwordx2 s[16:17], s[16:17], 0x0
	s_lshl_b64 s[12:13], s[12:13], 3
	s_waitcnt lgkmcnt(0)
	s_add_u32 s16, s16, s12
	s_addc_u32 s17, s17, s13
.LBB135_6:
	s_load_dword s3, s[0:1], 0x0
	s_load_dword s26, s[0:1], 0x20
	s_add_u32 s12, s14, s24
	s_addc_u32 s13, s15, s25
	v_bfe_u32 v152, v0, 10, 10
	s_waitcnt lgkmcnt(0)
	s_add_i32 s3, s3, -1
	s_ashr_i32 s14, s3, 31
	s_lshr_b32 s14, s14, 25
	s_add_i32 s3, s3, s14
	s_ashr_i32 s3, s3, 7
	s_add_i32 s14, s3, 1
	v_cvt_f32_u32_e32 v1, s14
	s_not_b32 s3, s3
	v_and_b32_e32 v154, 3, v0
	v_bfe_u32 v2, v0, 2, 8
	v_rcp_iflag_f32_e32 v1, v1
	v_mov_b32_e32 v3, 0
	v_add_u32_e32 v139, v2, v152
	v_lshlrev_b32_e32 v2, 3, v154
	v_mul_f32_e32 v1, 0x4f7ffffe, v1
	v_cvt_u32_f32_e32 v1, v1
	v_lshl_add_u64 v[6:7], s[22:23], 0, v[2:3]
	v_readfirstlane_b32 s15, v1
	s_mul_i32 s3, s3, s15
	s_mul_hi_u32 s3, s15, s3
	s_add_i32 s15, s15, s3
	s_mul_hi_u32 s3, s2, s15
	s_mul_i32 s15, s3, s14
	s_sub_i32 s15, s2, s15
	s_add_i32 s24, s3, 1
	s_sub_i32 s25, s15, s14
	s_cmp_ge_u32 s15, s14
	s_cselect_b32 s3, s24, s3
	s_cselect_b32 s15, s25, s15
	s_add_i32 s24, s3, 1
	s_cmp_ge_u32 s15, s14
	s_cselect_b32 s3, s24, s3
	s_mul_i32 s14, s3, s14
	s_sub_i32 s2, s2, s14
	s_lshl_b32 s24, s2, 7
	s_and_b64 vcc, exec, s[6:7]
	v_add_u32_e32 v138, s24, v139
	s_cbranch_vccnz .LBB135_9
; %bb.7:
	v_mad_i64_i32 v[4:5], s[14:15], v138, s26, 0
	v_lshl_add_u64 v[4:5], v[4:5], 3, v[6:7]
	flat_load_dwordx2 v[4:5], v[4:5]
	s_waitcnt vmcnt(0) lgkmcnt(0)
	v_mul_f64 v[4:5], s[18:19], v[4:5]
	s_load_dword s27, s[0:1], 0x38
	s_lshl_b32 s25, s3, 7
	s_mov_b64 vcc, s[4:5]
	s_cbranch_vccz .LBB135_10
.LBB135_8:
	s_mov_b32 s2, 0
	v_mov_b32_e32 v8, s2
	v_mov_b32_e32 v9, s2
	s_mov_b64 s[2:3], 0
	s_branch .LBB135_11
.LBB135_9:
	v_mov_b64_e32 v[4:5], 0
	s_load_dword s27, s[0:1], 0x38
	s_lshl_b32 s25, s3, 7
	s_mov_b64 vcc, s[4:5]
	s_cbranch_vccnz .LBB135_8
.LBB135_10:
	s_mov_b64 s[2:3], -1
                                        ; implicit-def: $vgpr8_vgpr9
.LBB135_11:
	v_add_u32_e32 v141, s25, v139
	v_mov_b64_e32 v[132:133], 0
	s_andn2_b64 vcc, exec, s[2:3]
	v_add_u32_e32 v142, 64, v138
	v_add_u32_e32 v140, 64, v141
	v_mov_b64_e32 v[10:11], 0
	v_mov_b64_e32 v[12:13], 0
	s_cbranch_vccnz .LBB135_13
; %bb.12:
	v_mov_b32_e32 v3, 0
	v_mad_i64_i32 v[8:9], s[2:3], v142, s26, 0
	v_lshl_add_u64 v[10:11], s[20:21], 0, v[2:3]
	s_waitcnt lgkmcnt(0)
	v_mad_i64_i32 v[12:13], s[2:3], v141, s27, 0
	v_lshl_add_u64 v[8:9], v[8:9], 3, v[6:7]
	v_lshl_add_u64 v[12:13], v[12:13], 3, v[10:11]
	v_mad_i64_i32 v[14:15], s[2:3], v140, s27, 0
	flat_load_dwordx2 v[8:9], v[8:9]
	v_lshl_add_u64 v[10:11], v[14:15], 3, v[10:11]
	flat_load_dwordx2 v[14:15], v[12:13]
	flat_load_dwordx2 v[16:17], v[10:11]
	s_waitcnt vmcnt(0) lgkmcnt(0)
	v_mul_f64 v[8:9], s[18:19], v[8:9]
	v_mul_f64 v[12:13], s[18:19], v[14:15]
	;; [unrolled: 1-line block ×3, first 2 shown]
.LBB135_13:
	s_and_b64 vcc, exec, s[6:7]
	s_cbranch_vccnz .LBB135_15
; %bb.14:
	v_mad_i64_i32 v[14:15], s[2:3], v138, s26, 0
	v_lshl_add_u64 v[14:15], v[14:15], 3, v[6:7]
	flat_load_dwordx2 v[14:15], v[14:15] offset:32
	s_waitcnt vmcnt(0) lgkmcnt(0)
	v_mul_f64 v[132:133], s[18:19], v[14:15]
.LBB135_15:
	s_mov_b64 vcc, s[4:5]
	s_cbranch_vccz .LBB135_17
; %bb.16:
	s_mov_b32 s2, 0
	v_mov_b32_e32 v134, s2
	v_mov_b32_e32 v135, s2
	s_mov_b64 s[14:15], 0
	s_branch .LBB135_18
.LBB135_17:
	s_mov_b64 s[14:15], -1
                                        ; implicit-def: $vgpr134_vgpr135
.LBB135_18:
	s_load_dwordx2 s[2:3], s[12:13], 0x0
	v_and_b32_e32 v153, 0x3ff, v0
	v_mov_b64_e32 v[124:125], 0
	s_andn2_b64 vcc, exec, s[14:15]
	v_mov_b64_e32 v[0:1], 0
	v_mov_b64_e32 v[136:137], 0
	s_cbranch_vccnz .LBB135_20
; %bb.19:
	v_mad_i64_i32 v[0:1], s[12:13], v142, s26, 0
	v_mov_b32_e32 v3, 0
	v_lshl_add_u64 v[0:1], v[0:1], 3, v[6:7]
	v_lshl_add_u64 v[6:7], s[20:21], 0, v[2:3]
	s_waitcnt lgkmcnt(0)
	v_mad_i64_i32 v[14:15], s[12:13], v141, s27, 0
	v_lshl_add_u64 v[14:15], v[14:15], 3, v[6:7]
	v_mad_i64_i32 v[16:17], s[12:13], v140, s27, 0
	flat_load_dwordx2 v[0:1], v[0:1] offset:32
	v_lshl_add_u64 v[6:7], v[16:17], 3, v[6:7]
	flat_load_dwordx2 v[16:17], v[14:15] offset:32
	flat_load_dwordx2 v[18:19], v[6:7] offset:32
	s_waitcnt vmcnt(0) lgkmcnt(0)
	v_mul_f64 v[134:135], s[18:19], v[0:1]
	v_mul_f64 v[136:137], s[18:19], v[16:17]
	;; [unrolled: 1-line block ×3, first 2 shown]
.LBB135_20:
	v_lshlrev_b32_e32 v3, 5, v139
	v_lshl_or_b32 v156, v154, 3, v3
	v_lshlrev_b32_e32 v3, 5, v152
	ds_write2st64_b64 v156, v[4:5], v[8:9] offset1:4
	v_add_u32_e32 v157, 0x2000, v156
	ds_write2st64_b64 v156, v[12:13], v[10:11] offset0:16 offset1:20
	v_lshlrev_b32_e32 v158, 5, v153
	v_add_u32_e32 v159, 0x2000, v3
	s_mov_b32 s12, 0
	v_mov_b64_e32 v[130:131], 0
	v_mov_b64_e32 v[128:129], 0
	;; [unrolled: 1-line block ×63, first 2 shown]
	s_waitcnt lgkmcnt(0)
	s_barrier
.LBB135_21:                             ; =>This Inner Loop Header: Depth=1
	v_add_u32_e32 v143, s12, v158
	v_add_u32_e32 v155, s12, v159
	ds_read2_b64 v[144:147], v143 offset1:16
	ds_read2_b64 v[148:151], v143 offset0:32 offset1:48
	ds_read2_b64 v[160:163], v143 offset0:64 offset1:80
	;; [unrolled: 1-line block ×7, first 2 shown]
	ds_read2st64_b64 v[184:187], v155 offset1:4
	v_add_u32_e32 v143, 0x800, v143
	ds_read2_b64 v[188:191], v143 offset1:16
	ds_read2_b64 v[192:195], v143 offset0:32 offset1:48
	ds_read2_b64 v[196:199], v143 offset0:64 offset1:80
	;; [unrolled: 1-line block ×7, first 2 shown]
	s_waitcnt lgkmcnt(14)
	v_max_f64 v[144:145], v[144:145], v[144:145]
	v_max_f64 v[146:147], v[146:147], v[146:147]
	v_max_f64 v[148:149], v[148:149], v[148:149]
	v_max_f64 v[150:151], v[150:151], v[150:151]
	v_max_f64 v[160:161], v[160:161], v[160:161]
	v_max_f64 v[162:163], v[162:163], v[162:163]
	s_waitcnt lgkmcnt(13)
	v_max_f64 v[164:165], v[164:165], v[164:165]
	v_max_f64 v[166:167], v[166:167], v[166:167]
	s_waitcnt lgkmcnt(12)
	v_max_f64 v[168:169], v[168:169], v[168:169]
	v_max_f64 v[170:171], v[170:171], v[170:171]
	;; [unrolled: 3-line block ×14, first 2 shown]
	v_min_f64 v[220:221], v[144:145], v[184:185]
	v_min_f64 v[222:223], v[146:147], v[184:185]
	;; [unrolled: 1-line block ×32, first 2 shown]
	s_add_i32 s12, s12, 8
	v_add_f64 v[66:67], v[66:67], v[144:145]
	v_add_f64 v[64:65], v[64:65], v[146:147]
	;; [unrolled: 1-line block ×16, first 2 shown]
	v_min_f64 v[144:145], v[188:189], v[184:185]
	v_min_f64 v[146:147], v[190:191], v[184:185]
	;; [unrolled: 1-line block ×32, first 2 shown]
	s_cmp_eq_u32 s12, 32
	v_add_f64 v[124:125], v[124:125], v[220:221]
	v_add_f64 v[130:131], v[130:131], v[222:223]
	;; [unrolled: 1-line block ×48, first 2 shown]
	s_cbranch_scc0 .LBB135_21
; %bb.22:
	s_load_dword s14, s[0:1], 0x8
	v_lshl_or_b32 v2, v139, 5, v2
	ds_write2st64_b64 v2, v[132:133], v[134:135] offset0:8 offset1:12
	ds_write2st64_b64 v2, v[136:137], v[0:1] offset0:24 offset1:28
	s_waitcnt lgkmcnt(0)
	s_barrier
	s_cmp_gt_i32 s14, 8
	s_cbranch_scc1 .LBB135_24
; %bb.23:
	v_add_u32_e32 v155, 0x3000, v3
	s_cbranch_execz .LBB135_25
	s_branch .LBB135_43
.LBB135_24:
                                        ; implicit-def: $vgpr155
.LBB135_25:
	v_mov_b32_e32 v0, 0x1000
	v_add_u32_e32 v160, 0x1000, v2
	v_add_u32_e32 v161, 0x3000, v2
	s_add_i32 s14, s14, -8
	v_mad_i64_i32 v[132:133], s[12:13], v138, s26, 0
	v_mad_i64_i32 v[134:135], s[12:13], v142, s26, 0
	v_mad_i64_i32 v[136:137], s[12:13], v141, s27, 0
	v_mad_i64_i32 v[138:139], s[12:13], v140, s27, 0
	v_lshl_add_u32 v162, v153, 5, v0
	v_add_u32_e32 v155, 0x3000, v3
	s_mov_b32 s15, 8
	s_mov_b32 s26, 0
	v_mov_b32_e32 v141, 0
	s_mov_b32 s27, 0
.LBB135_26:                             ; =>This Loop Header: Depth=1
                                        ;     Child Loop BB135_32 Depth 2
                                        ;     Child Loop BB135_39 Depth 2
	v_or_b32_e32 v140, s15, v154
	v_lshl_add_u64 v[142:143], v[140:141], 3, s[22:23]
	s_and_b64 vcc, exec, s[6:7]
	v_lshl_add_u64 v[146:147], v[132:133], 3, v[142:143]
	s_cbranch_vccnz .LBB135_41
; %bb.27:                               ;   in Loop: Header=BB135_26 Depth=1
	flat_load_dwordx2 v[0:1], v[146:147]
	s_waitcnt vmcnt(0) lgkmcnt(0)
	v_mul_f64 v[148:149], s[18:19], v[0:1]
	s_mov_b64 s[12:13], -1
                                        ; implicit-def: $vgpr0_vgpr1_vgpr2_vgpr3
	s_mov_b64 vcc, s[4:5]
                                        ; implicit-def: $vgpr2_vgpr3
	s_cbranch_vccz .LBB135_29
.LBB135_28:                             ;   in Loop: Header=BB135_26 Depth=1
	v_mov_b32_e32 v2, s26
	v_mov_b32_e32 v3, s26
	;; [unrolled: 1-line block ×4, first 2 shown]
	s_mov_b64 s[12:13], 0
.LBB135_29:                             ;   in Loop: Header=BB135_26 Depth=1
	v_mov_b64_e32 v[150:151], 0
	s_andn2_b64 vcc, exec, s[12:13]
	v_lshl_add_u64 v[144:145], v[134:135], 3, v[142:143]
	v_lshl_add_u64 v[142:143], v[140:141], 3, s[20:21]
	s_cbranch_vccnz .LBB135_31
; %bb.30:                               ;   in Loop: Header=BB135_26 Depth=1
	v_lshl_add_u64 v[2:3], v[136:137], 3, v[142:143]
	v_lshl_add_u64 v[150:151], v[138:139], 3, v[142:143]
	flat_load_dwordx2 v[0:1], v[144:145]
	flat_load_dwordx2 v[164:165], v[2:3]
	s_nop 0
	flat_load_dwordx2 v[150:151], v[150:151]
	s_waitcnt vmcnt(0) lgkmcnt(0)
	v_mul_f64 v[2:3], s[18:19], v[0:1]
	v_mul_f64 v[0:1], s[18:19], v[164:165]
	;; [unrolled: 1-line block ×3, first 2 shown]
.LBB135_31:                             ;   in Loop: Header=BB135_26 Depth=1
	s_mov_b32 s12, 0
.LBB135_32:                             ;   Parent Loop BB135_26 Depth=1
                                        ; =>  This Inner Loop Header: Depth=2
	v_add_u32_e32 v140, s12, v162
	ds_read2_b64 v[164:167], v140 offset1:16
	ds_read2_b64 v[168:171], v140 offset0:32 offset1:48
	ds_read2_b64 v[172:175], v140 offset0:64 offset1:80
	;; [unrolled: 1-line block ×7, first 2 shown]
	v_add_u32_e32 v140, 0x800, v140
	ds_read2_b64 v[196:199], v140 offset1:16
	ds_read2_b64 v[200:203], v140 offset0:32 offset1:48
	ds_read2_b64 v[204:207], v140 offset0:64 offset1:80
	;; [unrolled: 1-line block ×7, first 2 shown]
	v_add_u32_e32 v140, s12, v155
	ds_read2st64_b64 v[228:231], v140 offset1:4
	s_waitcnt lgkmcnt(14)
	v_max_f64 v[164:165], v[164:165], v[164:165]
	v_max_f64 v[166:167], v[166:167], v[166:167]
	;; [unrolled: 1-line block ×4, first 2 shown]
	s_waitcnt lgkmcnt(0)
	v_max_f64 v[228:229], v[228:229], v[228:229]
	v_min_f64 v[232:233], v[164:165], v[228:229]
	v_add_f64 v[124:125], v[124:125], v[232:233]
	v_min_f64 v[232:233], v[166:167], v[228:229]
	v_add_f64 v[130:131], v[130:131], v[232:233]
	;; [unrolled: 2-line block ×3, first 2 shown]
	v_min_f64 v[232:233], v[170:171], v[228:229]
	v_max_f64 v[172:173], v[172:173], v[172:173]
	v_add_f64 v[126:127], v[126:127], v[232:233]
	v_min_f64 v[232:233], v[172:173], v[228:229]
	v_max_f64 v[174:175], v[174:175], v[174:175]
	v_add_f64 v[122:123], v[122:123], v[232:233]
	;; [unrolled: 3-line block ×26, first 2 shown]
	v_min_f64 v[232:233], v[222:223], v[228:229]
	v_max_f64 v[224:225], v[224:225], v[224:225]
	v_max_f64 v[226:227], v[226:227], v[226:227]
	v_add_f64 v[72:73], v[72:73], v[232:233]
	v_min_f64 v[232:233], v[224:225], v[228:229]
	v_min_f64 v[228:229], v[226:227], v[228:229]
	v_add_f64 v[68:69], v[68:69], v[228:229]
	v_max_f64 v[228:229], v[230:231], v[230:231]
	v_min_f64 v[164:165], v[164:165], v[228:229]
	v_add_f64 v[66:67], v[66:67], v[164:165]
	v_min_f64 v[164:165], v[166:167], v[228:229]
	v_add_f64 v[64:65], v[64:65], v[164:165]
	;; [unrolled: 2-line block ×31, first 2 shown]
	v_min_f64 v[164:165], v[226:227], v[228:229]
	s_add_i32 s12, s12, 8
	v_add_f64 v[70:71], v[70:71], v[232:233]
	v_add_f64 v[4:5], v[4:5], v[164:165]
	s_cmp_eq_u32 s12, 32
	s_cbranch_scc0 .LBB135_32
; %bb.33:                               ;   in Loop: Header=BB135_26 Depth=1
	s_and_b64 vcc, exec, s[6:7]
	ds_write2st64_b64 v156, v[148:149], v[2:3] offset1:4
	ds_write2st64_b64 v157, v[0:1], v[150:151] offset1:4
	s_waitcnt lgkmcnt(0)
	s_barrier
	s_cbranch_vccnz .LBB135_42
; %bb.34:                               ;   in Loop: Header=BB135_26 Depth=1
	flat_load_dwordx2 v[0:1], v[146:147] offset:32
	s_waitcnt vmcnt(0) lgkmcnt(0)
	v_mul_f64 v[146:147], s[18:19], v[0:1]
	s_mov_b64 s[12:13], -1
                                        ; implicit-def: $vgpr0_vgpr1_vgpr2_vgpr3
	s_mov_b64 vcc, s[4:5]
                                        ; implicit-def: $vgpr2_vgpr3
	s_cbranch_vccz .LBB135_36
.LBB135_35:                             ;   in Loop: Header=BB135_26 Depth=1
	v_mov_b32_e32 v2, s26
	v_mov_b32_e32 v3, s26
	;; [unrolled: 1-line block ×4, first 2 shown]
	s_mov_b64 s[12:13], 0
.LBB135_36:                             ;   in Loop: Header=BB135_26 Depth=1
	s_andn2_b64 vcc, exec, s[12:13]
	v_mov_b64_e32 v[148:149], 0
	s_cbranch_vccnz .LBB135_38
; %bb.37:                               ;   in Loop: Header=BB135_26 Depth=1
	v_lshl_add_u64 v[2:3], v[136:137], 3, v[142:143]
	v_lshl_add_u64 v[142:143], v[138:139], 3, v[142:143]
	flat_load_dwordx2 v[0:1], v[144:145] offset:32
	s_nop 0
	flat_load_dwordx2 v[144:145], v[2:3] offset:32
	s_nop 0
	flat_load_dwordx2 v[142:143], v[142:143] offset:32
	s_waitcnt vmcnt(0) lgkmcnt(0)
	v_mul_f64 v[2:3], s[18:19], v[0:1]
	v_mul_f64 v[0:1], s[18:19], v[144:145]
	;; [unrolled: 1-line block ×3, first 2 shown]
.LBB135_38:                             ;   in Loop: Header=BB135_26 Depth=1
	s_mov_b32 s12, 0
.LBB135_39:                             ;   Parent Loop BB135_26 Depth=1
                                        ; =>  This Inner Loop Header: Depth=2
	v_add_u32_e32 v140, s12, v158
	ds_read2_b64 v[142:145], v140 offset1:16
	ds_read2_b64 v[164:167], v140 offset0:32 offset1:48
	ds_read2_b64 v[168:171], v140 offset0:64 offset1:80
	ds_read2_b64 v[172:175], v140 offset0:96 offset1:112
	ds_read2_b64 v[176:179], v140 offset0:128 offset1:144
	ds_read2_b64 v[180:183], v140 offset0:160 offset1:176
	ds_read2_b64 v[184:187], v140 offset0:192 offset1:208
	ds_read2_b64 v[188:191], v140 offset0:224 offset1:240
	v_add_u32_e32 v140, 0x800, v140
	ds_read2_b64 v[192:195], v140 offset1:16
	ds_read2_b64 v[196:199], v140 offset0:32 offset1:48
	ds_read2_b64 v[200:203], v140 offset0:64 offset1:80
	;; [unrolled: 1-line block ×7, first 2 shown]
	v_add_u32_e32 v140, s12, v159
	ds_read2st64_b64 v[224:227], v140 offset1:4
	s_waitcnt lgkmcnt(14)
	v_max_f64 v[142:143], v[142:143], v[142:143]
	v_max_f64 v[144:145], v[144:145], v[144:145]
	;; [unrolled: 1-line block ×4, first 2 shown]
	s_waitcnt lgkmcnt(0)
	v_max_f64 v[150:151], v[224:225], v[224:225]
	v_min_f64 v[224:225], v[142:143], v[150:151]
	v_add_f64 v[124:125], v[124:125], v[224:225]
	v_min_f64 v[224:225], v[144:145], v[150:151]
	v_add_f64 v[130:131], v[130:131], v[224:225]
	;; [unrolled: 2-line block ×3, first 2 shown]
	v_min_f64 v[224:225], v[166:167], v[150:151]
	v_max_f64 v[168:169], v[168:169], v[168:169]
	v_add_f64 v[126:127], v[126:127], v[224:225]
	v_min_f64 v[224:225], v[168:169], v[150:151]
	v_max_f64 v[170:171], v[170:171], v[170:171]
	v_add_f64 v[122:123], v[122:123], v[224:225]
	;; [unrolled: 3-line block ×26, first 2 shown]
	v_min_f64 v[224:225], v[218:219], v[150:151]
	v_max_f64 v[220:221], v[220:221], v[220:221]
	v_max_f64 v[222:223], v[222:223], v[222:223]
	v_add_f64 v[72:73], v[72:73], v[224:225]
	v_min_f64 v[224:225], v[220:221], v[150:151]
	v_min_f64 v[150:151], v[222:223], v[150:151]
	v_add_f64 v[68:69], v[68:69], v[150:151]
	v_max_f64 v[150:151], v[226:227], v[226:227]
	v_min_f64 v[142:143], v[142:143], v[150:151]
	v_add_f64 v[66:67], v[66:67], v[142:143]
	v_min_f64 v[142:143], v[144:145], v[150:151]
	v_add_f64 v[64:65], v[64:65], v[142:143]
	;; [unrolled: 2-line block ×31, first 2 shown]
	v_min_f64 v[142:143], v[222:223], v[150:151]
	s_add_i32 s12, s12, 8
	v_add_f64 v[70:71], v[70:71], v[224:225]
	v_add_f64 v[4:5], v[4:5], v[142:143]
	s_cmp_eq_u32 s12, 32
	s_cbranch_scc0 .LBB135_39
; %bb.40:                               ;   in Loop: Header=BB135_26 Depth=1
	s_add_i32 s15, s15, 8
	s_add_i32 s27, s27, 8
	s_cmp_ge_i32 s27, s14
	ds_write2st64_b64 v160, v[146:147], v[2:3] offset1:4
	ds_write2st64_b64 v161, v[0:1], v[148:149] offset1:4
	s_waitcnt lgkmcnt(0)
	s_barrier
	s_cbranch_scc0 .LBB135_26
	s_branch .LBB135_43
.LBB135_41:                             ;   in Loop: Header=BB135_26 Depth=1
	v_mov_b64_e32 v[148:149], 0
	s_mov_b64 s[12:13], -1
                                        ; implicit-def: $vgpr0_vgpr1_vgpr2_vgpr3
	s_mov_b64 vcc, s[4:5]
                                        ; implicit-def: $vgpr2_vgpr3
	s_cbranch_vccz .LBB135_29
	s_branch .LBB135_28
.LBB135_42:                             ;   in Loop: Header=BB135_26 Depth=1
	v_mov_b64_e32 v[146:147], 0
	s_mov_b64 s[12:13], -1
                                        ; implicit-def: $vgpr0_vgpr1_vgpr2_vgpr3
	s_mov_b64 vcc, s[4:5]
                                        ; implicit-def: $vgpr2_vgpr3
	s_cbranch_vccz .LBB135_36
	s_branch .LBB135_35
.LBB135_43:
	v_mov_b32_e32 v0, 0x1000
	v_lshl_add_u32 v0, v153, 5, v0
	s_mov_b32 s4, 0
.LBB135_44:                             ; =>This Inner Loop Header: Depth=1
	v_add_u32_e32 v1, s4, v0
	v_add_u32_e32 v2, s4, v155
	ds_read2_b64 v[132:135], v1 offset1:16
	ds_read2_b64 v[136:139], v1 offset0:32 offset1:48
	ds_read2_b64 v[140:143], v1 offset0:64 offset1:80
	;; [unrolled: 1-line block ×7, first 2 shown]
	v_add_u32_e32 v1, 0x800, v1
	ds_read2st64_b64 v[168:171], v2 offset1:4
	ds_read2_b64 v[172:175], v1 offset1:16
	ds_read2_b64 v[176:179], v1 offset0:32 offset1:48
	ds_read2_b64 v[180:183], v1 offset0:64 offset1:80
	;; [unrolled: 1-line block ×7, first 2 shown]
	s_waitcnt lgkmcnt(14)
	v_max_f64 v[132:133], v[132:133], v[132:133]
	v_max_f64 v[134:135], v[134:135], v[134:135]
	;; [unrolled: 1-line block ×3, first 2 shown]
	s_waitcnt lgkmcnt(8)
	v_max_f64 v[2:3], v[168:169], v[168:169]
	v_max_f64 v[138:139], v[138:139], v[138:139]
	v_max_f64 v[140:141], v[140:141], v[140:141]
	v_max_f64 v[142:143], v[142:143], v[142:143]
	v_max_f64 v[144:145], v[144:145], v[144:145]
	v_max_f64 v[146:147], v[146:147], v[146:147]
	v_max_f64 v[148:149], v[148:149], v[148:149]
	v_max_f64 v[150:151], v[150:151], v[150:151]
	v_max_f64 v[156:157], v[156:157], v[156:157]
	v_max_f64 v[158:159], v[158:159], v[158:159]
	v_max_f64 v[160:161], v[160:161], v[160:161]
	v_max_f64 v[162:163], v[162:163], v[162:163]
	v_max_f64 v[164:165], v[164:165], v[164:165]
	v_max_f64 v[166:167], v[166:167], v[166:167]
	v_max_f64 v[168:169], v[170:171], v[170:171]
	v_min_f64 v[170:171], v[132:133], v[2:3]
	v_min_f64 v[204:205], v[134:135], v[2:3]
	;; [unrolled: 1-line block ×16, first 2 shown]
	s_waitcnt lgkmcnt(7)
	v_max_f64 v[172:173], v[172:173], v[172:173]
	v_max_f64 v[174:175], v[174:175], v[174:175]
	s_waitcnt lgkmcnt(6)
	v_max_f64 v[176:177], v[176:177], v[176:177]
	v_max_f64 v[178:179], v[178:179], v[178:179]
	;; [unrolled: 3-line block ×8, first 2 shown]
	v_min_f64 v[132:133], v[132:133], v[168:169]
	v_min_f64 v[134:135], v[134:135], v[168:169]
	;; [unrolled: 1-line block ×16, first 2 shown]
	s_add_i32 s4, s4, 8
	v_add_f64 v[124:125], v[124:125], v[170:171]
	v_add_f64 v[130:131], v[130:131], v[204:205]
	;; [unrolled: 1-line block ×15, first 2 shown]
	v_min_f64 v[170:171], v[172:173], v[2:3]
	v_min_f64 v[204:205], v[174:175], v[2:3]
	;; [unrolled: 1-line block ×16, first 2 shown]
	v_add_f64 v[66:67], v[66:67], v[132:133]
	v_add_f64 v[64:65], v[64:65], v[134:135]
	;; [unrolled: 1-line block ×16, first 2 shown]
	v_min_f64 v[132:133], v[172:173], v[168:169]
	v_min_f64 v[134:135], v[174:175], v[168:169]
	;; [unrolled: 1-line block ×16, first 2 shown]
	s_cmp_eq_u32 s4, 32
	v_add_f64 v[100:101], v[100:101], v[232:233]
	v_add_f64 v[98:99], v[98:99], v[170:171]
	;; [unrolled: 1-line block ×33, first 2 shown]
	s_cbranch_scc0 .LBB135_44
; %bb.45:
	s_load_dwordx2 s[6:7], s[0:1], 0x78
	s_load_dword s4, s[0:1], 0x58
	s_load_dword s5, s[0:1], 0x70
	v_add_u32_e32 v170, s25, v152
	v_add_u32_e32 v132, s24, v153
	s_waitcnt lgkmcnt(0)
	s_lshl_b64 s[0:1], s[6:7], 3
	s_add_u32 s0, s2, s0
	s_addc_u32 s1, s3, s1
	v_mad_i64_i32 v[2:3], s[2:3], v170, s5, 0
	v_add_u32_e32 v0, 4, v132
	v_lshl_add_u64 v[138:139], v[2:3], 3, s[0:1]
	v_mad_i64_i32 v[2:3], s[2:3], v170, s4, 0
	v_ashrrev_i32_e32 v133, 31, v132
	v_ashrrev_i32_e32 v1, 31, v0
	s_mov_b64 s[2:3], -1
	s_mov_b64 vcc, s[8:9]
	s_cbranch_vccz .LBB135_47
; %bb.46:
	v_add_f64 v[134:135], v[124:125], 0
	v_lshl_add_u64 v[136:137], v[132:133], 3, v[138:139]
	s_mov_b64 s[2:3], 0
	flat_store_dwordx2 v[136:137], v[134:135]
.LBB135_47:
	v_lshl_add_u64 v[146:147], v[2:3], 3, s[16:17]
	v_mov_b64_e32 v[140:141], 0
	s_andn2_b64 vcc, exec, s[2:3]
	v_lshlrev_b64 v[136:137], 3, v[132:133]
	s_cbranch_vccnz .LBB135_49
; %bb.48:
	v_lshl_add_u64 v[2:3], v[146:147], 0, v[136:137]
	flat_load_dwordx2 v[2:3], v[2:3]
	v_lshl_add_u64 v[134:135], v[138:139], 0, v[136:137]
	s_waitcnt vmcnt(0) lgkmcnt(0)
	v_fmac_f64_e32 v[124:125], s[10:11], v[2:3]
	flat_store_dwordx2 v[134:135], v[124:125]
	v_lshl_add_u64 v[2:3], v[0:1], 3, v[146:147]
	flat_load_dwordx2 v[2:3], v[2:3]
	s_waitcnt vmcnt(0) lgkmcnt(0)
	v_mul_f64 v[140:141], s[10:11], v[2:3]
.LBB135_49:
	v_add_u32_e32 v134, 8, v132
	v_add_u32_e32 v2, 12, v132
	v_ashrrev_i32_e32 v135, 31, v134
	v_ashrrev_i32_e32 v3, 31, v2
	v_add_f64 v[124:125], v[130:131], v[140:141]
	v_lshl_add_u64 v[130:131], v[0:1], 3, v[138:139]
	s_mov_b64 s[2:3], -1
	s_mov_b64 vcc, s[8:9]
	flat_store_dwordx2 v[130:131], v[124:125]
	s_cbranch_vccz .LBB135_51
; %bb.50:
	v_add_f64 v[124:125], v[128:129], 0
	v_lshl_add_u64 v[130:131], v[134:135], 3, v[138:139]
	s_mov_b64 s[2:3], 0
	flat_store_dwordx2 v[130:131], v[124:125]
.LBB135_51:
	v_mov_b64_e32 v[140:141], 0
	s_andn2_b64 vcc, exec, s[2:3]
	v_lshlrev_b64 v[130:131], 3, v[134:135]
	s_cbranch_vccnz .LBB135_53
; %bb.52:
	v_lshl_add_u64 v[124:125], v[146:147], 0, v[130:131]
	flat_load_dwordx2 v[124:125], v[124:125]
	v_lshl_add_u64 v[140:141], v[138:139], 0, v[130:131]
	s_waitcnt vmcnt(0) lgkmcnt(0)
	v_fmac_f64_e32 v[128:129], s[10:11], v[124:125]
	flat_store_dwordx2 v[140:141], v[128:129]
	v_lshl_add_u64 v[124:125], v[2:3], 3, v[146:147]
	flat_load_dwordx2 v[124:125], v[124:125]
	s_waitcnt vmcnt(0) lgkmcnt(0)
	v_mul_f64 v[140:141], s[10:11], v[124:125]
.LBB135_53:
	v_add_u32_e32 v128, 16, v132
	v_add_u32_e32 v124, 20, v132
	v_ashrrev_i32_e32 v129, 31, v128
	v_ashrrev_i32_e32 v125, 31, v124
	v_add_f64 v[126:127], v[126:127], v[140:141]
	v_lshl_add_u64 v[140:141], v[2:3], 3, v[138:139]
	s_mov_b64 s[2:3], -1
	s_mov_b64 vcc, s[8:9]
	flat_store_dwordx2 v[140:141], v[126:127]
	s_cbranch_vccz .LBB135_55
; %bb.54:
	v_add_f64 v[126:127], v[122:123], 0
	v_lshl_add_u64 v[140:141], v[128:129], 3, v[138:139]
	s_mov_b64 s[2:3], 0
	flat_store_dwordx2 v[140:141], v[126:127]
.LBB135_55:
	;; [unrolled: 32-line block ×15, first 2 shown]
	v_mov_b64_e32 v[168:169], 0
	s_andn2_b64 vcc, exec, s[2:3]
	v_lshlrev_b64 v[72:73], 3, v[76:77]
	s_cbranch_vccnz .LBB135_109
; %bb.108:
	v_lshl_add_u64 v[168:169], v[146:147], 0, v[72:73]
	flat_load_dwordx2 v[168:169], v[168:169]
	v_lshl_add_u64 v[172:173], v[138:139], 0, v[72:73]
	s_waitcnt vmcnt(0) lgkmcnt(0)
	v_fmac_f64_e32 v[70:71], s[10:11], v[168:169]
	flat_store_dwordx2 v[172:173], v[70:71]
	v_lshl_add_u64 v[70:71], v[74:75], 3, v[146:147]
	flat_load_dwordx2 v[70:71], v[70:71]
	s_waitcnt vmcnt(0) lgkmcnt(0)
	v_mul_f64 v[168:169], s[10:11], v[70:71]
.LBB135_109:
	v_add_f64 v[68:69], v[68:69], v[168:169]
	v_lshl_add_u64 v[70:71], v[74:75], 3, v[138:139]
	flat_store_dwordx2 v[70:71], v[68:69]
	v_add_u32_e32 v70, 64, v170
	v_mad_i64_i32 v[68:69], s[2:3], v70, s5, 0
	v_lshl_add_u64 v[68:69], v[68:69], 3, s[0:1]
	v_mad_i64_i32 v[70:71], s[0:1], v70, s4, 0
	s_mov_b64 s[0:1], -1
	s_mov_b64 vcc, s[8:9]
	s_cbranch_vccz .LBB135_111
; %bb.110:
	v_add_f64 v[138:139], v[66:67], 0
	v_lshl_add_u64 v[132:133], v[132:133], 3, v[68:69]
	s_mov_b64 s[0:1], 0
	flat_store_dwordx2 v[132:133], v[138:139]
.LBB135_111:
	v_lshl_add_u64 v[70:71], v[70:71], 3, s[16:17]
	s_andn2_b64 vcc, exec, s[0:1]
	v_mov_b64_e32 v[132:133], 0
	s_cbranch_vccnz .LBB135_113
; %bb.112:
	v_lshl_add_u64 v[132:133], v[70:71], 0, v[136:137]
	flat_load_dwordx2 v[132:133], v[132:133]
	v_lshl_add_u64 v[136:137], v[68:69], 0, v[136:137]
	s_waitcnt vmcnt(0) lgkmcnt(0)
	v_fmac_f64_e32 v[66:67], s[10:11], v[132:133]
	flat_store_dwordx2 v[136:137], v[66:67]
	v_lshl_add_u64 v[66:67], v[0:1], 3, v[70:71]
	flat_load_dwordx2 v[66:67], v[66:67]
	s_waitcnt vmcnt(0) lgkmcnt(0)
	v_mul_f64 v[132:133], s[10:11], v[66:67]
.LBB135_113:
	v_add_f64 v[64:65], v[64:65], v[132:133]
	v_lshl_add_u64 v[0:1], v[0:1], 3, v[68:69]
	s_mov_b64 s[0:1], -1
	s_mov_b64 vcc, s[8:9]
	flat_store_dwordx2 v[0:1], v[64:65]
	s_cbranch_vccz .LBB135_115
; %bb.114:
	v_add_f64 v[0:1], v[62:63], 0
	v_lshl_add_u64 v[64:65], v[134:135], 3, v[68:69]
	s_mov_b64 s[0:1], 0
	flat_store_dwordx2 v[64:65], v[0:1]
.LBB135_115:
	s_andn2_b64 vcc, exec, s[0:1]
	v_mov_b64_e32 v[0:1], 0
	s_cbranch_vccnz .LBB135_117
; %bb.116:
	v_lshl_add_u64 v[0:1], v[70:71], 0, v[130:131]
	flat_load_dwordx2 v[0:1], v[0:1]
	v_lshl_add_u64 v[64:65], v[68:69], 0, v[130:131]
	s_waitcnt vmcnt(0) lgkmcnt(0)
	v_fmac_f64_e32 v[62:63], s[10:11], v[0:1]
	flat_store_dwordx2 v[64:65], v[62:63]
	v_lshl_add_u64 v[0:1], v[2:3], 3, v[70:71]
	flat_load_dwordx2 v[0:1], v[0:1]
	s_waitcnt vmcnt(0) lgkmcnt(0)
	v_mul_f64 v[0:1], s[10:11], v[0:1]
.LBB135_117:
	v_add_f64 v[0:1], v[60:61], v[0:1]
	v_lshl_add_u64 v[2:3], v[2:3], 3, v[68:69]
	s_mov_b64 s[0:1], -1
	s_mov_b64 vcc, s[8:9]
	flat_store_dwordx2 v[2:3], v[0:1]
	s_cbranch_vccz .LBB135_119
; %bb.118:
	v_add_f64 v[0:1], v[58:59], 0
	v_lshl_add_u64 v[2:3], v[128:129], 3, v[68:69]
	s_mov_b64 s[0:1], 0
	flat_store_dwordx2 v[2:3], v[0:1]
.LBB135_119:
	;; [unrolled: 27-line block ×14, first 2 shown]
	s_andn2_b64 vcc, exec, s[0:1]
	v_mov_b64_e32 v[0:1], 0
	s_cbranch_vccnz .LBB135_169
; %bb.168:
	v_lshl_add_u64 v[0:1], v[70:71], 0, v[166:167]
	flat_load_dwordx2 v[0:1], v[0:1]
	v_lshl_add_u64 v[2:3], v[68:69], 0, v[166:167]
	s_waitcnt vmcnt(0) lgkmcnt(0)
	v_fmac_f64_e32 v[10:11], s[10:11], v[0:1]
	flat_store_dwordx2 v[2:3], v[10:11]
	v_lshl_add_u64 v[0:1], v[78:79], 3, v[70:71]
	flat_load_dwordx2 v[0:1], v[0:1]
	s_waitcnt vmcnt(0) lgkmcnt(0)
	v_mul_f64 v[0:1], s[10:11], v[0:1]
.LBB135_169:
	v_add_f64 v[0:1], v[8:9], v[0:1]
	v_lshl_add_u64 v[2:3], v[78:79], 3, v[68:69]
	s_mov_b64 s[0:1], -1
	s_mov_b64 vcc, s[8:9]
	flat_store_dwordx2 v[2:3], v[0:1]
	s_cbranch_vccz .LBB135_172
; %bb.170:
	v_add_f64 v[0:1], v[6:7], 0
	v_lshl_add_u64 v[2:3], v[76:77], 3, v[68:69]
	flat_store_dwordx2 v[2:3], v[0:1]
	v_mov_b64_e32 v[0:1], 0
	s_cbranch_execz .LBB135_173
.LBB135_171:
	v_add_f64 v[0:1], v[4:5], v[0:1]
	v_lshl_add_u64 v[2:3], v[74:75], 3, v[68:69]
	flat_store_dwordx2 v[2:3], v[0:1]
	s_endpgm
.LBB135_172:
	s_andn2_b64 vcc, exec, s[0:1]
	v_mov_b64_e32 v[0:1], 0
	s_cbranch_vccnz .LBB135_171
.LBB135_173:
	v_lshl_add_u64 v[0:1], v[70:71], 0, v[72:73]
	flat_load_dwordx2 v[0:1], v[0:1]
	v_lshl_add_u64 v[2:3], v[68:69], 0, v[72:73]
	s_waitcnt vmcnt(0) lgkmcnt(0)
	v_fmac_f64_e32 v[6:7], s[10:11], v[0:1]
	flat_store_dwordx2 v[2:3], v[6:7]
	v_lshl_add_u64 v[0:1], v[74:75], 3, v[70:71]
	flat_load_dwordx2 v[0:1], v[0:1]
	s_waitcnt vmcnt(0) lgkmcnt(0)
	v_mul_f64 v[0:1], s[10:11], v[0:1]
	v_add_f64 v[0:1], v[4:5], v[0:1]
	v_lshl_add_u64 v[2:3], v[74:75], 3, v[68:69]
	flat_store_dwordx2 v[2:3], v[0:1]
	s_endpgm
	.section	.rodata,"a",@progbits
	.p2align	6, 0x0
	.amdhsa_kernel _ZN12_GLOBAL__N_120geam_min_plus_kernelIdddLi4ELi64ELi128ELi128ELi4ELi4ELi64ELi4ELi64ELc84ELc78ELb0ELb0ELb0EPKdKS2_KPdEEviiiT16_PT17_ilS8_ilS6_S8_ilPT18_ili26rocblas_geam_ex_operation_
		.amdhsa_group_segment_fixed_size 16384
		.amdhsa_private_segment_fixed_size 0
		.amdhsa_kernarg_size 136
		.amdhsa_user_sgpr_count 2
		.amdhsa_user_sgpr_dispatch_ptr 0
		.amdhsa_user_sgpr_queue_ptr 0
		.amdhsa_user_sgpr_kernarg_segment_ptr 1
		.amdhsa_user_sgpr_dispatch_id 0
		.amdhsa_user_sgpr_kernarg_preload_length 0
		.amdhsa_user_sgpr_kernarg_preload_offset 0
		.amdhsa_user_sgpr_private_segment_size 0
		.amdhsa_uses_dynamic_stack 0
		.amdhsa_enable_private_segment 0
		.amdhsa_system_sgpr_workgroup_id_x 1
		.amdhsa_system_sgpr_workgroup_id_y 0
		.amdhsa_system_sgpr_workgroup_id_z 1
		.amdhsa_system_sgpr_workgroup_info 0
		.amdhsa_system_vgpr_workitem_id 1
		.amdhsa_next_free_vgpr 252
		.amdhsa_next_free_sgpr 28
		.amdhsa_accum_offset 252
		.amdhsa_reserve_vcc 1
		.amdhsa_float_round_mode_32 0
		.amdhsa_float_round_mode_16_64 0
		.amdhsa_float_denorm_mode_32 3
		.amdhsa_float_denorm_mode_16_64 3
		.amdhsa_dx10_clamp 1
		.amdhsa_ieee_mode 1
		.amdhsa_fp16_overflow 0
		.amdhsa_tg_split 0
		.amdhsa_exception_fp_ieee_invalid_op 0
		.amdhsa_exception_fp_denorm_src 0
		.amdhsa_exception_fp_ieee_div_zero 0
		.amdhsa_exception_fp_ieee_overflow 0
		.amdhsa_exception_fp_ieee_underflow 0
		.amdhsa_exception_fp_ieee_inexact 0
		.amdhsa_exception_int_div_zero 0
	.end_amdhsa_kernel
	.section	.text._ZN12_GLOBAL__N_120geam_min_plus_kernelIdddLi4ELi64ELi128ELi128ELi4ELi4ELi64ELi4ELi64ELc84ELc78ELb0ELb0ELb0EPKdKS2_KPdEEviiiT16_PT17_ilS8_ilS6_S8_ilPT18_ili26rocblas_geam_ex_operation_,"axG",@progbits,_ZN12_GLOBAL__N_120geam_min_plus_kernelIdddLi4ELi64ELi128ELi128ELi4ELi4ELi64ELi4ELi64ELc84ELc78ELb0ELb0ELb0EPKdKS2_KPdEEviiiT16_PT17_ilS8_ilS6_S8_ilPT18_ili26rocblas_geam_ex_operation_,comdat
.Lfunc_end135:
	.size	_ZN12_GLOBAL__N_120geam_min_plus_kernelIdddLi4ELi64ELi128ELi128ELi4ELi4ELi64ELi4ELi64ELc84ELc78ELb0ELb0ELb0EPKdKS2_KPdEEviiiT16_PT17_ilS8_ilS6_S8_ilPT18_ili26rocblas_geam_ex_operation_, .Lfunc_end135-_ZN12_GLOBAL__N_120geam_min_plus_kernelIdddLi4ELi64ELi128ELi128ELi4ELi4ELi64ELi4ELi64ELc84ELc78ELb0ELb0ELb0EPKdKS2_KPdEEviiiT16_PT17_ilS8_ilS6_S8_ilPT18_ili26rocblas_geam_ex_operation_
                                        ; -- End function
	.set _ZN12_GLOBAL__N_120geam_min_plus_kernelIdddLi4ELi64ELi128ELi128ELi4ELi4ELi64ELi4ELi64ELc84ELc78ELb0ELb0ELb0EPKdKS2_KPdEEviiiT16_PT17_ilS8_ilS6_S8_ilPT18_ili26rocblas_geam_ex_operation_.num_vgpr, 252
	.set _ZN12_GLOBAL__N_120geam_min_plus_kernelIdddLi4ELi64ELi128ELi128ELi4ELi4ELi64ELi4ELi64ELc84ELc78ELb0ELb0ELb0EPKdKS2_KPdEEviiiT16_PT17_ilS8_ilS6_S8_ilPT18_ili26rocblas_geam_ex_operation_.num_agpr, 0
	.set _ZN12_GLOBAL__N_120geam_min_plus_kernelIdddLi4ELi64ELi128ELi128ELi4ELi4ELi64ELi4ELi64ELc84ELc78ELb0ELb0ELb0EPKdKS2_KPdEEviiiT16_PT17_ilS8_ilS6_S8_ilPT18_ili26rocblas_geam_ex_operation_.numbered_sgpr, 28
	.set _ZN12_GLOBAL__N_120geam_min_plus_kernelIdddLi4ELi64ELi128ELi128ELi4ELi4ELi64ELi4ELi64ELc84ELc78ELb0ELb0ELb0EPKdKS2_KPdEEviiiT16_PT17_ilS8_ilS6_S8_ilPT18_ili26rocblas_geam_ex_operation_.num_named_barrier, 0
	.set _ZN12_GLOBAL__N_120geam_min_plus_kernelIdddLi4ELi64ELi128ELi128ELi4ELi4ELi64ELi4ELi64ELc84ELc78ELb0ELb0ELb0EPKdKS2_KPdEEviiiT16_PT17_ilS8_ilS6_S8_ilPT18_ili26rocblas_geam_ex_operation_.private_seg_size, 0
	.set _ZN12_GLOBAL__N_120geam_min_plus_kernelIdddLi4ELi64ELi128ELi128ELi4ELi4ELi64ELi4ELi64ELc84ELc78ELb0ELb0ELb0EPKdKS2_KPdEEviiiT16_PT17_ilS8_ilS6_S8_ilPT18_ili26rocblas_geam_ex_operation_.uses_vcc, 1
	.set _ZN12_GLOBAL__N_120geam_min_plus_kernelIdddLi4ELi64ELi128ELi128ELi4ELi4ELi64ELi4ELi64ELc84ELc78ELb0ELb0ELb0EPKdKS2_KPdEEviiiT16_PT17_ilS8_ilS6_S8_ilPT18_ili26rocblas_geam_ex_operation_.uses_flat_scratch, 0
	.set _ZN12_GLOBAL__N_120geam_min_plus_kernelIdddLi4ELi64ELi128ELi128ELi4ELi4ELi64ELi4ELi64ELc84ELc78ELb0ELb0ELb0EPKdKS2_KPdEEviiiT16_PT17_ilS8_ilS6_S8_ilPT18_ili26rocblas_geam_ex_operation_.has_dyn_sized_stack, 0
	.set _ZN12_GLOBAL__N_120geam_min_plus_kernelIdddLi4ELi64ELi128ELi128ELi4ELi4ELi64ELi4ELi64ELc84ELc78ELb0ELb0ELb0EPKdKS2_KPdEEviiiT16_PT17_ilS8_ilS6_S8_ilPT18_ili26rocblas_geam_ex_operation_.has_recursion, 0
	.set _ZN12_GLOBAL__N_120geam_min_plus_kernelIdddLi4ELi64ELi128ELi128ELi4ELi4ELi64ELi4ELi64ELc84ELc78ELb0ELb0ELb0EPKdKS2_KPdEEviiiT16_PT17_ilS8_ilS6_S8_ilPT18_ili26rocblas_geam_ex_operation_.has_indirect_call, 0
	.section	.AMDGPU.csdata,"",@progbits
; Kernel info:
; codeLenInByte = 13048
; TotalNumSgprs: 34
; NumVgprs: 252
; NumAgprs: 0
; TotalNumVgprs: 252
; ScratchSize: 0
; MemoryBound: 0
; FloatMode: 240
; IeeeMode: 1
; LDSByteSize: 16384 bytes/workgroup (compile time only)
; SGPRBlocks: 4
; VGPRBlocks: 31
; NumSGPRsForWavesPerEU: 34
; NumVGPRsForWavesPerEU: 252
; AccumOffset: 252
; Occupancy: 2
; WaveLimiterHint : 1
; COMPUTE_PGM_RSRC2:SCRATCH_EN: 0
; COMPUTE_PGM_RSRC2:USER_SGPR: 2
; COMPUTE_PGM_RSRC2:TRAP_HANDLER: 0
; COMPUTE_PGM_RSRC2:TGID_X_EN: 1
; COMPUTE_PGM_RSRC2:TGID_Y_EN: 0
; COMPUTE_PGM_RSRC2:TGID_Z_EN: 1
; COMPUTE_PGM_RSRC2:TIDIG_COMP_CNT: 1
; COMPUTE_PGM_RSRC3_GFX90A:ACCUM_OFFSET: 62
; COMPUTE_PGM_RSRC3_GFX90A:TG_SPLIT: 0
	.section	.text._ZN12_GLOBAL__N_120geam_min_plus_kernelIdddLi4ELi64ELi128ELi128ELi4ELi4ELi64ELi4ELi64ELc84ELc78ELb1ELb0ELb0EdKPKdKPdEEviiiT16_PT17_ilS8_ilS6_S8_ilPT18_ili26rocblas_geam_ex_operation_,"axG",@progbits,_ZN12_GLOBAL__N_120geam_min_plus_kernelIdddLi4ELi64ELi128ELi128ELi4ELi4ELi64ELi4ELi64ELc84ELc78ELb1ELb0ELb0EdKPKdKPdEEviiiT16_PT17_ilS8_ilS6_S8_ilPT18_ili26rocblas_geam_ex_operation_,comdat
	.globl	_ZN12_GLOBAL__N_120geam_min_plus_kernelIdddLi4ELi64ELi128ELi128ELi4ELi4ELi64ELi4ELi64ELc84ELc78ELb1ELb0ELb0EdKPKdKPdEEviiiT16_PT17_ilS8_ilS6_S8_ilPT18_ili26rocblas_geam_ex_operation_ ; -- Begin function _ZN12_GLOBAL__N_120geam_min_plus_kernelIdddLi4ELi64ELi128ELi128ELi4ELi4ELi64ELi4ELi64ELc84ELc78ELb1ELb0ELb0EdKPKdKPdEEviiiT16_PT17_ilS8_ilS6_S8_ilPT18_ili26rocblas_geam_ex_operation_
	.p2align	8
	.type	_ZN12_GLOBAL__N_120geam_min_plus_kernelIdddLi4ELi64ELi128ELi128ELi4ELi4ELi64ELi4ELi64ELc84ELc78ELb1ELb0ELb0EdKPKdKPdEEviiiT16_PT17_ilS8_ilS6_S8_ilPT18_ili26rocblas_geam_ex_operation_,@function
_ZN12_GLOBAL__N_120geam_min_plus_kernelIdddLi4ELi64ELi128ELi128ELi4ELi4ELi64ELi4ELi64ELc84ELc78ELb1ELb0ELb0EdKPKdKPdEEviiiT16_PT17_ilS8_ilS6_S8_ilPT18_ili26rocblas_geam_ex_operation_: ; @_ZN12_GLOBAL__N_120geam_min_plus_kernelIdddLi4ELi64ELi128ELi128ELi4ELi4ELi64ELi4ELi64ELc84ELc78ELb1ELb0ELb0EdKPKdKPdEEviiiT16_PT17_ilS8_ilS6_S8_ilPT18_ili26rocblas_geam_ex_operation_
; %bb.0:
	s_load_dwordx4 s[4:7], s[0:1], 0x10
	s_load_dwordx4 s[8:11], s[0:1], 0x28
	s_mov_b32 s18, s3
	s_mov_b64 s[14:15], 0
	s_waitcnt lgkmcnt(0)
	v_cmp_eq_f64_e64 s[12:13], s[4:5], 0
	s_and_b64 vcc, exec, s[12:13]
	s_cbranch_vccnz .LBB136_2
; %bb.1:
	s_mov_b32 s19, 0
	s_lshl_b64 s[4:5], s[18:19], 3
	s_add_u32 s4, s6, s4
	s_addc_u32 s5, s7, s5
	s_load_dwordx2 s[4:5], s[4:5], 0x0
	s_lshl_b64 s[6:7], s[8:9], 3
	s_waitcnt lgkmcnt(0)
	s_add_u32 s14, s4, s6
	s_addc_u32 s15, s5, s7
.LBB136_2:
	s_load_dwordx4 s[4:7], s[0:1], 0x40
	s_load_dwordx2 s[20:21], s[0:1], 0x50
	s_andn2_b64 vcc, exec, s[12:13]
	s_mov_b32 s19, 0
	s_cbranch_vccnz .LBB136_4
; %bb.3:
	s_mov_b64 s[12:13], 0
	s_mov_b64 s[16:17], 0
	s_cbranch_execz .LBB136_5
	s_branch .LBB136_6
.LBB136_4:
	s_mov_b64 s[12:13], 0
	s_mov_b64 s[16:17], 0
.LBB136_5:
	s_lshl_b64 s[8:9], s[18:19], 3
	s_add_u32 s8, s10, s8
	s_addc_u32 s9, s11, s9
	s_load_dwordx2 s[8:9], s[8:9], 0x0
	s_waitcnt lgkmcnt(0)
	s_lshl_b64 s[4:5], s[4:5], 3
	s_add_u32 s16, s8, s4
	s_addc_u32 s17, s9, s5
.LBB136_6:
	s_load_dwordx4 s[8:11], s[0:1], 0x60
	s_waitcnt lgkmcnt(0)
	v_cmp_eq_f64_e64 s[4:5], s[6:7], 0
	s_and_b64 s[4:5], exec, s[4:5]
	s_mov_b64 vcc, s[4:5]
	s_cbranch_vccnz .LBB136_8
; %bb.7:
	s_lshl_b64 s[12:13], s[18:19], 3
	s_add_u32 s12, s20, s12
	s_addc_u32 s13, s21, s13
	s_load_dwordx2 s[12:13], s[12:13], 0x0
	s_lshl_b64 s[8:9], s[8:9], 3
	s_waitcnt lgkmcnt(0)
	s_add_u32 s12, s12, s8
	s_addc_u32 s13, s13, s9
.LBB136_8:
	s_load_dword s3, s[0:1], 0x0
	s_load_dword s20, s[0:1], 0x20
	;; [unrolled: 1-line block ×3, first 2 shown]
	s_lshl_b64 s[8:9], s[18:19], 3
	s_add_u32 s8, s10, s8
	s_addc_u32 s9, s11, s9
	s_waitcnt lgkmcnt(0)
	s_add_i32 s3, s3, -1
	s_ashr_i32 s10, s3, 31
	s_lshr_b32 s10, s10, 25
	s_add_i32 s3, s3, s10
	s_ashr_i32 s3, s3, 7
	s_add_i32 s10, s3, 1
	v_cvt_f32_u32_e32 v1, s10
	s_not_b32 s3, s3
	v_bfe_u32 v154, v0, 10, 10
	v_bfe_u32 v2, v0, 2, 8
	v_rcp_iflag_f32_e32 v1, v1
	v_and_b32_e32 v156, 3, v0
	v_add_u32_e32 v20, v2, v154
	v_lshlrev_b32_e32 v2, 3, v156
	v_mul_f32_e32 v1, 0x4f7ffffe, v1
	v_cvt_u32_f32_e32 v1, v1
	v_mov_b32_e32 v3, 0
	v_lshl_add_u64 v[4:5], s[14:15], 0, v[2:3]
	v_lshl_add_u64 v[8:9], s[16:17], 0, v[2:3]
	v_readfirstlane_b32 s11, v1
	s_mul_i32 s3, s3, s11
	s_mul_hi_u32 s3, s11, s3
	s_add_i32 s11, s11, s3
	s_mul_hi_u32 s3, s2, s11
	s_mul_i32 s11, s3, s10
	s_sub_i32 s11, s2, s11
	s_add_i32 s18, s3, 1
	s_sub_i32 s19, s11, s10
	s_cmp_ge_u32 s11, s10
	s_cselect_b32 s3, s18, s3
	s_cselect_b32 s11, s19, s11
	s_add_i32 s18, s3, 1
	s_cmp_ge_u32 s11, s10
	s_cselect_b32 s3, s18, s3
	s_mul_i32 s11, s3, s10
	s_lshl_b32 s10, s3, 7
	s_sub_i32 s2, s2, s11
	s_lshl_b32 s11, s2, 7
	v_add_u32_e32 v12, s10, v20
	v_add_u32_e32 v1, s11, v20
	;; [unrolled: 1-line block ×3, first 2 shown]
	v_mad_i64_i32 v[128:129], s[2:3], v1, s20, 0
	v_add_u32_e32 v1, 64, v1
	v_mad_i64_i32 v[130:131], s[2:3], v12, s21, 0
	v_mad_i64_i32 v[132:133], s[2:3], v3, s21, 0
	v_lshl_add_u64 v[6:7], v[128:129], 3, v[4:5]
	v_lshl_add_u64 v[10:11], v[130:131], 3, v[8:9]
	;; [unrolled: 1-line block ×3, first 2 shown]
	v_mad_i64_i32 v[134:135], s[2:3], v1, s20, 0
	flat_load_dwordx2 v[12:13], v[10:11]
	flat_load_dwordx2 v[14:15], v[8:9]
	v_lshl_add_u64 v[4:5], v[134:135], 3, v[4:5]
	flat_load_dwordx2 v[16:17], v[6:7]
	flat_load_dwordx2 v[18:19], v[4:5]
	s_load_dwordx2 s[2:3], s[8:9], 0x0
	flat_load_dwordx2 v[136:137], v[8:9] offset:32
	flat_load_dwordx2 v[138:139], v[10:11] offset:32
	flat_load_dwordx2 v[140:141], v[4:5] offset:32
	flat_load_dwordx2 v[142:143], v[6:7] offset:32
	v_and_b32_e32 v155, 0x3ff, v0
	v_lshlrev_b32_e32 v144, 5, v154
	v_lshl_or_b32 v159, v20, 5, v2
	v_mov_b64_e32 v[126:127], 0
	s_mov_b32 s18, 0
	v_mov_b64_e32 v[124:125], 0
	v_mov_b64_e32 v[122:123], 0
	;; [unrolled: 1-line block ×21, first 2 shown]
	v_lshlrev_b32_e32 v158, 5, v155
	v_add_u32_e32 v160, 0x2000, v144
	v_add_u32_e32 v161, 0x2000, v159
	v_mov_b64_e32 v[82:83], 0
	v_mov_b64_e32 v[80:81], 0
	;; [unrolled: 1-line block ×30, first 2 shown]
	s_waitcnt vmcnt(0) lgkmcnt(0)
	ds_write2st64_b64 v159, v[12:13], v[14:15] offset0:16 offset1:20
	ds_write2st64_b64 v159, v[16:17], v[18:19] offset1:4
	v_mov_b64_e32 v[22:23], 0
	v_mov_b64_e32 v[20:21], 0
	;; [unrolled: 1-line block ×12, first 2 shown]
	s_waitcnt lgkmcnt(0)
	s_barrier
.LBB136_9:                              ; =>This Inner Loop Header: Depth=1
	v_add_u32_e32 v145, s18, v158
	v_add_u32_e32 v157, s18, v160
	ds_read2_b64 v[146:149], v145 offset1:16
	ds_read2_b64 v[150:153], v145 offset0:32 offset1:48
	ds_read2_b64 v[162:165], v145 offset0:64 offset1:80
	;; [unrolled: 1-line block ×7, first 2 shown]
	ds_read2st64_b64 v[186:189], v157 offset1:4
	v_add_u32_e32 v145, 0x800, v145
	ds_read2_b64 v[190:193], v145 offset1:16
	ds_read2_b64 v[194:197], v145 offset0:32 offset1:48
	ds_read2_b64 v[198:201], v145 offset0:64 offset1:80
	;; [unrolled: 1-line block ×7, first 2 shown]
	s_waitcnt lgkmcnt(14)
	v_max_f64 v[146:147], v[146:147], v[146:147]
	v_max_f64 v[148:149], v[148:149], v[148:149]
	;; [unrolled: 1-line block ×6, first 2 shown]
	s_waitcnt lgkmcnt(13)
	v_max_f64 v[166:167], v[166:167], v[166:167]
	v_max_f64 v[168:169], v[168:169], v[168:169]
	s_waitcnt lgkmcnt(12)
	v_max_f64 v[170:171], v[170:171], v[170:171]
	v_max_f64 v[172:173], v[172:173], v[172:173]
	;; [unrolled: 3-line block ×14, first 2 shown]
	v_min_f64 v[222:223], v[146:147], v[186:187]
	v_min_f64 v[224:225], v[148:149], v[186:187]
	;; [unrolled: 1-line block ×32, first 2 shown]
	s_add_i32 s18, s18, 8
	v_add_f64 v[62:63], v[62:63], v[146:147]
	v_add_f64 v[60:61], v[60:61], v[148:149]
	;; [unrolled: 1-line block ×16, first 2 shown]
	v_min_f64 v[146:147], v[190:191], v[186:187]
	v_min_f64 v[148:149], v[192:193], v[186:187]
	;; [unrolled: 1-line block ×32, first 2 shown]
	s_cmp_eq_u32 s18, 32
	v_add_f64 v[126:127], v[126:127], v[222:223]
	v_add_f64 v[124:125], v[124:125], v[224:225]
	;; [unrolled: 1-line block ×48, first 2 shown]
	s_cbranch_scc0 .LBB136_9
; %bb.10:
	s_load_dword s18, s[0:1], 0x8
	ds_write2st64_b64 v159, v[142:143], v[140:141] offset0:8 offset1:12
	ds_write2st64_b64 v159, v[138:139], v[136:137] offset0:24 offset1:28
	s_waitcnt lgkmcnt(0)
	s_barrier
	s_cmp_gt_i32 s18, 8
	s_cbranch_scc1 .LBB136_12
; %bb.11:
	v_add_u32_e32 v157, 0x3000, v144
	s_cbranch_execz .LBB136_13
	s_branch .LBB136_19
.LBB136_12:
                                        ; implicit-def: $vgpr157
.LBB136_13:
	v_mov_b32_e32 v136, 0x1000
	v_add_u32_e32 v162, 0x1000, v159
	v_add_u32_e32 v163, 0x3000, v159
	s_add_i32 s8, s18, -8
	v_lshl_add_u32 v164, v155, 5, v136
	v_add_u32_e32 v157, 0x3000, v144
	s_mov_b32 s9, 8
	s_mov_b32 s18, 0
	v_mov_b32_e32 v137, 0
.LBB136_14:                             ; =>This Loop Header: Depth=1
                                        ;     Child Loop BB136_15 Depth 2
                                        ;     Child Loop BB136_17 Depth 2
	v_or_b32_e32 v136, s9, v156
	v_lshlrev_b64 v[142:143], 3, v[136:137]
	v_lshl_add_u64 v[140:141], s[14:15], 0, v[142:143]
	v_lshl_add_u64 v[144:145], s[16:17], 0, v[142:143]
	;; [unrolled: 1-line block ×5, first 2 shown]
	flat_load_dwordx2 v[146:147], v[138:139]
	flat_load_dwordx2 v[148:149], v[140:141]
	v_lshl_add_u64 v[144:145], v[132:133], 3, v[144:145]
	flat_load_dwordx2 v[150:151], v[142:143]
	flat_load_dwordx2 v[152:153], v[144:145]
	s_mov_b32 s19, 0
.LBB136_15:                             ;   Parent Loop BB136_14 Depth=1
                                        ; =>  This Inner Loop Header: Depth=2
	v_add_u32_e32 v136, s19, v164
	ds_read2_b64 v[166:169], v136 offset1:16
	ds_read2_b64 v[170:173], v136 offset0:32 offset1:48
	ds_read2_b64 v[174:177], v136 offset0:64 offset1:80
	;; [unrolled: 1-line block ×7, first 2 shown]
	v_add_u32_e32 v136, 0x800, v136
	ds_read2_b64 v[198:201], v136 offset1:16
	ds_read2_b64 v[202:205], v136 offset0:32 offset1:48
	ds_read2_b64 v[206:209], v136 offset0:64 offset1:80
	;; [unrolled: 1-line block ×7, first 2 shown]
	v_add_u32_e32 v136, s19, v157
	ds_read2st64_b64 v[230:233], v136 offset1:4
	s_waitcnt lgkmcnt(0)
	v_max_f64 v[166:167], v[166:167], v[166:167]
	v_max_f64 v[168:169], v[168:169], v[168:169]
	;; [unrolled: 1-line block ×5, first 2 shown]
	v_min_f64 v[234:235], v[166:167], v[230:231]
	v_add_f64 v[126:127], v[126:127], v[234:235]
	v_min_f64 v[234:235], v[168:169], v[230:231]
	v_add_f64 v[124:125], v[124:125], v[234:235]
	;; [unrolled: 2-line block ×3, first 2 shown]
	v_min_f64 v[234:235], v[172:173], v[230:231]
	v_max_f64 v[174:175], v[174:175], v[174:175]
	v_add_f64 v[120:121], v[120:121], v[234:235]
	v_min_f64 v[234:235], v[174:175], v[230:231]
	v_max_f64 v[176:177], v[176:177], v[176:177]
	v_add_f64 v[118:119], v[118:119], v[234:235]
	;; [unrolled: 3-line block ×26, first 2 shown]
	v_min_f64 v[234:235], v[224:225], v[230:231]
	v_max_f64 v[226:227], v[226:227], v[226:227]
	v_max_f64 v[228:229], v[228:229], v[228:229]
	v_add_f64 v[68:69], v[68:69], v[234:235]
	v_min_f64 v[234:235], v[226:227], v[230:231]
	v_min_f64 v[230:231], v[228:229], v[230:231]
	v_add_f64 v[64:65], v[64:65], v[230:231]
	v_max_f64 v[230:231], v[232:233], v[232:233]
	v_min_f64 v[166:167], v[166:167], v[230:231]
	v_add_f64 v[62:63], v[62:63], v[166:167]
	v_min_f64 v[166:167], v[168:169], v[230:231]
	v_add_f64 v[60:61], v[60:61], v[166:167]
	;; [unrolled: 2-line block ×31, first 2 shown]
	v_min_f64 v[166:167], v[228:229], v[230:231]
	s_add_i32 s19, s19, 8
	v_add_f64 v[66:67], v[66:67], v[234:235]
	v_add_f64 v[0:1], v[0:1], v[166:167]
	s_cmp_eq_u32 s19, 32
	s_cbranch_scc0 .LBB136_15
; %bb.16:                               ;   in Loop: Header=BB136_14 Depth=1
	s_waitcnt vmcnt(0)
	ds_write2st64_b64 v159, v[146:147], v[148:149] offset1:4
	ds_write2st64_b64 v161, v[150:151], v[152:153] offset1:4
	s_waitcnt lgkmcnt(0)
	s_barrier
	flat_load_dwordx2 v[138:139], v[138:139] offset:32
	s_nop 0
	flat_load_dwordx2 v[140:141], v[140:141] offset:32
	s_nop 0
	;; [unrolled: 2-line block ×3, first 2 shown]
	flat_load_dwordx2 v[144:145], v[144:145] offset:32
	s_mov_b32 s19, 0
.LBB136_17:                             ;   Parent Loop BB136_14 Depth=1
                                        ; =>  This Inner Loop Header: Depth=2
	v_add_u32_e32 v136, s19, v158
	ds_read2_b64 v[146:149], v136 offset1:16
	ds_read2_b64 v[150:153], v136 offset0:32 offset1:48
	ds_read2_b64 v[166:169], v136 offset0:64 offset1:80
	;; [unrolled: 1-line block ×7, first 2 shown]
	v_add_u32_e32 v136, 0x800, v136
	ds_read2_b64 v[190:193], v136 offset1:16
	ds_read2_b64 v[194:197], v136 offset0:32 offset1:48
	ds_read2_b64 v[198:201], v136 offset0:64 offset1:80
	;; [unrolled: 1-line block ×7, first 2 shown]
	v_add_u32_e32 v136, s19, v160
	ds_read2st64_b64 v[222:225], v136 offset1:4
	s_waitcnt lgkmcnt(0)
	v_max_f64 v[146:147], v[146:147], v[146:147]
	v_max_f64 v[148:149], v[148:149], v[148:149]
	;; [unrolled: 1-line block ×5, first 2 shown]
	v_min_f64 v[226:227], v[146:147], v[222:223]
	v_add_f64 v[126:127], v[126:127], v[226:227]
	v_min_f64 v[226:227], v[148:149], v[222:223]
	v_add_f64 v[124:125], v[124:125], v[226:227]
	;; [unrolled: 2-line block ×3, first 2 shown]
	v_min_f64 v[226:227], v[152:153], v[222:223]
	v_max_f64 v[166:167], v[166:167], v[166:167]
	v_add_f64 v[120:121], v[120:121], v[226:227]
	v_min_f64 v[226:227], v[166:167], v[222:223]
	v_max_f64 v[168:169], v[168:169], v[168:169]
	v_add_f64 v[118:119], v[118:119], v[226:227]
	;; [unrolled: 3-line block ×26, first 2 shown]
	v_min_f64 v[226:227], v[216:217], v[222:223]
	v_max_f64 v[218:219], v[218:219], v[218:219]
	v_max_f64 v[220:221], v[220:221], v[220:221]
	v_add_f64 v[68:69], v[68:69], v[226:227]
	v_min_f64 v[226:227], v[218:219], v[222:223]
	v_min_f64 v[222:223], v[220:221], v[222:223]
	v_add_f64 v[64:65], v[64:65], v[222:223]
	v_max_f64 v[222:223], v[224:225], v[224:225]
	v_min_f64 v[146:147], v[146:147], v[222:223]
	v_add_f64 v[62:63], v[62:63], v[146:147]
	v_min_f64 v[146:147], v[148:149], v[222:223]
	v_add_f64 v[60:61], v[60:61], v[146:147]
	;; [unrolled: 2-line block ×31, first 2 shown]
	v_min_f64 v[146:147], v[220:221], v[222:223]
	s_add_i32 s19, s19, 8
	v_add_f64 v[66:67], v[66:67], v[226:227]
	v_add_f64 v[0:1], v[0:1], v[146:147]
	s_cmp_eq_u32 s19, 32
	s_cbranch_scc0 .LBB136_17
; %bb.18:                               ;   in Loop: Header=BB136_14 Depth=1
	s_add_i32 s9, s9, 8
	s_add_i32 s18, s18, 8
	s_cmp_ge_i32 s18, s8
	s_waitcnt vmcnt(0)
	ds_write2st64_b64 v162, v[138:139], v[140:141] offset1:4
	ds_write2st64_b64 v163, v[142:143], v[144:145] offset1:4
	s_waitcnt lgkmcnt(0)
	s_barrier
	s_cbranch_scc0 .LBB136_14
.LBB136_19:
	v_mov_b32_e32 v128, 0x1000
	v_lshl_add_u32 v128, v155, 5, v128
	s_mov_b32 s8, 0
.LBB136_20:                             ; =>This Inner Loop Header: Depth=1
	v_add_u32_e32 v129, s8, v128
	v_add_u32_e32 v156, s8, v157
	ds_read2_b64 v[130:133], v129 offset1:16
	ds_read2_b64 v[134:137], v129 offset0:32 offset1:48
	ds_read2_b64 v[138:141], v129 offset0:64 offset1:80
	;; [unrolled: 1-line block ×7, first 2 shown]
	v_add_u32_e32 v129, 0x800, v129
	ds_read2st64_b64 v[166:169], v156 offset1:4
	ds_read2_b64 v[170:173], v129 offset1:16
	ds_read2_b64 v[174:177], v129 offset0:32 offset1:48
	ds_read2_b64 v[178:181], v129 offset0:64 offset1:80
	;; [unrolled: 1-line block ×7, first 2 shown]
	s_waitcnt lgkmcnt(14)
	v_max_f64 v[130:131], v[130:131], v[130:131]
	v_max_f64 v[132:133], v[132:133], v[132:133]
	;; [unrolled: 1-line block ×3, first 2 shown]
	s_waitcnt lgkmcnt(8)
	v_max_f64 v[166:167], v[166:167], v[166:167]
	v_max_f64 v[136:137], v[136:137], v[136:137]
	;; [unrolled: 1-line block ×15, first 2 shown]
	v_min_f64 v[202:203], v[130:131], v[166:167]
	v_min_f64 v[204:205], v[132:133], v[166:167]
	;; [unrolled: 1-line block ×16, first 2 shown]
	s_waitcnt lgkmcnt(7)
	v_max_f64 v[170:171], v[170:171], v[170:171]
	v_max_f64 v[172:173], v[172:173], v[172:173]
	s_waitcnt lgkmcnt(6)
	v_max_f64 v[174:175], v[174:175], v[174:175]
	v_max_f64 v[176:177], v[176:177], v[176:177]
	;; [unrolled: 3-line block ×8, first 2 shown]
	v_min_f64 v[130:131], v[130:131], v[168:169]
	v_min_f64 v[132:133], v[132:133], v[168:169]
	;; [unrolled: 1-line block ×16, first 2 shown]
	s_add_i32 s8, s8, 8
	v_add_f64 v[126:127], v[126:127], v[202:203]
	v_add_f64 v[124:125], v[124:125], v[204:205]
	;; [unrolled: 1-line block ×15, first 2 shown]
	v_min_f64 v[202:203], v[170:171], v[166:167]
	v_min_f64 v[204:205], v[172:173], v[166:167]
	;; [unrolled: 1-line block ×16, first 2 shown]
	v_add_f64 v[62:63], v[62:63], v[130:131]
	v_add_f64 v[60:61], v[60:61], v[132:133]
	;; [unrolled: 1-line block ×16, first 2 shown]
	v_min_f64 v[130:131], v[170:171], v[168:169]
	v_min_f64 v[132:133], v[172:173], v[168:169]
	;; [unrolled: 1-line block ×16, first 2 shown]
	s_cmp_eq_u32 s8, 32
	v_add_f64 v[96:97], v[96:97], v[232:233]
	v_add_f64 v[94:95], v[94:95], v[202:203]
	v_add_f64 v[92:93], v[92:93], v[204:205]
	v_add_f64 v[90:91], v[90:91], v[206:207]
	v_add_f64 v[88:89], v[88:89], v[208:209]
	v_add_f64 v[86:87], v[86:87], v[210:211]
	v_add_f64 v[84:85], v[84:85], v[212:213]
	v_add_f64 v[82:83], v[82:83], v[214:215]
	v_add_f64 v[80:81], v[80:81], v[216:217]
	v_add_f64 v[78:79], v[78:79], v[218:219]
	v_add_f64 v[76:77], v[76:77], v[220:221]
	v_add_f64 v[74:75], v[74:75], v[222:223]
	v_add_f64 v[72:73], v[72:73], v[224:225]
	v_add_f64 v[70:71], v[70:71], v[226:227]
	v_add_f64 v[68:69], v[68:69], v[228:229]
	v_add_f64 v[66:67], v[66:67], v[230:231]
	v_add_f64 v[64:65], v[64:65], v[166:167]
	v_add_f64 v[30:31], v[30:31], v[130:131]
	v_add_f64 v[28:29], v[28:29], v[132:133]
	v_add_f64 v[26:27], v[26:27], v[134:135]
	v_add_f64 v[24:25], v[24:25], v[136:137]
	v_add_f64 v[22:23], v[22:23], v[138:139]
	v_add_f64 v[20:21], v[20:21], v[140:141]
	v_add_f64 v[18:19], v[18:19], v[142:143]
	v_add_f64 v[16:17], v[16:17], v[144:145]
	v_add_f64 v[14:15], v[14:15], v[146:147]
	v_add_f64 v[12:13], v[12:13], v[148:149]
	v_add_f64 v[10:11], v[10:11], v[150:151]
	v_add_f64 v[8:9], v[8:9], v[152:153]
	v_add_f64 v[6:7], v[6:7], v[158:159]
	v_add_f64 v[4:5], v[4:5], v[160:161]
	v_add_f64 v[2:3], v[2:3], v[162:163]
	v_add_f64 v[0:1], v[0:1], v[164:165]
	s_cbranch_scc0 .LBB136_20
; %bb.21:
	s_load_dwordx2 s[14:15], s[0:1], 0x78
	s_load_dword s8, s[0:1], 0x58
	s_load_dword s9, s[0:1], 0x70
	v_add_u32_e32 v170, s10, v154
	v_add_u32_e32 v130, s11, v155
	s_waitcnt lgkmcnt(0)
	s_lshl_b64 s[0:1], s[14:15], 3
	s_add_u32 s0, s2, s0
	s_addc_u32 s1, s3, s1
	v_mad_i64_i32 v[132:133], s[2:3], v170, s9, 0
	v_add_u32_e32 v128, 4, v130
	v_lshl_add_u64 v[138:139], v[132:133], 3, s[0:1]
	v_mad_i64_i32 v[132:133], s[2:3], v170, s8, 0
	v_ashrrev_i32_e32 v131, 31, v130
	v_ashrrev_i32_e32 v129, 31, v128
	s_mov_b64 s[2:3], -1
	s_mov_b64 vcc, s[4:5]
	s_cbranch_vccz .LBB136_23
; %bb.22:
	v_add_f64 v[134:135], v[126:127], 0
	v_lshl_add_u64 v[136:137], v[130:131], 3, v[138:139]
	s_mov_b64 s[2:3], 0
	flat_store_dwordx2 v[136:137], v[134:135]
.LBB136_23:
	v_lshl_add_u64 v[146:147], v[132:133], 3, s[12:13]
	v_mov_b64_e32 v[136:137], 0
	s_andn2_b64 vcc, exec, s[2:3]
	v_lshlrev_b64 v[134:135], 3, v[130:131]
	s_cbranch_vccnz .LBB136_25
; %bb.24:
	v_lshl_add_u64 v[132:133], v[146:147], 0, v[134:135]
	flat_load_dwordx2 v[132:133], v[132:133]
	v_lshl_add_u64 v[136:137], v[138:139], 0, v[134:135]
	s_waitcnt vmcnt(0) lgkmcnt(0)
	v_fmac_f64_e32 v[126:127], s[6:7], v[132:133]
	flat_store_dwordx2 v[136:137], v[126:127]
	v_lshl_add_u64 v[126:127], v[128:129], 3, v[146:147]
	flat_load_dwordx2 v[126:127], v[126:127]
	s_waitcnt vmcnt(0) lgkmcnt(0)
	v_mul_f64 v[136:137], s[6:7], v[126:127]
.LBB136_25:
	v_add_u32_e32 v132, 8, v130
	v_add_u32_e32 v126, 12, v130
	v_ashrrev_i32_e32 v133, 31, v132
	v_ashrrev_i32_e32 v127, 31, v126
	v_add_f64 v[124:125], v[124:125], v[136:137]
	v_lshl_add_u64 v[136:137], v[128:129], 3, v[138:139]
	s_mov_b64 s[2:3], -1
	s_mov_b64 vcc, s[4:5]
	flat_store_dwordx2 v[136:137], v[124:125]
	s_cbranch_vccz .LBB136_27
; %bb.26:
	v_add_f64 v[124:125], v[122:123], 0
	v_lshl_add_u64 v[136:137], v[132:133], 3, v[138:139]
	s_mov_b64 s[2:3], 0
	flat_store_dwordx2 v[136:137], v[124:125]
.LBB136_27:
	v_mov_b64_e32 v[140:141], 0
	s_andn2_b64 vcc, exec, s[2:3]
	v_lshlrev_b64 v[136:137], 3, v[132:133]
	s_cbranch_vccnz .LBB136_29
; %bb.28:
	v_lshl_add_u64 v[124:125], v[146:147], 0, v[136:137]
	flat_load_dwordx2 v[124:125], v[124:125]
	v_lshl_add_u64 v[140:141], v[138:139], 0, v[136:137]
	s_waitcnt vmcnt(0) lgkmcnt(0)
	v_fmac_f64_e32 v[122:123], s[6:7], v[124:125]
	flat_store_dwordx2 v[140:141], v[122:123]
	v_lshl_add_u64 v[122:123], v[126:127], 3, v[146:147]
	flat_load_dwordx2 v[122:123], v[122:123]
	s_waitcnt vmcnt(0) lgkmcnt(0)
	v_mul_f64 v[140:141], s[6:7], v[122:123]
.LBB136_29:
	v_add_u32_e32 v124, 16, v130
	v_add_u32_e32 v122, 20, v130
	v_ashrrev_i32_e32 v125, 31, v124
	v_ashrrev_i32_e32 v123, 31, v122
	v_add_f64 v[120:121], v[120:121], v[140:141]
	v_lshl_add_u64 v[140:141], v[126:127], 3, v[138:139]
	s_mov_b64 s[2:3], -1
	s_mov_b64 vcc, s[4:5]
	flat_store_dwordx2 v[140:141], v[120:121]
	s_cbranch_vccz .LBB136_31
; %bb.30:
	v_add_f64 v[120:121], v[118:119], 0
	v_lshl_add_u64 v[140:141], v[124:125], 3, v[138:139]
	s_mov_b64 s[2:3], 0
	flat_store_dwordx2 v[140:141], v[120:121]
.LBB136_31:
	;; [unrolled: 32-line block ×15, first 2 shown]
	v_mov_b64_e32 v[168:169], 0
	s_andn2_b64 vcc, exec, s[2:3]
	v_lshlrev_b64 v[68:69], 3, v[72:73]
	s_cbranch_vccnz .LBB136_85
; %bb.84:
	v_lshl_add_u64 v[168:169], v[146:147], 0, v[68:69]
	flat_load_dwordx2 v[168:169], v[168:169]
	v_lshl_add_u64 v[172:173], v[138:139], 0, v[68:69]
	s_waitcnt vmcnt(0) lgkmcnt(0)
	v_fmac_f64_e32 v[66:67], s[6:7], v[168:169]
	flat_store_dwordx2 v[172:173], v[66:67]
	v_lshl_add_u64 v[66:67], v[70:71], 3, v[146:147]
	flat_load_dwordx2 v[66:67], v[66:67]
	s_waitcnt vmcnt(0) lgkmcnt(0)
	v_mul_f64 v[168:169], s[6:7], v[66:67]
.LBB136_85:
	v_add_f64 v[64:65], v[64:65], v[168:169]
	v_lshl_add_u64 v[66:67], v[70:71], 3, v[138:139]
	flat_store_dwordx2 v[66:67], v[64:65]
	v_add_u32_e32 v66, 64, v170
	v_mad_i64_i32 v[64:65], s[2:3], v66, s9, 0
	v_lshl_add_u64 v[64:65], v[64:65], 3, s[0:1]
	v_mad_i64_i32 v[66:67], s[0:1], v66, s8, 0
	s_mov_b64 s[0:1], -1
	s_mov_b64 vcc, s[4:5]
	s_cbranch_vccz .LBB136_87
; %bb.86:
	v_add_f64 v[138:139], v[62:63], 0
	v_lshl_add_u64 v[130:131], v[130:131], 3, v[64:65]
	s_mov_b64 s[0:1], 0
	flat_store_dwordx2 v[130:131], v[138:139]
.LBB136_87:
	v_lshl_add_u64 v[66:67], v[66:67], 3, s[12:13]
	s_andn2_b64 vcc, exec, s[0:1]
	v_mov_b64_e32 v[130:131], 0
	s_cbranch_vccnz .LBB136_89
; %bb.88:
	v_lshl_add_u64 v[130:131], v[66:67], 0, v[134:135]
	flat_load_dwordx2 v[130:131], v[130:131]
	v_lshl_add_u64 v[134:135], v[64:65], 0, v[134:135]
	s_waitcnt vmcnt(0) lgkmcnt(0)
	v_fmac_f64_e32 v[62:63], s[6:7], v[130:131]
	flat_store_dwordx2 v[134:135], v[62:63]
	v_lshl_add_u64 v[62:63], v[128:129], 3, v[66:67]
	flat_load_dwordx2 v[62:63], v[62:63]
	s_waitcnt vmcnt(0) lgkmcnt(0)
	v_mul_f64 v[130:131], s[6:7], v[62:63]
.LBB136_89:
	v_add_f64 v[60:61], v[60:61], v[130:131]
	v_lshl_add_u64 v[62:63], v[128:129], 3, v[64:65]
	s_mov_b64 s[0:1], -1
	s_mov_b64 vcc, s[4:5]
	flat_store_dwordx2 v[62:63], v[60:61]
	s_cbranch_vccz .LBB136_91
; %bb.90:
	v_add_f64 v[60:61], v[58:59], 0
	v_lshl_add_u64 v[62:63], v[132:133], 3, v[64:65]
	s_mov_b64 s[0:1], 0
	flat_store_dwordx2 v[62:63], v[60:61]
.LBB136_91:
	s_andn2_b64 vcc, exec, s[0:1]
	v_mov_b64_e32 v[60:61], 0
	s_cbranch_vccnz .LBB136_93
; %bb.92:
	v_lshl_add_u64 v[60:61], v[66:67], 0, v[136:137]
	flat_load_dwordx2 v[60:61], v[60:61]
	v_lshl_add_u64 v[62:63], v[64:65], 0, v[136:137]
	s_waitcnt vmcnt(0) lgkmcnt(0)
	v_fmac_f64_e32 v[58:59], s[6:7], v[60:61]
	flat_store_dwordx2 v[62:63], v[58:59]
	v_lshl_add_u64 v[58:59], v[126:127], 3, v[66:67]
	flat_load_dwordx2 v[58:59], v[58:59]
	s_waitcnt vmcnt(0) lgkmcnt(0)
	v_mul_f64 v[60:61], s[6:7], v[58:59]
.LBB136_93:
	v_add_f64 v[56:57], v[56:57], v[60:61]
	v_lshl_add_u64 v[58:59], v[126:127], 3, v[64:65]
	s_mov_b64 s[0:1], -1
	s_mov_b64 vcc, s[4:5]
	flat_store_dwordx2 v[58:59], v[56:57]
	s_cbranch_vccz .LBB136_95
; %bb.94:
	v_add_f64 v[56:57], v[54:55], 0
	v_lshl_add_u64 v[58:59], v[124:125], 3, v[64:65]
	s_mov_b64 s[0:1], 0
	flat_store_dwordx2 v[58:59], v[56:57]
.LBB136_95:
	;; [unrolled: 27-line block ×14, first 2 shown]
	s_andn2_b64 vcc, exec, s[0:1]
	v_mov_b64_e32 v[8:9], 0
	s_cbranch_vccnz .LBB136_145
; %bb.144:
	v_lshl_add_u64 v[8:9], v[66:67], 0, v[166:167]
	flat_load_dwordx2 v[8:9], v[8:9]
	v_lshl_add_u64 v[10:11], v[64:65], 0, v[166:167]
	s_waitcnt vmcnt(0) lgkmcnt(0)
	v_fmac_f64_e32 v[6:7], s[6:7], v[8:9]
	flat_store_dwordx2 v[10:11], v[6:7]
	v_lshl_add_u64 v[6:7], v[74:75], 3, v[66:67]
	flat_load_dwordx2 v[6:7], v[6:7]
	s_waitcnt vmcnt(0) lgkmcnt(0)
	v_mul_f64 v[8:9], s[6:7], v[6:7]
.LBB136_145:
	v_add_f64 v[4:5], v[4:5], v[8:9]
	v_lshl_add_u64 v[6:7], v[74:75], 3, v[64:65]
	s_mov_b64 s[0:1], -1
	s_mov_b64 vcc, s[4:5]
	flat_store_dwordx2 v[6:7], v[4:5]
	s_cbranch_vccnz .LBB136_148
; %bb.146:
	s_andn2_b64 vcc, exec, s[0:1]
	v_mov_b64_e32 v[4:5], 0
	s_cbranch_vccz .LBB136_149
.LBB136_147:
	v_add_f64 v[0:1], v[0:1], v[4:5]
	v_lshl_add_u64 v[2:3], v[70:71], 3, v[64:65]
	flat_store_dwordx2 v[2:3], v[0:1]
	s_endpgm
.LBB136_148:
	v_add_f64 v[4:5], v[2:3], 0
	v_lshl_add_u64 v[6:7], v[72:73], 3, v[64:65]
	flat_store_dwordx2 v[6:7], v[4:5]
	v_mov_b64_e32 v[4:5], 0
	s_cbranch_execnz .LBB136_147
.LBB136_149:
	v_lshl_add_u64 v[4:5], v[66:67], 0, v[68:69]
	flat_load_dwordx2 v[4:5], v[4:5]
	v_lshl_add_u64 v[6:7], v[64:65], 0, v[68:69]
	s_waitcnt vmcnt(0) lgkmcnt(0)
	v_fmac_f64_e32 v[2:3], s[6:7], v[4:5]
	flat_store_dwordx2 v[6:7], v[2:3]
	v_lshl_add_u64 v[2:3], v[70:71], 3, v[66:67]
	flat_load_dwordx2 v[2:3], v[2:3]
	s_waitcnt vmcnt(0) lgkmcnt(0)
	v_mul_f64 v[4:5], s[6:7], v[2:3]
	v_add_f64 v[0:1], v[0:1], v[4:5]
	v_lshl_add_u64 v[2:3], v[70:71], 3, v[64:65]
	flat_store_dwordx2 v[2:3], v[0:1]
	s_endpgm
	.section	.rodata,"a",@progbits
	.p2align	6, 0x0
	.amdhsa_kernel _ZN12_GLOBAL__N_120geam_min_plus_kernelIdddLi4ELi64ELi128ELi128ELi4ELi4ELi64ELi4ELi64ELc84ELc78ELb1ELb0ELb0EdKPKdKPdEEviiiT16_PT17_ilS8_ilS6_S8_ilPT18_ili26rocblas_geam_ex_operation_
		.amdhsa_group_segment_fixed_size 16384
		.amdhsa_private_segment_fixed_size 0
		.amdhsa_kernarg_size 136
		.amdhsa_user_sgpr_count 2
		.amdhsa_user_sgpr_dispatch_ptr 0
		.amdhsa_user_sgpr_queue_ptr 0
		.amdhsa_user_sgpr_kernarg_segment_ptr 1
		.amdhsa_user_sgpr_dispatch_id 0
		.amdhsa_user_sgpr_kernarg_preload_length 0
		.amdhsa_user_sgpr_kernarg_preload_offset 0
		.amdhsa_user_sgpr_private_segment_size 0
		.amdhsa_uses_dynamic_stack 0
		.amdhsa_enable_private_segment 0
		.amdhsa_system_sgpr_workgroup_id_x 1
		.amdhsa_system_sgpr_workgroup_id_y 0
		.amdhsa_system_sgpr_workgroup_id_z 1
		.amdhsa_system_sgpr_workgroup_info 0
		.amdhsa_system_vgpr_workitem_id 1
		.amdhsa_next_free_vgpr 254
		.amdhsa_next_free_sgpr 22
		.amdhsa_accum_offset 256
		.amdhsa_reserve_vcc 1
		.amdhsa_float_round_mode_32 0
		.amdhsa_float_round_mode_16_64 0
		.amdhsa_float_denorm_mode_32 3
		.amdhsa_float_denorm_mode_16_64 3
		.amdhsa_dx10_clamp 1
		.amdhsa_ieee_mode 1
		.amdhsa_fp16_overflow 0
		.amdhsa_tg_split 0
		.amdhsa_exception_fp_ieee_invalid_op 0
		.amdhsa_exception_fp_denorm_src 0
		.amdhsa_exception_fp_ieee_div_zero 0
		.amdhsa_exception_fp_ieee_overflow 0
		.amdhsa_exception_fp_ieee_underflow 0
		.amdhsa_exception_fp_ieee_inexact 0
		.amdhsa_exception_int_div_zero 0
	.end_amdhsa_kernel
	.section	.text._ZN12_GLOBAL__N_120geam_min_plus_kernelIdddLi4ELi64ELi128ELi128ELi4ELi4ELi64ELi4ELi64ELc84ELc78ELb1ELb0ELb0EdKPKdKPdEEviiiT16_PT17_ilS8_ilS6_S8_ilPT18_ili26rocblas_geam_ex_operation_,"axG",@progbits,_ZN12_GLOBAL__N_120geam_min_plus_kernelIdddLi4ELi64ELi128ELi128ELi4ELi4ELi64ELi4ELi64ELc84ELc78ELb1ELb0ELb0EdKPKdKPdEEviiiT16_PT17_ilS8_ilS6_S8_ilPT18_ili26rocblas_geam_ex_operation_,comdat
.Lfunc_end136:
	.size	_ZN12_GLOBAL__N_120geam_min_plus_kernelIdddLi4ELi64ELi128ELi128ELi4ELi4ELi64ELi4ELi64ELc84ELc78ELb1ELb0ELb0EdKPKdKPdEEviiiT16_PT17_ilS8_ilS6_S8_ilPT18_ili26rocblas_geam_ex_operation_, .Lfunc_end136-_ZN12_GLOBAL__N_120geam_min_plus_kernelIdddLi4ELi64ELi128ELi128ELi4ELi4ELi64ELi4ELi64ELc84ELc78ELb1ELb0ELb0EdKPKdKPdEEviiiT16_PT17_ilS8_ilS6_S8_ilPT18_ili26rocblas_geam_ex_operation_
                                        ; -- End function
	.set _ZN12_GLOBAL__N_120geam_min_plus_kernelIdddLi4ELi64ELi128ELi128ELi4ELi4ELi64ELi4ELi64ELc84ELc78ELb1ELb0ELb0EdKPKdKPdEEviiiT16_PT17_ilS8_ilS6_S8_ilPT18_ili26rocblas_geam_ex_operation_.num_vgpr, 254
	.set _ZN12_GLOBAL__N_120geam_min_plus_kernelIdddLi4ELi64ELi128ELi128ELi4ELi4ELi64ELi4ELi64ELc84ELc78ELb1ELb0ELb0EdKPKdKPdEEviiiT16_PT17_ilS8_ilS6_S8_ilPT18_ili26rocblas_geam_ex_operation_.num_agpr, 0
	.set _ZN12_GLOBAL__N_120geam_min_plus_kernelIdddLi4ELi64ELi128ELi128ELi4ELi4ELi64ELi4ELi64ELc84ELc78ELb1ELb0ELb0EdKPKdKPdEEviiiT16_PT17_ilS8_ilS6_S8_ilPT18_ili26rocblas_geam_ex_operation_.numbered_sgpr, 22
	.set _ZN12_GLOBAL__N_120geam_min_plus_kernelIdddLi4ELi64ELi128ELi128ELi4ELi4ELi64ELi4ELi64ELc84ELc78ELb1ELb0ELb0EdKPKdKPdEEviiiT16_PT17_ilS8_ilS6_S8_ilPT18_ili26rocblas_geam_ex_operation_.num_named_barrier, 0
	.set _ZN12_GLOBAL__N_120geam_min_plus_kernelIdddLi4ELi64ELi128ELi128ELi4ELi4ELi64ELi4ELi64ELc84ELc78ELb1ELb0ELb0EdKPKdKPdEEviiiT16_PT17_ilS8_ilS6_S8_ilPT18_ili26rocblas_geam_ex_operation_.private_seg_size, 0
	.set _ZN12_GLOBAL__N_120geam_min_plus_kernelIdddLi4ELi64ELi128ELi128ELi4ELi4ELi64ELi4ELi64ELc84ELc78ELb1ELb0ELb0EdKPKdKPdEEviiiT16_PT17_ilS8_ilS6_S8_ilPT18_ili26rocblas_geam_ex_operation_.uses_vcc, 1
	.set _ZN12_GLOBAL__N_120geam_min_plus_kernelIdddLi4ELi64ELi128ELi128ELi4ELi4ELi64ELi4ELi64ELc84ELc78ELb1ELb0ELb0EdKPKdKPdEEviiiT16_PT17_ilS8_ilS6_S8_ilPT18_ili26rocblas_geam_ex_operation_.uses_flat_scratch, 0
	.set _ZN12_GLOBAL__N_120geam_min_plus_kernelIdddLi4ELi64ELi128ELi128ELi4ELi4ELi64ELi4ELi64ELc84ELc78ELb1ELb0ELb0EdKPKdKPdEEviiiT16_PT17_ilS8_ilS6_S8_ilPT18_ili26rocblas_geam_ex_operation_.has_dyn_sized_stack, 0
	.set _ZN12_GLOBAL__N_120geam_min_plus_kernelIdddLi4ELi64ELi128ELi128ELi4ELi4ELi64ELi4ELi64ELc84ELc78ELb1ELb0ELb0EdKPKdKPdEEviiiT16_PT17_ilS8_ilS6_S8_ilPT18_ili26rocblas_geam_ex_operation_.has_recursion, 0
	.set _ZN12_GLOBAL__N_120geam_min_plus_kernelIdddLi4ELi64ELi128ELi128ELi4ELi4ELi64ELi4ELi64ELc84ELc78ELb1ELb0ELb0EdKPKdKPdEEviiiT16_PT17_ilS8_ilS6_S8_ilPT18_ili26rocblas_geam_ex_operation_.has_indirect_call, 0
	.section	.AMDGPU.csdata,"",@progbits
; Kernel info:
; codeLenInByte = 12428
; TotalNumSgprs: 28
; NumVgprs: 254
; NumAgprs: 0
; TotalNumVgprs: 254
; ScratchSize: 0
; MemoryBound: 0
; FloatMode: 240
; IeeeMode: 1
; LDSByteSize: 16384 bytes/workgroup (compile time only)
; SGPRBlocks: 3
; VGPRBlocks: 31
; NumSGPRsForWavesPerEU: 28
; NumVGPRsForWavesPerEU: 254
; AccumOffset: 256
; Occupancy: 2
; WaveLimiterHint : 1
; COMPUTE_PGM_RSRC2:SCRATCH_EN: 0
; COMPUTE_PGM_RSRC2:USER_SGPR: 2
; COMPUTE_PGM_RSRC2:TRAP_HANDLER: 0
; COMPUTE_PGM_RSRC2:TGID_X_EN: 1
; COMPUTE_PGM_RSRC2:TGID_Y_EN: 0
; COMPUTE_PGM_RSRC2:TGID_Z_EN: 1
; COMPUTE_PGM_RSRC2:TIDIG_COMP_CNT: 1
; COMPUTE_PGM_RSRC3_GFX90A:ACCUM_OFFSET: 63
; COMPUTE_PGM_RSRC3_GFX90A:TG_SPLIT: 0
	.section	.text._ZN12_GLOBAL__N_120geam_min_plus_kernelIdddLi4ELi64ELi128ELi128ELi4ELi4ELi64ELi4ELi64ELc84ELc78ELb0ELb0ELb0EdKPKdKPdEEviiiT16_PT17_ilS8_ilS6_S8_ilPT18_ili26rocblas_geam_ex_operation_,"axG",@progbits,_ZN12_GLOBAL__N_120geam_min_plus_kernelIdddLi4ELi64ELi128ELi128ELi4ELi4ELi64ELi4ELi64ELc84ELc78ELb0ELb0ELb0EdKPKdKPdEEviiiT16_PT17_ilS8_ilS6_S8_ilPT18_ili26rocblas_geam_ex_operation_,comdat
	.globl	_ZN12_GLOBAL__N_120geam_min_plus_kernelIdddLi4ELi64ELi128ELi128ELi4ELi4ELi64ELi4ELi64ELc84ELc78ELb0ELb0ELb0EdKPKdKPdEEviiiT16_PT17_ilS8_ilS6_S8_ilPT18_ili26rocblas_geam_ex_operation_ ; -- Begin function _ZN12_GLOBAL__N_120geam_min_plus_kernelIdddLi4ELi64ELi128ELi128ELi4ELi4ELi64ELi4ELi64ELc84ELc78ELb0ELb0ELb0EdKPKdKPdEEviiiT16_PT17_ilS8_ilS6_S8_ilPT18_ili26rocblas_geam_ex_operation_
	.p2align	8
	.type	_ZN12_GLOBAL__N_120geam_min_plus_kernelIdddLi4ELi64ELi128ELi128ELi4ELi4ELi64ELi4ELi64ELc84ELc78ELb0ELb0ELb0EdKPKdKPdEEviiiT16_PT17_ilS8_ilS6_S8_ilPT18_ili26rocblas_geam_ex_operation_,@function
_ZN12_GLOBAL__N_120geam_min_plus_kernelIdddLi4ELi64ELi128ELi128ELi4ELi4ELi64ELi4ELi64ELc84ELc78ELb0ELb0ELb0EdKPKdKPdEEviiiT16_PT17_ilS8_ilS6_S8_ilPT18_ili26rocblas_geam_ex_operation_: ; @_ZN12_GLOBAL__N_120geam_min_plus_kernelIdddLi4ELi64ELi128ELi128ELi4ELi4ELi64ELi4ELi64ELc84ELc78ELb0ELb0ELb0EdKPKdKPdEEviiiT16_PT17_ilS8_ilS6_S8_ilPT18_ili26rocblas_geam_ex_operation_
; %bb.0:
	s_load_dwordx4 s[12:15], s[0:1], 0x10
	s_load_dwordx4 s[16:19], s[0:1], 0x28
	s_mov_b32 s6, s3
	s_mov_b64 s[20:21], 0
	s_waitcnt lgkmcnt(0)
	v_cmp_eq_f64_e64 s[22:23], s[12:13], 0
	s_and_b64 s[4:5], exec, s[22:23]
	s_mov_b64 vcc, s[4:5]
	s_cbranch_vccnz .LBB137_2
; %bb.1:
	s_mov_b32 s7, 0
	s_lshl_b64 s[8:9], s[6:7], 3
	s_add_u32 s8, s14, s8
	s_addc_u32 s9, s15, s9
	s_load_dwordx2 s[8:9], s[8:9], 0x0
	s_lshl_b64 s[10:11], s[16:17], 3
	s_waitcnt lgkmcnt(0)
	s_add_u32 s20, s8, s10
	s_addc_u32 s21, s9, s11
.LBB137_2:
	s_load_dwordx4 s[8:11], s[0:1], 0x40
	s_load_dwordx2 s[26:27], s[0:1], 0x50
	s_andn2_b64 vcc, exec, s[22:23]
	s_mov_b32 s7, 0
	s_cbranch_vccnz .LBB137_4
; %bb.3:
	s_mov_b64 s[14:15], 0
	s_mov_b64 s[22:23], 0
	s_cbranch_execz .LBB137_5
	s_branch .LBB137_6
.LBB137_4:
	s_mov_b64 s[14:15], 0
	s_mov_b64 s[22:23], 0
.LBB137_5:
	s_lshl_b64 s[16:17], s[6:7], 3
	s_add_u32 s16, s18, s16
	s_addc_u32 s17, s19, s17
	s_load_dwordx2 s[16:17], s[16:17], 0x0
	s_waitcnt lgkmcnt(0)
	s_lshl_b64 s[8:9], s[8:9], 3
	s_add_u32 s22, s16, s8
	s_addc_u32 s23, s17, s9
.LBB137_6:
	s_load_dwordx4 s[16:19], s[0:1], 0x60
	s_waitcnt lgkmcnt(0)
	v_cmp_eq_f64_e64 s[8:9], s[10:11], 0
	s_and_b64 s[8:9], exec, s[8:9]
	v_cmp_neq_f64_e64 s[24:25], s[12:13], 0
	s_mov_b64 vcc, s[8:9]
	s_cbranch_vccnz .LBB137_8
; %bb.7:
	s_lshl_b64 s[14:15], s[6:7], 3
	s_add_u32 s14, s26, s14
	s_addc_u32 s15, s27, s15
	s_load_dwordx2 s[14:15], s[14:15], 0x0
	s_lshl_b64 s[16:17], s[16:17], 3
	s_waitcnt lgkmcnt(0)
	s_add_u32 s14, s14, s16
	s_addc_u32 s15, s15, s17
.LBB137_8:
	s_load_dword s3, s[0:1], 0x0
	s_load_dword s27, s[0:1], 0x20
	s_lshl_b64 s[6:7], s[6:7], 3
	s_add_u32 s16, s18, s6
	s_addc_u32 s17, s19, s7
	s_waitcnt lgkmcnt(0)
	s_add_i32 s3, s3, -1
	s_ashr_i32 s6, s3, 31
	s_lshr_b32 s6, s6, 25
	s_add_i32 s3, s3, s6
	s_ashr_i32 s3, s3, 7
	s_add_i32 s6, s3, 1
	v_cvt_f32_u32_e32 v1, s6
	s_not_b32 s3, s3
	v_bfe_u32 v152, v0, 10, 10
	v_and_b32_e32 v154, 3, v0
	v_rcp_iflag_f32_e32 v1, v1
	v_bfe_u32 v2, v0, 2, 8
	v_mov_b32_e32 v3, 0
	v_add_u32_e32 v139, v2, v152
	v_mul_f32_e32 v1, 0x4f7ffffe, v1
	v_cvt_u32_f32_e32 v1, v1
	v_lshlrev_b32_e32 v2, 3, v154
	v_lshl_add_u64 v[6:7], s[20:21], 0, v[2:3]
	v_readfirstlane_b32 s7, v1
	s_mul_i32 s3, s3, s7
	s_mul_hi_u32 s3, s7, s3
	s_add_i32 s7, s7, s3
	s_mul_hi_u32 s3, s2, s7
	s_mul_i32 s7, s3, s6
	s_sub_i32 s7, s2, s7
	s_add_i32 s18, s3, 1
	s_sub_i32 s19, s7, s6
	s_cmp_ge_u32 s7, s6
	s_cselect_b32 s3, s18, s3
	s_cselect_b32 s7, s19, s7
	s_add_i32 s18, s3, 1
	s_cmp_ge_u32 s7, s6
	s_cselect_b32 s3, s18, s3
	s_mul_i32 s6, s3, s6
	s_sub_i32 s2, s2, s6
	s_lshl_b32 s26, s2, 7
	v_cndmask_b32_e64 v1, 0, 1, s[24:25]
	v_add_u32_e32 v138, s26, v139
	v_cmp_ne_u32_e64 s[6:7], 1, v1
	s_andn2_b64 vcc, exec, s[24:25]
	s_cbranch_vccnz .LBB137_11
; %bb.9:
	v_mad_i64_i32 v[4:5], s[18:19], v138, s27, 0
	v_lshl_add_u64 v[4:5], v[4:5], 3, v[6:7]
	flat_load_dwordx2 v[4:5], v[4:5]
	s_waitcnt vmcnt(0) lgkmcnt(0)
	v_mul_f64 v[4:5], s[12:13], v[4:5]
	s_load_dword s25, s[0:1], 0x38
	s_lshl_b32 s24, s3, 7
	s_mov_b64 vcc, s[4:5]
	s_cbranch_vccz .LBB137_12
.LBB137_10:
	s_mov_b32 s2, 0
	v_mov_b32_e32 v8, s2
	v_mov_b32_e32 v9, s2
	s_mov_b64 s[2:3], 0
	s_branch .LBB137_13
.LBB137_11:
	v_mov_b64_e32 v[4:5], 0
	s_load_dword s25, s[0:1], 0x38
	s_lshl_b32 s24, s3, 7
	s_mov_b64 vcc, s[4:5]
	s_cbranch_vccnz .LBB137_10
.LBB137_12:
	s_mov_b64 s[2:3], -1
                                        ; implicit-def: $vgpr8_vgpr9
.LBB137_13:
	v_add_u32_e32 v141, s24, v139
	v_mov_b64_e32 v[132:133], 0
	s_andn2_b64 vcc, exec, s[2:3]
	v_add_u32_e32 v142, 64, v138
	v_add_u32_e32 v140, 64, v141
	v_mov_b64_e32 v[10:11], 0
	v_mov_b64_e32 v[12:13], 0
	s_cbranch_vccnz .LBB137_15
; %bb.14:
	v_mov_b32_e32 v3, 0
	v_mad_i64_i32 v[8:9], s[2:3], v142, s27, 0
	v_lshl_add_u64 v[10:11], s[22:23], 0, v[2:3]
	s_waitcnt lgkmcnt(0)
	v_mad_i64_i32 v[12:13], s[2:3], v141, s25, 0
	v_lshl_add_u64 v[8:9], v[8:9], 3, v[6:7]
	v_lshl_add_u64 v[12:13], v[12:13], 3, v[10:11]
	v_mad_i64_i32 v[14:15], s[2:3], v140, s25, 0
	flat_load_dwordx2 v[8:9], v[8:9]
	v_lshl_add_u64 v[10:11], v[14:15], 3, v[10:11]
	flat_load_dwordx2 v[14:15], v[12:13]
	flat_load_dwordx2 v[16:17], v[10:11]
	s_waitcnt vmcnt(0) lgkmcnt(0)
	v_mul_f64 v[8:9], s[12:13], v[8:9]
	v_mul_f64 v[12:13], s[12:13], v[14:15]
	;; [unrolled: 1-line block ×3, first 2 shown]
.LBB137_15:
	s_and_b64 vcc, exec, s[6:7]
	s_cbranch_vccnz .LBB137_17
; %bb.16:
	v_mad_i64_i32 v[14:15], s[2:3], v138, s27, 0
	v_lshl_add_u64 v[14:15], v[14:15], 3, v[6:7]
	flat_load_dwordx2 v[14:15], v[14:15] offset:32
	s_waitcnt vmcnt(0) lgkmcnt(0)
	v_mul_f64 v[132:133], s[12:13], v[14:15]
.LBB137_17:
	s_mov_b64 vcc, s[4:5]
	s_cbranch_vccz .LBB137_19
; %bb.18:
	s_mov_b32 s2, 0
	v_mov_b32_e32 v134, s2
	v_mov_b32_e32 v135, s2
	s_mov_b64 s[18:19], 0
	s_branch .LBB137_20
.LBB137_19:
	s_mov_b64 s[18:19], -1
                                        ; implicit-def: $vgpr134_vgpr135
.LBB137_20:
	s_load_dwordx2 s[2:3], s[16:17], 0x0
	v_and_b32_e32 v153, 0x3ff, v0
	v_mov_b64_e32 v[124:125], 0
	s_andn2_b64 vcc, exec, s[18:19]
	v_mov_b64_e32 v[0:1], 0
	v_mov_b64_e32 v[136:137], 0
	s_cbranch_vccnz .LBB137_22
; %bb.21:
	v_mad_i64_i32 v[0:1], s[16:17], v142, s27, 0
	v_mov_b32_e32 v3, 0
	v_lshl_add_u64 v[0:1], v[0:1], 3, v[6:7]
	v_lshl_add_u64 v[6:7], s[22:23], 0, v[2:3]
	s_waitcnt lgkmcnt(0)
	v_mad_i64_i32 v[14:15], s[16:17], v141, s25, 0
	v_lshl_add_u64 v[14:15], v[14:15], 3, v[6:7]
	v_mad_i64_i32 v[16:17], s[16:17], v140, s25, 0
	flat_load_dwordx2 v[0:1], v[0:1] offset:32
	v_lshl_add_u64 v[6:7], v[16:17], 3, v[6:7]
	flat_load_dwordx2 v[16:17], v[14:15] offset:32
	flat_load_dwordx2 v[18:19], v[6:7] offset:32
	s_waitcnt vmcnt(0) lgkmcnt(0)
	v_mul_f64 v[134:135], s[12:13], v[0:1]
	v_mul_f64 v[136:137], s[12:13], v[16:17]
	v_mul_f64 v[0:1], s[12:13], v[18:19]
.LBB137_22:
	v_lshlrev_b32_e32 v3, 5, v139
	v_lshl_or_b32 v156, v154, 3, v3
	v_lshlrev_b32_e32 v3, 5, v152
	ds_write2st64_b64 v156, v[4:5], v[8:9] offset1:4
	v_add_u32_e32 v157, 0x2000, v156
	ds_write2st64_b64 v156, v[12:13], v[10:11] offset0:16 offset1:20
	v_lshlrev_b32_e32 v158, 5, v153
	v_add_u32_e32 v159, 0x2000, v3
	s_mov_b32 s16, 0
	v_mov_b64_e32 v[130:131], 0
	v_mov_b64_e32 v[128:129], 0
	;; [unrolled: 1-line block ×63, first 2 shown]
	s_waitcnt lgkmcnt(0)
	s_barrier
.LBB137_23:                             ; =>This Inner Loop Header: Depth=1
	v_add_u32_e32 v143, s16, v158
	v_add_u32_e32 v155, s16, v159
	ds_read2_b64 v[144:147], v143 offset1:16
	ds_read2_b64 v[148:151], v143 offset0:32 offset1:48
	ds_read2_b64 v[160:163], v143 offset0:64 offset1:80
	;; [unrolled: 1-line block ×7, first 2 shown]
	ds_read2st64_b64 v[184:187], v155 offset1:4
	v_add_u32_e32 v143, 0x800, v143
	ds_read2_b64 v[188:191], v143 offset1:16
	ds_read2_b64 v[192:195], v143 offset0:32 offset1:48
	ds_read2_b64 v[196:199], v143 offset0:64 offset1:80
	;; [unrolled: 1-line block ×7, first 2 shown]
	s_waitcnt lgkmcnt(14)
	v_max_f64 v[144:145], v[144:145], v[144:145]
	v_max_f64 v[146:147], v[146:147], v[146:147]
	;; [unrolled: 1-line block ×6, first 2 shown]
	s_waitcnt lgkmcnt(13)
	v_max_f64 v[164:165], v[164:165], v[164:165]
	v_max_f64 v[166:167], v[166:167], v[166:167]
	s_waitcnt lgkmcnt(12)
	v_max_f64 v[168:169], v[168:169], v[168:169]
	v_max_f64 v[170:171], v[170:171], v[170:171]
	;; [unrolled: 3-line block ×14, first 2 shown]
	v_min_f64 v[220:221], v[144:145], v[184:185]
	v_min_f64 v[222:223], v[146:147], v[184:185]
	v_min_f64 v[224:225], v[148:149], v[184:185]
	v_min_f64 v[226:227], v[150:151], v[184:185]
	v_min_f64 v[228:229], v[160:161], v[184:185]
	v_min_f64 v[230:231], v[162:163], v[184:185]
	v_min_f64 v[232:233], v[164:165], v[184:185]
	v_min_f64 v[234:235], v[166:167], v[184:185]
	v_min_f64 v[236:237], v[168:169], v[184:185]
	v_min_f64 v[238:239], v[170:171], v[184:185]
	v_min_f64 v[240:241], v[172:173], v[184:185]
	v_min_f64 v[242:243], v[174:175], v[184:185]
	v_min_f64 v[244:245], v[176:177], v[184:185]
	v_min_f64 v[246:247], v[178:179], v[184:185]
	v_min_f64 v[248:249], v[180:181], v[184:185]
	v_min_f64 v[250:251], v[182:183], v[184:185]
	v_min_f64 v[144:145], v[144:145], v[186:187]
	v_min_f64 v[146:147], v[146:147], v[186:187]
	v_min_f64 v[148:149], v[148:149], v[186:187]
	v_min_f64 v[150:151], v[150:151], v[186:187]
	v_min_f64 v[160:161], v[160:161], v[186:187]
	v_min_f64 v[162:163], v[162:163], v[186:187]
	v_min_f64 v[164:165], v[164:165], v[186:187]
	v_min_f64 v[166:167], v[166:167], v[186:187]
	v_min_f64 v[168:169], v[168:169], v[186:187]
	v_min_f64 v[170:171], v[170:171], v[186:187]
	v_min_f64 v[172:173], v[172:173], v[186:187]
	v_min_f64 v[174:175], v[174:175], v[186:187]
	v_min_f64 v[176:177], v[176:177], v[186:187]
	v_min_f64 v[178:179], v[178:179], v[186:187]
	v_min_f64 v[180:181], v[180:181], v[186:187]
	v_min_f64 v[182:183], v[182:183], v[186:187]
	s_add_i32 s16, s16, 8
	v_add_f64 v[66:67], v[66:67], v[144:145]
	v_add_f64 v[64:65], v[64:65], v[146:147]
	;; [unrolled: 1-line block ×16, first 2 shown]
	v_min_f64 v[144:145], v[188:189], v[184:185]
	v_min_f64 v[146:147], v[190:191], v[184:185]
	;; [unrolled: 1-line block ×32, first 2 shown]
	s_cmp_eq_u32 s16, 32
	v_add_f64 v[124:125], v[124:125], v[220:221]
	v_add_f64 v[130:131], v[130:131], v[222:223]
	v_add_f64 v[128:129], v[128:129], v[224:225]
	v_add_f64 v[126:127], v[126:127], v[226:227]
	v_add_f64 v[122:123], v[122:123], v[228:229]
	v_add_f64 v[120:121], v[120:121], v[230:231]
	v_add_f64 v[118:119], v[118:119], v[232:233]
	v_add_f64 v[116:117], v[116:117], v[234:235]
	v_add_f64 v[114:115], v[114:115], v[236:237]
	v_add_f64 v[112:113], v[112:113], v[238:239]
	v_add_f64 v[110:111], v[110:111], v[240:241]
	v_add_f64 v[108:109], v[108:109], v[242:243]
	v_add_f64 v[106:107], v[106:107], v[244:245]
	v_add_f64 v[104:105], v[104:105], v[246:247]
	v_add_f64 v[102:103], v[102:103], v[248:249]
	v_add_f64 v[100:101], v[100:101], v[250:251]
	v_add_f64 v[98:99], v[98:99], v[144:145]
	v_add_f64 v[96:97], v[96:97], v[146:147]
	v_add_f64 v[94:95], v[94:95], v[148:149]
	v_add_f64 v[92:93], v[92:93], v[150:151]
	v_add_f64 v[90:91], v[90:91], v[160:161]
	v_add_f64 v[88:89], v[88:89], v[162:163]
	v_add_f64 v[86:87], v[86:87], v[164:165]
	v_add_f64 v[84:85], v[84:85], v[166:167]
	v_add_f64 v[82:83], v[82:83], v[168:169]
	v_add_f64 v[80:81], v[80:81], v[170:171]
	v_add_f64 v[78:79], v[78:79], v[172:173]
	v_add_f64 v[76:77], v[76:77], v[174:175]
	v_add_f64 v[74:75], v[74:75], v[176:177]
	v_add_f64 v[72:73], v[72:73], v[178:179]
	v_add_f64 v[70:71], v[70:71], v[180:181]
	v_add_f64 v[68:69], v[68:69], v[182:183]
	v_add_f64 v[34:35], v[34:35], v[184:185]
	v_add_f64 v[32:33], v[32:33], v[188:189]
	v_add_f64 v[30:31], v[30:31], v[190:191]
	v_add_f64 v[28:29], v[28:29], v[192:193]
	v_add_f64 v[26:27], v[26:27], v[194:195]
	v_add_f64 v[24:25], v[24:25], v[196:197]
	v_add_f64 v[22:23], v[22:23], v[198:199]
	v_add_f64 v[20:21], v[20:21], v[200:201]
	v_add_f64 v[18:19], v[18:19], v[202:203]
	v_add_f64 v[16:17], v[16:17], v[204:205]
	v_add_f64 v[14:15], v[14:15], v[206:207]
	v_add_f64 v[12:13], v[12:13], v[208:209]
	v_add_f64 v[10:11], v[10:11], v[210:211]
	v_add_f64 v[8:9], v[8:9], v[212:213]
	v_add_f64 v[6:7], v[6:7], v[214:215]
	v_add_f64 v[4:5], v[4:5], v[186:187]
	s_cbranch_scc0 .LBB137_23
; %bb.24:
	s_load_dword s18, s[0:1], 0x8
	v_lshl_or_b32 v2, v139, 5, v2
	ds_write2st64_b64 v2, v[132:133], v[134:135] offset0:8 offset1:12
	ds_write2st64_b64 v2, v[136:137], v[0:1] offset0:24 offset1:28
	s_waitcnt lgkmcnt(0)
	s_barrier
	s_cmp_gt_i32 s18, 8
	s_cbranch_scc1 .LBB137_26
; %bb.25:
	v_add_u32_e32 v155, 0x3000, v3
	s_cbranch_execz .LBB137_27
	s_branch .LBB137_45
.LBB137_26:
                                        ; implicit-def: $vgpr155
.LBB137_27:
	v_mov_b32_e32 v0, 0x1000
	v_add_u32_e32 v160, 0x1000, v2
	v_add_u32_e32 v161, 0x3000, v2
	s_add_i32 s18, s18, -8
	v_mad_i64_i32 v[132:133], s[16:17], v138, s27, 0
	v_mad_i64_i32 v[134:135], s[16:17], v142, s27, 0
	;; [unrolled: 1-line block ×4, first 2 shown]
	v_lshl_add_u32 v162, v153, 5, v0
	v_add_u32_e32 v155, 0x3000, v3
	s_mov_b32 s19, 8
	s_mov_b32 s25, 0
	v_mov_b32_e32 v141, 0
	s_mov_b32 s27, 0
.LBB137_28:                             ; =>This Loop Header: Depth=1
                                        ;     Child Loop BB137_34 Depth 2
                                        ;     Child Loop BB137_41 Depth 2
	v_or_b32_e32 v140, s19, v154
	v_lshl_add_u64 v[142:143], v[140:141], 3, s[20:21]
	s_and_b64 vcc, exec, s[6:7]
	v_lshl_add_u64 v[146:147], v[132:133], 3, v[142:143]
	s_cbranch_vccnz .LBB137_43
; %bb.29:                               ;   in Loop: Header=BB137_28 Depth=1
	flat_load_dwordx2 v[0:1], v[146:147]
	s_waitcnt vmcnt(0) lgkmcnt(0)
	v_mul_f64 v[148:149], s[12:13], v[0:1]
	s_mov_b64 s[16:17], -1
                                        ; implicit-def: $vgpr0_vgpr1_vgpr2_vgpr3
	s_mov_b64 vcc, s[4:5]
                                        ; implicit-def: $vgpr2_vgpr3
	s_cbranch_vccz .LBB137_31
.LBB137_30:                             ;   in Loop: Header=BB137_28 Depth=1
	v_mov_b32_e32 v2, s25
	v_mov_b32_e32 v3, s25
	;; [unrolled: 1-line block ×4, first 2 shown]
	s_mov_b64 s[16:17], 0
.LBB137_31:                             ;   in Loop: Header=BB137_28 Depth=1
	v_mov_b64_e32 v[150:151], 0
	s_andn2_b64 vcc, exec, s[16:17]
	v_lshl_add_u64 v[144:145], v[134:135], 3, v[142:143]
	v_lshl_add_u64 v[142:143], v[140:141], 3, s[22:23]
	s_cbranch_vccnz .LBB137_33
; %bb.32:                               ;   in Loop: Header=BB137_28 Depth=1
	v_lshl_add_u64 v[2:3], v[136:137], 3, v[142:143]
	v_lshl_add_u64 v[150:151], v[138:139], 3, v[142:143]
	flat_load_dwordx2 v[0:1], v[144:145]
	flat_load_dwordx2 v[164:165], v[2:3]
	s_nop 0
	flat_load_dwordx2 v[150:151], v[150:151]
	s_waitcnt vmcnt(0) lgkmcnt(0)
	v_mul_f64 v[2:3], s[12:13], v[0:1]
	v_mul_f64 v[0:1], s[12:13], v[164:165]
	;; [unrolled: 1-line block ×3, first 2 shown]
.LBB137_33:                             ;   in Loop: Header=BB137_28 Depth=1
	s_mov_b32 s16, 0
.LBB137_34:                             ;   Parent Loop BB137_28 Depth=1
                                        ; =>  This Inner Loop Header: Depth=2
	v_add_u32_e32 v140, s16, v162
	ds_read2_b64 v[164:167], v140 offset1:16
	ds_read2_b64 v[168:171], v140 offset0:32 offset1:48
	ds_read2_b64 v[172:175], v140 offset0:64 offset1:80
	;; [unrolled: 1-line block ×7, first 2 shown]
	v_add_u32_e32 v140, 0x800, v140
	ds_read2_b64 v[196:199], v140 offset1:16
	ds_read2_b64 v[200:203], v140 offset0:32 offset1:48
	ds_read2_b64 v[204:207], v140 offset0:64 offset1:80
	;; [unrolled: 1-line block ×7, first 2 shown]
	v_add_u32_e32 v140, s16, v155
	ds_read2st64_b64 v[228:231], v140 offset1:4
	s_waitcnt lgkmcnt(14)
	v_max_f64 v[164:165], v[164:165], v[164:165]
	v_max_f64 v[166:167], v[166:167], v[166:167]
	;; [unrolled: 1-line block ×4, first 2 shown]
	s_waitcnt lgkmcnt(0)
	v_max_f64 v[228:229], v[228:229], v[228:229]
	v_min_f64 v[232:233], v[164:165], v[228:229]
	v_add_f64 v[124:125], v[124:125], v[232:233]
	v_min_f64 v[232:233], v[166:167], v[228:229]
	v_add_f64 v[130:131], v[130:131], v[232:233]
	;; [unrolled: 2-line block ×3, first 2 shown]
	v_min_f64 v[232:233], v[170:171], v[228:229]
	v_max_f64 v[172:173], v[172:173], v[172:173]
	v_add_f64 v[126:127], v[126:127], v[232:233]
	v_min_f64 v[232:233], v[172:173], v[228:229]
	v_max_f64 v[174:175], v[174:175], v[174:175]
	v_add_f64 v[122:123], v[122:123], v[232:233]
	;; [unrolled: 3-line block ×26, first 2 shown]
	v_min_f64 v[232:233], v[222:223], v[228:229]
	v_max_f64 v[224:225], v[224:225], v[224:225]
	v_max_f64 v[226:227], v[226:227], v[226:227]
	v_add_f64 v[72:73], v[72:73], v[232:233]
	v_min_f64 v[232:233], v[224:225], v[228:229]
	v_min_f64 v[228:229], v[226:227], v[228:229]
	v_add_f64 v[68:69], v[68:69], v[228:229]
	v_max_f64 v[228:229], v[230:231], v[230:231]
	v_min_f64 v[164:165], v[164:165], v[228:229]
	v_add_f64 v[66:67], v[66:67], v[164:165]
	v_min_f64 v[164:165], v[166:167], v[228:229]
	v_add_f64 v[64:65], v[64:65], v[164:165]
	;; [unrolled: 2-line block ×31, first 2 shown]
	v_min_f64 v[164:165], v[226:227], v[228:229]
	s_add_i32 s16, s16, 8
	v_add_f64 v[70:71], v[70:71], v[232:233]
	v_add_f64 v[4:5], v[4:5], v[164:165]
	s_cmp_eq_u32 s16, 32
	s_cbranch_scc0 .LBB137_34
; %bb.35:                               ;   in Loop: Header=BB137_28 Depth=1
	s_and_b64 vcc, exec, s[6:7]
	ds_write2st64_b64 v156, v[148:149], v[2:3] offset1:4
	ds_write2st64_b64 v157, v[0:1], v[150:151] offset1:4
	s_waitcnt lgkmcnt(0)
	s_barrier
	s_cbranch_vccnz .LBB137_44
; %bb.36:                               ;   in Loop: Header=BB137_28 Depth=1
	flat_load_dwordx2 v[0:1], v[146:147] offset:32
	s_waitcnt vmcnt(0) lgkmcnt(0)
	v_mul_f64 v[146:147], s[12:13], v[0:1]
	s_mov_b64 s[16:17], -1
                                        ; implicit-def: $vgpr0_vgpr1_vgpr2_vgpr3
	s_mov_b64 vcc, s[4:5]
                                        ; implicit-def: $vgpr2_vgpr3
	s_cbranch_vccz .LBB137_38
.LBB137_37:                             ;   in Loop: Header=BB137_28 Depth=1
	v_mov_b32_e32 v2, s25
	v_mov_b32_e32 v3, s25
	;; [unrolled: 1-line block ×4, first 2 shown]
	s_mov_b64 s[16:17], 0
.LBB137_38:                             ;   in Loop: Header=BB137_28 Depth=1
	s_andn2_b64 vcc, exec, s[16:17]
	v_mov_b64_e32 v[148:149], 0
	s_cbranch_vccnz .LBB137_40
; %bb.39:                               ;   in Loop: Header=BB137_28 Depth=1
	v_lshl_add_u64 v[2:3], v[136:137], 3, v[142:143]
	v_lshl_add_u64 v[142:143], v[138:139], 3, v[142:143]
	flat_load_dwordx2 v[0:1], v[144:145] offset:32
	s_nop 0
	flat_load_dwordx2 v[144:145], v[2:3] offset:32
	s_nop 0
	flat_load_dwordx2 v[142:143], v[142:143] offset:32
	s_waitcnt vmcnt(0) lgkmcnt(0)
	v_mul_f64 v[2:3], s[12:13], v[0:1]
	v_mul_f64 v[0:1], s[12:13], v[144:145]
	;; [unrolled: 1-line block ×3, first 2 shown]
.LBB137_40:                             ;   in Loop: Header=BB137_28 Depth=1
	s_mov_b32 s16, 0
.LBB137_41:                             ;   Parent Loop BB137_28 Depth=1
                                        ; =>  This Inner Loop Header: Depth=2
	v_add_u32_e32 v140, s16, v158
	ds_read2_b64 v[142:145], v140 offset1:16
	ds_read2_b64 v[164:167], v140 offset0:32 offset1:48
	ds_read2_b64 v[168:171], v140 offset0:64 offset1:80
	ds_read2_b64 v[172:175], v140 offset0:96 offset1:112
	ds_read2_b64 v[176:179], v140 offset0:128 offset1:144
	ds_read2_b64 v[180:183], v140 offset0:160 offset1:176
	ds_read2_b64 v[184:187], v140 offset0:192 offset1:208
	ds_read2_b64 v[188:191], v140 offset0:224 offset1:240
	v_add_u32_e32 v140, 0x800, v140
	ds_read2_b64 v[192:195], v140 offset1:16
	ds_read2_b64 v[196:199], v140 offset0:32 offset1:48
	ds_read2_b64 v[200:203], v140 offset0:64 offset1:80
	;; [unrolled: 1-line block ×7, first 2 shown]
	v_add_u32_e32 v140, s16, v159
	ds_read2st64_b64 v[224:227], v140 offset1:4
	s_waitcnt lgkmcnt(14)
	v_max_f64 v[142:143], v[142:143], v[142:143]
	v_max_f64 v[144:145], v[144:145], v[144:145]
	;; [unrolled: 1-line block ×4, first 2 shown]
	s_waitcnt lgkmcnt(0)
	v_max_f64 v[150:151], v[224:225], v[224:225]
	v_min_f64 v[224:225], v[142:143], v[150:151]
	v_add_f64 v[124:125], v[124:125], v[224:225]
	v_min_f64 v[224:225], v[144:145], v[150:151]
	v_add_f64 v[130:131], v[130:131], v[224:225]
	;; [unrolled: 2-line block ×3, first 2 shown]
	v_min_f64 v[224:225], v[166:167], v[150:151]
	v_max_f64 v[168:169], v[168:169], v[168:169]
	v_add_f64 v[126:127], v[126:127], v[224:225]
	v_min_f64 v[224:225], v[168:169], v[150:151]
	v_max_f64 v[170:171], v[170:171], v[170:171]
	v_add_f64 v[122:123], v[122:123], v[224:225]
	;; [unrolled: 3-line block ×26, first 2 shown]
	v_min_f64 v[224:225], v[218:219], v[150:151]
	v_max_f64 v[220:221], v[220:221], v[220:221]
	v_max_f64 v[222:223], v[222:223], v[222:223]
	v_add_f64 v[72:73], v[72:73], v[224:225]
	v_min_f64 v[224:225], v[220:221], v[150:151]
	v_min_f64 v[150:151], v[222:223], v[150:151]
	v_add_f64 v[68:69], v[68:69], v[150:151]
	v_max_f64 v[150:151], v[226:227], v[226:227]
	v_min_f64 v[142:143], v[142:143], v[150:151]
	v_add_f64 v[66:67], v[66:67], v[142:143]
	v_min_f64 v[142:143], v[144:145], v[150:151]
	v_add_f64 v[64:65], v[64:65], v[142:143]
	;; [unrolled: 2-line block ×31, first 2 shown]
	v_min_f64 v[142:143], v[222:223], v[150:151]
	s_add_i32 s16, s16, 8
	v_add_f64 v[70:71], v[70:71], v[224:225]
	v_add_f64 v[4:5], v[4:5], v[142:143]
	s_cmp_eq_u32 s16, 32
	s_cbranch_scc0 .LBB137_41
; %bb.42:                               ;   in Loop: Header=BB137_28 Depth=1
	s_add_i32 s19, s19, 8
	s_add_i32 s27, s27, 8
	s_cmp_ge_i32 s27, s18
	ds_write2st64_b64 v160, v[146:147], v[2:3] offset1:4
	ds_write2st64_b64 v161, v[0:1], v[148:149] offset1:4
	s_waitcnt lgkmcnt(0)
	s_barrier
	s_cbranch_scc0 .LBB137_28
	s_branch .LBB137_45
.LBB137_43:                             ;   in Loop: Header=BB137_28 Depth=1
	v_mov_b64_e32 v[148:149], 0
	s_mov_b64 s[16:17], -1
                                        ; implicit-def: $vgpr0_vgpr1_vgpr2_vgpr3
	s_mov_b64 vcc, s[4:5]
                                        ; implicit-def: $vgpr2_vgpr3
	s_cbranch_vccz .LBB137_31
	s_branch .LBB137_30
.LBB137_44:                             ;   in Loop: Header=BB137_28 Depth=1
	v_mov_b64_e32 v[146:147], 0
	s_mov_b64 s[16:17], -1
                                        ; implicit-def: $vgpr0_vgpr1_vgpr2_vgpr3
	s_mov_b64 vcc, s[4:5]
                                        ; implicit-def: $vgpr2_vgpr3
	s_cbranch_vccz .LBB137_38
	s_branch .LBB137_37
.LBB137_45:
	v_mov_b32_e32 v0, 0x1000
	v_lshl_add_u32 v0, v153, 5, v0
	s_mov_b32 s4, 0
.LBB137_46:                             ; =>This Inner Loop Header: Depth=1
	v_add_u32_e32 v1, s4, v0
	v_add_u32_e32 v2, s4, v155
	ds_read2_b64 v[132:135], v1 offset1:16
	ds_read2_b64 v[136:139], v1 offset0:32 offset1:48
	ds_read2_b64 v[140:143], v1 offset0:64 offset1:80
	;; [unrolled: 1-line block ×7, first 2 shown]
	v_add_u32_e32 v1, 0x800, v1
	ds_read2st64_b64 v[168:171], v2 offset1:4
	ds_read2_b64 v[172:175], v1 offset1:16
	ds_read2_b64 v[176:179], v1 offset0:32 offset1:48
	ds_read2_b64 v[180:183], v1 offset0:64 offset1:80
	;; [unrolled: 1-line block ×7, first 2 shown]
	s_waitcnt lgkmcnt(14)
	v_max_f64 v[132:133], v[132:133], v[132:133]
	v_max_f64 v[134:135], v[134:135], v[134:135]
	;; [unrolled: 1-line block ×3, first 2 shown]
	s_waitcnt lgkmcnt(8)
	v_max_f64 v[2:3], v[168:169], v[168:169]
	v_max_f64 v[138:139], v[138:139], v[138:139]
	v_max_f64 v[140:141], v[140:141], v[140:141]
	v_max_f64 v[142:143], v[142:143], v[142:143]
	v_max_f64 v[144:145], v[144:145], v[144:145]
	v_max_f64 v[146:147], v[146:147], v[146:147]
	v_max_f64 v[148:149], v[148:149], v[148:149]
	v_max_f64 v[150:151], v[150:151], v[150:151]
	v_max_f64 v[156:157], v[156:157], v[156:157]
	v_max_f64 v[158:159], v[158:159], v[158:159]
	v_max_f64 v[160:161], v[160:161], v[160:161]
	v_max_f64 v[162:163], v[162:163], v[162:163]
	v_max_f64 v[164:165], v[164:165], v[164:165]
	v_max_f64 v[166:167], v[166:167], v[166:167]
	v_max_f64 v[168:169], v[170:171], v[170:171]
	v_min_f64 v[170:171], v[132:133], v[2:3]
	v_min_f64 v[204:205], v[134:135], v[2:3]
	;; [unrolled: 1-line block ×16, first 2 shown]
	s_waitcnt lgkmcnt(7)
	v_max_f64 v[172:173], v[172:173], v[172:173]
	v_max_f64 v[174:175], v[174:175], v[174:175]
	s_waitcnt lgkmcnt(6)
	v_max_f64 v[176:177], v[176:177], v[176:177]
	v_max_f64 v[178:179], v[178:179], v[178:179]
	;; [unrolled: 3-line block ×8, first 2 shown]
	v_min_f64 v[132:133], v[132:133], v[168:169]
	v_min_f64 v[134:135], v[134:135], v[168:169]
	;; [unrolled: 1-line block ×16, first 2 shown]
	s_add_i32 s4, s4, 8
	v_add_f64 v[124:125], v[124:125], v[170:171]
	v_add_f64 v[130:131], v[130:131], v[204:205]
	;; [unrolled: 1-line block ×15, first 2 shown]
	v_min_f64 v[170:171], v[172:173], v[2:3]
	v_min_f64 v[204:205], v[174:175], v[2:3]
	v_min_f64 v[206:207], v[176:177], v[2:3]
	v_min_f64 v[208:209], v[178:179], v[2:3]
	v_min_f64 v[210:211], v[180:181], v[2:3]
	v_min_f64 v[212:213], v[182:183], v[2:3]
	v_min_f64 v[214:215], v[184:185], v[2:3]
	v_min_f64 v[216:217], v[186:187], v[2:3]
	v_min_f64 v[218:219], v[188:189], v[2:3]
	v_min_f64 v[220:221], v[190:191], v[2:3]
	v_min_f64 v[222:223], v[192:193], v[2:3]
	v_min_f64 v[224:225], v[194:195], v[2:3]
	v_min_f64 v[226:227], v[196:197], v[2:3]
	v_min_f64 v[228:229], v[198:199], v[2:3]
	v_min_f64 v[230:231], v[200:201], v[2:3]
	v_min_f64 v[2:3], v[202:203], v[2:3]
	v_add_f64 v[66:67], v[66:67], v[132:133]
	v_add_f64 v[64:65], v[64:65], v[134:135]
	;; [unrolled: 1-line block ×16, first 2 shown]
	v_min_f64 v[132:133], v[172:173], v[168:169]
	v_min_f64 v[134:135], v[174:175], v[168:169]
	;; [unrolled: 1-line block ×16, first 2 shown]
	s_cmp_eq_u32 s4, 32
	v_add_f64 v[100:101], v[100:101], v[232:233]
	v_add_f64 v[98:99], v[98:99], v[170:171]
	;; [unrolled: 1-line block ×33, first 2 shown]
	s_cbranch_scc0 .LBB137_46
; %bb.47:
	s_load_dwordx2 s[6:7], s[0:1], 0x78
	s_load_dword s4, s[0:1], 0x58
	s_load_dword s5, s[0:1], 0x70
	v_add_u32_e32 v170, s24, v152
	v_add_u32_e32 v132, s26, v153
	s_waitcnt lgkmcnt(0)
	s_lshl_b64 s[0:1], s[6:7], 3
	s_add_u32 s0, s2, s0
	s_addc_u32 s1, s3, s1
	v_mad_i64_i32 v[2:3], s[2:3], v170, s5, 0
	v_add_u32_e32 v0, 4, v132
	v_lshl_add_u64 v[138:139], v[2:3], 3, s[0:1]
	v_mad_i64_i32 v[2:3], s[2:3], v170, s4, 0
	v_ashrrev_i32_e32 v133, 31, v132
	v_ashrrev_i32_e32 v1, 31, v0
	s_mov_b64 s[2:3], -1
	s_mov_b64 vcc, s[8:9]
	s_cbranch_vccz .LBB137_49
; %bb.48:
	v_add_f64 v[134:135], v[124:125], 0
	v_lshl_add_u64 v[136:137], v[132:133], 3, v[138:139]
	s_mov_b64 s[2:3], 0
	flat_store_dwordx2 v[136:137], v[134:135]
.LBB137_49:
	v_lshl_add_u64 v[146:147], v[2:3], 3, s[14:15]
	v_mov_b64_e32 v[140:141], 0
	s_andn2_b64 vcc, exec, s[2:3]
	v_lshlrev_b64 v[136:137], 3, v[132:133]
	s_cbranch_vccnz .LBB137_51
; %bb.50:
	v_lshl_add_u64 v[2:3], v[146:147], 0, v[136:137]
	flat_load_dwordx2 v[2:3], v[2:3]
	v_lshl_add_u64 v[134:135], v[138:139], 0, v[136:137]
	s_waitcnt vmcnt(0) lgkmcnt(0)
	v_fmac_f64_e32 v[124:125], s[10:11], v[2:3]
	flat_store_dwordx2 v[134:135], v[124:125]
	v_lshl_add_u64 v[2:3], v[0:1], 3, v[146:147]
	flat_load_dwordx2 v[2:3], v[2:3]
	s_waitcnt vmcnt(0) lgkmcnt(0)
	v_mul_f64 v[140:141], s[10:11], v[2:3]
.LBB137_51:
	v_add_u32_e32 v134, 8, v132
	v_add_u32_e32 v2, 12, v132
	v_ashrrev_i32_e32 v135, 31, v134
	v_ashrrev_i32_e32 v3, 31, v2
	v_add_f64 v[124:125], v[130:131], v[140:141]
	v_lshl_add_u64 v[130:131], v[0:1], 3, v[138:139]
	s_mov_b64 s[2:3], -1
	s_mov_b64 vcc, s[8:9]
	flat_store_dwordx2 v[130:131], v[124:125]
	s_cbranch_vccz .LBB137_53
; %bb.52:
	v_add_f64 v[124:125], v[128:129], 0
	v_lshl_add_u64 v[130:131], v[134:135], 3, v[138:139]
	s_mov_b64 s[2:3], 0
	flat_store_dwordx2 v[130:131], v[124:125]
.LBB137_53:
	v_mov_b64_e32 v[140:141], 0
	s_andn2_b64 vcc, exec, s[2:3]
	v_lshlrev_b64 v[130:131], 3, v[134:135]
	s_cbranch_vccnz .LBB137_55
; %bb.54:
	v_lshl_add_u64 v[124:125], v[146:147], 0, v[130:131]
	flat_load_dwordx2 v[124:125], v[124:125]
	v_lshl_add_u64 v[140:141], v[138:139], 0, v[130:131]
	s_waitcnt vmcnt(0) lgkmcnt(0)
	v_fmac_f64_e32 v[128:129], s[10:11], v[124:125]
	flat_store_dwordx2 v[140:141], v[128:129]
	v_lshl_add_u64 v[124:125], v[2:3], 3, v[146:147]
	flat_load_dwordx2 v[124:125], v[124:125]
	s_waitcnt vmcnt(0) lgkmcnt(0)
	v_mul_f64 v[140:141], s[10:11], v[124:125]
.LBB137_55:
	v_add_u32_e32 v128, 16, v132
	v_add_u32_e32 v124, 20, v132
	v_ashrrev_i32_e32 v129, 31, v128
	v_ashrrev_i32_e32 v125, 31, v124
	v_add_f64 v[126:127], v[126:127], v[140:141]
	v_lshl_add_u64 v[140:141], v[2:3], 3, v[138:139]
	s_mov_b64 s[2:3], -1
	s_mov_b64 vcc, s[8:9]
	flat_store_dwordx2 v[140:141], v[126:127]
	s_cbranch_vccz .LBB137_57
; %bb.56:
	v_add_f64 v[126:127], v[122:123], 0
	v_lshl_add_u64 v[140:141], v[128:129], 3, v[138:139]
	s_mov_b64 s[2:3], 0
	flat_store_dwordx2 v[140:141], v[126:127]
.LBB137_57:
	;; [unrolled: 32-line block ×15, first 2 shown]
	v_mov_b64_e32 v[168:169], 0
	s_andn2_b64 vcc, exec, s[2:3]
	v_lshlrev_b64 v[72:73], 3, v[76:77]
	s_cbranch_vccnz .LBB137_111
; %bb.110:
	v_lshl_add_u64 v[168:169], v[146:147], 0, v[72:73]
	flat_load_dwordx2 v[168:169], v[168:169]
	v_lshl_add_u64 v[172:173], v[138:139], 0, v[72:73]
	s_waitcnt vmcnt(0) lgkmcnt(0)
	v_fmac_f64_e32 v[70:71], s[10:11], v[168:169]
	flat_store_dwordx2 v[172:173], v[70:71]
	v_lshl_add_u64 v[70:71], v[74:75], 3, v[146:147]
	flat_load_dwordx2 v[70:71], v[70:71]
	s_waitcnt vmcnt(0) lgkmcnt(0)
	v_mul_f64 v[168:169], s[10:11], v[70:71]
.LBB137_111:
	v_add_f64 v[68:69], v[68:69], v[168:169]
	v_lshl_add_u64 v[70:71], v[74:75], 3, v[138:139]
	flat_store_dwordx2 v[70:71], v[68:69]
	v_add_u32_e32 v70, 64, v170
	v_mad_i64_i32 v[68:69], s[2:3], v70, s5, 0
	v_lshl_add_u64 v[68:69], v[68:69], 3, s[0:1]
	v_mad_i64_i32 v[70:71], s[0:1], v70, s4, 0
	s_mov_b64 s[0:1], -1
	s_mov_b64 vcc, s[8:9]
	s_cbranch_vccz .LBB137_113
; %bb.112:
	v_add_f64 v[138:139], v[66:67], 0
	v_lshl_add_u64 v[132:133], v[132:133], 3, v[68:69]
	s_mov_b64 s[0:1], 0
	flat_store_dwordx2 v[132:133], v[138:139]
.LBB137_113:
	v_lshl_add_u64 v[70:71], v[70:71], 3, s[14:15]
	s_andn2_b64 vcc, exec, s[0:1]
	v_mov_b64_e32 v[132:133], 0
	s_cbranch_vccnz .LBB137_115
; %bb.114:
	v_lshl_add_u64 v[132:133], v[70:71], 0, v[136:137]
	flat_load_dwordx2 v[132:133], v[132:133]
	v_lshl_add_u64 v[136:137], v[68:69], 0, v[136:137]
	s_waitcnt vmcnt(0) lgkmcnt(0)
	v_fmac_f64_e32 v[66:67], s[10:11], v[132:133]
	flat_store_dwordx2 v[136:137], v[66:67]
	v_lshl_add_u64 v[66:67], v[0:1], 3, v[70:71]
	flat_load_dwordx2 v[66:67], v[66:67]
	s_waitcnt vmcnt(0) lgkmcnt(0)
	v_mul_f64 v[132:133], s[10:11], v[66:67]
.LBB137_115:
	v_add_f64 v[64:65], v[64:65], v[132:133]
	v_lshl_add_u64 v[0:1], v[0:1], 3, v[68:69]
	s_mov_b64 s[0:1], -1
	s_mov_b64 vcc, s[8:9]
	flat_store_dwordx2 v[0:1], v[64:65]
	s_cbranch_vccz .LBB137_117
; %bb.116:
	v_add_f64 v[0:1], v[62:63], 0
	v_lshl_add_u64 v[64:65], v[134:135], 3, v[68:69]
	s_mov_b64 s[0:1], 0
	flat_store_dwordx2 v[64:65], v[0:1]
.LBB137_117:
	s_andn2_b64 vcc, exec, s[0:1]
	v_mov_b64_e32 v[0:1], 0
	s_cbranch_vccnz .LBB137_119
; %bb.118:
	v_lshl_add_u64 v[0:1], v[70:71], 0, v[130:131]
	flat_load_dwordx2 v[0:1], v[0:1]
	v_lshl_add_u64 v[64:65], v[68:69], 0, v[130:131]
	s_waitcnt vmcnt(0) lgkmcnt(0)
	v_fmac_f64_e32 v[62:63], s[10:11], v[0:1]
	flat_store_dwordx2 v[64:65], v[62:63]
	v_lshl_add_u64 v[0:1], v[2:3], 3, v[70:71]
	flat_load_dwordx2 v[0:1], v[0:1]
	s_waitcnt vmcnt(0) lgkmcnt(0)
	v_mul_f64 v[0:1], s[10:11], v[0:1]
.LBB137_119:
	v_add_f64 v[0:1], v[60:61], v[0:1]
	v_lshl_add_u64 v[2:3], v[2:3], 3, v[68:69]
	s_mov_b64 s[0:1], -1
	s_mov_b64 vcc, s[8:9]
	flat_store_dwordx2 v[2:3], v[0:1]
	s_cbranch_vccz .LBB137_121
; %bb.120:
	v_add_f64 v[0:1], v[58:59], 0
	v_lshl_add_u64 v[2:3], v[128:129], 3, v[68:69]
	s_mov_b64 s[0:1], 0
	flat_store_dwordx2 v[2:3], v[0:1]
.LBB137_121:
	;; [unrolled: 27-line block ×14, first 2 shown]
	s_andn2_b64 vcc, exec, s[0:1]
	v_mov_b64_e32 v[0:1], 0
	s_cbranch_vccnz .LBB137_171
; %bb.170:
	v_lshl_add_u64 v[0:1], v[70:71], 0, v[166:167]
	flat_load_dwordx2 v[0:1], v[0:1]
	v_lshl_add_u64 v[2:3], v[68:69], 0, v[166:167]
	s_waitcnt vmcnt(0) lgkmcnt(0)
	v_fmac_f64_e32 v[10:11], s[10:11], v[0:1]
	flat_store_dwordx2 v[2:3], v[10:11]
	v_lshl_add_u64 v[0:1], v[78:79], 3, v[70:71]
	flat_load_dwordx2 v[0:1], v[0:1]
	s_waitcnt vmcnt(0) lgkmcnt(0)
	v_mul_f64 v[0:1], s[10:11], v[0:1]
.LBB137_171:
	v_add_f64 v[0:1], v[8:9], v[0:1]
	v_lshl_add_u64 v[2:3], v[78:79], 3, v[68:69]
	s_mov_b64 s[0:1], -1
	s_mov_b64 vcc, s[8:9]
	flat_store_dwordx2 v[2:3], v[0:1]
	s_cbranch_vccz .LBB137_174
; %bb.172:
	v_add_f64 v[0:1], v[6:7], 0
	v_lshl_add_u64 v[2:3], v[76:77], 3, v[68:69]
	flat_store_dwordx2 v[2:3], v[0:1]
	v_mov_b64_e32 v[0:1], 0
	s_cbranch_execz .LBB137_175
.LBB137_173:
	v_add_f64 v[0:1], v[4:5], v[0:1]
	v_lshl_add_u64 v[2:3], v[74:75], 3, v[68:69]
	flat_store_dwordx2 v[2:3], v[0:1]
	s_endpgm
.LBB137_174:
	s_andn2_b64 vcc, exec, s[0:1]
	v_mov_b64_e32 v[0:1], 0
	s_cbranch_vccnz .LBB137_173
.LBB137_175:
	v_lshl_add_u64 v[0:1], v[70:71], 0, v[72:73]
	flat_load_dwordx2 v[0:1], v[0:1]
	v_lshl_add_u64 v[2:3], v[68:69], 0, v[72:73]
	s_waitcnt vmcnt(0) lgkmcnt(0)
	v_fmac_f64_e32 v[6:7], s[10:11], v[0:1]
	flat_store_dwordx2 v[2:3], v[6:7]
	v_lshl_add_u64 v[0:1], v[74:75], 3, v[70:71]
	flat_load_dwordx2 v[0:1], v[0:1]
	s_waitcnt vmcnt(0) lgkmcnt(0)
	v_mul_f64 v[0:1], s[10:11], v[0:1]
	v_add_f64 v[0:1], v[4:5], v[0:1]
	v_lshl_add_u64 v[2:3], v[74:75], 3, v[68:69]
	flat_store_dwordx2 v[2:3], v[0:1]
	s_endpgm
	.section	.rodata,"a",@progbits
	.p2align	6, 0x0
	.amdhsa_kernel _ZN12_GLOBAL__N_120geam_min_plus_kernelIdddLi4ELi64ELi128ELi128ELi4ELi4ELi64ELi4ELi64ELc84ELc78ELb0ELb0ELb0EdKPKdKPdEEviiiT16_PT17_ilS8_ilS6_S8_ilPT18_ili26rocblas_geam_ex_operation_
		.amdhsa_group_segment_fixed_size 16384
		.amdhsa_private_segment_fixed_size 0
		.amdhsa_kernarg_size 136
		.amdhsa_user_sgpr_count 2
		.amdhsa_user_sgpr_dispatch_ptr 0
		.amdhsa_user_sgpr_queue_ptr 0
		.amdhsa_user_sgpr_kernarg_segment_ptr 1
		.amdhsa_user_sgpr_dispatch_id 0
		.amdhsa_user_sgpr_kernarg_preload_length 0
		.amdhsa_user_sgpr_kernarg_preload_offset 0
		.amdhsa_user_sgpr_private_segment_size 0
		.amdhsa_uses_dynamic_stack 0
		.amdhsa_enable_private_segment 0
		.amdhsa_system_sgpr_workgroup_id_x 1
		.amdhsa_system_sgpr_workgroup_id_y 0
		.amdhsa_system_sgpr_workgroup_id_z 1
		.amdhsa_system_sgpr_workgroup_info 0
		.amdhsa_system_vgpr_workitem_id 1
		.amdhsa_next_free_vgpr 252
		.amdhsa_next_free_sgpr 28
		.amdhsa_accum_offset 252
		.amdhsa_reserve_vcc 1
		.amdhsa_float_round_mode_32 0
		.amdhsa_float_round_mode_16_64 0
		.amdhsa_float_denorm_mode_32 3
		.amdhsa_float_denorm_mode_16_64 3
		.amdhsa_dx10_clamp 1
		.amdhsa_ieee_mode 1
		.amdhsa_fp16_overflow 0
		.amdhsa_tg_split 0
		.amdhsa_exception_fp_ieee_invalid_op 0
		.amdhsa_exception_fp_denorm_src 0
		.amdhsa_exception_fp_ieee_div_zero 0
		.amdhsa_exception_fp_ieee_overflow 0
		.amdhsa_exception_fp_ieee_underflow 0
		.amdhsa_exception_fp_ieee_inexact 0
		.amdhsa_exception_int_div_zero 0
	.end_amdhsa_kernel
	.section	.text._ZN12_GLOBAL__N_120geam_min_plus_kernelIdddLi4ELi64ELi128ELi128ELi4ELi4ELi64ELi4ELi64ELc84ELc78ELb0ELb0ELb0EdKPKdKPdEEviiiT16_PT17_ilS8_ilS6_S8_ilPT18_ili26rocblas_geam_ex_operation_,"axG",@progbits,_ZN12_GLOBAL__N_120geam_min_plus_kernelIdddLi4ELi64ELi128ELi128ELi4ELi4ELi64ELi4ELi64ELc84ELc78ELb0ELb0ELb0EdKPKdKPdEEviiiT16_PT17_ilS8_ilS6_S8_ilPT18_ili26rocblas_geam_ex_operation_,comdat
.Lfunc_end137:
	.size	_ZN12_GLOBAL__N_120geam_min_plus_kernelIdddLi4ELi64ELi128ELi128ELi4ELi4ELi64ELi4ELi64ELc84ELc78ELb0ELb0ELb0EdKPKdKPdEEviiiT16_PT17_ilS8_ilS6_S8_ilPT18_ili26rocblas_geam_ex_operation_, .Lfunc_end137-_ZN12_GLOBAL__N_120geam_min_plus_kernelIdddLi4ELi64ELi128ELi128ELi4ELi4ELi64ELi4ELi64ELc84ELc78ELb0ELb0ELb0EdKPKdKPdEEviiiT16_PT17_ilS8_ilS6_S8_ilPT18_ili26rocblas_geam_ex_operation_
                                        ; -- End function
	.set _ZN12_GLOBAL__N_120geam_min_plus_kernelIdddLi4ELi64ELi128ELi128ELi4ELi4ELi64ELi4ELi64ELc84ELc78ELb0ELb0ELb0EdKPKdKPdEEviiiT16_PT17_ilS8_ilS6_S8_ilPT18_ili26rocblas_geam_ex_operation_.num_vgpr, 252
	.set _ZN12_GLOBAL__N_120geam_min_plus_kernelIdddLi4ELi64ELi128ELi128ELi4ELi4ELi64ELi4ELi64ELc84ELc78ELb0ELb0ELb0EdKPKdKPdEEviiiT16_PT17_ilS8_ilS6_S8_ilPT18_ili26rocblas_geam_ex_operation_.num_agpr, 0
	.set _ZN12_GLOBAL__N_120geam_min_plus_kernelIdddLi4ELi64ELi128ELi128ELi4ELi4ELi64ELi4ELi64ELc84ELc78ELb0ELb0ELb0EdKPKdKPdEEviiiT16_PT17_ilS8_ilS6_S8_ilPT18_ili26rocblas_geam_ex_operation_.numbered_sgpr, 28
	.set _ZN12_GLOBAL__N_120geam_min_plus_kernelIdddLi4ELi64ELi128ELi128ELi4ELi4ELi64ELi4ELi64ELc84ELc78ELb0ELb0ELb0EdKPKdKPdEEviiiT16_PT17_ilS8_ilS6_S8_ilPT18_ili26rocblas_geam_ex_operation_.num_named_barrier, 0
	.set _ZN12_GLOBAL__N_120geam_min_plus_kernelIdddLi4ELi64ELi128ELi128ELi4ELi4ELi64ELi4ELi64ELc84ELc78ELb0ELb0ELb0EdKPKdKPdEEviiiT16_PT17_ilS8_ilS6_S8_ilPT18_ili26rocblas_geam_ex_operation_.private_seg_size, 0
	.set _ZN12_GLOBAL__N_120geam_min_plus_kernelIdddLi4ELi64ELi128ELi128ELi4ELi4ELi64ELi4ELi64ELc84ELc78ELb0ELb0ELb0EdKPKdKPdEEviiiT16_PT17_ilS8_ilS6_S8_ilPT18_ili26rocblas_geam_ex_operation_.uses_vcc, 1
	.set _ZN12_GLOBAL__N_120geam_min_plus_kernelIdddLi4ELi64ELi128ELi128ELi4ELi4ELi64ELi4ELi64ELc84ELc78ELb0ELb0ELb0EdKPKdKPdEEviiiT16_PT17_ilS8_ilS6_S8_ilPT18_ili26rocblas_geam_ex_operation_.uses_flat_scratch, 0
	.set _ZN12_GLOBAL__N_120geam_min_plus_kernelIdddLi4ELi64ELi128ELi128ELi4ELi4ELi64ELi4ELi64ELc84ELc78ELb0ELb0ELb0EdKPKdKPdEEviiiT16_PT17_ilS8_ilS6_S8_ilPT18_ili26rocblas_geam_ex_operation_.has_dyn_sized_stack, 0
	.set _ZN12_GLOBAL__N_120geam_min_plus_kernelIdddLi4ELi64ELi128ELi128ELi4ELi4ELi64ELi4ELi64ELc84ELc78ELb0ELb0ELb0EdKPKdKPdEEviiiT16_PT17_ilS8_ilS6_S8_ilPT18_ili26rocblas_geam_ex_operation_.has_recursion, 0
	.set _ZN12_GLOBAL__N_120geam_min_plus_kernelIdddLi4ELi64ELi128ELi128ELi4ELi4ELi64ELi4ELi64ELc84ELc78ELb0ELb0ELb0EdKPKdKPdEEviiiT16_PT17_ilS8_ilS6_S8_ilPT18_ili26rocblas_geam_ex_operation_.has_indirect_call, 0
	.section	.AMDGPU.csdata,"",@progbits
; Kernel info:
; codeLenInByte = 13044
; TotalNumSgprs: 34
; NumVgprs: 252
; NumAgprs: 0
; TotalNumVgprs: 252
; ScratchSize: 0
; MemoryBound: 0
; FloatMode: 240
; IeeeMode: 1
; LDSByteSize: 16384 bytes/workgroup (compile time only)
; SGPRBlocks: 4
; VGPRBlocks: 31
; NumSGPRsForWavesPerEU: 34
; NumVGPRsForWavesPerEU: 252
; AccumOffset: 252
; Occupancy: 2
; WaveLimiterHint : 1
; COMPUTE_PGM_RSRC2:SCRATCH_EN: 0
; COMPUTE_PGM_RSRC2:USER_SGPR: 2
; COMPUTE_PGM_RSRC2:TRAP_HANDLER: 0
; COMPUTE_PGM_RSRC2:TGID_X_EN: 1
; COMPUTE_PGM_RSRC2:TGID_Y_EN: 0
; COMPUTE_PGM_RSRC2:TGID_Z_EN: 1
; COMPUTE_PGM_RSRC2:TIDIG_COMP_CNT: 1
; COMPUTE_PGM_RSRC3_GFX90A:ACCUM_OFFSET: 62
; COMPUTE_PGM_RSRC3_GFX90A:TG_SPLIT: 0
	.section	.text._ZN12_GLOBAL__N_120geam_min_plus_kernelIdddLi4ELi64ELi128ELi128ELi4ELi4ELi64ELi4ELi64ELc84ELc78ELb0ELb1ELb0EPKdKS2_KPdEEviiiT16_PT17_ilS8_ilS6_S8_ilPT18_ili26rocblas_geam_ex_operation_,"axG",@progbits,_ZN12_GLOBAL__N_120geam_min_plus_kernelIdddLi4ELi64ELi128ELi128ELi4ELi4ELi64ELi4ELi64ELc84ELc78ELb0ELb1ELb0EPKdKS2_KPdEEviiiT16_PT17_ilS8_ilS6_S8_ilPT18_ili26rocblas_geam_ex_operation_,comdat
	.globl	_ZN12_GLOBAL__N_120geam_min_plus_kernelIdddLi4ELi64ELi128ELi128ELi4ELi4ELi64ELi4ELi64ELc84ELc78ELb0ELb1ELb0EPKdKS2_KPdEEviiiT16_PT17_ilS8_ilS6_S8_ilPT18_ili26rocblas_geam_ex_operation_ ; -- Begin function _ZN12_GLOBAL__N_120geam_min_plus_kernelIdddLi4ELi64ELi128ELi128ELi4ELi4ELi64ELi4ELi64ELc84ELc78ELb0ELb1ELb0EPKdKS2_KPdEEviiiT16_PT17_ilS8_ilS6_S8_ilPT18_ili26rocblas_geam_ex_operation_
	.p2align	8
	.type	_ZN12_GLOBAL__N_120geam_min_plus_kernelIdddLi4ELi64ELi128ELi128ELi4ELi4ELi64ELi4ELi64ELc84ELc78ELb0ELb1ELb0EPKdKS2_KPdEEviiiT16_PT17_ilS8_ilS6_S8_ilPT18_ili26rocblas_geam_ex_operation_,@function
_ZN12_GLOBAL__N_120geam_min_plus_kernelIdddLi4ELi64ELi128ELi128ELi4ELi4ELi64ELi4ELi64ELc84ELc78ELb0ELb1ELb0EPKdKS2_KPdEEviiiT16_PT17_ilS8_ilS6_S8_ilPT18_ili26rocblas_geam_ex_operation_: ; @_ZN12_GLOBAL__N_120geam_min_plus_kernelIdddLi4ELi64ELi128ELi128ELi4ELi4ELi64ELi4ELi64ELc84ELc78ELb0ELb1ELb0EPKdKS2_KPdEEviiiT16_PT17_ilS8_ilS6_S8_ilPT18_ili26rocblas_geam_ex_operation_
; %bb.0:
	s_load_dwordx4 s[12:15], s[0:1], 0x10
	s_load_dwordx4 s[8:11], s[0:1], 0x28
	;; [unrolled: 1-line block ×3, first 2 shown]
	s_mov_b32 s16, s3
	s_mov_b32 s17, 0
	s_lshl_b64 s[22:23], s[16:17], 3
	s_waitcnt lgkmcnt(0)
	s_add_u32 s18, s12, s22
	s_addc_u32 s19, s13, s23
	s_load_dwordx2 s[16:17], s[18:19], 0x0
	s_load_dwordx2 s[12:13], s[0:1], 0x50
	s_add_u32 s6, s6, s22
	s_addc_u32 s7, s7, s23
	s_mov_b64 s[18:19], 0
	s_waitcnt lgkmcnt(0)
	v_cmp_eq_f64_e64 s[20:21], s[16:17], 0
	v_cmp_neq_f64_e64 s[24:25], s[16:17], 0
	s_and_b64 vcc, exec, s[20:21]
	s_mov_b64 s[20:21], 0
	s_cbranch_vccnz .LBB138_2
; %bb.1:
	s_add_u32 s14, s14, s22
	s_addc_u32 s15, s15, s23
	s_load_dwordx2 s[14:15], s[14:15], 0x0
	s_lshl_b64 s[8:9], s[8:9], 3
	s_waitcnt lgkmcnt(0)
	s_add_u32 s20, s14, s8
	s_addc_u32 s21, s15, s9
.LBB138_2:
	s_load_dwordx2 s[70:71], s[6:7], 0x0
	s_andn2_b64 vcc, exec, s[24:25]
	s_cbranch_vccnz .LBB138_4
; %bb.3:
	s_add_u32 s6, s10, s22
	s_addc_u32 s7, s11, s23
	s_load_dwordx2 s[6:7], s[6:7], 0x0
	s_lshl_b64 s[4:5], s[4:5], 3
	s_waitcnt lgkmcnt(0)
	s_add_u32 s18, s6, s4
	s_addc_u32 s19, s7, s5
.LBB138_4:
	s_load_dwordx4 s[4:7], s[0:1], 0x60
	s_waitcnt lgkmcnt(0)
	v_cmp_eq_f64_e64 s[8:9], s[70:71], 0
	s_mov_b64 s[76:77], 0
	v_cmp_neq_f64_e64 s[10:11], s[70:71], 0
	s_and_b64 vcc, exec, s[8:9]
	s_cbranch_vccnz .LBB138_6
; %bb.5:
	s_add_u32 s8, s12, s22
	s_addc_u32 s9, s13, s23
	s_load_dwordx2 s[8:9], s[8:9], 0x0
	s_lshl_b64 s[4:5], s[4:5], 3
	s_waitcnt lgkmcnt(0)
	s_add_u32 s76, s8, s4
	s_addc_u32 s77, s9, s5
.LBB138_6:
	s_load_dwordx4 s[72:75], s[0:1], 0x0
	s_load_dword s27, s[0:1], 0x20
	s_add_u32 s12, s6, s22
	s_addc_u32 s13, s7, s23
	v_bfe_u32 v146, v0, 10, 10
	s_waitcnt lgkmcnt(0)
	s_add_i32 s3, s72, -1
	s_ashr_i32 s4, s3, 31
	s_lshr_b32 s4, s4, 25
	s_add_i32 s3, s3, s4
	s_ashr_i32 s3, s3, 7
	s_add_i32 s4, s3, 1
	v_cvt_f32_u32_e32 v1, s4
	s_not_b32 s3, s3
	v_bfe_u32 v2, v0, 2, 8
	v_add_u32_e32 v137, v2, v146
	v_rcp_iflag_f32_e32 v1, v1
	v_and_b32_e32 v148, 3, v0
	v_cmp_le_i32_e32 vcc, s74, v148
	v_cmp_eq_f64_e64 s[14:15], s[16:17], 0
	v_mul_f32_e32 v1, 0x4f7ffffe, v1
	v_cvt_u32_f32_e32 v1, v1
	v_mov_b64_e32 v[2:3], 0
	v_mov_b64_e32 v[4:5], 0
	v_readfirstlane_b32 s5, v1
	s_mul_i32 s3, s3, s5
	s_mul_hi_u32 s3, s5, s3
	s_add_i32 s5, s5, s3
	s_mul_hi_u32 s3, s2, s5
	s_mul_i32 s5, s3, s4
	s_sub_i32 s5, s2, s5
	s_add_i32 s6, s3, 1
	s_sub_i32 s7, s5, s4
	s_cmp_ge_u32 s5, s4
	s_cselect_b32 s3, s6, s3
	s_cselect_b32 s5, s7, s5
	s_add_i32 s6, s3, 1
	s_cmp_ge_u32 s5, s4
	s_cselect_b32 s8, s6, s3
	s_mul_i32 s3, s8, s4
	s_sub_i32 s2, s2, s3
	s_lshl_b32 s24, s2, 7
	s_add_i32 s26, s74, -1
	v_add_u32_e32 v136, s24, v137
	v_min_i32_e32 v6, s26, v148
	v_cmp_le_i32_e64 s[2:3], s72, v136
	v_ashrrev_i32_e32 v7, 31, v6
	s_or_b64 s[4:5], vcc, s[2:3]
	v_lshl_add_u64 v[8:9], v[6:7], 3, s[20:21]
	s_nor_b64 s[6:7], s[14:15], s[4:5]
	s_and_saveexec_b64 s[4:5], s[6:7]
	s_cbranch_execz .LBB138_8
; %bb.7:
	v_mad_i64_i32 v[4:5], s[6:7], v136, s27, 0
	v_lshl_add_u64 v[4:5], v[4:5], 3, v[8:9]
	flat_load_dwordx2 v[4:5], v[4:5]
	s_waitcnt vmcnt(0) lgkmcnt(0)
	v_mul_f64 v[4:5], s[16:17], v[4:5]
.LBB138_8:
	s_or_b64 exec, exec, s[4:5]
	v_add_u32_e32 v138, 64, v136
	v_cmp_le_i32_e64 s[4:5], s72, v138
	s_or_b64 s[6:7], vcc, s[4:5]
	s_nor_b64 s[22:23], s[14:15], s[6:7]
	s_and_saveexec_b64 s[6:7], s[22:23]
	s_cbranch_execz .LBB138_10
; %bb.9:
	v_mad_i64_i32 v[2:3], s[22:23], v138, s27, 0
	v_lshl_add_u64 v[2:3], v[2:3], 3, v[8:9]
	flat_load_dwordx2 v[2:3], v[2:3]
	s_waitcnt vmcnt(0) lgkmcnt(0)
	v_mul_f64 v[2:3], s[16:17], v[2:3]
.LBB138_10:
	s_or_b64 exec, exec, s[6:7]
	s_load_dword s28, s[0:1], 0x38
	s_lshl_b32 s25, s8, 7
	v_add_u32_e32 v139, s25, v137
	v_cmp_le_i32_e64 s[6:7], s73, v139
	s_or_b64 s[8:9], vcc, s[6:7]
	v_lshl_add_u64 v[10:11], v[6:7], 3, s[18:19]
	s_nor_b64 s[22:23], s[14:15], s[8:9]
	v_mov_b64_e32 v[6:7], 0
	v_mov_b64_e32 v[8:9], 0
	s_and_saveexec_b64 s[8:9], s[22:23]
	s_cbranch_execz .LBB138_12
; %bb.11:
	s_waitcnt lgkmcnt(0)
	v_mad_i64_i32 v[8:9], s[22:23], v139, s28, 0
	v_lshl_add_u64 v[8:9], v[8:9], 3, v[10:11]
	flat_load_dwordx2 v[8:9], v[8:9]
	s_waitcnt vmcnt(0) lgkmcnt(0)
	v_mul_f64 v[8:9], s[16:17], v[8:9]
.LBB138_12:
	s_or_b64 exec, exec, s[8:9]
	v_add_u32_e32 v140, 64, v139
	v_cmp_le_i32_e64 s[8:9], s73, v140
	s_or_b64 s[22:23], vcc, s[8:9]
	s_nor_b64 s[30:31], s[14:15], s[22:23]
	s_and_saveexec_b64 s[22:23], s[30:31]
	s_cbranch_execz .LBB138_14
; %bb.13:
	s_waitcnt lgkmcnt(0)
	v_mad_i64_i32 v[6:7], s[30:31], v140, s28, 0
	v_lshl_add_u64 v[6:7], v[6:7], 3, v[10:11]
	flat_load_dwordx2 v[6:7], v[6:7]
	s_waitcnt vmcnt(0) lgkmcnt(0)
	v_mul_f64 v[6:7], s[16:17], v[6:7]
.LBB138_14:
	s_or_b64 exec, exec, s[22:23]
	v_or_b32_e32 v1, 4, v148
	v_cmp_le_i32_e32 vcc, s74, v1
	v_min_i32_e32 v10, s26, v1
	v_ashrrev_i32_e32 v11, 31, v10
	s_or_b64 s[22:23], vcc, s[2:3]
	v_lshl_add_u64 v[12:13], v[10:11], 3, s[20:21]
	s_nor_b64 s[30:31], s[14:15], s[22:23]
	v_mov_b64_e32 v[128:129], 0
	v_mov_b64_e32 v[130:131], 0
	s_and_saveexec_b64 s[22:23], s[30:31]
	s_cbranch_execz .LBB138_16
; %bb.15:
	v_mad_i64_i32 v[14:15], s[30:31], v136, s27, 0
	v_lshl_add_u64 v[14:15], v[14:15], 3, v[12:13]
	flat_load_dwordx2 v[14:15], v[14:15]
	s_waitcnt vmcnt(0) lgkmcnt(0)
	v_mul_f64 v[130:131], s[16:17], v[14:15]
.LBB138_16:
	s_or_b64 exec, exec, s[22:23]
	s_or_b64 s[22:23], vcc, s[4:5]
	s_nor_b64 s[30:31], s[14:15], s[22:23]
	s_and_saveexec_b64 s[22:23], s[30:31]
	s_cbranch_execz .LBB138_18
; %bb.17:
	v_mad_i64_i32 v[14:15], s[30:31], v138, s27, 0
	v_lshl_add_u64 v[12:13], v[14:15], 3, v[12:13]
	flat_load_dwordx2 v[12:13], v[12:13]
	s_waitcnt vmcnt(0) lgkmcnt(0)
	v_mul_f64 v[128:129], s[16:17], v[12:13]
.LBB138_18:
	s_or_b64 exec, exec, s[22:23]
	s_or_b64 s[22:23], vcc, s[6:7]
	v_lshl_add_u64 v[10:11], v[10:11], 3, s[18:19]
	s_nor_b64 s[30:31], s[14:15], s[22:23]
	v_mov_b64_e32 v[132:133], 0
	v_mov_b64_e32 v[134:135], 0
	s_and_saveexec_b64 s[22:23], s[30:31]
	s_cbranch_execz .LBB138_20
; %bb.19:
	s_waitcnt lgkmcnt(0)
	v_mad_i64_i32 v[12:13], s[30:31], v139, s28, 0
	v_lshl_add_u64 v[12:13], v[12:13], 3, v[10:11]
	flat_load_dwordx2 v[12:13], v[12:13]
	s_waitcnt vmcnt(0) lgkmcnt(0)
	v_mul_f64 v[134:135], s[16:17], v[12:13]
.LBB138_20:
	s_or_b64 exec, exec, s[22:23]
	s_load_dwordx2 s[12:13], s[12:13], 0x0
	s_or_b64 s[22:23], vcc, s[8:9]
	v_and_b32_e32 v147, 0x3ff, v0
	s_nor_b64 s[30:31], s[14:15], s[22:23]
	s_and_saveexec_b64 s[22:23], s[30:31]
	s_cbranch_execz .LBB138_22
; %bb.21:
	s_waitcnt lgkmcnt(0)
	v_mad_i64_i32 v[0:1], s[30:31], v140, s28, 0
	v_lshl_add_u64 v[0:1], v[0:1], 3, v[10:11]
	flat_load_dwordx2 v[0:1], v[0:1]
	s_waitcnt vmcnt(0) lgkmcnt(0)
	v_mul_f64 v[132:133], s[16:17], v[0:1]
.LBB138_22:
	s_or_b64 exec, exec, s[22:23]
	v_lshlrev_b32_e32 v0, 5, v137
	v_lshl_or_b32 v150, v148, 3, v0
	v_lshlrev_b32_e32 v141, 5, v146
	ds_write2st64_b64 v150, v[4:5], v[2:3] offset1:4
	v_add_u32_e32 v151, 0x2000, v150
	ds_write2st64_b64 v150, v[8:9], v[6:7] offset0:16 offset1:20
	v_lshlrev_b32_e32 v152, 5, v147
	v_add_u32_e32 v153, 0x2000, v141
	v_mov_b64_e32 v[126:127], 0
	s_mov_b32 s22, 0
	v_mov_b64_e32 v[124:125], 0
	v_mov_b64_e32 v[122:123], 0
	;; [unrolled: 1-line block ×63, first 2 shown]
	s_waitcnt lgkmcnt(0)
	s_barrier
.LBB138_23:                             ; =>This Inner Loop Header: Depth=1
	v_add_u32_e32 v149, s22, v152
	v_add_u32_e32 v182, s22, v153
	ds_read2_b64 v[142:145], v149 offset1:16
	ds_read2_b64 v[154:157], v149 offset0:32 offset1:48
	ds_read2_b64 v[158:161], v149 offset0:64 offset1:80
	ds_read2_b64 v[162:165], v149 offset0:96 offset1:112
	ds_read2_b64 v[166:169], v149 offset0:128 offset1:144
	ds_read2_b64 v[170:173], v149 offset0:160 offset1:176
	ds_read2_b64 v[174:177], v149 offset0:192 offset1:208
	ds_read2_b64 v[178:181], v149 offset0:224 offset1:240
	ds_read2st64_b64 v[182:185], v182 offset1:4
	v_add_u32_e32 v149, 0x800, v149
	ds_read2_b64 v[186:189], v149 offset1:16
	ds_read2_b64 v[190:193], v149 offset0:32 offset1:48
	ds_read2_b64 v[194:197], v149 offset0:64 offset1:80
	;; [unrolled: 1-line block ×7, first 2 shown]
	s_waitcnt lgkmcnt(14)
	v_max_f64 v[142:143], v[142:143], v[142:143]
	v_max_f64 v[144:145], v[144:145], v[144:145]
	;; [unrolled: 1-line block ×6, first 2 shown]
	s_waitcnt lgkmcnt(13)
	v_max_f64 v[162:163], v[162:163], v[162:163]
	v_max_f64 v[164:165], v[164:165], v[164:165]
	s_waitcnt lgkmcnt(12)
	v_max_f64 v[166:167], v[166:167], v[166:167]
	v_max_f64 v[168:169], v[168:169], v[168:169]
	;; [unrolled: 3-line block ×14, first 2 shown]
	v_min_f64 v[218:219], v[142:143], v[182:183]
	v_min_f64 v[220:221], v[144:145], v[182:183]
	;; [unrolled: 1-line block ×32, first 2 shown]
	s_add_i32 s22, s22, 8
	v_add_f64 v[62:63], v[62:63], v[142:143]
	v_add_f64 v[60:61], v[60:61], v[144:145]
	;; [unrolled: 1-line block ×16, first 2 shown]
	v_min_f64 v[142:143], v[186:187], v[182:183]
	v_min_f64 v[144:145], v[188:189], v[182:183]
	;; [unrolled: 1-line block ×32, first 2 shown]
	s_cmp_eq_u32 s22, 32
	v_add_f64 v[126:127], v[126:127], v[218:219]
	v_add_f64 v[124:125], v[124:125], v[220:221]
	;; [unrolled: 1-line block ×48, first 2 shown]
	s_cbranch_scc0 .LBB138_23
; %bb.24:
	v_lshlrev_b32_e32 v142, 3, v148
	v_lshl_or_b32 v137, v137, 5, v142
	s_cmp_gt_i32 s74, 8
	ds_write2st64_b64 v137, v[130:131], v[128:129] offset0:8 offset1:12
	ds_write2st64_b64 v137, v[134:135], v[132:133] offset0:24 offset1:28
	s_waitcnt lgkmcnt(0)
	s_barrier
	s_cbranch_scc1 .LBB138_26
; %bb.25:
	v_add_u32_e32 v149, 0x3000, v141
	s_cbranch_execz .LBB138_27
	s_branch .LBB138_49
.LBB138_26:
                                        ; implicit-def: $vgpr149
.LBB138_27:
	s_or_b64 s[2:3], s[2:3], s[14:15]
	s_or_b64 s[4:5], s[4:5], s[14:15]
	;; [unrolled: 1-line block ×4, first 2 shown]
	v_mad_i64_i32 v[128:129], s[14:15], v136, s27, 0
	v_mov_b32_e32 v136, 0x1000
	v_add_u32_e32 v154, 0x1000, v137
	v_add_u32_e32 v155, 0x3000, v137
	s_add_i32 s22, s74, -8
	v_mad_i64_i32 v[130:131], s[14:15], v138, s27, 0
	v_mad_i64_i32 v[132:133], s[14:15], v139, s28, 0
	;; [unrolled: 1-line block ×3, first 2 shown]
	v_lshl_add_u32 v156, v147, 5, v136
	v_add_u32_e32 v149, 0x3000, v141
	s_mov_b32 s23, 8
	s_mov_b32 s27, 0
.LBB138_28:                             ; =>This Loop Header: Depth=1
                                        ;     Child Loop BB138_37 Depth 2
                                        ;     Child Loop BB138_47 Depth 2
	v_or_b32_e32 v157, s23, v148
	v_min_i32_e32 v140, s26, v157
	v_cmp_le_i32_e32 vcc, s74, v157
	v_ashrrev_i32_e32 v141, 31, v140
	v_lshl_add_u64 v[142:143], v[140:141], 3, s[20:21]
	s_nor_b64 s[28:29], vcc, s[2:3]
	v_mov_b64_e32 v[136:137], 0
	v_mov_b64_e32 v[138:139], 0
	s_and_saveexec_b64 s[14:15], s[28:29]
	s_cbranch_execz .LBB138_30
; %bb.29:                               ;   in Loop: Header=BB138_28 Depth=1
	v_lshl_add_u64 v[138:139], v[128:129], 3, v[142:143]
	flat_load_dwordx2 v[138:139], v[138:139]
	s_waitcnt vmcnt(0) lgkmcnt(0)
	v_mul_f64 v[138:139], s[16:17], v[138:139]
.LBB138_30:                             ;   in Loop: Header=BB138_28 Depth=1
	s_or_b64 exec, exec, s[14:15]
	s_nor_b64 s[28:29], vcc, s[4:5]
	s_and_saveexec_b64 s[14:15], s[28:29]
	s_cbranch_execz .LBB138_32
; %bb.31:                               ;   in Loop: Header=BB138_28 Depth=1
	v_lshl_add_u64 v[136:137], v[130:131], 3, v[142:143]
	flat_load_dwordx2 v[136:137], v[136:137]
	s_waitcnt vmcnt(0) lgkmcnt(0)
	v_mul_f64 v[136:137], s[16:17], v[136:137]
.LBB138_32:                             ;   in Loop: Header=BB138_28 Depth=1
	s_or_b64 exec, exec, s[14:15]
	v_lshl_add_u64 v[144:145], v[140:141], 3, s[18:19]
	s_nor_b64 s[28:29], vcc, s[6:7]
	v_mov_b64_e32 v[140:141], 0
	v_mov_b64_e32 v[142:143], 0
	s_and_saveexec_b64 s[14:15], s[28:29]
	s_cbranch_execz .LBB138_34
; %bb.33:                               ;   in Loop: Header=BB138_28 Depth=1
	v_lshl_add_u64 v[142:143], v[132:133], 3, v[144:145]
	flat_load_dwordx2 v[142:143], v[142:143]
	s_waitcnt vmcnt(0) lgkmcnt(0)
	v_mul_f64 v[142:143], s[16:17], v[142:143]
.LBB138_34:                             ;   in Loop: Header=BB138_28 Depth=1
	s_or_b64 exec, exec, s[14:15]
	s_nor_b64 s[28:29], vcc, s[8:9]
	s_and_saveexec_b64 s[14:15], s[28:29]
	s_cbranch_execz .LBB138_36
; %bb.35:                               ;   in Loop: Header=BB138_28 Depth=1
	v_lshl_add_u64 v[140:141], v[134:135], 3, v[144:145]
	flat_load_dwordx2 v[140:141], v[140:141]
	s_waitcnt vmcnt(0) lgkmcnt(0)
	v_mul_f64 v[140:141], s[16:17], v[140:141]
.LBB138_36:                             ;   in Loop: Header=BB138_28 Depth=1
	s_or_b64 exec, exec, s[14:15]
	s_mov_b32 s14, 0
.LBB138_37:                             ;   Parent Loop BB138_28 Depth=1
                                        ; =>  This Inner Loop Header: Depth=2
	v_add_u32_e32 v144, s14, v156
	ds_read2_b64 v[158:161], v144 offset1:16
	ds_read2_b64 v[162:165], v144 offset0:32 offset1:48
	ds_read2_b64 v[166:169], v144 offset0:64 offset1:80
	;; [unrolled: 1-line block ×7, first 2 shown]
	v_add_u32_e32 v144, 0x800, v144
	ds_read2_b64 v[190:193], v144 offset1:16
	ds_read2_b64 v[194:197], v144 offset0:32 offset1:48
	ds_read2_b64 v[198:201], v144 offset0:64 offset1:80
	;; [unrolled: 1-line block ×7, first 2 shown]
	v_add_u32_e32 v144, s14, v149
	ds_read2st64_b64 v[222:225], v144 offset1:4
	s_waitcnt lgkmcnt(14)
	v_max_f64 v[158:159], v[158:159], v[158:159]
	v_max_f64 v[160:161], v[160:161], v[160:161]
	;; [unrolled: 1-line block ×4, first 2 shown]
	s_waitcnt lgkmcnt(0)
	v_max_f64 v[144:145], v[222:223], v[222:223]
	v_min_f64 v[222:223], v[158:159], v[144:145]
	v_add_f64 v[126:127], v[126:127], v[222:223]
	v_min_f64 v[222:223], v[160:161], v[144:145]
	v_add_f64 v[124:125], v[124:125], v[222:223]
	;; [unrolled: 2-line block ×3, first 2 shown]
	v_min_f64 v[222:223], v[164:165], v[144:145]
	v_max_f64 v[166:167], v[166:167], v[166:167]
	v_add_f64 v[120:121], v[120:121], v[222:223]
	v_min_f64 v[222:223], v[166:167], v[144:145]
	v_max_f64 v[168:169], v[168:169], v[168:169]
	v_add_f64 v[118:119], v[118:119], v[222:223]
	;; [unrolled: 3-line block ×26, first 2 shown]
	v_min_f64 v[222:223], v[216:217], v[144:145]
	v_max_f64 v[218:219], v[218:219], v[218:219]
	v_max_f64 v[220:221], v[220:221], v[220:221]
	v_add_f64 v[68:69], v[68:69], v[222:223]
	v_min_f64 v[222:223], v[218:219], v[144:145]
	v_min_f64 v[144:145], v[220:221], v[144:145]
	v_add_f64 v[64:65], v[64:65], v[144:145]
	v_max_f64 v[144:145], v[224:225], v[224:225]
	v_min_f64 v[158:159], v[158:159], v[144:145]
	v_add_f64 v[62:63], v[62:63], v[158:159]
	v_min_f64 v[158:159], v[160:161], v[144:145]
	v_add_f64 v[60:61], v[60:61], v[158:159]
	;; [unrolled: 2-line block ×30, first 2 shown]
	v_min_f64 v[158:159], v[218:219], v[144:145]
	v_min_f64 v[144:145], v[220:221], v[144:145]
	s_add_i32 s14, s14, 8
	v_add_f64 v[66:67], v[66:67], v[222:223]
	v_add_f64 v[2:3], v[2:3], v[158:159]
	;; [unrolled: 1-line block ×3, first 2 shown]
	s_cmp_eq_u32 s14, 32
	s_cbranch_scc0 .LBB138_37
; %bb.38:                               ;   in Loop: Header=BB138_28 Depth=1
	ds_write2st64_b64 v150, v[138:139], v[136:137] offset1:4
	ds_write2st64_b64 v151, v[142:143], v[140:141] offset1:4
	v_or_b32_e32 v136, 4, v157
	v_min_i32_e32 v140, s26, v136
	v_cmp_le_i32_e32 vcc, s74, v136
	v_ashrrev_i32_e32 v141, 31, v140
	v_lshl_add_u64 v[142:143], v[140:141], 3, s[20:21]
	s_nor_b64 s[28:29], vcc, s[2:3]
	v_mov_b64_e32 v[136:137], 0
	v_mov_b64_e32 v[138:139], 0
	s_waitcnt lgkmcnt(0)
	s_barrier
	s_and_saveexec_b64 s[14:15], s[28:29]
	s_cbranch_execz .LBB138_40
; %bb.39:                               ;   in Loop: Header=BB138_28 Depth=1
	v_lshl_add_u64 v[138:139], v[128:129], 3, v[142:143]
	flat_load_dwordx2 v[138:139], v[138:139]
	s_waitcnt vmcnt(0) lgkmcnt(0)
	v_mul_f64 v[138:139], s[16:17], v[138:139]
.LBB138_40:                             ;   in Loop: Header=BB138_28 Depth=1
	s_or_b64 exec, exec, s[14:15]
	s_nor_b64 s[28:29], vcc, s[4:5]
	s_and_saveexec_b64 s[14:15], s[28:29]
	s_cbranch_execz .LBB138_42
; %bb.41:                               ;   in Loop: Header=BB138_28 Depth=1
	v_lshl_add_u64 v[136:137], v[130:131], 3, v[142:143]
	flat_load_dwordx2 v[136:137], v[136:137]
	s_waitcnt vmcnt(0) lgkmcnt(0)
	v_mul_f64 v[136:137], s[16:17], v[136:137]
.LBB138_42:                             ;   in Loop: Header=BB138_28 Depth=1
	s_or_b64 exec, exec, s[14:15]
	v_lshl_add_u64 v[144:145], v[140:141], 3, s[18:19]
	s_nor_b64 s[28:29], vcc, s[6:7]
	v_mov_b64_e32 v[140:141], 0
	v_mov_b64_e32 v[142:143], 0
	s_and_saveexec_b64 s[14:15], s[28:29]
	s_cbranch_execz .LBB138_44
; %bb.43:                               ;   in Loop: Header=BB138_28 Depth=1
	v_lshl_add_u64 v[142:143], v[132:133], 3, v[144:145]
	flat_load_dwordx2 v[142:143], v[142:143]
	s_waitcnt vmcnt(0) lgkmcnt(0)
	v_mul_f64 v[142:143], s[16:17], v[142:143]
.LBB138_44:                             ;   in Loop: Header=BB138_28 Depth=1
	s_or_b64 exec, exec, s[14:15]
	s_nor_b64 s[28:29], vcc, s[8:9]
	s_and_saveexec_b64 s[14:15], s[28:29]
	s_cbranch_execz .LBB138_46
; %bb.45:                               ;   in Loop: Header=BB138_28 Depth=1
	v_lshl_add_u64 v[140:141], v[134:135], 3, v[144:145]
	flat_load_dwordx2 v[140:141], v[140:141]
	s_waitcnt vmcnt(0) lgkmcnt(0)
	v_mul_f64 v[140:141], s[16:17], v[140:141]
.LBB138_46:                             ;   in Loop: Header=BB138_28 Depth=1
	s_or_b64 exec, exec, s[14:15]
	s_mov_b32 s14, 0
.LBB138_47:                             ;   Parent Loop BB138_28 Depth=1
                                        ; =>  This Inner Loop Header: Depth=2
	v_add_u32_e32 v144, s14, v152
	ds_read2_b64 v[158:161], v144 offset1:16
	ds_read2_b64 v[162:165], v144 offset0:32 offset1:48
	ds_read2_b64 v[166:169], v144 offset0:64 offset1:80
	;; [unrolled: 1-line block ×7, first 2 shown]
	v_add_u32_e32 v144, 0x800, v144
	ds_read2_b64 v[190:193], v144 offset1:16
	ds_read2_b64 v[194:197], v144 offset0:32 offset1:48
	ds_read2_b64 v[198:201], v144 offset0:64 offset1:80
	;; [unrolled: 1-line block ×7, first 2 shown]
	v_add_u32_e32 v144, s14, v153
	ds_read2st64_b64 v[222:225], v144 offset1:4
	s_waitcnt lgkmcnt(14)
	v_max_f64 v[158:159], v[158:159], v[158:159]
	v_max_f64 v[160:161], v[160:161], v[160:161]
	;; [unrolled: 1-line block ×4, first 2 shown]
	s_waitcnt lgkmcnt(0)
	v_max_f64 v[144:145], v[222:223], v[222:223]
	v_min_f64 v[222:223], v[158:159], v[144:145]
	v_add_f64 v[126:127], v[126:127], v[222:223]
	v_min_f64 v[222:223], v[160:161], v[144:145]
	v_add_f64 v[124:125], v[124:125], v[222:223]
	;; [unrolled: 2-line block ×3, first 2 shown]
	v_min_f64 v[222:223], v[164:165], v[144:145]
	v_max_f64 v[166:167], v[166:167], v[166:167]
	v_add_f64 v[120:121], v[120:121], v[222:223]
	v_min_f64 v[222:223], v[166:167], v[144:145]
	v_max_f64 v[168:169], v[168:169], v[168:169]
	v_add_f64 v[118:119], v[118:119], v[222:223]
	;; [unrolled: 3-line block ×26, first 2 shown]
	v_min_f64 v[222:223], v[216:217], v[144:145]
	v_max_f64 v[218:219], v[218:219], v[218:219]
	v_max_f64 v[220:221], v[220:221], v[220:221]
	v_add_f64 v[68:69], v[68:69], v[222:223]
	v_min_f64 v[222:223], v[218:219], v[144:145]
	v_min_f64 v[144:145], v[220:221], v[144:145]
	v_add_f64 v[64:65], v[64:65], v[144:145]
	v_max_f64 v[144:145], v[224:225], v[224:225]
	v_min_f64 v[158:159], v[158:159], v[144:145]
	v_add_f64 v[62:63], v[62:63], v[158:159]
	v_min_f64 v[158:159], v[160:161], v[144:145]
	v_add_f64 v[60:61], v[60:61], v[158:159]
	;; [unrolled: 2-line block ×30, first 2 shown]
	v_min_f64 v[158:159], v[218:219], v[144:145]
	v_min_f64 v[144:145], v[220:221], v[144:145]
	s_add_i32 s14, s14, 8
	v_add_f64 v[66:67], v[66:67], v[222:223]
	v_add_f64 v[2:3], v[2:3], v[158:159]
	;; [unrolled: 1-line block ×3, first 2 shown]
	s_cmp_eq_u32 s14, 32
	s_cbranch_scc0 .LBB138_47
; %bb.48:                               ;   in Loop: Header=BB138_28 Depth=1
	s_add_i32 s23, s23, 8
	s_add_i32 s27, s27, 8
	s_cmp_ge_i32 s27, s22
	ds_write2st64_b64 v154, v[138:139], v[136:137] offset1:4
	ds_write2st64_b64 v155, v[142:143], v[140:141] offset1:4
	s_waitcnt lgkmcnt(0)
	s_barrier
	s_cbranch_scc0 .LBB138_28
.LBB138_49:
	v_mov_b32_e32 v128, 0x1000
	v_lshl_add_u32 v128, v147, 5, v128
	s_mov_b32 s2, 0
.LBB138_50:                             ; =>This Inner Loop Header: Depth=1
	v_add_u32_e32 v129, s2, v128
	v_add_u32_e32 v148, s2, v149
	ds_read2_b64 v[130:133], v129 offset1:16
	ds_read2_b64 v[134:137], v129 offset0:32 offset1:48
	ds_read2_b64 v[138:141], v129 offset0:64 offset1:80
	;; [unrolled: 1-line block ×7, first 2 shown]
	v_add_u32_e32 v129, 0x800, v129
	ds_read2st64_b64 v[166:169], v148 offset1:4
	ds_read2_b64 v[170:173], v129 offset1:16
	ds_read2_b64 v[174:177], v129 offset0:32 offset1:48
	ds_read2_b64 v[178:181], v129 offset0:64 offset1:80
	;; [unrolled: 1-line block ×7, first 2 shown]
	s_waitcnt lgkmcnt(14)
	v_max_f64 v[130:131], v[130:131], v[130:131]
	v_max_f64 v[132:133], v[132:133], v[132:133]
	;; [unrolled: 1-line block ×3, first 2 shown]
	s_waitcnt lgkmcnt(8)
	v_max_f64 v[166:167], v[166:167], v[166:167]
	v_max_f64 v[136:137], v[136:137], v[136:137]
	;; [unrolled: 1-line block ×15, first 2 shown]
	v_min_f64 v[202:203], v[130:131], v[166:167]
	v_min_f64 v[204:205], v[132:133], v[166:167]
	;; [unrolled: 1-line block ×16, first 2 shown]
	s_waitcnt lgkmcnt(7)
	v_max_f64 v[170:171], v[170:171], v[170:171]
	v_max_f64 v[172:173], v[172:173], v[172:173]
	s_waitcnt lgkmcnt(6)
	v_max_f64 v[174:175], v[174:175], v[174:175]
	v_max_f64 v[176:177], v[176:177], v[176:177]
	;; [unrolled: 3-line block ×8, first 2 shown]
	v_min_f64 v[130:131], v[130:131], v[168:169]
	v_min_f64 v[132:133], v[132:133], v[168:169]
	;; [unrolled: 1-line block ×16, first 2 shown]
	s_add_i32 s2, s2, 8
	v_add_f64 v[126:127], v[126:127], v[202:203]
	v_add_f64 v[124:125], v[124:125], v[204:205]
	;; [unrolled: 1-line block ×15, first 2 shown]
	v_min_f64 v[202:203], v[170:171], v[166:167]
	v_min_f64 v[204:205], v[172:173], v[166:167]
	;; [unrolled: 1-line block ×16, first 2 shown]
	v_add_f64 v[62:63], v[62:63], v[130:131]
	v_add_f64 v[60:61], v[60:61], v[132:133]
	;; [unrolled: 1-line block ×16, first 2 shown]
	v_min_f64 v[130:131], v[170:171], v[168:169]
	v_min_f64 v[132:133], v[172:173], v[168:169]
	;; [unrolled: 1-line block ×16, first 2 shown]
	s_cmp_eq_u32 s2, 32
	v_add_f64 v[96:97], v[96:97], v[232:233]
	v_add_f64 v[94:95], v[94:95], v[202:203]
	;; [unrolled: 1-line block ×33, first 2 shown]
	s_cbranch_scc0 .LBB138_50
; %bb.51:
	s_load_dwordx2 s[2:3], s[0:1], 0x78
	s_load_dword s78, s[0:1], 0x58
	s_load_dword s33, s[0:1], 0x70
	v_add_u32_e32 v136, s25, v146
	v_add_u32_e32 v128, s24, v147
	s_waitcnt lgkmcnt(0)
	s_lshl_b64 s[0:1], s[2:3], 3
	s_add_u32 s74, s12, s0
	s_addc_u32 s75, s13, s1
	v_mad_i64_i32 v[130:131], s[0:1], v136, s78, 0
	v_cmp_gt_i32_e64 s[24:25], s73, v136
	v_lshl_add_u64 v[132:133], v[130:131], 3, s[76:77]
	v_mad_i64_i32 v[130:131], s[0:1], v136, s33, 0
	v_cmp_gt_i32_e64 s[2:3], s72, v128
	v_cndmask_b32_e64 v134, 0, 1, s[10:11]
	v_lshl_add_u64 v[130:131], v[130:131], 3, s[74:75]
	s_and_b64 s[6:7], s[24:25], s[2:3]
	v_ashrrev_i32_e32 v129, 31, v128
	v_cmp_ne_u32_e64 s[0:1], 1, v134
	s_and_saveexec_b64 s[4:5], s[6:7]
	s_cbranch_execz .LBB138_56
; %bb.52:
	s_and_b64 vcc, exec, s[0:1]
	s_cbranch_vccnz .LBB138_54
; %bb.53:
	v_lshl_add_u64 v[134:135], v[128:129], 3, v[132:133]
	flat_load_dwordx2 v[134:135], v[134:135]
	s_waitcnt vmcnt(0) lgkmcnt(0)
	v_mul_f64 v[134:135], s[70:71], v[134:135]
	s_branch .LBB138_55
.LBB138_54:
	v_mov_b64_e32 v[134:135], 0
.LBB138_55:
	v_add_f64 v[126:127], v[126:127], v[134:135]
	v_lshl_add_u64 v[134:135], v[128:129], 3, v[130:131]
	flat_store_dwordx2 v[134:135], v[126:127]
.LBB138_56:
	s_or_b64 exec, exec, s[4:5]
	v_add_u32_e32 v126, 4, v128
	v_cmp_gt_i32_e64 s[4:5], s72, v126
	s_and_b64 s[8:9], s[24:25], s[4:5]
	v_ashrrev_i32_e32 v127, 31, v126
	s_and_saveexec_b64 s[6:7], s[8:9]
	s_cbranch_execz .LBB138_61
; %bb.57:
	s_and_b64 vcc, exec, s[0:1]
	s_cbranch_vccnz .LBB138_59
; %bb.58:
	v_lshl_add_u64 v[134:135], v[126:127], 3, v[132:133]
	flat_load_dwordx2 v[134:135], v[134:135]
	s_waitcnt vmcnt(0) lgkmcnt(0)
	v_mul_f64 v[134:135], s[70:71], v[134:135]
	s_branch .LBB138_60
.LBB138_59:
	v_mov_b64_e32 v[134:135], 0
.LBB138_60:
	v_add_f64 v[124:125], v[124:125], v[134:135]
	v_lshl_add_u64 v[134:135], v[126:127], 3, v[130:131]
	flat_store_dwordx2 v[134:135], v[124:125]
.LBB138_61:
	s_or_b64 exec, exec, s[6:7]
	v_add_u32_e32 v124, 8, v128
	v_cmp_gt_i32_e64 s[6:7], s72, v124
	s_and_b64 s[10:11], s[24:25], s[6:7]
	v_ashrrev_i32_e32 v125, 31, v124
	;; [unrolled: 23-line block ×31, first 2 shown]
	s_and_saveexec_b64 s[24:25], s[80:81]
	s_cbranch_execz .LBB138_211
; %bb.207:
	s_and_b64 vcc, exec, s[0:1]
	s_cbranch_vccnz .LBB138_209
; %bb.208:
	v_lshl_add_u64 v[132:133], v[66:67], 3, v[132:133]
	flat_load_dwordx2 v[132:133], v[132:133]
	s_waitcnt vmcnt(0) lgkmcnt(0)
	v_mul_f64 v[132:133], s[70:71], v[132:133]
	s_branch .LBB138_210
.LBB138_209:
	v_mov_b64_e32 v[132:133], 0
.LBB138_210:
	v_add_f64 v[64:65], v[64:65], v[132:133]
	v_lshl_add_u64 v[130:131], v[66:67], 3, v[130:131]
	flat_store_dwordx2 v[130:131], v[64:65]
.LBB138_211:
	s_or_b64 exec, exec, s[24:25]
	v_add_u32_e32 v132, 64, v136
	v_cmp_gt_i32_e64 s[24:25], s73, v132
	v_mad_i64_i32 v[64:65], s[72:73], v132, s78, 0
	v_lshl_add_u64 v[130:131], v[64:65], 3, s[76:77]
	v_mad_i64_i32 v[64:65], s[72:73], v132, s33, 0
	v_lshl_add_u64 v[64:65], v[64:65], 3, s[74:75]
	s_and_b64 s[2:3], s[24:25], s[2:3]
	s_and_saveexec_b64 s[72:73], s[2:3]
	s_xor_b64 s[2:3], exec, s[72:73]
	s_cbranch_execnz .LBB138_244
; %bb.212:
	s_or_b64 exec, exec, s[2:3]
	s_and_b64 s[4:5], s[24:25], s[4:5]
	s_and_saveexec_b64 s[2:3], s[4:5]
	s_cbranch_execnz .LBB138_248
.LBB138_213:
	s_or_b64 exec, exec, s[2:3]
	s_and_b64 s[4:5], s[24:25], s[6:7]
	s_and_saveexec_b64 s[2:3], s[4:5]
	s_cbranch_execnz .LBB138_252
.LBB138_214:
	s_or_b64 exec, exec, s[2:3]
	s_and_b64 s[4:5], s[24:25], s[8:9]
	s_and_saveexec_b64 s[2:3], s[4:5]
	s_cbranch_execnz .LBB138_256
.LBB138_215:
	s_or_b64 exec, exec, s[2:3]
	s_and_b64 s[4:5], s[24:25], s[10:11]
	s_and_saveexec_b64 s[2:3], s[4:5]
	s_cbranch_execnz .LBB138_260
.LBB138_216:
	s_or_b64 exec, exec, s[2:3]
	s_and_b64 s[4:5], s[24:25], s[12:13]
	s_and_saveexec_b64 s[2:3], s[4:5]
	s_cbranch_execnz .LBB138_264
.LBB138_217:
	s_or_b64 exec, exec, s[2:3]
	s_and_b64 s[4:5], s[24:25], s[14:15]
	s_and_saveexec_b64 s[2:3], s[4:5]
	s_cbranch_execnz .LBB138_268
.LBB138_218:
	s_or_b64 exec, exec, s[2:3]
	s_and_b64 s[4:5], s[24:25], s[16:17]
	s_and_saveexec_b64 s[2:3], s[4:5]
	s_cbranch_execnz .LBB138_272
.LBB138_219:
	s_or_b64 exec, exec, s[2:3]
	s_and_b64 s[4:5], s[24:25], s[18:19]
	s_and_saveexec_b64 s[2:3], s[4:5]
	s_cbranch_execnz .LBB138_276
.LBB138_220:
	s_or_b64 exec, exec, s[2:3]
	s_and_b64 s[4:5], s[24:25], s[20:21]
	s_and_saveexec_b64 s[2:3], s[4:5]
	s_cbranch_execnz .LBB138_280
.LBB138_221:
	s_or_b64 exec, exec, s[2:3]
	s_and_b64 s[4:5], s[24:25], s[22:23]
	s_and_saveexec_b64 s[2:3], s[4:5]
	s_cbranch_execnz .LBB138_284
.LBB138_222:
	s_or_b64 exec, exec, s[2:3]
	s_and_b64 s[4:5], s[24:25], s[26:27]
	s_and_saveexec_b64 s[2:3], s[4:5]
	s_cbranch_execnz .LBB138_288
.LBB138_223:
	s_or_b64 exec, exec, s[2:3]
	s_and_b64 s[4:5], s[24:25], s[28:29]
	s_and_saveexec_b64 s[2:3], s[4:5]
	s_cbranch_execnz .LBB138_292
.LBB138_224:
	s_or_b64 exec, exec, s[2:3]
	s_and_b64 s[4:5], s[24:25], s[30:31]
	s_and_saveexec_b64 s[2:3], s[4:5]
	s_cbranch_execnz .LBB138_296
.LBB138_225:
	s_or_b64 exec, exec, s[2:3]
	s_and_b64 s[4:5], s[24:25], s[34:35]
	s_and_saveexec_b64 s[2:3], s[4:5]
	s_cbranch_execnz .LBB138_300
.LBB138_226:
	s_or_b64 exec, exec, s[2:3]
	s_and_b64 s[4:5], s[24:25], s[36:37]
	s_and_saveexec_b64 s[2:3], s[4:5]
	s_cbranch_execnz .LBB138_304
.LBB138_227:
	s_or_b64 exec, exec, s[2:3]
	s_and_b64 s[4:5], s[24:25], s[38:39]
	s_and_saveexec_b64 s[2:3], s[4:5]
	s_cbranch_execnz .LBB138_308
.LBB138_228:
	s_or_b64 exec, exec, s[2:3]
	s_and_b64 s[4:5], s[24:25], s[40:41]
	s_and_saveexec_b64 s[2:3], s[4:5]
	s_cbranch_execnz .LBB138_312
.LBB138_229:
	s_or_b64 exec, exec, s[2:3]
	s_and_b64 s[4:5], s[24:25], s[42:43]
	s_and_saveexec_b64 s[2:3], s[4:5]
	s_cbranch_execnz .LBB138_316
.LBB138_230:
	s_or_b64 exec, exec, s[2:3]
	s_and_b64 s[4:5], s[24:25], s[44:45]
	s_and_saveexec_b64 s[2:3], s[4:5]
	s_cbranch_execnz .LBB138_320
.LBB138_231:
	s_or_b64 exec, exec, s[2:3]
	s_and_b64 s[4:5], s[24:25], s[46:47]
	s_and_saveexec_b64 s[2:3], s[4:5]
	s_cbranch_execnz .LBB138_324
.LBB138_232:
	s_or_b64 exec, exec, s[2:3]
	s_and_b64 s[4:5], s[24:25], s[48:49]
	s_and_saveexec_b64 s[2:3], s[4:5]
	s_cbranch_execnz .LBB138_328
.LBB138_233:
	s_or_b64 exec, exec, s[2:3]
	s_and_b64 s[4:5], s[24:25], s[50:51]
	s_and_saveexec_b64 s[2:3], s[4:5]
	s_cbranch_execnz .LBB138_332
.LBB138_234:
	s_or_b64 exec, exec, s[2:3]
	s_and_b64 s[4:5], s[24:25], s[52:53]
	s_and_saveexec_b64 s[2:3], s[4:5]
	s_cbranch_execnz .LBB138_336
.LBB138_235:
	s_or_b64 exec, exec, s[2:3]
	s_and_b64 s[4:5], s[24:25], s[54:55]
	s_and_saveexec_b64 s[2:3], s[4:5]
	s_cbranch_execnz .LBB138_340
.LBB138_236:
	s_or_b64 exec, exec, s[2:3]
	s_and_b64 s[4:5], s[24:25], s[56:57]
	s_and_saveexec_b64 s[2:3], s[4:5]
	s_cbranch_execnz .LBB138_344
.LBB138_237:
	s_or_b64 exec, exec, s[2:3]
	s_and_b64 s[4:5], s[24:25], s[58:59]
	s_and_saveexec_b64 s[2:3], s[4:5]
	s_cbranch_execnz .LBB138_348
.LBB138_238:
	s_or_b64 exec, exec, s[2:3]
	s_and_b64 s[4:5], s[24:25], s[60:61]
	s_and_saveexec_b64 s[2:3], s[4:5]
	s_cbranch_execnz .LBB138_352
.LBB138_239:
	s_or_b64 exec, exec, s[2:3]
	s_and_b64 s[4:5], s[24:25], s[62:63]
	s_and_saveexec_b64 s[2:3], s[4:5]
	s_cbranch_execnz .LBB138_356
.LBB138_240:
	s_or_b64 exec, exec, s[2:3]
	s_and_b64 s[4:5], s[24:25], s[64:65]
	s_and_saveexec_b64 s[2:3], s[4:5]
	s_cbranch_execnz .LBB138_360
.LBB138_241:
	s_or_b64 exec, exec, s[2:3]
	s_and_b64 s[4:5], s[24:25], s[66:67]
	s_and_saveexec_b64 s[2:3], s[4:5]
	s_cbranch_execnz .LBB138_364
.LBB138_242:
	s_or_b64 exec, exec, s[2:3]
	s_and_b64 s[2:3], s[24:25], s[68:69]
	s_and_saveexec_b64 s[4:5], s[2:3]
	s_cbranch_execnz .LBB138_368
.LBB138_243:
	s_endpgm
.LBB138_244:
	s_and_b64 vcc, exec, s[0:1]
	s_cbranch_vccnz .LBB138_246
; %bb.245:
	v_lshl_add_u64 v[132:133], v[128:129], 3, v[130:131]
	flat_load_dwordx2 v[132:133], v[132:133]
	s_waitcnt vmcnt(0) lgkmcnt(0)
	v_mul_f64 v[132:133], s[70:71], v[132:133]
	s_branch .LBB138_247
.LBB138_246:
	v_mov_b64_e32 v[132:133], 0
.LBB138_247:
	v_add_f64 v[62:63], v[62:63], v[132:133]
	v_lshl_add_u64 v[128:129], v[128:129], 3, v[64:65]
	flat_store_dwordx2 v[128:129], v[62:63]
	s_or_b64 exec, exec, s[2:3]
	s_and_b64 s[4:5], s[24:25], s[4:5]
	s_and_saveexec_b64 s[2:3], s[4:5]
	s_cbranch_execz .LBB138_213
.LBB138_248:
	s_and_b64 vcc, exec, s[0:1]
	s_cbranch_vccnz .LBB138_250
; %bb.249:
	v_lshl_add_u64 v[62:63], v[126:127], 3, v[130:131]
	flat_load_dwordx2 v[62:63], v[62:63]
	s_waitcnt vmcnt(0) lgkmcnt(0)
	v_mul_f64 v[62:63], s[70:71], v[62:63]
	s_branch .LBB138_251
.LBB138_250:
	v_mov_b64_e32 v[62:63], 0
.LBB138_251:
	v_add_f64 v[60:61], v[60:61], v[62:63]
	v_lshl_add_u64 v[62:63], v[126:127], 3, v[64:65]
	flat_store_dwordx2 v[62:63], v[60:61]
	s_or_b64 exec, exec, s[2:3]
	s_and_b64 s[4:5], s[24:25], s[6:7]
	s_and_saveexec_b64 s[2:3], s[4:5]
	s_cbranch_execz .LBB138_214
.LBB138_252:
	s_and_b64 vcc, exec, s[0:1]
	s_cbranch_vccnz .LBB138_254
; %bb.253:
	v_lshl_add_u64 v[60:61], v[124:125], 3, v[130:131]
	flat_load_dwordx2 v[60:61], v[60:61]
	s_waitcnt vmcnt(0) lgkmcnt(0)
	v_mul_f64 v[60:61], s[70:71], v[60:61]
	s_branch .LBB138_255
.LBB138_254:
	v_mov_b64_e32 v[60:61], 0
.LBB138_255:
	v_add_f64 v[58:59], v[58:59], v[60:61]
	v_lshl_add_u64 v[60:61], v[124:125], 3, v[64:65]
	flat_store_dwordx2 v[60:61], v[58:59]
	s_or_b64 exec, exec, s[2:3]
	s_and_b64 s[4:5], s[24:25], s[8:9]
	s_and_saveexec_b64 s[2:3], s[4:5]
	s_cbranch_execz .LBB138_215
.LBB138_256:
	s_and_b64 vcc, exec, s[0:1]
	s_cbranch_vccnz .LBB138_258
; %bb.257:
	v_lshl_add_u64 v[58:59], v[122:123], 3, v[130:131]
	flat_load_dwordx2 v[58:59], v[58:59]
	s_waitcnt vmcnt(0) lgkmcnt(0)
	v_mul_f64 v[58:59], s[70:71], v[58:59]
	s_branch .LBB138_259
.LBB138_258:
	v_mov_b64_e32 v[58:59], 0
.LBB138_259:
	v_add_f64 v[56:57], v[56:57], v[58:59]
	v_lshl_add_u64 v[58:59], v[122:123], 3, v[64:65]
	flat_store_dwordx2 v[58:59], v[56:57]
	s_or_b64 exec, exec, s[2:3]
	s_and_b64 s[4:5], s[24:25], s[10:11]
	s_and_saveexec_b64 s[2:3], s[4:5]
	s_cbranch_execz .LBB138_216
.LBB138_260:
	s_and_b64 vcc, exec, s[0:1]
	s_cbranch_vccnz .LBB138_262
; %bb.261:
	v_lshl_add_u64 v[56:57], v[120:121], 3, v[130:131]
	flat_load_dwordx2 v[56:57], v[56:57]
	s_waitcnt vmcnt(0) lgkmcnt(0)
	v_mul_f64 v[56:57], s[70:71], v[56:57]
	s_branch .LBB138_263
.LBB138_262:
	v_mov_b64_e32 v[56:57], 0
.LBB138_263:
	v_add_f64 v[54:55], v[54:55], v[56:57]
	v_lshl_add_u64 v[56:57], v[120:121], 3, v[64:65]
	flat_store_dwordx2 v[56:57], v[54:55]
	s_or_b64 exec, exec, s[2:3]
	s_and_b64 s[4:5], s[24:25], s[12:13]
	s_and_saveexec_b64 s[2:3], s[4:5]
	s_cbranch_execz .LBB138_217
.LBB138_264:
	s_and_b64 vcc, exec, s[0:1]
	s_cbranch_vccnz .LBB138_266
; %bb.265:
	v_lshl_add_u64 v[54:55], v[118:119], 3, v[130:131]
	flat_load_dwordx2 v[54:55], v[54:55]
	s_waitcnt vmcnt(0) lgkmcnt(0)
	v_mul_f64 v[54:55], s[70:71], v[54:55]
	s_branch .LBB138_267
.LBB138_266:
	v_mov_b64_e32 v[54:55], 0
.LBB138_267:
	v_add_f64 v[52:53], v[52:53], v[54:55]
	v_lshl_add_u64 v[54:55], v[118:119], 3, v[64:65]
	flat_store_dwordx2 v[54:55], v[52:53]
	s_or_b64 exec, exec, s[2:3]
	s_and_b64 s[4:5], s[24:25], s[14:15]
	s_and_saveexec_b64 s[2:3], s[4:5]
	s_cbranch_execz .LBB138_218
.LBB138_268:
	s_and_b64 vcc, exec, s[0:1]
	s_cbranch_vccnz .LBB138_270
; %bb.269:
	v_lshl_add_u64 v[52:53], v[116:117], 3, v[130:131]
	flat_load_dwordx2 v[52:53], v[52:53]
	s_waitcnt vmcnt(0) lgkmcnt(0)
	v_mul_f64 v[52:53], s[70:71], v[52:53]
	s_branch .LBB138_271
.LBB138_270:
	v_mov_b64_e32 v[52:53], 0
.LBB138_271:
	v_add_f64 v[50:51], v[50:51], v[52:53]
	v_lshl_add_u64 v[52:53], v[116:117], 3, v[64:65]
	flat_store_dwordx2 v[52:53], v[50:51]
	s_or_b64 exec, exec, s[2:3]
	s_and_b64 s[4:5], s[24:25], s[16:17]
	s_and_saveexec_b64 s[2:3], s[4:5]
	s_cbranch_execz .LBB138_219
.LBB138_272:
	s_and_b64 vcc, exec, s[0:1]
	s_cbranch_vccnz .LBB138_274
; %bb.273:
	v_lshl_add_u64 v[50:51], v[114:115], 3, v[130:131]
	flat_load_dwordx2 v[50:51], v[50:51]
	s_waitcnt vmcnt(0) lgkmcnt(0)
	v_mul_f64 v[50:51], s[70:71], v[50:51]
	s_branch .LBB138_275
.LBB138_274:
	v_mov_b64_e32 v[50:51], 0
.LBB138_275:
	v_add_f64 v[48:49], v[48:49], v[50:51]
	v_lshl_add_u64 v[50:51], v[114:115], 3, v[64:65]
	flat_store_dwordx2 v[50:51], v[48:49]
	s_or_b64 exec, exec, s[2:3]
	s_and_b64 s[4:5], s[24:25], s[18:19]
	s_and_saveexec_b64 s[2:3], s[4:5]
	s_cbranch_execz .LBB138_220
.LBB138_276:
	s_and_b64 vcc, exec, s[0:1]
	s_cbranch_vccnz .LBB138_278
; %bb.277:
	v_lshl_add_u64 v[48:49], v[112:113], 3, v[130:131]
	flat_load_dwordx2 v[48:49], v[48:49]
	s_waitcnt vmcnt(0) lgkmcnt(0)
	v_mul_f64 v[48:49], s[70:71], v[48:49]
	s_branch .LBB138_279
.LBB138_278:
	v_mov_b64_e32 v[48:49], 0
.LBB138_279:
	v_add_f64 v[46:47], v[46:47], v[48:49]
	v_lshl_add_u64 v[48:49], v[112:113], 3, v[64:65]
	flat_store_dwordx2 v[48:49], v[46:47]
	s_or_b64 exec, exec, s[2:3]
	s_and_b64 s[4:5], s[24:25], s[20:21]
	s_and_saveexec_b64 s[2:3], s[4:5]
	s_cbranch_execz .LBB138_221
.LBB138_280:
	s_and_b64 vcc, exec, s[0:1]
	s_cbranch_vccnz .LBB138_282
; %bb.281:
	v_lshl_add_u64 v[46:47], v[110:111], 3, v[130:131]
	flat_load_dwordx2 v[46:47], v[46:47]
	s_waitcnt vmcnt(0) lgkmcnt(0)
	v_mul_f64 v[46:47], s[70:71], v[46:47]
	s_branch .LBB138_283
.LBB138_282:
	v_mov_b64_e32 v[46:47], 0
.LBB138_283:
	v_add_f64 v[44:45], v[44:45], v[46:47]
	v_lshl_add_u64 v[46:47], v[110:111], 3, v[64:65]
	flat_store_dwordx2 v[46:47], v[44:45]
	s_or_b64 exec, exec, s[2:3]
	s_and_b64 s[4:5], s[24:25], s[22:23]
	s_and_saveexec_b64 s[2:3], s[4:5]
	s_cbranch_execz .LBB138_222
.LBB138_284:
	s_and_b64 vcc, exec, s[0:1]
	s_cbranch_vccnz .LBB138_286
; %bb.285:
	v_lshl_add_u64 v[44:45], v[108:109], 3, v[130:131]
	flat_load_dwordx2 v[44:45], v[44:45]
	s_waitcnt vmcnt(0) lgkmcnt(0)
	v_mul_f64 v[44:45], s[70:71], v[44:45]
	s_branch .LBB138_287
.LBB138_286:
	v_mov_b64_e32 v[44:45], 0
.LBB138_287:
	v_add_f64 v[42:43], v[42:43], v[44:45]
	v_lshl_add_u64 v[44:45], v[108:109], 3, v[64:65]
	flat_store_dwordx2 v[44:45], v[42:43]
	s_or_b64 exec, exec, s[2:3]
	s_and_b64 s[4:5], s[24:25], s[26:27]
	s_and_saveexec_b64 s[2:3], s[4:5]
	s_cbranch_execz .LBB138_223
.LBB138_288:
	s_and_b64 vcc, exec, s[0:1]
	s_cbranch_vccnz .LBB138_290
; %bb.289:
	v_lshl_add_u64 v[42:43], v[106:107], 3, v[130:131]
	flat_load_dwordx2 v[42:43], v[42:43]
	s_waitcnt vmcnt(0) lgkmcnt(0)
	v_mul_f64 v[42:43], s[70:71], v[42:43]
	s_branch .LBB138_291
.LBB138_290:
	v_mov_b64_e32 v[42:43], 0
.LBB138_291:
	v_add_f64 v[40:41], v[40:41], v[42:43]
	v_lshl_add_u64 v[42:43], v[106:107], 3, v[64:65]
	flat_store_dwordx2 v[42:43], v[40:41]
	s_or_b64 exec, exec, s[2:3]
	s_and_b64 s[4:5], s[24:25], s[28:29]
	s_and_saveexec_b64 s[2:3], s[4:5]
	s_cbranch_execz .LBB138_224
.LBB138_292:
	s_and_b64 vcc, exec, s[0:1]
	s_cbranch_vccnz .LBB138_294
; %bb.293:
	v_lshl_add_u64 v[40:41], v[104:105], 3, v[130:131]
	flat_load_dwordx2 v[40:41], v[40:41]
	s_waitcnt vmcnt(0) lgkmcnt(0)
	v_mul_f64 v[40:41], s[70:71], v[40:41]
	s_branch .LBB138_295
.LBB138_294:
	v_mov_b64_e32 v[40:41], 0
.LBB138_295:
	v_add_f64 v[38:39], v[38:39], v[40:41]
	v_lshl_add_u64 v[40:41], v[104:105], 3, v[64:65]
	flat_store_dwordx2 v[40:41], v[38:39]
	s_or_b64 exec, exec, s[2:3]
	s_and_b64 s[4:5], s[24:25], s[30:31]
	s_and_saveexec_b64 s[2:3], s[4:5]
	s_cbranch_execz .LBB138_225
.LBB138_296:
	s_and_b64 vcc, exec, s[0:1]
	s_cbranch_vccnz .LBB138_298
; %bb.297:
	v_lshl_add_u64 v[38:39], v[102:103], 3, v[130:131]
	flat_load_dwordx2 v[38:39], v[38:39]
	s_waitcnt vmcnt(0) lgkmcnt(0)
	v_mul_f64 v[38:39], s[70:71], v[38:39]
	s_branch .LBB138_299
.LBB138_298:
	v_mov_b64_e32 v[38:39], 0
.LBB138_299:
	v_add_f64 v[36:37], v[36:37], v[38:39]
	v_lshl_add_u64 v[38:39], v[102:103], 3, v[64:65]
	flat_store_dwordx2 v[38:39], v[36:37]
	s_or_b64 exec, exec, s[2:3]
	s_and_b64 s[4:5], s[24:25], s[34:35]
	s_and_saveexec_b64 s[2:3], s[4:5]
	s_cbranch_execz .LBB138_226
.LBB138_300:
	s_and_b64 vcc, exec, s[0:1]
	s_cbranch_vccnz .LBB138_302
; %bb.301:
	v_lshl_add_u64 v[36:37], v[100:101], 3, v[130:131]
	flat_load_dwordx2 v[36:37], v[36:37]
	s_waitcnt vmcnt(0) lgkmcnt(0)
	v_mul_f64 v[36:37], s[70:71], v[36:37]
	s_branch .LBB138_303
.LBB138_302:
	v_mov_b64_e32 v[36:37], 0
.LBB138_303:
	v_add_f64 v[34:35], v[34:35], v[36:37]
	v_lshl_add_u64 v[36:37], v[100:101], 3, v[64:65]
	flat_store_dwordx2 v[36:37], v[34:35]
	s_or_b64 exec, exec, s[2:3]
	s_and_b64 s[4:5], s[24:25], s[36:37]
	s_and_saveexec_b64 s[2:3], s[4:5]
	s_cbranch_execz .LBB138_227
.LBB138_304:
	s_and_b64 vcc, exec, s[0:1]
	s_cbranch_vccnz .LBB138_306
; %bb.305:
	v_lshl_add_u64 v[34:35], v[98:99], 3, v[130:131]
	flat_load_dwordx2 v[34:35], v[34:35]
	s_waitcnt vmcnt(0) lgkmcnt(0)
	v_mul_f64 v[34:35], s[70:71], v[34:35]
	s_branch .LBB138_307
.LBB138_306:
	v_mov_b64_e32 v[34:35], 0
.LBB138_307:
	v_add_f64 v[32:33], v[32:33], v[34:35]
	v_lshl_add_u64 v[34:35], v[98:99], 3, v[64:65]
	flat_store_dwordx2 v[34:35], v[32:33]
	s_or_b64 exec, exec, s[2:3]
	s_and_b64 s[4:5], s[24:25], s[38:39]
	s_and_saveexec_b64 s[2:3], s[4:5]
	s_cbranch_execz .LBB138_228
.LBB138_308:
	s_and_b64 vcc, exec, s[0:1]
	s_cbranch_vccnz .LBB138_310
; %bb.309:
	v_lshl_add_u64 v[32:33], v[96:97], 3, v[130:131]
	flat_load_dwordx2 v[32:33], v[32:33]
	s_waitcnt vmcnt(0) lgkmcnt(0)
	v_mul_f64 v[32:33], s[70:71], v[32:33]
	s_branch .LBB138_311
.LBB138_310:
	v_mov_b64_e32 v[32:33], 0
.LBB138_311:
	v_add_f64 v[30:31], v[30:31], v[32:33]
	v_lshl_add_u64 v[32:33], v[96:97], 3, v[64:65]
	flat_store_dwordx2 v[32:33], v[30:31]
	s_or_b64 exec, exec, s[2:3]
	s_and_b64 s[4:5], s[24:25], s[40:41]
	s_and_saveexec_b64 s[2:3], s[4:5]
	s_cbranch_execz .LBB138_229
.LBB138_312:
	s_and_b64 vcc, exec, s[0:1]
	s_cbranch_vccnz .LBB138_314
; %bb.313:
	v_lshl_add_u64 v[30:31], v[94:95], 3, v[130:131]
	flat_load_dwordx2 v[30:31], v[30:31]
	s_waitcnt vmcnt(0) lgkmcnt(0)
	v_mul_f64 v[30:31], s[70:71], v[30:31]
	s_branch .LBB138_315
.LBB138_314:
	v_mov_b64_e32 v[30:31], 0
.LBB138_315:
	v_add_f64 v[28:29], v[28:29], v[30:31]
	v_lshl_add_u64 v[30:31], v[94:95], 3, v[64:65]
	flat_store_dwordx2 v[30:31], v[28:29]
	s_or_b64 exec, exec, s[2:3]
	s_and_b64 s[4:5], s[24:25], s[42:43]
	s_and_saveexec_b64 s[2:3], s[4:5]
	s_cbranch_execz .LBB138_230
.LBB138_316:
	s_and_b64 vcc, exec, s[0:1]
	s_cbranch_vccnz .LBB138_318
; %bb.317:
	v_lshl_add_u64 v[28:29], v[92:93], 3, v[130:131]
	flat_load_dwordx2 v[28:29], v[28:29]
	s_waitcnt vmcnt(0) lgkmcnt(0)
	v_mul_f64 v[28:29], s[70:71], v[28:29]
	s_branch .LBB138_319
.LBB138_318:
	v_mov_b64_e32 v[28:29], 0
.LBB138_319:
	v_add_f64 v[26:27], v[26:27], v[28:29]
	v_lshl_add_u64 v[28:29], v[92:93], 3, v[64:65]
	flat_store_dwordx2 v[28:29], v[26:27]
	s_or_b64 exec, exec, s[2:3]
	s_and_b64 s[4:5], s[24:25], s[44:45]
	s_and_saveexec_b64 s[2:3], s[4:5]
	s_cbranch_execz .LBB138_231
.LBB138_320:
	s_and_b64 vcc, exec, s[0:1]
	s_cbranch_vccnz .LBB138_322
; %bb.321:
	v_lshl_add_u64 v[26:27], v[90:91], 3, v[130:131]
	flat_load_dwordx2 v[26:27], v[26:27]
	s_waitcnt vmcnt(0) lgkmcnt(0)
	v_mul_f64 v[26:27], s[70:71], v[26:27]
	s_branch .LBB138_323
.LBB138_322:
	v_mov_b64_e32 v[26:27], 0
.LBB138_323:
	v_add_f64 v[24:25], v[24:25], v[26:27]
	v_lshl_add_u64 v[26:27], v[90:91], 3, v[64:65]
	flat_store_dwordx2 v[26:27], v[24:25]
	s_or_b64 exec, exec, s[2:3]
	s_and_b64 s[4:5], s[24:25], s[46:47]
	s_and_saveexec_b64 s[2:3], s[4:5]
	s_cbranch_execz .LBB138_232
.LBB138_324:
	s_and_b64 vcc, exec, s[0:1]
	s_cbranch_vccnz .LBB138_326
; %bb.325:
	v_lshl_add_u64 v[24:25], v[88:89], 3, v[130:131]
	flat_load_dwordx2 v[24:25], v[24:25]
	s_waitcnt vmcnt(0) lgkmcnt(0)
	v_mul_f64 v[24:25], s[70:71], v[24:25]
	s_branch .LBB138_327
.LBB138_326:
	v_mov_b64_e32 v[24:25], 0
.LBB138_327:
	v_add_f64 v[22:23], v[22:23], v[24:25]
	v_lshl_add_u64 v[24:25], v[88:89], 3, v[64:65]
	flat_store_dwordx2 v[24:25], v[22:23]
	s_or_b64 exec, exec, s[2:3]
	s_and_b64 s[4:5], s[24:25], s[48:49]
	s_and_saveexec_b64 s[2:3], s[4:5]
	s_cbranch_execz .LBB138_233
.LBB138_328:
	s_and_b64 vcc, exec, s[0:1]
	s_cbranch_vccnz .LBB138_330
; %bb.329:
	v_lshl_add_u64 v[22:23], v[86:87], 3, v[130:131]
	flat_load_dwordx2 v[22:23], v[22:23]
	s_waitcnt vmcnt(0) lgkmcnt(0)
	v_mul_f64 v[22:23], s[70:71], v[22:23]
	s_branch .LBB138_331
.LBB138_330:
	v_mov_b64_e32 v[22:23], 0
.LBB138_331:
	v_add_f64 v[20:21], v[20:21], v[22:23]
	v_lshl_add_u64 v[22:23], v[86:87], 3, v[64:65]
	flat_store_dwordx2 v[22:23], v[20:21]
	s_or_b64 exec, exec, s[2:3]
	s_and_b64 s[4:5], s[24:25], s[50:51]
	s_and_saveexec_b64 s[2:3], s[4:5]
	s_cbranch_execz .LBB138_234
.LBB138_332:
	s_and_b64 vcc, exec, s[0:1]
	s_cbranch_vccnz .LBB138_334
; %bb.333:
	v_lshl_add_u64 v[20:21], v[84:85], 3, v[130:131]
	flat_load_dwordx2 v[20:21], v[20:21]
	s_waitcnt vmcnt(0) lgkmcnt(0)
	v_mul_f64 v[20:21], s[70:71], v[20:21]
	s_branch .LBB138_335
.LBB138_334:
	v_mov_b64_e32 v[20:21], 0
.LBB138_335:
	v_add_f64 v[18:19], v[18:19], v[20:21]
	v_lshl_add_u64 v[20:21], v[84:85], 3, v[64:65]
	flat_store_dwordx2 v[20:21], v[18:19]
	s_or_b64 exec, exec, s[2:3]
	s_and_b64 s[4:5], s[24:25], s[52:53]
	s_and_saveexec_b64 s[2:3], s[4:5]
	s_cbranch_execz .LBB138_235
.LBB138_336:
	s_and_b64 vcc, exec, s[0:1]
	s_cbranch_vccnz .LBB138_338
; %bb.337:
	v_lshl_add_u64 v[18:19], v[82:83], 3, v[130:131]
	flat_load_dwordx2 v[18:19], v[18:19]
	s_waitcnt vmcnt(0) lgkmcnt(0)
	v_mul_f64 v[18:19], s[70:71], v[18:19]
	s_branch .LBB138_339
.LBB138_338:
	v_mov_b64_e32 v[18:19], 0
.LBB138_339:
	v_add_f64 v[16:17], v[16:17], v[18:19]
	v_lshl_add_u64 v[18:19], v[82:83], 3, v[64:65]
	flat_store_dwordx2 v[18:19], v[16:17]
	s_or_b64 exec, exec, s[2:3]
	s_and_b64 s[4:5], s[24:25], s[54:55]
	s_and_saveexec_b64 s[2:3], s[4:5]
	s_cbranch_execz .LBB138_236
.LBB138_340:
	s_and_b64 vcc, exec, s[0:1]
	s_cbranch_vccnz .LBB138_342
; %bb.341:
	v_lshl_add_u64 v[16:17], v[80:81], 3, v[130:131]
	flat_load_dwordx2 v[16:17], v[16:17]
	s_waitcnt vmcnt(0) lgkmcnt(0)
	v_mul_f64 v[16:17], s[70:71], v[16:17]
	s_branch .LBB138_343
.LBB138_342:
	v_mov_b64_e32 v[16:17], 0
.LBB138_343:
	v_add_f64 v[14:15], v[14:15], v[16:17]
	v_lshl_add_u64 v[16:17], v[80:81], 3, v[64:65]
	flat_store_dwordx2 v[16:17], v[14:15]
	s_or_b64 exec, exec, s[2:3]
	s_and_b64 s[4:5], s[24:25], s[56:57]
	s_and_saveexec_b64 s[2:3], s[4:5]
	s_cbranch_execz .LBB138_237
.LBB138_344:
	s_and_b64 vcc, exec, s[0:1]
	s_cbranch_vccnz .LBB138_346
; %bb.345:
	v_lshl_add_u64 v[14:15], v[78:79], 3, v[130:131]
	flat_load_dwordx2 v[14:15], v[14:15]
	s_waitcnt vmcnt(0) lgkmcnt(0)
	v_mul_f64 v[14:15], s[70:71], v[14:15]
	s_branch .LBB138_347
.LBB138_346:
	v_mov_b64_e32 v[14:15], 0
.LBB138_347:
	v_add_f64 v[12:13], v[12:13], v[14:15]
	v_lshl_add_u64 v[14:15], v[78:79], 3, v[64:65]
	flat_store_dwordx2 v[14:15], v[12:13]
	s_or_b64 exec, exec, s[2:3]
	s_and_b64 s[4:5], s[24:25], s[58:59]
	s_and_saveexec_b64 s[2:3], s[4:5]
	s_cbranch_execz .LBB138_238
.LBB138_348:
	s_and_b64 vcc, exec, s[0:1]
	s_cbranch_vccnz .LBB138_350
; %bb.349:
	v_lshl_add_u64 v[12:13], v[76:77], 3, v[130:131]
	flat_load_dwordx2 v[12:13], v[12:13]
	s_waitcnt vmcnt(0) lgkmcnt(0)
	v_mul_f64 v[12:13], s[70:71], v[12:13]
	s_branch .LBB138_351
.LBB138_350:
	v_mov_b64_e32 v[12:13], 0
.LBB138_351:
	v_add_f64 v[10:11], v[10:11], v[12:13]
	v_lshl_add_u64 v[12:13], v[76:77], 3, v[64:65]
	flat_store_dwordx2 v[12:13], v[10:11]
	s_or_b64 exec, exec, s[2:3]
	s_and_b64 s[4:5], s[24:25], s[60:61]
	s_and_saveexec_b64 s[2:3], s[4:5]
	s_cbranch_execz .LBB138_239
.LBB138_352:
	s_and_b64 vcc, exec, s[0:1]
	s_cbranch_vccnz .LBB138_354
; %bb.353:
	v_lshl_add_u64 v[10:11], v[74:75], 3, v[130:131]
	flat_load_dwordx2 v[10:11], v[10:11]
	s_waitcnt vmcnt(0) lgkmcnt(0)
	v_mul_f64 v[10:11], s[70:71], v[10:11]
	s_branch .LBB138_355
.LBB138_354:
	v_mov_b64_e32 v[10:11], 0
.LBB138_355:
	v_add_f64 v[8:9], v[8:9], v[10:11]
	v_lshl_add_u64 v[10:11], v[74:75], 3, v[64:65]
	flat_store_dwordx2 v[10:11], v[8:9]
	s_or_b64 exec, exec, s[2:3]
	s_and_b64 s[4:5], s[24:25], s[62:63]
	s_and_saveexec_b64 s[2:3], s[4:5]
	s_cbranch_execz .LBB138_240
.LBB138_356:
	s_and_b64 vcc, exec, s[0:1]
	s_cbranch_vccnz .LBB138_358
; %bb.357:
	v_lshl_add_u64 v[8:9], v[72:73], 3, v[130:131]
	flat_load_dwordx2 v[8:9], v[8:9]
	s_waitcnt vmcnt(0) lgkmcnt(0)
	v_mul_f64 v[8:9], s[70:71], v[8:9]
	s_branch .LBB138_359
.LBB138_358:
	v_mov_b64_e32 v[8:9], 0
.LBB138_359:
	v_add_f64 v[6:7], v[6:7], v[8:9]
	v_lshl_add_u64 v[8:9], v[72:73], 3, v[64:65]
	flat_store_dwordx2 v[8:9], v[6:7]
	s_or_b64 exec, exec, s[2:3]
	s_and_b64 s[4:5], s[24:25], s[64:65]
	s_and_saveexec_b64 s[2:3], s[4:5]
	s_cbranch_execz .LBB138_241
.LBB138_360:
	s_and_b64 vcc, exec, s[0:1]
	s_cbranch_vccnz .LBB138_362
; %bb.361:
	v_lshl_add_u64 v[6:7], v[70:71], 3, v[130:131]
	flat_load_dwordx2 v[6:7], v[6:7]
	s_waitcnt vmcnt(0) lgkmcnt(0)
	v_mul_f64 v[6:7], s[70:71], v[6:7]
	s_branch .LBB138_363
.LBB138_362:
	v_mov_b64_e32 v[6:7], 0
.LBB138_363:
	v_add_f64 v[4:5], v[4:5], v[6:7]
	v_lshl_add_u64 v[6:7], v[70:71], 3, v[64:65]
	flat_store_dwordx2 v[6:7], v[4:5]
	s_or_b64 exec, exec, s[2:3]
	s_and_b64 s[4:5], s[24:25], s[66:67]
	s_and_saveexec_b64 s[2:3], s[4:5]
	s_cbranch_execz .LBB138_242
.LBB138_364:
	s_and_b64 vcc, exec, s[0:1]
	s_cbranch_vccnz .LBB138_366
; %bb.365:
	v_lshl_add_u64 v[4:5], v[68:69], 3, v[130:131]
	flat_load_dwordx2 v[4:5], v[4:5]
	s_waitcnt vmcnt(0) lgkmcnt(0)
	v_mul_f64 v[4:5], s[70:71], v[4:5]
	s_branch .LBB138_367
.LBB138_366:
	v_mov_b64_e32 v[4:5], 0
.LBB138_367:
	v_add_f64 v[2:3], v[2:3], v[4:5]
	v_lshl_add_u64 v[4:5], v[68:69], 3, v[64:65]
	flat_store_dwordx2 v[4:5], v[2:3]
	s_or_b64 exec, exec, s[2:3]
	s_and_b64 s[2:3], s[24:25], s[68:69]
	s_and_saveexec_b64 s[4:5], s[2:3]
	s_cbranch_execz .LBB138_243
.LBB138_368:
	s_and_b64 vcc, exec, s[0:1]
	s_cbranch_vccnz .LBB138_370
; %bb.369:
	v_lshl_add_u64 v[2:3], v[66:67], 3, v[130:131]
	flat_load_dwordx2 v[2:3], v[2:3]
	s_waitcnt vmcnt(0) lgkmcnt(0)
	v_mul_f64 v[2:3], s[70:71], v[2:3]
	v_add_f64 v[0:1], v[0:1], v[2:3]
	v_lshl_add_u64 v[2:3], v[66:67], 3, v[64:65]
	flat_store_dwordx2 v[2:3], v[0:1]
	s_endpgm
.LBB138_370:
	v_mov_b64_e32 v[2:3], 0
	v_add_f64 v[0:1], v[0:1], v[2:3]
	v_lshl_add_u64 v[2:3], v[66:67], 3, v[64:65]
	flat_store_dwordx2 v[2:3], v[0:1]
	s_endpgm
	.section	.rodata,"a",@progbits
	.p2align	6, 0x0
	.amdhsa_kernel _ZN12_GLOBAL__N_120geam_min_plus_kernelIdddLi4ELi64ELi128ELi128ELi4ELi4ELi64ELi4ELi64ELc84ELc78ELb0ELb1ELb0EPKdKS2_KPdEEviiiT16_PT17_ilS8_ilS6_S8_ilPT18_ili26rocblas_geam_ex_operation_
		.amdhsa_group_segment_fixed_size 16384
		.amdhsa_private_segment_fixed_size 0
		.amdhsa_kernarg_size 136
		.amdhsa_user_sgpr_count 2
		.amdhsa_user_sgpr_dispatch_ptr 0
		.amdhsa_user_sgpr_queue_ptr 0
		.amdhsa_user_sgpr_kernarg_segment_ptr 1
		.amdhsa_user_sgpr_dispatch_id 0
		.amdhsa_user_sgpr_kernarg_preload_length 0
		.amdhsa_user_sgpr_kernarg_preload_offset 0
		.amdhsa_user_sgpr_private_segment_size 0
		.amdhsa_uses_dynamic_stack 0
		.amdhsa_enable_private_segment 0
		.amdhsa_system_sgpr_workgroup_id_x 1
		.amdhsa_system_sgpr_workgroup_id_y 0
		.amdhsa_system_sgpr_workgroup_id_z 1
		.amdhsa_system_sgpr_workgroup_info 0
		.amdhsa_system_vgpr_workitem_id 1
		.amdhsa_next_free_vgpr 250
		.amdhsa_next_free_sgpr 82
		.amdhsa_accum_offset 252
		.amdhsa_reserve_vcc 1
		.amdhsa_float_round_mode_32 0
		.amdhsa_float_round_mode_16_64 0
		.amdhsa_float_denorm_mode_32 3
		.amdhsa_float_denorm_mode_16_64 3
		.amdhsa_dx10_clamp 1
		.amdhsa_ieee_mode 1
		.amdhsa_fp16_overflow 0
		.amdhsa_tg_split 0
		.amdhsa_exception_fp_ieee_invalid_op 0
		.amdhsa_exception_fp_denorm_src 0
		.amdhsa_exception_fp_ieee_div_zero 0
		.amdhsa_exception_fp_ieee_overflow 0
		.amdhsa_exception_fp_ieee_underflow 0
		.amdhsa_exception_fp_ieee_inexact 0
		.amdhsa_exception_int_div_zero 0
	.end_amdhsa_kernel
	.section	.text._ZN12_GLOBAL__N_120geam_min_plus_kernelIdddLi4ELi64ELi128ELi128ELi4ELi4ELi64ELi4ELi64ELc84ELc78ELb0ELb1ELb0EPKdKS2_KPdEEviiiT16_PT17_ilS8_ilS6_S8_ilPT18_ili26rocblas_geam_ex_operation_,"axG",@progbits,_ZN12_GLOBAL__N_120geam_min_plus_kernelIdddLi4ELi64ELi128ELi128ELi4ELi4ELi64ELi4ELi64ELc84ELc78ELb0ELb1ELb0EPKdKS2_KPdEEviiiT16_PT17_ilS8_ilS6_S8_ilPT18_ili26rocblas_geam_ex_operation_,comdat
.Lfunc_end138:
	.size	_ZN12_GLOBAL__N_120geam_min_plus_kernelIdddLi4ELi64ELi128ELi128ELi4ELi4ELi64ELi4ELi64ELc84ELc78ELb0ELb1ELb0EPKdKS2_KPdEEviiiT16_PT17_ilS8_ilS6_S8_ilPT18_ili26rocblas_geam_ex_operation_, .Lfunc_end138-_ZN12_GLOBAL__N_120geam_min_plus_kernelIdddLi4ELi64ELi128ELi128ELi4ELi4ELi64ELi4ELi64ELc84ELc78ELb0ELb1ELb0EPKdKS2_KPdEEviiiT16_PT17_ilS8_ilS6_S8_ilPT18_ili26rocblas_geam_ex_operation_
                                        ; -- End function
	.set _ZN12_GLOBAL__N_120geam_min_plus_kernelIdddLi4ELi64ELi128ELi128ELi4ELi4ELi64ELi4ELi64ELc84ELc78ELb0ELb1ELb0EPKdKS2_KPdEEviiiT16_PT17_ilS8_ilS6_S8_ilPT18_ili26rocblas_geam_ex_operation_.num_vgpr, 250
	.set _ZN12_GLOBAL__N_120geam_min_plus_kernelIdddLi4ELi64ELi128ELi128ELi4ELi4ELi64ELi4ELi64ELc84ELc78ELb0ELb1ELb0EPKdKS2_KPdEEviiiT16_PT17_ilS8_ilS6_S8_ilPT18_ili26rocblas_geam_ex_operation_.num_agpr, 0
	.set _ZN12_GLOBAL__N_120geam_min_plus_kernelIdddLi4ELi64ELi128ELi128ELi4ELi4ELi64ELi4ELi64ELc84ELc78ELb0ELb1ELb0EPKdKS2_KPdEEviiiT16_PT17_ilS8_ilS6_S8_ilPT18_ili26rocblas_geam_ex_operation_.numbered_sgpr, 82
	.set _ZN12_GLOBAL__N_120geam_min_plus_kernelIdddLi4ELi64ELi128ELi128ELi4ELi4ELi64ELi4ELi64ELc84ELc78ELb0ELb1ELb0EPKdKS2_KPdEEviiiT16_PT17_ilS8_ilS6_S8_ilPT18_ili26rocblas_geam_ex_operation_.num_named_barrier, 0
	.set _ZN12_GLOBAL__N_120geam_min_plus_kernelIdddLi4ELi64ELi128ELi128ELi4ELi4ELi64ELi4ELi64ELc84ELc78ELb0ELb1ELb0EPKdKS2_KPdEEviiiT16_PT17_ilS8_ilS6_S8_ilPT18_ili26rocblas_geam_ex_operation_.private_seg_size, 0
	.set _ZN12_GLOBAL__N_120geam_min_plus_kernelIdddLi4ELi64ELi128ELi128ELi4ELi4ELi64ELi4ELi64ELc84ELc78ELb0ELb1ELb0EPKdKS2_KPdEEviiiT16_PT17_ilS8_ilS6_S8_ilPT18_ili26rocblas_geam_ex_operation_.uses_vcc, 1
	.set _ZN12_GLOBAL__N_120geam_min_plus_kernelIdddLi4ELi64ELi128ELi128ELi4ELi4ELi64ELi4ELi64ELc84ELc78ELb0ELb1ELb0EPKdKS2_KPdEEviiiT16_PT17_ilS8_ilS6_S8_ilPT18_ili26rocblas_geam_ex_operation_.uses_flat_scratch, 0
	.set _ZN12_GLOBAL__N_120geam_min_plus_kernelIdddLi4ELi64ELi128ELi128ELi4ELi4ELi64ELi4ELi64ELc84ELc78ELb0ELb1ELb0EPKdKS2_KPdEEviiiT16_PT17_ilS8_ilS6_S8_ilPT18_ili26rocblas_geam_ex_operation_.has_dyn_sized_stack, 0
	.set _ZN12_GLOBAL__N_120geam_min_plus_kernelIdddLi4ELi64ELi128ELi128ELi4ELi4ELi64ELi4ELi64ELc84ELc78ELb0ELb1ELb0EPKdKS2_KPdEEviiiT16_PT17_ilS8_ilS6_S8_ilPT18_ili26rocblas_geam_ex_operation_.has_recursion, 0
	.set _ZN12_GLOBAL__N_120geam_min_plus_kernelIdddLi4ELi64ELi128ELi128ELi4ELi4ELi64ELi4ELi64ELc84ELc78ELb0ELb1ELb0EPKdKS2_KPdEEviiiT16_PT17_ilS8_ilS6_S8_ilPT18_ili26rocblas_geam_ex_operation_.has_indirect_call, 0
	.section	.AMDGPU.csdata,"",@progbits
; Kernel info:
; codeLenInByte = 14672
; TotalNumSgprs: 88
; NumVgprs: 250
; NumAgprs: 0
; TotalNumVgprs: 250
; ScratchSize: 0
; MemoryBound: 0
; FloatMode: 240
; IeeeMode: 1
; LDSByteSize: 16384 bytes/workgroup (compile time only)
; SGPRBlocks: 10
; VGPRBlocks: 31
; NumSGPRsForWavesPerEU: 88
; NumVGPRsForWavesPerEU: 250
; AccumOffset: 252
; Occupancy: 2
; WaveLimiterHint : 1
; COMPUTE_PGM_RSRC2:SCRATCH_EN: 0
; COMPUTE_PGM_RSRC2:USER_SGPR: 2
; COMPUTE_PGM_RSRC2:TRAP_HANDLER: 0
; COMPUTE_PGM_RSRC2:TGID_X_EN: 1
; COMPUTE_PGM_RSRC2:TGID_Y_EN: 0
; COMPUTE_PGM_RSRC2:TGID_Z_EN: 1
; COMPUTE_PGM_RSRC2:TIDIG_COMP_CNT: 1
; COMPUTE_PGM_RSRC3_GFX90A:ACCUM_OFFSET: 62
; COMPUTE_PGM_RSRC3_GFX90A:TG_SPLIT: 0
	.section	.text._ZN12_GLOBAL__N_120geam_min_plus_kernelIdddLi4ELi64ELi128ELi128ELi4ELi4ELi64ELi4ELi64ELc84ELc78ELb1ELb1ELb0EdKPKdKPdEEviiiT16_PT17_ilS8_ilS6_S8_ilPT18_ili26rocblas_geam_ex_operation_,"axG",@progbits,_ZN12_GLOBAL__N_120geam_min_plus_kernelIdddLi4ELi64ELi128ELi128ELi4ELi4ELi64ELi4ELi64ELc84ELc78ELb1ELb1ELb0EdKPKdKPdEEviiiT16_PT17_ilS8_ilS6_S8_ilPT18_ili26rocblas_geam_ex_operation_,comdat
	.globl	_ZN12_GLOBAL__N_120geam_min_plus_kernelIdddLi4ELi64ELi128ELi128ELi4ELi4ELi64ELi4ELi64ELc84ELc78ELb1ELb1ELb0EdKPKdKPdEEviiiT16_PT17_ilS8_ilS6_S8_ilPT18_ili26rocblas_geam_ex_operation_ ; -- Begin function _ZN12_GLOBAL__N_120geam_min_plus_kernelIdddLi4ELi64ELi128ELi128ELi4ELi4ELi64ELi4ELi64ELc84ELc78ELb1ELb1ELb0EdKPKdKPdEEviiiT16_PT17_ilS8_ilS6_S8_ilPT18_ili26rocblas_geam_ex_operation_
	.p2align	8
	.type	_ZN12_GLOBAL__N_120geam_min_plus_kernelIdddLi4ELi64ELi128ELi128ELi4ELi4ELi64ELi4ELi64ELc84ELc78ELb1ELb1ELb0EdKPKdKPdEEviiiT16_PT17_ilS8_ilS6_S8_ilPT18_ili26rocblas_geam_ex_operation_,@function
_ZN12_GLOBAL__N_120geam_min_plus_kernelIdddLi4ELi64ELi128ELi128ELi4ELi4ELi64ELi4ELi64ELc84ELc78ELb1ELb1ELb0EdKPKdKPdEEviiiT16_PT17_ilS8_ilS6_S8_ilPT18_ili26rocblas_geam_ex_operation_: ; @_ZN12_GLOBAL__N_120geam_min_plus_kernelIdddLi4ELi64ELi128ELi128ELi4ELi4ELi64ELi4ELi64ELc84ELc78ELb1ELb1ELb0EdKPKdKPdEEviiiT16_PT17_ilS8_ilS6_S8_ilPT18_ili26rocblas_geam_ex_operation_
; %bb.0:
	s_load_dwordx4 s[8:11], s[0:1], 0x10
	s_load_dwordx4 s[4:7], s[0:1], 0x28
	s_mov_b32 s12, s3
	s_mov_b64 s[14:15], 0
	s_waitcnt lgkmcnt(0)
	v_cmp_eq_f64_e64 s[16:17], s[8:9], 0
	s_and_b64 vcc, exec, s[16:17]
	s_cbranch_vccnz .LBB139_2
; %bb.1:
	s_mov_b32 s13, 0
	s_lshl_b64 s[8:9], s[12:13], 3
	s_add_u32 s8, s10, s8
	s_addc_u32 s9, s11, s9
	s_load_dwordx2 s[8:9], s[8:9], 0x0
	s_lshl_b64 s[4:5], s[4:5], 3
	s_waitcnt lgkmcnt(0)
	s_add_u32 s14, s8, s4
	s_addc_u32 s15, s9, s5
.LBB139_2:
	s_load_dwordx4 s[68:71], s[0:1], 0x40
	s_load_dwordx2 s[8:9], s[0:1], 0x50
	s_andn2_b64 vcc, exec, s[16:17]
	s_mov_b32 s13, 0
	s_cbranch_vccnz .LBB139_4
; %bb.3:
	s_mov_b64 s[76:77], 0
	s_mov_b64 s[16:17], 0
	s_cbranch_execz .LBB139_5
	s_branch .LBB139_6
.LBB139_4:
	s_mov_b64 s[76:77], 0
	s_mov_b64 s[16:17], 0
.LBB139_5:
	s_lshl_b64 s[4:5], s[12:13], 3
	s_add_u32 s4, s6, s4
	s_addc_u32 s5, s7, s5
	s_load_dwordx2 s[4:5], s[4:5], 0x0
	s_waitcnt lgkmcnt(0)
	s_lshl_b64 s[6:7], s[68:69], 3
	s_add_u32 s16, s4, s6
	s_addc_u32 s17, s5, s7
.LBB139_6:
	s_load_dwordx4 s[4:7], s[0:1], 0x60
	s_waitcnt lgkmcnt(0)
	v_cmp_eq_f64_e64 s[18:19], s[70:71], 0
	v_cmp_neq_f64_e64 s[10:11], s[70:71], 0
	s_and_b64 vcc, exec, s[18:19]
	s_cbranch_vccnz .LBB139_8
; %bb.7:
	s_lshl_b64 s[18:19], s[12:13], 3
	s_add_u32 s8, s8, s18
	s_addc_u32 s9, s9, s19
	s_load_dwordx2 s[8:9], s[8:9], 0x0
	s_lshl_b64 s[4:5], s[4:5], 3
	s_waitcnt lgkmcnt(0)
	s_add_u32 s76, s8, s4
	s_addc_u32 s77, s9, s5
.LBB139_8:
	s_load_dwordx4 s[72:75], s[0:1], 0x0
	s_load_dword s23, s[0:1], 0x20
	s_lshl_b64 s[4:5], s[12:13], 3
	s_add_u32 s12, s6, s4
	s_addc_u32 s13, s7, s5
	s_waitcnt lgkmcnt(0)
	s_add_i32 s3, s72, -1
	s_ashr_i32 s4, s3, 31
	s_lshr_b32 s4, s4, 25
	s_add_i32 s3, s3, s4
	s_ashr_i32 s3, s3, 7
	s_add_i32 s4, s3, 1
	v_cvt_f32_u32_e32 v1, s4
	s_not_b32 s3, s3
	v_bfe_u32 v154, v0, 10, 10
	v_bfe_u32 v2, v0, 2, 8
	v_rcp_iflag_f32_e32 v1, v1
	v_add_u32_e32 v139, v2, v154
	v_and_b32_e32 v156, 3, v0
	v_mov_b32_e32 v129, 0
	v_mul_f32_e32 v1, 0x4f7ffffe, v1
	v_cvt_u32_f32_e32 v1, v1
	v_cmp_le_i32_e32 vcc, s74, v156
	v_lshlrev_b32_e32 v128, 3, v156
	v_lshl_add_u64 v[6:7], s[14:15], 0, v[128:129]
	v_readfirstlane_b32 s5, v1
	s_mul_i32 s3, s3, s5
	s_mul_hi_u32 s3, s5, s3
	s_add_i32 s5, s5, s3
	s_mul_hi_u32 s3, s2, s5
	s_mul_i32 s5, s3, s4
	s_sub_i32 s5, s2, s5
	s_add_i32 s6, s3, 1
	s_sub_i32 s7, s5, s4
	s_cmp_ge_u32 s5, s4
	s_cselect_b32 s3, s6, s3
	s_cselect_b32 s5, s7, s5
	s_add_i32 s6, s3, 1
	s_cmp_ge_u32 s5, s4
	s_cselect_b32 s8, s6, s3
	s_mul_i32 s3, s8, s4
	s_sub_i32 s2, s2, s3
	s_lshl_b32 s20, s2, 7
	v_add_u32_e32 v138, s20, v139
	v_cmp_le_i32_e64 s[2:3], s72, v138
	s_nor_b64 s[6:7], vcc, s[2:3]
	v_mov_b64_e32 v[2:3], 0
	v_mov_b64_e32 v[4:5], 0
	s_and_saveexec_b64 s[4:5], s[6:7]
	s_cbranch_execz .LBB139_10
; %bb.9:
	v_mad_i64_i32 v[4:5], s[6:7], v138, s23, 0
	v_lshl_add_u64 v[4:5], v[4:5], 3, v[6:7]
	flat_load_dwordx2 v[4:5], v[4:5]
.LBB139_10:
	s_or_b64 exec, exec, s[4:5]
	v_add_u32_e32 v140, 64, v138
	v_cmp_le_i32_e64 s[4:5], s72, v140
	s_nor_b64 s[18:19], vcc, s[4:5]
	s_and_saveexec_b64 s[6:7], s[18:19]
	s_cbranch_execz .LBB139_12
; %bb.11:
	v_mad_i64_i32 v[2:3], s[18:19], v140, s23, 0
	v_lshl_add_u64 v[2:3], v[2:3], 3, v[6:7]
	flat_load_dwordx2 v[2:3], v[2:3]
.LBB139_12:
	s_or_b64 exec, exec, s[6:7]
	s_load_dword s24, s[0:1], 0x38
	s_lshl_b32 s21, s8, 7
	v_add_u32_e32 v141, s21, v139
	v_mov_b32_e32 v129, 0
	v_cmp_le_i32_e64 s[6:7], s73, v141
	v_lshl_add_u64 v[12:13], s[16:17], 0, v[128:129]
	s_nor_b64 s[18:19], vcc, s[6:7]
	v_mov_b64_e32 v[8:9], 0
	v_mov_b64_e32 v[10:11], 0
	s_and_saveexec_b64 s[8:9], s[18:19]
	s_cbranch_execz .LBB139_14
; %bb.13:
	s_waitcnt lgkmcnt(0)
	v_mad_i64_i32 v[10:11], s[18:19], v141, s24, 0
	v_lshl_add_u64 v[10:11], v[10:11], 3, v[12:13]
	flat_load_dwordx2 v[10:11], v[10:11]
.LBB139_14:
	s_or_b64 exec, exec, s[8:9]
	v_add_u32_e32 v142, 64, v141
	v_cmp_le_i32_e64 s[8:9], s73, v142
	s_nor_b64 s[26:27], vcc, s[8:9]
	s_and_saveexec_b64 s[18:19], s[26:27]
	s_cbranch_execz .LBB139_16
; %bb.15:
	s_waitcnt lgkmcnt(0)
	v_mad_i64_i32 v[8:9], s[26:27], v142, s24, 0
	v_lshl_add_u64 v[8:9], v[8:9], 3, v[12:13]
	flat_load_dwordx2 v[8:9], v[8:9]
.LBB139_16:
	s_or_b64 exec, exec, s[18:19]
	v_or_b32_e32 v1, 4, v156
	v_cmp_le_i32_e32 vcc, s74, v1
	s_nor_b64 s[26:27], vcc, s[2:3]
	v_mov_b64_e32 v[130:131], 0
	v_mov_b64_e32 v[132:133], 0
	s_and_saveexec_b64 s[18:19], s[26:27]
	s_cbranch_execz .LBB139_18
; %bb.17:
	v_mad_i64_i32 v[14:15], s[26:27], v138, s23, 0
	v_lshl_add_u64 v[14:15], v[14:15], 3, v[6:7]
	flat_load_dwordx2 v[132:133], v[14:15] offset:32
.LBB139_18:
	s_or_b64 exec, exec, s[18:19]
	s_nor_b64 s[26:27], vcc, s[4:5]
	s_and_saveexec_b64 s[18:19], s[26:27]
	s_cbranch_execz .LBB139_20
; %bb.19:
	v_mad_i64_i32 v[14:15], s[26:27], v140, s23, 0
	v_lshl_add_u64 v[6:7], v[14:15], 3, v[6:7]
	flat_load_dwordx2 v[130:131], v[6:7] offset:32
.LBB139_20:
	s_or_b64 exec, exec, s[18:19]
	s_nor_b64 s[26:27], vcc, s[6:7]
	v_mov_b64_e32 v[134:135], 0
	v_mov_b64_e32 v[136:137], 0
	s_and_saveexec_b64 s[18:19], s[26:27]
	s_cbranch_execz .LBB139_22
; %bb.21:
	s_waitcnt lgkmcnt(0)
	v_mad_i64_i32 v[6:7], s[26:27], v141, s24, 0
	v_lshl_add_u64 v[6:7], v[6:7], 3, v[12:13]
	flat_load_dwordx2 v[136:137], v[6:7] offset:32
.LBB139_22:
	s_or_b64 exec, exec, s[18:19]
	s_load_dwordx2 s[12:13], s[12:13], 0x0
	v_and_b32_e32 v155, 0x3ff, v0
	s_nor_b64 s[26:27], vcc, s[8:9]
	s_and_saveexec_b64 s[18:19], s[26:27]
	s_cbranch_execz .LBB139_24
; %bb.23:
	s_waitcnt lgkmcnt(0)
	v_mad_i64_i32 v[0:1], s[26:27], v142, s24, 0
	v_lshl_add_u64 v[0:1], v[0:1], 3, v[12:13]
	flat_load_dwordx2 v[134:135], v[0:1] offset:32
.LBB139_24:
	s_or_b64 exec, exec, s[18:19]
	v_lshlrev_b32_e32 v0, 5, v139
	v_lshl_or_b32 v158, v156, 3, v0
	v_lshlrev_b32_e32 v143, 5, v154
	s_waitcnt vmcnt(0) lgkmcnt(0)
	ds_write2st64_b64 v158, v[4:5], v[2:3] offset1:4
	v_add_u32_e32 v159, 0x2000, v158
	ds_write2st64_b64 v158, v[10:11], v[8:9] offset0:16 offset1:20
	v_lshlrev_b32_e32 v160, 5, v155
	v_add_u32_e32 v161, 0x2000, v143
	v_mov_b64_e32 v[126:127], 0
	s_mov_b32 s18, 0
	v_mov_b64_e32 v[124:125], 0
	v_mov_b64_e32 v[122:123], 0
	;; [unrolled: 1-line block ×63, first 2 shown]
	s_waitcnt lgkmcnt(0)
	s_barrier
.LBB139_25:                             ; =>This Inner Loop Header: Depth=1
	v_add_u32_e32 v129, s18, v160
	v_add_u32_e32 v152, s18, v161
	ds_read2_b64 v[144:147], v129 offset1:16
	ds_read2_b64 v[148:151], v129 offset0:32 offset1:48
	ds_read2_b64 v[162:165], v129 offset0:64 offset1:80
	;; [unrolled: 1-line block ×7, first 2 shown]
	ds_read2st64_b64 v[186:189], v152 offset1:4
	v_add_u32_e32 v129, 0x800, v129
	ds_read2_b64 v[190:193], v129 offset1:16
	ds_read2_b64 v[194:197], v129 offset0:32 offset1:48
	ds_read2_b64 v[198:201], v129 offset0:64 offset1:80
	;; [unrolled: 1-line block ×7, first 2 shown]
	s_waitcnt lgkmcnt(14)
	v_max_f64 v[144:145], v[144:145], v[144:145]
	v_max_f64 v[146:147], v[146:147], v[146:147]
	;; [unrolled: 1-line block ×6, first 2 shown]
	s_waitcnt lgkmcnt(13)
	v_max_f64 v[164:165], v[166:167], v[166:167]
	v_max_f64 v[166:167], v[168:169], v[168:169]
	s_waitcnt lgkmcnt(12)
	v_max_f64 v[168:169], v[170:171], v[170:171]
	v_max_f64 v[170:171], v[172:173], v[172:173]
	;; [unrolled: 3-line block ×14, first 2 shown]
	v_min_f64 v[220:221], v[144:145], v[184:185]
	v_min_f64 v[222:223], v[146:147], v[184:185]
	;; [unrolled: 1-line block ×32, first 2 shown]
	s_add_i32 s18, s18, 8
	v_add_f64 v[62:63], v[62:63], v[144:145]
	v_add_f64 v[60:61], v[60:61], v[146:147]
	;; [unrolled: 1-line block ×16, first 2 shown]
	v_min_f64 v[144:145], v[188:189], v[184:185]
	v_min_f64 v[146:147], v[190:191], v[184:185]
	;; [unrolled: 1-line block ×32, first 2 shown]
	s_cmp_eq_u32 s18, 32
	v_add_f64 v[126:127], v[126:127], v[220:221]
	v_add_f64 v[124:125], v[124:125], v[222:223]
	;; [unrolled: 1-line block ×48, first 2 shown]
	s_cbranch_scc0 .LBB139_25
; %bb.26:
	v_lshl_or_b32 v128, v139, 5, v128
	s_cmp_gt_i32 s74, 8
	ds_write2st64_b64 v128, v[132:133], v[130:131] offset0:8 offset1:12
	ds_write2st64_b64 v128, v[136:137], v[134:135] offset0:24 offset1:28
	s_waitcnt lgkmcnt(0)
	s_barrier
	s_cbranch_scc1 .LBB139_28
; %bb.27:
	v_add_u32_e32 v157, 0x3000, v143
	s_cbranch_execz .LBB139_29
	s_branch .LBB139_51
.LBB139_28:
                                        ; implicit-def: $vgpr157
.LBB139_29:
	v_mov_b32_e32 v136, 0x1000
	v_add_u32_e32 v162, 0x1000, v128
	v_add_u32_e32 v163, 0x3000, v128
	s_add_i32 s22, s74, -8
	v_mad_i64_i32 v[128:129], s[18:19], v138, s23, 0
	v_mad_i64_i32 v[130:131], s[18:19], v140, s23, 0
	v_mad_i64_i32 v[132:133], s[18:19], v141, s24, 0
	v_mad_i64_i32 v[134:135], s[18:19], v142, s24, 0
	v_lshl_add_u32 v164, v155, 5, v136
	v_add_u32_e32 v157, 0x3000, v143
	s_mov_b32 s23, 8
	s_mov_b32 s24, 0
	v_mov_b32_e32 v137, 0
.LBB139_30:                             ; =>This Loop Header: Depth=1
                                        ;     Child Loop BB139_39 Depth 2
                                        ;     Child Loop BB139_49 Depth 2
	v_or_b32_e32 v136, s23, v156
	v_cmp_le_i32_e32 vcc, s74, v136
	v_lshl_add_u64 v[140:141], v[136:137], 3, s[14:15]
	s_nor_b64 s[26:27], s[2:3], vcc
	v_mov_b64_e32 v[146:147], 0
	v_lshl_add_u64 v[138:139], v[128:129], 3, v[140:141]
	v_mov_b64_e32 v[148:149], 0
	s_and_saveexec_b64 s[18:19], s[26:27]
	s_cbranch_execz .LBB139_32
; %bb.31:                               ;   in Loop: Header=BB139_30 Depth=1
	flat_load_dwordx2 v[148:149], v[138:139]
.LBB139_32:                             ;   in Loop: Header=BB139_30 Depth=1
	s_or_b64 exec, exec, s[18:19]
	s_nor_b64 s[26:27], s[4:5], vcc
	v_lshl_add_u64 v[140:141], v[130:131], 3, v[140:141]
	s_and_saveexec_b64 s[18:19], s[26:27]
	s_cbranch_execz .LBB139_34
; %bb.33:                               ;   in Loop: Header=BB139_30 Depth=1
	flat_load_dwordx2 v[146:147], v[140:141]
.LBB139_34:                             ;   in Loop: Header=BB139_30 Depth=1
	s_or_b64 exec, exec, s[18:19]
	v_lshl_add_u64 v[144:145], v[136:137], 3, s[16:17]
	s_nor_b64 s[26:27], s[6:7], vcc
	v_mov_b64_e32 v[150:151], 0
	v_lshl_add_u64 v[142:143], v[132:133], 3, v[144:145]
	v_mov_b64_e32 v[152:153], 0
	s_and_saveexec_b64 s[18:19], s[26:27]
	s_cbranch_execz .LBB139_36
; %bb.35:                               ;   in Loop: Header=BB139_30 Depth=1
	flat_load_dwordx2 v[152:153], v[142:143]
.LBB139_36:                             ;   in Loop: Header=BB139_30 Depth=1
	s_or_b64 exec, exec, s[18:19]
	s_nor_b64 s[26:27], s[8:9], vcc
	v_lshl_add_u64 v[144:145], v[134:135], 3, v[144:145]
	s_and_saveexec_b64 s[18:19], s[26:27]
	s_cbranch_execz .LBB139_38
; %bb.37:                               ;   in Loop: Header=BB139_30 Depth=1
	flat_load_dwordx2 v[150:151], v[144:145]
.LBB139_38:                             ;   in Loop: Header=BB139_30 Depth=1
	s_or_b64 exec, exec, s[18:19]
	s_mov_b32 s18, 0
.LBB139_39:                             ;   Parent Loop BB139_30 Depth=1
                                        ; =>  This Inner Loop Header: Depth=2
	v_add_u32_e32 v165, s18, v164
	ds_read2_b64 v[166:169], v165 offset1:16
	ds_read2_b64 v[170:173], v165 offset0:32 offset1:48
	ds_read2_b64 v[174:177], v165 offset0:64 offset1:80
	;; [unrolled: 1-line block ×7, first 2 shown]
	v_add_u32_e32 v165, 0x800, v165
	ds_read2_b64 v[198:201], v165 offset1:16
	ds_read2_b64 v[202:205], v165 offset0:32 offset1:48
	ds_read2_b64 v[206:209], v165 offset0:64 offset1:80
	;; [unrolled: 1-line block ×7, first 2 shown]
	v_add_u32_e32 v165, s18, v157
	ds_read2st64_b64 v[230:233], v165 offset1:4
	s_waitcnt lgkmcnt(0)
	v_max_f64 v[166:167], v[166:167], v[166:167]
	v_max_f64 v[168:169], v[168:169], v[168:169]
	;; [unrolled: 1-line block ×5, first 2 shown]
	v_min_f64 v[234:235], v[166:167], v[230:231]
	v_add_f64 v[126:127], v[126:127], v[234:235]
	v_min_f64 v[234:235], v[168:169], v[230:231]
	v_add_f64 v[124:125], v[124:125], v[234:235]
	;; [unrolled: 2-line block ×3, first 2 shown]
	v_min_f64 v[234:235], v[172:173], v[230:231]
	v_max_f64 v[174:175], v[174:175], v[174:175]
	v_add_f64 v[120:121], v[120:121], v[234:235]
	v_min_f64 v[234:235], v[174:175], v[230:231]
	v_max_f64 v[176:177], v[176:177], v[176:177]
	v_add_f64 v[118:119], v[118:119], v[234:235]
	;; [unrolled: 3-line block ×26, first 2 shown]
	v_min_f64 v[234:235], v[224:225], v[230:231]
	v_max_f64 v[226:227], v[226:227], v[226:227]
	v_max_f64 v[228:229], v[228:229], v[228:229]
	v_add_f64 v[68:69], v[68:69], v[234:235]
	v_min_f64 v[234:235], v[226:227], v[230:231]
	v_min_f64 v[230:231], v[228:229], v[230:231]
	v_add_f64 v[64:65], v[64:65], v[230:231]
	v_max_f64 v[230:231], v[232:233], v[232:233]
	v_min_f64 v[166:167], v[166:167], v[230:231]
	v_add_f64 v[62:63], v[62:63], v[166:167]
	v_min_f64 v[166:167], v[168:169], v[230:231]
	v_add_f64 v[60:61], v[60:61], v[166:167]
	;; [unrolled: 2-line block ×31, first 2 shown]
	v_min_f64 v[166:167], v[228:229], v[230:231]
	s_add_i32 s18, s18, 8
	v_add_f64 v[66:67], v[66:67], v[234:235]
	v_add_f64 v[0:1], v[0:1], v[166:167]
	s_cmp_eq_u32 s18, 32
	s_cbranch_scc0 .LBB139_39
; %bb.40:                               ;   in Loop: Header=BB139_30 Depth=1
	v_or_b32_e32 v136, 4, v136
	v_cmp_le_i32_e32 vcc, s74, v136
	s_waitcnt vmcnt(0)
	ds_write2st64_b64 v158, v[148:149], v[146:147] offset1:4
	ds_write2st64_b64 v159, v[152:153], v[150:151] offset1:4
	s_nor_b64 s[26:27], s[2:3], vcc
	v_mov_b64_e32 v[146:147], 0
	v_mov_b64_e32 v[148:149], 0
	s_waitcnt lgkmcnt(0)
	s_barrier
	s_and_saveexec_b64 s[18:19], s[26:27]
	s_cbranch_execz .LBB139_42
; %bb.41:                               ;   in Loop: Header=BB139_30 Depth=1
	flat_load_dwordx2 v[148:149], v[138:139] offset:32
.LBB139_42:                             ;   in Loop: Header=BB139_30 Depth=1
	s_or_b64 exec, exec, s[18:19]
	s_nor_b64 s[26:27], s[4:5], vcc
	s_and_saveexec_b64 s[18:19], s[26:27]
	s_cbranch_execz .LBB139_44
; %bb.43:                               ;   in Loop: Header=BB139_30 Depth=1
	flat_load_dwordx2 v[146:147], v[140:141] offset:32
.LBB139_44:                             ;   in Loop: Header=BB139_30 Depth=1
	s_or_b64 exec, exec, s[18:19]
	s_nor_b64 s[26:27], s[6:7], vcc
	v_mov_b64_e32 v[138:139], 0
	v_mov_b64_e32 v[140:141], 0
	s_and_saveexec_b64 s[18:19], s[26:27]
	s_cbranch_execz .LBB139_46
; %bb.45:                               ;   in Loop: Header=BB139_30 Depth=1
	flat_load_dwordx2 v[140:141], v[142:143] offset:32
.LBB139_46:                             ;   in Loop: Header=BB139_30 Depth=1
	s_or_b64 exec, exec, s[18:19]
	s_nor_b64 s[26:27], s[8:9], vcc
	s_and_saveexec_b64 s[18:19], s[26:27]
	s_cbranch_execz .LBB139_48
; %bb.47:                               ;   in Loop: Header=BB139_30 Depth=1
	flat_load_dwordx2 v[138:139], v[144:145] offset:32
.LBB139_48:                             ;   in Loop: Header=BB139_30 Depth=1
	s_or_b64 exec, exec, s[18:19]
	s_mov_b32 s18, 0
.LBB139_49:                             ;   Parent Loop BB139_30 Depth=1
                                        ; =>  This Inner Loop Header: Depth=2
	v_add_u32_e32 v136, s18, v160
	ds_read2_b64 v[142:145], v136 offset1:16
	ds_read2_b64 v[150:153], v136 offset0:32 offset1:48
	ds_read2_b64 v[166:169], v136 offset0:64 offset1:80
	;; [unrolled: 1-line block ×7, first 2 shown]
	v_add_u32_e32 v136, 0x800, v136
	ds_read2_b64 v[190:193], v136 offset1:16
	ds_read2_b64 v[194:197], v136 offset0:32 offset1:48
	ds_read2_b64 v[198:201], v136 offset0:64 offset1:80
	;; [unrolled: 1-line block ×7, first 2 shown]
	v_add_u32_e32 v136, s18, v161
	ds_read2st64_b64 v[222:225], v136 offset1:4
	s_waitcnt lgkmcnt(0)
	v_max_f64 v[142:143], v[142:143], v[142:143]
	v_max_f64 v[144:145], v[144:145], v[144:145]
	;; [unrolled: 1-line block ×5, first 2 shown]
	v_min_f64 v[226:227], v[142:143], v[222:223]
	v_add_f64 v[126:127], v[126:127], v[226:227]
	v_min_f64 v[226:227], v[144:145], v[222:223]
	v_add_f64 v[124:125], v[124:125], v[226:227]
	;; [unrolled: 2-line block ×3, first 2 shown]
	v_min_f64 v[226:227], v[152:153], v[222:223]
	v_max_f64 v[166:167], v[166:167], v[166:167]
	v_add_f64 v[120:121], v[120:121], v[226:227]
	v_min_f64 v[226:227], v[166:167], v[222:223]
	v_max_f64 v[168:169], v[168:169], v[168:169]
	v_add_f64 v[118:119], v[118:119], v[226:227]
	;; [unrolled: 3-line block ×26, first 2 shown]
	v_min_f64 v[226:227], v[216:217], v[222:223]
	v_max_f64 v[218:219], v[218:219], v[218:219]
	v_max_f64 v[220:221], v[220:221], v[220:221]
	v_add_f64 v[68:69], v[68:69], v[226:227]
	v_min_f64 v[226:227], v[218:219], v[222:223]
	v_min_f64 v[222:223], v[220:221], v[222:223]
	v_add_f64 v[64:65], v[64:65], v[222:223]
	v_max_f64 v[222:223], v[224:225], v[224:225]
	v_min_f64 v[142:143], v[142:143], v[222:223]
	v_add_f64 v[62:63], v[62:63], v[142:143]
	v_min_f64 v[142:143], v[144:145], v[222:223]
	v_add_f64 v[60:61], v[60:61], v[142:143]
	;; [unrolled: 2-line block ×31, first 2 shown]
	v_min_f64 v[142:143], v[220:221], v[222:223]
	s_add_i32 s18, s18, 8
	v_add_f64 v[66:67], v[66:67], v[226:227]
	v_add_f64 v[0:1], v[0:1], v[142:143]
	s_cmp_eq_u32 s18, 32
	s_cbranch_scc0 .LBB139_49
; %bb.50:                               ;   in Loop: Header=BB139_30 Depth=1
	s_add_i32 s23, s23, 8
	s_add_i32 s24, s24, 8
	s_cmp_ge_i32 s24, s22
	s_waitcnt vmcnt(0)
	ds_write2st64_b64 v162, v[148:149], v[146:147] offset1:4
	ds_write2st64_b64 v163, v[140:141], v[138:139] offset1:4
	s_waitcnt lgkmcnt(0)
	s_barrier
	s_cbranch_scc0 .LBB139_30
.LBB139_51:
	v_mov_b32_e32 v128, 0x1000
	v_lshl_add_u32 v128, v155, 5, v128
	s_mov_b32 s2, 0
.LBB139_52:                             ; =>This Inner Loop Header: Depth=1
	v_add_u32_e32 v129, s2, v128
	v_add_u32_e32 v156, s2, v157
	ds_read2_b64 v[130:133], v129 offset1:16
	ds_read2_b64 v[134:137], v129 offset0:32 offset1:48
	ds_read2_b64 v[138:141], v129 offset0:64 offset1:80
	;; [unrolled: 1-line block ×7, first 2 shown]
	v_add_u32_e32 v129, 0x800, v129
	ds_read2st64_b64 v[166:169], v156 offset1:4
	ds_read2_b64 v[170:173], v129 offset1:16
	ds_read2_b64 v[174:177], v129 offset0:32 offset1:48
	ds_read2_b64 v[178:181], v129 offset0:64 offset1:80
	ds_read2_b64 v[182:185], v129 offset0:96 offset1:112
	ds_read2_b64 v[186:189], v129 offset0:128 offset1:144
	ds_read2_b64 v[190:193], v129 offset0:160 offset1:176
	ds_read2_b64 v[194:197], v129 offset0:192 offset1:208
	ds_read2_b64 v[198:201], v129 offset0:224 offset1:240
	s_waitcnt lgkmcnt(14)
	v_max_f64 v[130:131], v[130:131], v[130:131]
	v_max_f64 v[132:133], v[132:133], v[132:133]
	;; [unrolled: 1-line block ×3, first 2 shown]
	s_waitcnt lgkmcnt(8)
	v_max_f64 v[166:167], v[166:167], v[166:167]
	v_max_f64 v[136:137], v[136:137], v[136:137]
	;; [unrolled: 1-line block ×15, first 2 shown]
	v_min_f64 v[202:203], v[130:131], v[166:167]
	v_min_f64 v[204:205], v[132:133], v[166:167]
	;; [unrolled: 1-line block ×16, first 2 shown]
	s_waitcnt lgkmcnt(7)
	v_max_f64 v[170:171], v[170:171], v[170:171]
	v_max_f64 v[172:173], v[172:173], v[172:173]
	s_waitcnt lgkmcnt(6)
	v_max_f64 v[174:175], v[174:175], v[174:175]
	v_max_f64 v[176:177], v[176:177], v[176:177]
	s_waitcnt lgkmcnt(5)
	v_max_f64 v[178:179], v[178:179], v[178:179]
	v_max_f64 v[180:181], v[180:181], v[180:181]
	s_waitcnt lgkmcnt(4)
	v_max_f64 v[182:183], v[182:183], v[182:183]
	v_max_f64 v[184:185], v[184:185], v[184:185]
	s_waitcnt lgkmcnt(3)
	v_max_f64 v[186:187], v[186:187], v[186:187]
	v_max_f64 v[188:189], v[188:189], v[188:189]
	s_waitcnt lgkmcnt(2)
	v_max_f64 v[190:191], v[190:191], v[190:191]
	v_max_f64 v[192:193], v[192:193], v[192:193]
	s_waitcnt lgkmcnt(1)
	v_max_f64 v[194:195], v[194:195], v[194:195]
	v_max_f64 v[196:197], v[196:197], v[196:197]
	s_waitcnt lgkmcnt(0)
	v_max_f64 v[198:199], v[198:199], v[198:199]
	v_max_f64 v[200:201], v[200:201], v[200:201]
	v_min_f64 v[130:131], v[130:131], v[168:169]
	v_min_f64 v[132:133], v[132:133], v[168:169]
	;; [unrolled: 1-line block ×16, first 2 shown]
	s_add_i32 s2, s2, 8
	v_add_f64 v[126:127], v[126:127], v[202:203]
	v_add_f64 v[124:125], v[124:125], v[204:205]
	;; [unrolled: 1-line block ×15, first 2 shown]
	v_min_f64 v[202:203], v[170:171], v[166:167]
	v_min_f64 v[204:205], v[172:173], v[166:167]
	;; [unrolled: 1-line block ×16, first 2 shown]
	v_add_f64 v[62:63], v[62:63], v[130:131]
	v_add_f64 v[60:61], v[60:61], v[132:133]
	;; [unrolled: 1-line block ×16, first 2 shown]
	v_min_f64 v[130:131], v[170:171], v[168:169]
	v_min_f64 v[132:133], v[172:173], v[168:169]
	v_min_f64 v[134:135], v[174:175], v[168:169]
	v_min_f64 v[136:137], v[176:177], v[168:169]
	v_min_f64 v[138:139], v[178:179], v[168:169]
	v_min_f64 v[140:141], v[180:181], v[168:169]
	v_min_f64 v[142:143], v[182:183], v[168:169]
	v_min_f64 v[144:145], v[184:185], v[168:169]
	v_min_f64 v[146:147], v[186:187], v[168:169]
	v_min_f64 v[148:149], v[188:189], v[168:169]
	v_min_f64 v[150:151], v[190:191], v[168:169]
	v_min_f64 v[152:153], v[192:193], v[168:169]
	v_min_f64 v[158:159], v[194:195], v[168:169]
	v_min_f64 v[160:161], v[196:197], v[168:169]
	v_min_f64 v[162:163], v[198:199], v[168:169]
	v_min_f64 v[164:165], v[200:201], v[168:169]
	s_cmp_eq_u32 s2, 32
	v_add_f64 v[96:97], v[96:97], v[232:233]
	v_add_f64 v[94:95], v[94:95], v[202:203]
	;; [unrolled: 1-line block ×33, first 2 shown]
	s_cbranch_scc0 .LBB139_52
; %bb.53:
	s_load_dwordx2 s[2:3], s[0:1], 0x78
	s_load_dword s78, s[0:1], 0x58
	s_load_dword s33, s[0:1], 0x70
	v_add_u32_e32 v136, s21, v154
	v_add_u32_e32 v128, s20, v155
	s_waitcnt lgkmcnt(0)
	s_lshl_b64 s[0:1], s[2:3], 3
	s_add_u32 s74, s12, s0
	s_addc_u32 s75, s13, s1
	v_mad_i64_i32 v[130:131], s[0:1], v136, s78, 0
	v_cmp_gt_i32_e64 s[24:25], s73, v136
	v_lshl_add_u64 v[132:133], v[130:131], 3, s[76:77]
	v_mad_i64_i32 v[130:131], s[0:1], v136, s33, 0
	v_cmp_gt_i32_e64 s[2:3], s72, v128
	v_cndmask_b32_e64 v134, 0, 1, s[10:11]
	v_lshl_add_u64 v[130:131], v[130:131], 3, s[74:75]
	s_and_b64 s[6:7], s[24:25], s[2:3]
	v_ashrrev_i32_e32 v129, 31, v128
	v_cmp_ne_u32_e64 s[0:1], 1, v134
	s_and_saveexec_b64 s[4:5], s[6:7]
	s_cbranch_execz .LBB139_58
; %bb.54:
	s_and_b64 vcc, exec, s[0:1]
	s_cbranch_vccnz .LBB139_56
; %bb.55:
	v_lshl_add_u64 v[134:135], v[128:129], 3, v[132:133]
	flat_load_dwordx2 v[134:135], v[134:135]
	s_waitcnt vmcnt(0) lgkmcnt(0)
	v_mul_f64 v[134:135], s[70:71], v[134:135]
	s_branch .LBB139_57
.LBB139_56:
	v_mov_b64_e32 v[134:135], 0
.LBB139_57:
	v_add_f64 v[126:127], v[126:127], v[134:135]
	v_lshl_add_u64 v[134:135], v[128:129], 3, v[130:131]
	flat_store_dwordx2 v[134:135], v[126:127]
.LBB139_58:
	s_or_b64 exec, exec, s[4:5]
	v_add_u32_e32 v126, 4, v128
	v_cmp_gt_i32_e64 s[4:5], s72, v126
	s_and_b64 s[8:9], s[24:25], s[4:5]
	v_ashrrev_i32_e32 v127, 31, v126
	s_and_saveexec_b64 s[6:7], s[8:9]
	s_cbranch_execz .LBB139_63
; %bb.59:
	s_and_b64 vcc, exec, s[0:1]
	s_cbranch_vccnz .LBB139_61
; %bb.60:
	v_lshl_add_u64 v[134:135], v[126:127], 3, v[132:133]
	flat_load_dwordx2 v[134:135], v[134:135]
	s_waitcnt vmcnt(0) lgkmcnt(0)
	v_mul_f64 v[134:135], s[70:71], v[134:135]
	s_branch .LBB139_62
.LBB139_61:
	v_mov_b64_e32 v[134:135], 0
.LBB139_62:
	v_add_f64 v[124:125], v[124:125], v[134:135]
	v_lshl_add_u64 v[134:135], v[126:127], 3, v[130:131]
	flat_store_dwordx2 v[134:135], v[124:125]
.LBB139_63:
	s_or_b64 exec, exec, s[6:7]
	v_add_u32_e32 v124, 8, v128
	v_cmp_gt_i32_e64 s[6:7], s72, v124
	s_and_b64 s[10:11], s[24:25], s[6:7]
	v_ashrrev_i32_e32 v125, 31, v124
	;; [unrolled: 23-line block ×31, first 2 shown]
	s_and_saveexec_b64 s[24:25], s[80:81]
	s_cbranch_execz .LBB139_213
; %bb.209:
	s_and_b64 vcc, exec, s[0:1]
	s_cbranch_vccnz .LBB139_211
; %bb.210:
	v_lshl_add_u64 v[132:133], v[66:67], 3, v[132:133]
	flat_load_dwordx2 v[132:133], v[132:133]
	s_waitcnt vmcnt(0) lgkmcnt(0)
	v_mul_f64 v[132:133], s[70:71], v[132:133]
	s_branch .LBB139_212
.LBB139_211:
	v_mov_b64_e32 v[132:133], 0
.LBB139_212:
	v_add_f64 v[64:65], v[64:65], v[132:133]
	v_lshl_add_u64 v[130:131], v[66:67], 3, v[130:131]
	flat_store_dwordx2 v[130:131], v[64:65]
.LBB139_213:
	s_or_b64 exec, exec, s[24:25]
	v_add_u32_e32 v132, 64, v136
	v_cmp_gt_i32_e64 s[24:25], s73, v132
	v_mad_i64_i32 v[64:65], s[72:73], v132, s78, 0
	v_lshl_add_u64 v[130:131], v[64:65], 3, s[76:77]
	v_mad_i64_i32 v[64:65], s[72:73], v132, s33, 0
	v_lshl_add_u64 v[64:65], v[64:65], 3, s[74:75]
	s_and_b64 s[2:3], s[24:25], s[2:3]
	s_and_saveexec_b64 s[72:73], s[2:3]
	s_xor_b64 s[2:3], exec, s[72:73]
	s_cbranch_execnz .LBB139_246
; %bb.214:
	s_or_b64 exec, exec, s[2:3]
	s_and_b64 s[4:5], s[24:25], s[4:5]
	s_and_saveexec_b64 s[2:3], s[4:5]
	s_cbranch_execnz .LBB139_250
.LBB139_215:
	s_or_b64 exec, exec, s[2:3]
	s_and_b64 s[4:5], s[24:25], s[6:7]
	s_and_saveexec_b64 s[2:3], s[4:5]
	s_cbranch_execnz .LBB139_254
.LBB139_216:
	s_or_b64 exec, exec, s[2:3]
	s_and_b64 s[4:5], s[24:25], s[8:9]
	s_and_saveexec_b64 s[2:3], s[4:5]
	s_cbranch_execnz .LBB139_258
.LBB139_217:
	s_or_b64 exec, exec, s[2:3]
	s_and_b64 s[4:5], s[24:25], s[10:11]
	s_and_saveexec_b64 s[2:3], s[4:5]
	s_cbranch_execnz .LBB139_262
.LBB139_218:
	s_or_b64 exec, exec, s[2:3]
	s_and_b64 s[4:5], s[24:25], s[12:13]
	s_and_saveexec_b64 s[2:3], s[4:5]
	s_cbranch_execnz .LBB139_266
.LBB139_219:
	s_or_b64 exec, exec, s[2:3]
	s_and_b64 s[4:5], s[24:25], s[14:15]
	s_and_saveexec_b64 s[2:3], s[4:5]
	s_cbranch_execnz .LBB139_270
.LBB139_220:
	s_or_b64 exec, exec, s[2:3]
	s_and_b64 s[4:5], s[24:25], s[16:17]
	s_and_saveexec_b64 s[2:3], s[4:5]
	s_cbranch_execnz .LBB139_274
.LBB139_221:
	s_or_b64 exec, exec, s[2:3]
	s_and_b64 s[4:5], s[24:25], s[18:19]
	s_and_saveexec_b64 s[2:3], s[4:5]
	s_cbranch_execnz .LBB139_278
.LBB139_222:
	s_or_b64 exec, exec, s[2:3]
	s_and_b64 s[4:5], s[24:25], s[20:21]
	s_and_saveexec_b64 s[2:3], s[4:5]
	s_cbranch_execnz .LBB139_282
.LBB139_223:
	s_or_b64 exec, exec, s[2:3]
	s_and_b64 s[4:5], s[24:25], s[22:23]
	s_and_saveexec_b64 s[2:3], s[4:5]
	s_cbranch_execnz .LBB139_286
.LBB139_224:
	s_or_b64 exec, exec, s[2:3]
	s_and_b64 s[4:5], s[24:25], s[26:27]
	s_and_saveexec_b64 s[2:3], s[4:5]
	s_cbranch_execnz .LBB139_290
.LBB139_225:
	s_or_b64 exec, exec, s[2:3]
	s_and_b64 s[4:5], s[24:25], s[28:29]
	s_and_saveexec_b64 s[2:3], s[4:5]
	s_cbranch_execnz .LBB139_294
.LBB139_226:
	s_or_b64 exec, exec, s[2:3]
	s_and_b64 s[4:5], s[24:25], s[30:31]
	s_and_saveexec_b64 s[2:3], s[4:5]
	s_cbranch_execnz .LBB139_298
.LBB139_227:
	s_or_b64 exec, exec, s[2:3]
	s_and_b64 s[4:5], s[24:25], s[34:35]
	s_and_saveexec_b64 s[2:3], s[4:5]
	s_cbranch_execnz .LBB139_302
.LBB139_228:
	s_or_b64 exec, exec, s[2:3]
	s_and_b64 s[4:5], s[24:25], s[36:37]
	s_and_saveexec_b64 s[2:3], s[4:5]
	s_cbranch_execnz .LBB139_306
.LBB139_229:
	s_or_b64 exec, exec, s[2:3]
	s_and_b64 s[4:5], s[24:25], s[38:39]
	s_and_saveexec_b64 s[2:3], s[4:5]
	s_cbranch_execnz .LBB139_310
.LBB139_230:
	s_or_b64 exec, exec, s[2:3]
	s_and_b64 s[4:5], s[24:25], s[40:41]
	s_and_saveexec_b64 s[2:3], s[4:5]
	s_cbranch_execnz .LBB139_314
.LBB139_231:
	s_or_b64 exec, exec, s[2:3]
	s_and_b64 s[4:5], s[24:25], s[42:43]
	s_and_saveexec_b64 s[2:3], s[4:5]
	s_cbranch_execnz .LBB139_318
.LBB139_232:
	s_or_b64 exec, exec, s[2:3]
	s_and_b64 s[4:5], s[24:25], s[44:45]
	s_and_saveexec_b64 s[2:3], s[4:5]
	s_cbranch_execnz .LBB139_322
.LBB139_233:
	s_or_b64 exec, exec, s[2:3]
	s_and_b64 s[4:5], s[24:25], s[46:47]
	s_and_saveexec_b64 s[2:3], s[4:5]
	s_cbranch_execnz .LBB139_326
.LBB139_234:
	s_or_b64 exec, exec, s[2:3]
	s_and_b64 s[4:5], s[24:25], s[48:49]
	s_and_saveexec_b64 s[2:3], s[4:5]
	s_cbranch_execnz .LBB139_330
.LBB139_235:
	s_or_b64 exec, exec, s[2:3]
	s_and_b64 s[4:5], s[24:25], s[50:51]
	s_and_saveexec_b64 s[2:3], s[4:5]
	s_cbranch_execnz .LBB139_334
.LBB139_236:
	s_or_b64 exec, exec, s[2:3]
	s_and_b64 s[4:5], s[24:25], s[52:53]
	s_and_saveexec_b64 s[2:3], s[4:5]
	s_cbranch_execnz .LBB139_338
.LBB139_237:
	s_or_b64 exec, exec, s[2:3]
	s_and_b64 s[4:5], s[24:25], s[54:55]
	s_and_saveexec_b64 s[2:3], s[4:5]
	s_cbranch_execnz .LBB139_342
.LBB139_238:
	s_or_b64 exec, exec, s[2:3]
	s_and_b64 s[4:5], s[24:25], s[56:57]
	s_and_saveexec_b64 s[2:3], s[4:5]
	s_cbranch_execnz .LBB139_346
.LBB139_239:
	s_or_b64 exec, exec, s[2:3]
	s_and_b64 s[4:5], s[24:25], s[58:59]
	s_and_saveexec_b64 s[2:3], s[4:5]
	s_cbranch_execnz .LBB139_350
.LBB139_240:
	s_or_b64 exec, exec, s[2:3]
	s_and_b64 s[4:5], s[24:25], s[60:61]
	s_and_saveexec_b64 s[2:3], s[4:5]
	s_cbranch_execnz .LBB139_354
.LBB139_241:
	s_or_b64 exec, exec, s[2:3]
	s_and_b64 s[4:5], s[24:25], s[62:63]
	s_and_saveexec_b64 s[2:3], s[4:5]
	s_cbranch_execnz .LBB139_358
.LBB139_242:
	s_or_b64 exec, exec, s[2:3]
	s_and_b64 s[4:5], s[24:25], s[64:65]
	s_and_saveexec_b64 s[2:3], s[4:5]
	s_cbranch_execnz .LBB139_362
.LBB139_243:
	s_or_b64 exec, exec, s[2:3]
	s_and_b64 s[4:5], s[24:25], s[66:67]
	s_and_saveexec_b64 s[2:3], s[4:5]
	s_cbranch_execnz .LBB139_366
.LBB139_244:
	s_or_b64 exec, exec, s[2:3]
	s_and_b64 s[2:3], s[24:25], s[68:69]
	s_and_saveexec_b64 s[4:5], s[2:3]
	s_cbranch_execnz .LBB139_370
.LBB139_245:
	s_endpgm
.LBB139_246:
	s_and_b64 vcc, exec, s[0:1]
	s_cbranch_vccnz .LBB139_248
; %bb.247:
	v_lshl_add_u64 v[132:133], v[128:129], 3, v[130:131]
	flat_load_dwordx2 v[132:133], v[132:133]
	s_waitcnt vmcnt(0) lgkmcnt(0)
	v_mul_f64 v[132:133], s[70:71], v[132:133]
	s_branch .LBB139_249
.LBB139_248:
	v_mov_b64_e32 v[132:133], 0
.LBB139_249:
	v_add_f64 v[62:63], v[62:63], v[132:133]
	v_lshl_add_u64 v[128:129], v[128:129], 3, v[64:65]
	flat_store_dwordx2 v[128:129], v[62:63]
	s_or_b64 exec, exec, s[2:3]
	s_and_b64 s[4:5], s[24:25], s[4:5]
	s_and_saveexec_b64 s[2:3], s[4:5]
	s_cbranch_execz .LBB139_215
.LBB139_250:
	s_and_b64 vcc, exec, s[0:1]
	s_cbranch_vccnz .LBB139_252
; %bb.251:
	v_lshl_add_u64 v[62:63], v[126:127], 3, v[130:131]
	flat_load_dwordx2 v[62:63], v[62:63]
	s_waitcnt vmcnt(0) lgkmcnt(0)
	v_mul_f64 v[62:63], s[70:71], v[62:63]
	s_branch .LBB139_253
.LBB139_252:
	v_mov_b64_e32 v[62:63], 0
.LBB139_253:
	v_add_f64 v[60:61], v[60:61], v[62:63]
	v_lshl_add_u64 v[62:63], v[126:127], 3, v[64:65]
	flat_store_dwordx2 v[62:63], v[60:61]
	s_or_b64 exec, exec, s[2:3]
	s_and_b64 s[4:5], s[24:25], s[6:7]
	s_and_saveexec_b64 s[2:3], s[4:5]
	s_cbranch_execz .LBB139_216
.LBB139_254:
	s_and_b64 vcc, exec, s[0:1]
	s_cbranch_vccnz .LBB139_256
; %bb.255:
	v_lshl_add_u64 v[60:61], v[124:125], 3, v[130:131]
	flat_load_dwordx2 v[60:61], v[60:61]
	s_waitcnt vmcnt(0) lgkmcnt(0)
	v_mul_f64 v[60:61], s[70:71], v[60:61]
	s_branch .LBB139_257
.LBB139_256:
	v_mov_b64_e32 v[60:61], 0
.LBB139_257:
	v_add_f64 v[58:59], v[58:59], v[60:61]
	v_lshl_add_u64 v[60:61], v[124:125], 3, v[64:65]
	flat_store_dwordx2 v[60:61], v[58:59]
	s_or_b64 exec, exec, s[2:3]
	s_and_b64 s[4:5], s[24:25], s[8:9]
	s_and_saveexec_b64 s[2:3], s[4:5]
	s_cbranch_execz .LBB139_217
.LBB139_258:
	s_and_b64 vcc, exec, s[0:1]
	s_cbranch_vccnz .LBB139_260
; %bb.259:
	v_lshl_add_u64 v[58:59], v[122:123], 3, v[130:131]
	flat_load_dwordx2 v[58:59], v[58:59]
	s_waitcnt vmcnt(0) lgkmcnt(0)
	v_mul_f64 v[58:59], s[70:71], v[58:59]
	s_branch .LBB139_261
.LBB139_260:
	v_mov_b64_e32 v[58:59], 0
.LBB139_261:
	v_add_f64 v[56:57], v[56:57], v[58:59]
	v_lshl_add_u64 v[58:59], v[122:123], 3, v[64:65]
	flat_store_dwordx2 v[58:59], v[56:57]
	s_or_b64 exec, exec, s[2:3]
	s_and_b64 s[4:5], s[24:25], s[10:11]
	s_and_saveexec_b64 s[2:3], s[4:5]
	s_cbranch_execz .LBB139_218
.LBB139_262:
	s_and_b64 vcc, exec, s[0:1]
	s_cbranch_vccnz .LBB139_264
; %bb.263:
	v_lshl_add_u64 v[56:57], v[120:121], 3, v[130:131]
	flat_load_dwordx2 v[56:57], v[56:57]
	s_waitcnt vmcnt(0) lgkmcnt(0)
	v_mul_f64 v[56:57], s[70:71], v[56:57]
	s_branch .LBB139_265
.LBB139_264:
	v_mov_b64_e32 v[56:57], 0
.LBB139_265:
	v_add_f64 v[54:55], v[54:55], v[56:57]
	v_lshl_add_u64 v[56:57], v[120:121], 3, v[64:65]
	flat_store_dwordx2 v[56:57], v[54:55]
	s_or_b64 exec, exec, s[2:3]
	s_and_b64 s[4:5], s[24:25], s[12:13]
	s_and_saveexec_b64 s[2:3], s[4:5]
	s_cbranch_execz .LBB139_219
.LBB139_266:
	s_and_b64 vcc, exec, s[0:1]
	s_cbranch_vccnz .LBB139_268
; %bb.267:
	v_lshl_add_u64 v[54:55], v[118:119], 3, v[130:131]
	flat_load_dwordx2 v[54:55], v[54:55]
	s_waitcnt vmcnt(0) lgkmcnt(0)
	v_mul_f64 v[54:55], s[70:71], v[54:55]
	s_branch .LBB139_269
.LBB139_268:
	v_mov_b64_e32 v[54:55], 0
.LBB139_269:
	v_add_f64 v[52:53], v[52:53], v[54:55]
	v_lshl_add_u64 v[54:55], v[118:119], 3, v[64:65]
	flat_store_dwordx2 v[54:55], v[52:53]
	s_or_b64 exec, exec, s[2:3]
	s_and_b64 s[4:5], s[24:25], s[14:15]
	s_and_saveexec_b64 s[2:3], s[4:5]
	s_cbranch_execz .LBB139_220
.LBB139_270:
	s_and_b64 vcc, exec, s[0:1]
	s_cbranch_vccnz .LBB139_272
; %bb.271:
	v_lshl_add_u64 v[52:53], v[116:117], 3, v[130:131]
	flat_load_dwordx2 v[52:53], v[52:53]
	s_waitcnt vmcnt(0) lgkmcnt(0)
	v_mul_f64 v[52:53], s[70:71], v[52:53]
	s_branch .LBB139_273
.LBB139_272:
	v_mov_b64_e32 v[52:53], 0
.LBB139_273:
	v_add_f64 v[50:51], v[50:51], v[52:53]
	v_lshl_add_u64 v[52:53], v[116:117], 3, v[64:65]
	flat_store_dwordx2 v[52:53], v[50:51]
	s_or_b64 exec, exec, s[2:3]
	s_and_b64 s[4:5], s[24:25], s[16:17]
	s_and_saveexec_b64 s[2:3], s[4:5]
	s_cbranch_execz .LBB139_221
.LBB139_274:
	s_and_b64 vcc, exec, s[0:1]
	s_cbranch_vccnz .LBB139_276
; %bb.275:
	v_lshl_add_u64 v[50:51], v[114:115], 3, v[130:131]
	flat_load_dwordx2 v[50:51], v[50:51]
	s_waitcnt vmcnt(0) lgkmcnt(0)
	v_mul_f64 v[50:51], s[70:71], v[50:51]
	s_branch .LBB139_277
.LBB139_276:
	v_mov_b64_e32 v[50:51], 0
.LBB139_277:
	v_add_f64 v[48:49], v[48:49], v[50:51]
	v_lshl_add_u64 v[50:51], v[114:115], 3, v[64:65]
	flat_store_dwordx2 v[50:51], v[48:49]
	s_or_b64 exec, exec, s[2:3]
	s_and_b64 s[4:5], s[24:25], s[18:19]
	s_and_saveexec_b64 s[2:3], s[4:5]
	s_cbranch_execz .LBB139_222
.LBB139_278:
	s_and_b64 vcc, exec, s[0:1]
	s_cbranch_vccnz .LBB139_280
; %bb.279:
	v_lshl_add_u64 v[48:49], v[112:113], 3, v[130:131]
	flat_load_dwordx2 v[48:49], v[48:49]
	s_waitcnt vmcnt(0) lgkmcnt(0)
	v_mul_f64 v[48:49], s[70:71], v[48:49]
	s_branch .LBB139_281
.LBB139_280:
	v_mov_b64_e32 v[48:49], 0
.LBB139_281:
	v_add_f64 v[46:47], v[46:47], v[48:49]
	v_lshl_add_u64 v[48:49], v[112:113], 3, v[64:65]
	flat_store_dwordx2 v[48:49], v[46:47]
	s_or_b64 exec, exec, s[2:3]
	s_and_b64 s[4:5], s[24:25], s[20:21]
	s_and_saveexec_b64 s[2:3], s[4:5]
	s_cbranch_execz .LBB139_223
.LBB139_282:
	s_and_b64 vcc, exec, s[0:1]
	s_cbranch_vccnz .LBB139_284
; %bb.283:
	v_lshl_add_u64 v[46:47], v[110:111], 3, v[130:131]
	flat_load_dwordx2 v[46:47], v[46:47]
	s_waitcnt vmcnt(0) lgkmcnt(0)
	v_mul_f64 v[46:47], s[70:71], v[46:47]
	s_branch .LBB139_285
.LBB139_284:
	v_mov_b64_e32 v[46:47], 0
.LBB139_285:
	v_add_f64 v[44:45], v[44:45], v[46:47]
	v_lshl_add_u64 v[46:47], v[110:111], 3, v[64:65]
	flat_store_dwordx2 v[46:47], v[44:45]
	s_or_b64 exec, exec, s[2:3]
	s_and_b64 s[4:5], s[24:25], s[22:23]
	s_and_saveexec_b64 s[2:3], s[4:5]
	s_cbranch_execz .LBB139_224
.LBB139_286:
	s_and_b64 vcc, exec, s[0:1]
	s_cbranch_vccnz .LBB139_288
; %bb.287:
	v_lshl_add_u64 v[44:45], v[108:109], 3, v[130:131]
	flat_load_dwordx2 v[44:45], v[44:45]
	s_waitcnt vmcnt(0) lgkmcnt(0)
	v_mul_f64 v[44:45], s[70:71], v[44:45]
	s_branch .LBB139_289
.LBB139_288:
	v_mov_b64_e32 v[44:45], 0
.LBB139_289:
	v_add_f64 v[42:43], v[42:43], v[44:45]
	v_lshl_add_u64 v[44:45], v[108:109], 3, v[64:65]
	flat_store_dwordx2 v[44:45], v[42:43]
	s_or_b64 exec, exec, s[2:3]
	s_and_b64 s[4:5], s[24:25], s[26:27]
	s_and_saveexec_b64 s[2:3], s[4:5]
	s_cbranch_execz .LBB139_225
.LBB139_290:
	s_and_b64 vcc, exec, s[0:1]
	s_cbranch_vccnz .LBB139_292
; %bb.291:
	v_lshl_add_u64 v[42:43], v[106:107], 3, v[130:131]
	flat_load_dwordx2 v[42:43], v[42:43]
	s_waitcnt vmcnt(0) lgkmcnt(0)
	v_mul_f64 v[42:43], s[70:71], v[42:43]
	s_branch .LBB139_293
.LBB139_292:
	v_mov_b64_e32 v[42:43], 0
.LBB139_293:
	v_add_f64 v[40:41], v[40:41], v[42:43]
	v_lshl_add_u64 v[42:43], v[106:107], 3, v[64:65]
	flat_store_dwordx2 v[42:43], v[40:41]
	s_or_b64 exec, exec, s[2:3]
	s_and_b64 s[4:5], s[24:25], s[28:29]
	s_and_saveexec_b64 s[2:3], s[4:5]
	s_cbranch_execz .LBB139_226
.LBB139_294:
	s_and_b64 vcc, exec, s[0:1]
	s_cbranch_vccnz .LBB139_296
; %bb.295:
	v_lshl_add_u64 v[40:41], v[104:105], 3, v[130:131]
	flat_load_dwordx2 v[40:41], v[40:41]
	s_waitcnt vmcnt(0) lgkmcnt(0)
	v_mul_f64 v[40:41], s[70:71], v[40:41]
	s_branch .LBB139_297
.LBB139_296:
	v_mov_b64_e32 v[40:41], 0
.LBB139_297:
	v_add_f64 v[38:39], v[38:39], v[40:41]
	v_lshl_add_u64 v[40:41], v[104:105], 3, v[64:65]
	flat_store_dwordx2 v[40:41], v[38:39]
	s_or_b64 exec, exec, s[2:3]
	s_and_b64 s[4:5], s[24:25], s[30:31]
	s_and_saveexec_b64 s[2:3], s[4:5]
	s_cbranch_execz .LBB139_227
.LBB139_298:
	s_and_b64 vcc, exec, s[0:1]
	s_cbranch_vccnz .LBB139_300
; %bb.299:
	v_lshl_add_u64 v[38:39], v[102:103], 3, v[130:131]
	flat_load_dwordx2 v[38:39], v[38:39]
	s_waitcnt vmcnt(0) lgkmcnt(0)
	v_mul_f64 v[38:39], s[70:71], v[38:39]
	s_branch .LBB139_301
.LBB139_300:
	v_mov_b64_e32 v[38:39], 0
.LBB139_301:
	v_add_f64 v[36:37], v[36:37], v[38:39]
	v_lshl_add_u64 v[38:39], v[102:103], 3, v[64:65]
	flat_store_dwordx2 v[38:39], v[36:37]
	s_or_b64 exec, exec, s[2:3]
	s_and_b64 s[4:5], s[24:25], s[34:35]
	s_and_saveexec_b64 s[2:3], s[4:5]
	s_cbranch_execz .LBB139_228
.LBB139_302:
	s_and_b64 vcc, exec, s[0:1]
	s_cbranch_vccnz .LBB139_304
; %bb.303:
	v_lshl_add_u64 v[36:37], v[100:101], 3, v[130:131]
	flat_load_dwordx2 v[36:37], v[36:37]
	s_waitcnt vmcnt(0) lgkmcnt(0)
	v_mul_f64 v[36:37], s[70:71], v[36:37]
	s_branch .LBB139_305
.LBB139_304:
	v_mov_b64_e32 v[36:37], 0
.LBB139_305:
	v_add_f64 v[34:35], v[34:35], v[36:37]
	v_lshl_add_u64 v[36:37], v[100:101], 3, v[64:65]
	flat_store_dwordx2 v[36:37], v[34:35]
	s_or_b64 exec, exec, s[2:3]
	s_and_b64 s[4:5], s[24:25], s[36:37]
	s_and_saveexec_b64 s[2:3], s[4:5]
	s_cbranch_execz .LBB139_229
.LBB139_306:
	s_and_b64 vcc, exec, s[0:1]
	s_cbranch_vccnz .LBB139_308
; %bb.307:
	v_lshl_add_u64 v[34:35], v[98:99], 3, v[130:131]
	flat_load_dwordx2 v[34:35], v[34:35]
	s_waitcnt vmcnt(0) lgkmcnt(0)
	v_mul_f64 v[34:35], s[70:71], v[34:35]
	s_branch .LBB139_309
.LBB139_308:
	v_mov_b64_e32 v[34:35], 0
.LBB139_309:
	v_add_f64 v[32:33], v[32:33], v[34:35]
	v_lshl_add_u64 v[34:35], v[98:99], 3, v[64:65]
	flat_store_dwordx2 v[34:35], v[32:33]
	s_or_b64 exec, exec, s[2:3]
	s_and_b64 s[4:5], s[24:25], s[38:39]
	s_and_saveexec_b64 s[2:3], s[4:5]
	s_cbranch_execz .LBB139_230
.LBB139_310:
	s_and_b64 vcc, exec, s[0:1]
	s_cbranch_vccnz .LBB139_312
; %bb.311:
	v_lshl_add_u64 v[32:33], v[96:97], 3, v[130:131]
	flat_load_dwordx2 v[32:33], v[32:33]
	s_waitcnt vmcnt(0) lgkmcnt(0)
	v_mul_f64 v[32:33], s[70:71], v[32:33]
	s_branch .LBB139_313
.LBB139_312:
	v_mov_b64_e32 v[32:33], 0
.LBB139_313:
	v_add_f64 v[30:31], v[30:31], v[32:33]
	v_lshl_add_u64 v[32:33], v[96:97], 3, v[64:65]
	flat_store_dwordx2 v[32:33], v[30:31]
	s_or_b64 exec, exec, s[2:3]
	s_and_b64 s[4:5], s[24:25], s[40:41]
	s_and_saveexec_b64 s[2:3], s[4:5]
	s_cbranch_execz .LBB139_231
.LBB139_314:
	s_and_b64 vcc, exec, s[0:1]
	s_cbranch_vccnz .LBB139_316
; %bb.315:
	v_lshl_add_u64 v[30:31], v[94:95], 3, v[130:131]
	flat_load_dwordx2 v[30:31], v[30:31]
	s_waitcnt vmcnt(0) lgkmcnt(0)
	v_mul_f64 v[30:31], s[70:71], v[30:31]
	s_branch .LBB139_317
.LBB139_316:
	v_mov_b64_e32 v[30:31], 0
.LBB139_317:
	v_add_f64 v[28:29], v[28:29], v[30:31]
	v_lshl_add_u64 v[30:31], v[94:95], 3, v[64:65]
	flat_store_dwordx2 v[30:31], v[28:29]
	s_or_b64 exec, exec, s[2:3]
	s_and_b64 s[4:5], s[24:25], s[42:43]
	s_and_saveexec_b64 s[2:3], s[4:5]
	s_cbranch_execz .LBB139_232
.LBB139_318:
	s_and_b64 vcc, exec, s[0:1]
	s_cbranch_vccnz .LBB139_320
; %bb.319:
	v_lshl_add_u64 v[28:29], v[92:93], 3, v[130:131]
	flat_load_dwordx2 v[28:29], v[28:29]
	s_waitcnt vmcnt(0) lgkmcnt(0)
	v_mul_f64 v[28:29], s[70:71], v[28:29]
	s_branch .LBB139_321
.LBB139_320:
	v_mov_b64_e32 v[28:29], 0
.LBB139_321:
	v_add_f64 v[26:27], v[26:27], v[28:29]
	v_lshl_add_u64 v[28:29], v[92:93], 3, v[64:65]
	flat_store_dwordx2 v[28:29], v[26:27]
	s_or_b64 exec, exec, s[2:3]
	s_and_b64 s[4:5], s[24:25], s[44:45]
	s_and_saveexec_b64 s[2:3], s[4:5]
	s_cbranch_execz .LBB139_233
.LBB139_322:
	s_and_b64 vcc, exec, s[0:1]
	s_cbranch_vccnz .LBB139_324
; %bb.323:
	v_lshl_add_u64 v[26:27], v[90:91], 3, v[130:131]
	flat_load_dwordx2 v[26:27], v[26:27]
	s_waitcnt vmcnt(0) lgkmcnt(0)
	v_mul_f64 v[26:27], s[70:71], v[26:27]
	s_branch .LBB139_325
.LBB139_324:
	v_mov_b64_e32 v[26:27], 0
.LBB139_325:
	v_add_f64 v[24:25], v[24:25], v[26:27]
	v_lshl_add_u64 v[26:27], v[90:91], 3, v[64:65]
	flat_store_dwordx2 v[26:27], v[24:25]
	s_or_b64 exec, exec, s[2:3]
	s_and_b64 s[4:5], s[24:25], s[46:47]
	s_and_saveexec_b64 s[2:3], s[4:5]
	s_cbranch_execz .LBB139_234
.LBB139_326:
	s_and_b64 vcc, exec, s[0:1]
	s_cbranch_vccnz .LBB139_328
; %bb.327:
	v_lshl_add_u64 v[24:25], v[88:89], 3, v[130:131]
	flat_load_dwordx2 v[24:25], v[24:25]
	s_waitcnt vmcnt(0) lgkmcnt(0)
	v_mul_f64 v[24:25], s[70:71], v[24:25]
	s_branch .LBB139_329
.LBB139_328:
	v_mov_b64_e32 v[24:25], 0
.LBB139_329:
	v_add_f64 v[22:23], v[22:23], v[24:25]
	v_lshl_add_u64 v[24:25], v[88:89], 3, v[64:65]
	flat_store_dwordx2 v[24:25], v[22:23]
	s_or_b64 exec, exec, s[2:3]
	s_and_b64 s[4:5], s[24:25], s[48:49]
	s_and_saveexec_b64 s[2:3], s[4:5]
	s_cbranch_execz .LBB139_235
.LBB139_330:
	s_and_b64 vcc, exec, s[0:1]
	s_cbranch_vccnz .LBB139_332
; %bb.331:
	v_lshl_add_u64 v[22:23], v[86:87], 3, v[130:131]
	flat_load_dwordx2 v[22:23], v[22:23]
	s_waitcnt vmcnt(0) lgkmcnt(0)
	v_mul_f64 v[22:23], s[70:71], v[22:23]
	s_branch .LBB139_333
.LBB139_332:
	v_mov_b64_e32 v[22:23], 0
.LBB139_333:
	v_add_f64 v[20:21], v[20:21], v[22:23]
	v_lshl_add_u64 v[22:23], v[86:87], 3, v[64:65]
	flat_store_dwordx2 v[22:23], v[20:21]
	s_or_b64 exec, exec, s[2:3]
	s_and_b64 s[4:5], s[24:25], s[50:51]
	s_and_saveexec_b64 s[2:3], s[4:5]
	s_cbranch_execz .LBB139_236
.LBB139_334:
	s_and_b64 vcc, exec, s[0:1]
	s_cbranch_vccnz .LBB139_336
; %bb.335:
	v_lshl_add_u64 v[20:21], v[84:85], 3, v[130:131]
	flat_load_dwordx2 v[20:21], v[20:21]
	s_waitcnt vmcnt(0) lgkmcnt(0)
	v_mul_f64 v[20:21], s[70:71], v[20:21]
	s_branch .LBB139_337
.LBB139_336:
	v_mov_b64_e32 v[20:21], 0
.LBB139_337:
	v_add_f64 v[18:19], v[18:19], v[20:21]
	v_lshl_add_u64 v[20:21], v[84:85], 3, v[64:65]
	flat_store_dwordx2 v[20:21], v[18:19]
	s_or_b64 exec, exec, s[2:3]
	s_and_b64 s[4:5], s[24:25], s[52:53]
	s_and_saveexec_b64 s[2:3], s[4:5]
	s_cbranch_execz .LBB139_237
.LBB139_338:
	s_and_b64 vcc, exec, s[0:1]
	s_cbranch_vccnz .LBB139_340
; %bb.339:
	v_lshl_add_u64 v[18:19], v[82:83], 3, v[130:131]
	flat_load_dwordx2 v[18:19], v[18:19]
	s_waitcnt vmcnt(0) lgkmcnt(0)
	v_mul_f64 v[18:19], s[70:71], v[18:19]
	s_branch .LBB139_341
.LBB139_340:
	v_mov_b64_e32 v[18:19], 0
.LBB139_341:
	v_add_f64 v[16:17], v[16:17], v[18:19]
	v_lshl_add_u64 v[18:19], v[82:83], 3, v[64:65]
	flat_store_dwordx2 v[18:19], v[16:17]
	s_or_b64 exec, exec, s[2:3]
	s_and_b64 s[4:5], s[24:25], s[54:55]
	s_and_saveexec_b64 s[2:3], s[4:5]
	s_cbranch_execz .LBB139_238
.LBB139_342:
	s_and_b64 vcc, exec, s[0:1]
	s_cbranch_vccnz .LBB139_344
; %bb.343:
	v_lshl_add_u64 v[16:17], v[80:81], 3, v[130:131]
	flat_load_dwordx2 v[16:17], v[16:17]
	s_waitcnt vmcnt(0) lgkmcnt(0)
	v_mul_f64 v[16:17], s[70:71], v[16:17]
	s_branch .LBB139_345
.LBB139_344:
	v_mov_b64_e32 v[16:17], 0
.LBB139_345:
	v_add_f64 v[14:15], v[14:15], v[16:17]
	v_lshl_add_u64 v[16:17], v[80:81], 3, v[64:65]
	flat_store_dwordx2 v[16:17], v[14:15]
	s_or_b64 exec, exec, s[2:3]
	s_and_b64 s[4:5], s[24:25], s[56:57]
	s_and_saveexec_b64 s[2:3], s[4:5]
	s_cbranch_execz .LBB139_239
.LBB139_346:
	s_and_b64 vcc, exec, s[0:1]
	s_cbranch_vccnz .LBB139_348
; %bb.347:
	v_lshl_add_u64 v[14:15], v[78:79], 3, v[130:131]
	flat_load_dwordx2 v[14:15], v[14:15]
	s_waitcnt vmcnt(0) lgkmcnt(0)
	v_mul_f64 v[14:15], s[70:71], v[14:15]
	s_branch .LBB139_349
.LBB139_348:
	v_mov_b64_e32 v[14:15], 0
.LBB139_349:
	v_add_f64 v[12:13], v[12:13], v[14:15]
	v_lshl_add_u64 v[14:15], v[78:79], 3, v[64:65]
	flat_store_dwordx2 v[14:15], v[12:13]
	s_or_b64 exec, exec, s[2:3]
	s_and_b64 s[4:5], s[24:25], s[58:59]
	s_and_saveexec_b64 s[2:3], s[4:5]
	s_cbranch_execz .LBB139_240
.LBB139_350:
	s_and_b64 vcc, exec, s[0:1]
	s_cbranch_vccnz .LBB139_352
; %bb.351:
	v_lshl_add_u64 v[12:13], v[76:77], 3, v[130:131]
	flat_load_dwordx2 v[12:13], v[12:13]
	s_waitcnt vmcnt(0) lgkmcnt(0)
	v_mul_f64 v[12:13], s[70:71], v[12:13]
	s_branch .LBB139_353
.LBB139_352:
	v_mov_b64_e32 v[12:13], 0
.LBB139_353:
	v_add_f64 v[10:11], v[10:11], v[12:13]
	v_lshl_add_u64 v[12:13], v[76:77], 3, v[64:65]
	flat_store_dwordx2 v[12:13], v[10:11]
	s_or_b64 exec, exec, s[2:3]
	s_and_b64 s[4:5], s[24:25], s[60:61]
	s_and_saveexec_b64 s[2:3], s[4:5]
	s_cbranch_execz .LBB139_241
.LBB139_354:
	s_and_b64 vcc, exec, s[0:1]
	s_cbranch_vccnz .LBB139_356
; %bb.355:
	v_lshl_add_u64 v[10:11], v[74:75], 3, v[130:131]
	flat_load_dwordx2 v[10:11], v[10:11]
	s_waitcnt vmcnt(0) lgkmcnt(0)
	v_mul_f64 v[10:11], s[70:71], v[10:11]
	s_branch .LBB139_357
.LBB139_356:
	v_mov_b64_e32 v[10:11], 0
.LBB139_357:
	v_add_f64 v[8:9], v[8:9], v[10:11]
	v_lshl_add_u64 v[10:11], v[74:75], 3, v[64:65]
	flat_store_dwordx2 v[10:11], v[8:9]
	s_or_b64 exec, exec, s[2:3]
	s_and_b64 s[4:5], s[24:25], s[62:63]
	s_and_saveexec_b64 s[2:3], s[4:5]
	s_cbranch_execz .LBB139_242
.LBB139_358:
	s_and_b64 vcc, exec, s[0:1]
	s_cbranch_vccnz .LBB139_360
; %bb.359:
	v_lshl_add_u64 v[8:9], v[72:73], 3, v[130:131]
	flat_load_dwordx2 v[8:9], v[8:9]
	s_waitcnt vmcnt(0) lgkmcnt(0)
	v_mul_f64 v[8:9], s[70:71], v[8:9]
	s_branch .LBB139_361
.LBB139_360:
	v_mov_b64_e32 v[8:9], 0
.LBB139_361:
	v_add_f64 v[6:7], v[6:7], v[8:9]
	v_lshl_add_u64 v[8:9], v[72:73], 3, v[64:65]
	flat_store_dwordx2 v[8:9], v[6:7]
	s_or_b64 exec, exec, s[2:3]
	s_and_b64 s[4:5], s[24:25], s[64:65]
	s_and_saveexec_b64 s[2:3], s[4:5]
	s_cbranch_execz .LBB139_243
.LBB139_362:
	s_and_b64 vcc, exec, s[0:1]
	s_cbranch_vccnz .LBB139_364
; %bb.363:
	v_lshl_add_u64 v[6:7], v[70:71], 3, v[130:131]
	flat_load_dwordx2 v[6:7], v[6:7]
	s_waitcnt vmcnt(0) lgkmcnt(0)
	v_mul_f64 v[6:7], s[70:71], v[6:7]
	s_branch .LBB139_365
.LBB139_364:
	v_mov_b64_e32 v[6:7], 0
.LBB139_365:
	v_add_f64 v[4:5], v[4:5], v[6:7]
	v_lshl_add_u64 v[6:7], v[70:71], 3, v[64:65]
	flat_store_dwordx2 v[6:7], v[4:5]
	s_or_b64 exec, exec, s[2:3]
	s_and_b64 s[4:5], s[24:25], s[66:67]
	s_and_saveexec_b64 s[2:3], s[4:5]
	s_cbranch_execz .LBB139_244
.LBB139_366:
	s_and_b64 vcc, exec, s[0:1]
	s_cbranch_vccnz .LBB139_368
; %bb.367:
	v_lshl_add_u64 v[4:5], v[68:69], 3, v[130:131]
	flat_load_dwordx2 v[4:5], v[4:5]
	s_waitcnt vmcnt(0) lgkmcnt(0)
	v_mul_f64 v[4:5], s[70:71], v[4:5]
	s_branch .LBB139_369
.LBB139_368:
	v_mov_b64_e32 v[4:5], 0
.LBB139_369:
	v_add_f64 v[2:3], v[2:3], v[4:5]
	v_lshl_add_u64 v[4:5], v[68:69], 3, v[64:65]
	flat_store_dwordx2 v[4:5], v[2:3]
	s_or_b64 exec, exec, s[2:3]
	s_and_b64 s[2:3], s[24:25], s[68:69]
	s_and_saveexec_b64 s[4:5], s[2:3]
	s_cbranch_execz .LBB139_245
.LBB139_370:
	s_and_b64 vcc, exec, s[0:1]
	s_cbranch_vccnz .LBB139_372
; %bb.371:
	v_lshl_add_u64 v[2:3], v[66:67], 3, v[130:131]
	flat_load_dwordx2 v[2:3], v[2:3]
	s_waitcnt vmcnt(0) lgkmcnt(0)
	v_mul_f64 v[2:3], s[70:71], v[2:3]
	v_add_f64 v[0:1], v[0:1], v[2:3]
	v_lshl_add_u64 v[2:3], v[66:67], 3, v[64:65]
	flat_store_dwordx2 v[2:3], v[0:1]
	s_endpgm
.LBB139_372:
	v_mov_b64_e32 v[2:3], 0
	v_add_f64 v[0:1], v[0:1], v[2:3]
	v_lshl_add_u64 v[2:3], v[66:67], 3, v[64:65]
	flat_store_dwordx2 v[2:3], v[0:1]
	s_endpgm
	.section	.rodata,"a",@progbits
	.p2align	6, 0x0
	.amdhsa_kernel _ZN12_GLOBAL__N_120geam_min_plus_kernelIdddLi4ELi64ELi128ELi128ELi4ELi4ELi64ELi4ELi64ELc84ELc78ELb1ELb1ELb0EdKPKdKPdEEviiiT16_PT17_ilS8_ilS6_S8_ilPT18_ili26rocblas_geam_ex_operation_
		.amdhsa_group_segment_fixed_size 16384
		.amdhsa_private_segment_fixed_size 0
		.amdhsa_kernarg_size 136
		.amdhsa_user_sgpr_count 2
		.amdhsa_user_sgpr_dispatch_ptr 0
		.amdhsa_user_sgpr_queue_ptr 0
		.amdhsa_user_sgpr_kernarg_segment_ptr 1
		.amdhsa_user_sgpr_dispatch_id 0
		.amdhsa_user_sgpr_kernarg_preload_length 0
		.amdhsa_user_sgpr_kernarg_preload_offset 0
		.amdhsa_user_sgpr_private_segment_size 0
		.amdhsa_uses_dynamic_stack 0
		.amdhsa_enable_private_segment 0
		.amdhsa_system_sgpr_workgroup_id_x 1
		.amdhsa_system_sgpr_workgroup_id_y 0
		.amdhsa_system_sgpr_workgroup_id_z 1
		.amdhsa_system_sgpr_workgroup_info 0
		.amdhsa_system_vgpr_workitem_id 1
		.amdhsa_next_free_vgpr 252
		.amdhsa_next_free_sgpr 82
		.amdhsa_accum_offset 252
		.amdhsa_reserve_vcc 1
		.amdhsa_float_round_mode_32 0
		.amdhsa_float_round_mode_16_64 0
		.amdhsa_float_denorm_mode_32 3
		.amdhsa_float_denorm_mode_16_64 3
		.amdhsa_dx10_clamp 1
		.amdhsa_ieee_mode 1
		.amdhsa_fp16_overflow 0
		.amdhsa_tg_split 0
		.amdhsa_exception_fp_ieee_invalid_op 0
		.amdhsa_exception_fp_denorm_src 0
		.amdhsa_exception_fp_ieee_div_zero 0
		.amdhsa_exception_fp_ieee_overflow 0
		.amdhsa_exception_fp_ieee_underflow 0
		.amdhsa_exception_fp_ieee_inexact 0
		.amdhsa_exception_int_div_zero 0
	.end_amdhsa_kernel
	.section	.text._ZN12_GLOBAL__N_120geam_min_plus_kernelIdddLi4ELi64ELi128ELi128ELi4ELi4ELi64ELi4ELi64ELc84ELc78ELb1ELb1ELb0EdKPKdKPdEEviiiT16_PT17_ilS8_ilS6_S8_ilPT18_ili26rocblas_geam_ex_operation_,"axG",@progbits,_ZN12_GLOBAL__N_120geam_min_plus_kernelIdddLi4ELi64ELi128ELi128ELi4ELi4ELi64ELi4ELi64ELc84ELc78ELb1ELb1ELb0EdKPKdKPdEEviiiT16_PT17_ilS8_ilS6_S8_ilPT18_ili26rocblas_geam_ex_operation_,comdat
.Lfunc_end139:
	.size	_ZN12_GLOBAL__N_120geam_min_plus_kernelIdddLi4ELi64ELi128ELi128ELi4ELi4ELi64ELi4ELi64ELc84ELc78ELb1ELb1ELb0EdKPKdKPdEEviiiT16_PT17_ilS8_ilS6_S8_ilPT18_ili26rocblas_geam_ex_operation_, .Lfunc_end139-_ZN12_GLOBAL__N_120geam_min_plus_kernelIdddLi4ELi64ELi128ELi128ELi4ELi4ELi64ELi4ELi64ELc84ELc78ELb1ELb1ELb0EdKPKdKPdEEviiiT16_PT17_ilS8_ilS6_S8_ilPT18_ili26rocblas_geam_ex_operation_
                                        ; -- End function
	.set _ZN12_GLOBAL__N_120geam_min_plus_kernelIdddLi4ELi64ELi128ELi128ELi4ELi4ELi64ELi4ELi64ELc84ELc78ELb1ELb1ELb0EdKPKdKPdEEviiiT16_PT17_ilS8_ilS6_S8_ilPT18_ili26rocblas_geam_ex_operation_.num_vgpr, 252
	.set _ZN12_GLOBAL__N_120geam_min_plus_kernelIdddLi4ELi64ELi128ELi128ELi4ELi4ELi64ELi4ELi64ELc84ELc78ELb1ELb1ELb0EdKPKdKPdEEviiiT16_PT17_ilS8_ilS6_S8_ilPT18_ili26rocblas_geam_ex_operation_.num_agpr, 0
	.set _ZN12_GLOBAL__N_120geam_min_plus_kernelIdddLi4ELi64ELi128ELi128ELi4ELi4ELi64ELi4ELi64ELc84ELc78ELb1ELb1ELb0EdKPKdKPdEEviiiT16_PT17_ilS8_ilS6_S8_ilPT18_ili26rocblas_geam_ex_operation_.numbered_sgpr, 82
	.set _ZN12_GLOBAL__N_120geam_min_plus_kernelIdddLi4ELi64ELi128ELi128ELi4ELi4ELi64ELi4ELi64ELc84ELc78ELb1ELb1ELb0EdKPKdKPdEEviiiT16_PT17_ilS8_ilS6_S8_ilPT18_ili26rocblas_geam_ex_operation_.num_named_barrier, 0
	.set _ZN12_GLOBAL__N_120geam_min_plus_kernelIdddLi4ELi64ELi128ELi128ELi4ELi4ELi64ELi4ELi64ELc84ELc78ELb1ELb1ELb0EdKPKdKPdEEviiiT16_PT17_ilS8_ilS6_S8_ilPT18_ili26rocblas_geam_ex_operation_.private_seg_size, 0
	.set _ZN12_GLOBAL__N_120geam_min_plus_kernelIdddLi4ELi64ELi128ELi128ELi4ELi4ELi64ELi4ELi64ELc84ELc78ELb1ELb1ELb0EdKPKdKPdEEviiiT16_PT17_ilS8_ilS6_S8_ilPT18_ili26rocblas_geam_ex_operation_.uses_vcc, 1
	.set _ZN12_GLOBAL__N_120geam_min_plus_kernelIdddLi4ELi64ELi128ELi128ELi4ELi4ELi64ELi4ELi64ELc84ELc78ELb1ELb1ELb0EdKPKdKPdEEviiiT16_PT17_ilS8_ilS6_S8_ilPT18_ili26rocblas_geam_ex_operation_.uses_flat_scratch, 0
	.set _ZN12_GLOBAL__N_120geam_min_plus_kernelIdddLi4ELi64ELi128ELi128ELi4ELi4ELi64ELi4ELi64ELc84ELc78ELb1ELb1ELb0EdKPKdKPdEEviiiT16_PT17_ilS8_ilS6_S8_ilPT18_ili26rocblas_geam_ex_operation_.has_dyn_sized_stack, 0
	.set _ZN12_GLOBAL__N_120geam_min_plus_kernelIdddLi4ELi64ELi128ELi128ELi4ELi4ELi64ELi4ELi64ELc84ELc78ELb1ELb1ELb0EdKPKdKPdEEviiiT16_PT17_ilS8_ilS6_S8_ilPT18_ili26rocblas_geam_ex_operation_.has_recursion, 0
	.set _ZN12_GLOBAL__N_120geam_min_plus_kernelIdddLi4ELi64ELi128ELi128ELi4ELi4ELi64ELi4ELi64ELc84ELc78ELb1ELb1ELb0EdKPKdKPdEEviiiT16_PT17_ilS8_ilS6_S8_ilPT18_ili26rocblas_geam_ex_operation_.has_indirect_call, 0
	.section	.AMDGPU.csdata,"",@progbits
; Kernel info:
; codeLenInByte = 14328
; TotalNumSgprs: 88
; NumVgprs: 252
; NumAgprs: 0
; TotalNumVgprs: 252
; ScratchSize: 0
; MemoryBound: 0
; FloatMode: 240
; IeeeMode: 1
; LDSByteSize: 16384 bytes/workgroup (compile time only)
; SGPRBlocks: 10
; VGPRBlocks: 31
; NumSGPRsForWavesPerEU: 88
; NumVGPRsForWavesPerEU: 252
; AccumOffset: 252
; Occupancy: 2
; WaveLimiterHint : 1
; COMPUTE_PGM_RSRC2:SCRATCH_EN: 0
; COMPUTE_PGM_RSRC2:USER_SGPR: 2
; COMPUTE_PGM_RSRC2:TRAP_HANDLER: 0
; COMPUTE_PGM_RSRC2:TGID_X_EN: 1
; COMPUTE_PGM_RSRC2:TGID_Y_EN: 0
; COMPUTE_PGM_RSRC2:TGID_Z_EN: 1
; COMPUTE_PGM_RSRC2:TIDIG_COMP_CNT: 1
; COMPUTE_PGM_RSRC3_GFX90A:ACCUM_OFFSET: 62
; COMPUTE_PGM_RSRC3_GFX90A:TG_SPLIT: 0
	.section	.text._ZN12_GLOBAL__N_120geam_min_plus_kernelIdddLi4ELi64ELi128ELi128ELi4ELi4ELi64ELi4ELi64ELc84ELc78ELb0ELb1ELb0EdKPKdKPdEEviiiT16_PT17_ilS8_ilS6_S8_ilPT18_ili26rocblas_geam_ex_operation_,"axG",@progbits,_ZN12_GLOBAL__N_120geam_min_plus_kernelIdddLi4ELi64ELi128ELi128ELi4ELi4ELi64ELi4ELi64ELc84ELc78ELb0ELb1ELb0EdKPKdKPdEEviiiT16_PT17_ilS8_ilS6_S8_ilPT18_ili26rocblas_geam_ex_operation_,comdat
	.globl	_ZN12_GLOBAL__N_120geam_min_plus_kernelIdddLi4ELi64ELi128ELi128ELi4ELi4ELi64ELi4ELi64ELc84ELc78ELb0ELb1ELb0EdKPKdKPdEEviiiT16_PT17_ilS8_ilS6_S8_ilPT18_ili26rocblas_geam_ex_operation_ ; -- Begin function _ZN12_GLOBAL__N_120geam_min_plus_kernelIdddLi4ELi64ELi128ELi128ELi4ELi4ELi64ELi4ELi64ELc84ELc78ELb0ELb1ELb0EdKPKdKPdEEviiiT16_PT17_ilS8_ilS6_S8_ilPT18_ili26rocblas_geam_ex_operation_
	.p2align	8
	.type	_ZN12_GLOBAL__N_120geam_min_plus_kernelIdddLi4ELi64ELi128ELi128ELi4ELi4ELi64ELi4ELi64ELc84ELc78ELb0ELb1ELb0EdKPKdKPdEEviiiT16_PT17_ilS8_ilS6_S8_ilPT18_ili26rocblas_geam_ex_operation_,@function
_ZN12_GLOBAL__N_120geam_min_plus_kernelIdddLi4ELi64ELi128ELi128ELi4ELi4ELi64ELi4ELi64ELc84ELc78ELb0ELb1ELb0EdKPKdKPdEEviiiT16_PT17_ilS8_ilS6_S8_ilPT18_ili26rocblas_geam_ex_operation_: ; @_ZN12_GLOBAL__N_120geam_min_plus_kernelIdddLi4ELi64ELi128ELi128ELi4ELi4ELi64ELi4ELi64ELc84ELc78ELb0ELb1ELb0EdKPKdKPdEEviiiT16_PT17_ilS8_ilS6_S8_ilPT18_ili26rocblas_geam_ex_operation_
; %bb.0:
	s_load_dwordx4 s[12:15], s[0:1], 0x10
	s_load_dwordx4 s[4:7], s[0:1], 0x28
	s_mov_b32 s8, s3
	s_mov_b64 s[16:17], 0
	s_waitcnt lgkmcnt(0)
	v_cmp_eq_f64_e64 s[10:11], s[12:13], 0
	s_and_b64 vcc, exec, s[10:11]
	s_cbranch_vccnz .LBB140_2
; %bb.1:
	s_mov_b32 s9, 0
	s_lshl_b64 s[16:17], s[8:9], 3
	s_add_u32 s14, s14, s16
	s_addc_u32 s15, s15, s17
	s_load_dwordx2 s[14:15], s[14:15], 0x0
	s_lshl_b64 s[4:5], s[4:5], 3
	s_waitcnt lgkmcnt(0)
	s_add_u32 s16, s14, s4
	s_addc_u32 s17, s15, s5
.LBB140_2:
	s_load_dwordx4 s[68:71], s[0:1], 0x40
	s_load_dwordx2 s[14:15], s[0:1], 0x50
	s_andn2_b64 vcc, exec, s[10:11]
	s_mov_b32 s9, 0
	s_cbranch_vccnz .LBB140_4
; %bb.3:
	s_mov_b64 s[76:77], 0
	s_mov_b64 s[18:19], 0
	s_cbranch_execz .LBB140_5
	s_branch .LBB140_6
.LBB140_4:
	s_mov_b64 s[76:77], 0
	s_mov_b64 s[18:19], 0
.LBB140_5:
	s_lshl_b64 s[4:5], s[8:9], 3
	s_add_u32 s4, s6, s4
	s_addc_u32 s5, s7, s5
	s_load_dwordx2 s[4:5], s[4:5], 0x0
	s_waitcnt lgkmcnt(0)
	s_lshl_b64 s[6:7], s[68:69], 3
	s_add_u32 s18, s4, s6
	s_addc_u32 s19, s5, s7
.LBB140_6:
	s_load_dwordx4 s[4:7], s[0:1], 0x60
	s_waitcnt lgkmcnt(0)
	v_cmp_eq_f64_e64 s[20:21], s[70:71], 0
	v_cmp_neq_f64_e64 s[10:11], s[70:71], 0
	s_and_b64 vcc, exec, s[20:21]
	s_cbranch_vccnz .LBB140_8
; %bb.7:
	s_lshl_b64 s[20:21], s[8:9], 3
	s_add_u32 s14, s14, s20
	s_addc_u32 s15, s15, s21
	s_load_dwordx2 s[14:15], s[14:15], 0x0
	s_lshl_b64 s[4:5], s[4:5], 3
	s_waitcnt lgkmcnt(0)
	s_add_u32 s76, s14, s4
	s_addc_u32 s77, s15, s5
.LBB140_8:
	s_load_dwordx4 s[72:75], s[0:1], 0x0
	s_load_dword s27, s[0:1], 0x20
	s_lshl_b64 s[4:5], s[8:9], 3
	s_add_u32 s14, s6, s4
	s_addc_u32 s15, s7, s5
	s_waitcnt lgkmcnt(0)
	s_add_i32 s3, s72, -1
	s_ashr_i32 s4, s3, 31
	s_lshr_b32 s4, s4, 25
	s_add_i32 s3, s3, s4
	s_ashr_i32 s3, s3, 7
	s_add_i32 s4, s3, 1
	v_cvt_f32_u32_e32 v1, s4
	s_not_b32 s3, s3
	v_bfe_u32 v146, v0, 10, 10
	v_bfe_u32 v2, v0, 2, 8
	v_rcp_iflag_f32_e32 v1, v1
	v_add_u32_e32 v137, v2, v146
	v_and_b32_e32 v148, 3, v0
	v_cmp_le_i32_e32 vcc, s74, v148
	v_mul_f32_e32 v1, 0x4f7ffffe, v1
	v_cvt_u32_f32_e32 v1, v1
	v_cmp_eq_f64_e64 s[20:21], s[12:13], 0
	v_mov_b64_e32 v[2:3], 0
	v_mov_b64_e32 v[4:5], 0
	v_readfirstlane_b32 s5, v1
	s_mul_i32 s3, s3, s5
	s_mul_hi_u32 s3, s5, s3
	s_add_i32 s5, s5, s3
	s_mul_hi_u32 s3, s2, s5
	s_mul_i32 s5, s3, s4
	s_sub_i32 s5, s2, s5
	s_add_i32 s6, s3, 1
	s_sub_i32 s7, s5, s4
	s_cmp_ge_u32 s5, s4
	s_cselect_b32 s3, s6, s3
	s_cselect_b32 s5, s7, s5
	s_add_i32 s6, s3, 1
	s_cmp_ge_u32 s5, s4
	s_cselect_b32 s8, s6, s3
	s_mul_i32 s3, s8, s4
	s_sub_i32 s2, s2, s3
	s_lshl_b32 s24, s2, 7
	s_add_i32 s26, s74, -1
	v_add_u32_e32 v136, s24, v137
	v_min_i32_e32 v6, s26, v148
	v_cmp_le_i32_e64 s[2:3], s72, v136
	v_ashrrev_i32_e32 v7, 31, v6
	s_or_b64 s[4:5], vcc, s[2:3]
	v_lshl_add_u64 v[8:9], v[6:7], 3, s[16:17]
	s_nor_b64 s[6:7], s[20:21], s[4:5]
	s_and_saveexec_b64 s[4:5], s[6:7]
	s_cbranch_execz .LBB140_10
; %bb.9:
	v_mad_i64_i32 v[4:5], s[6:7], v136, s27, 0
	v_lshl_add_u64 v[4:5], v[4:5], 3, v[8:9]
	flat_load_dwordx2 v[4:5], v[4:5]
	s_waitcnt vmcnt(0) lgkmcnt(0)
	v_mul_f64 v[4:5], s[12:13], v[4:5]
.LBB140_10:
	s_or_b64 exec, exec, s[4:5]
	v_add_u32_e32 v138, 64, v136
	v_cmp_le_i32_e64 s[4:5], s72, v138
	s_or_b64 s[6:7], vcc, s[4:5]
	s_nor_b64 s[22:23], s[20:21], s[6:7]
	s_and_saveexec_b64 s[6:7], s[22:23]
	s_cbranch_execz .LBB140_12
; %bb.11:
	v_mad_i64_i32 v[2:3], s[22:23], v138, s27, 0
	v_lshl_add_u64 v[2:3], v[2:3], 3, v[8:9]
	flat_load_dwordx2 v[2:3], v[2:3]
	s_waitcnt vmcnt(0) lgkmcnt(0)
	v_mul_f64 v[2:3], s[12:13], v[2:3]
.LBB140_12:
	s_or_b64 exec, exec, s[6:7]
	s_load_dword s28, s[0:1], 0x38
	s_lshl_b32 s25, s8, 7
	v_add_u32_e32 v139, s25, v137
	v_cmp_le_i32_e64 s[6:7], s73, v139
	s_or_b64 s[8:9], vcc, s[6:7]
	v_lshl_add_u64 v[10:11], v[6:7], 3, s[18:19]
	s_nor_b64 s[22:23], s[20:21], s[8:9]
	v_mov_b64_e32 v[6:7], 0
	v_mov_b64_e32 v[8:9], 0
	s_and_saveexec_b64 s[8:9], s[22:23]
	s_cbranch_execz .LBB140_14
; %bb.13:
	s_waitcnt lgkmcnt(0)
	v_mad_i64_i32 v[8:9], s[22:23], v139, s28, 0
	v_lshl_add_u64 v[8:9], v[8:9], 3, v[10:11]
	flat_load_dwordx2 v[8:9], v[8:9]
	s_waitcnt vmcnt(0) lgkmcnt(0)
	v_mul_f64 v[8:9], s[12:13], v[8:9]
.LBB140_14:
	s_or_b64 exec, exec, s[8:9]
	v_add_u32_e32 v140, 64, v139
	v_cmp_le_i32_e64 s[8:9], s73, v140
	s_or_b64 s[22:23], vcc, s[8:9]
	s_nor_b64 s[30:31], s[20:21], s[22:23]
	s_and_saveexec_b64 s[22:23], s[30:31]
	s_cbranch_execz .LBB140_16
; %bb.15:
	s_waitcnt lgkmcnt(0)
	v_mad_i64_i32 v[6:7], s[30:31], v140, s28, 0
	v_lshl_add_u64 v[6:7], v[6:7], 3, v[10:11]
	flat_load_dwordx2 v[6:7], v[6:7]
	s_waitcnt vmcnt(0) lgkmcnt(0)
	v_mul_f64 v[6:7], s[12:13], v[6:7]
.LBB140_16:
	s_or_b64 exec, exec, s[22:23]
	v_or_b32_e32 v1, 4, v148
	v_cmp_le_i32_e32 vcc, s74, v1
	v_min_i32_e32 v10, s26, v1
	v_ashrrev_i32_e32 v11, 31, v10
	s_or_b64 s[22:23], vcc, s[2:3]
	v_lshl_add_u64 v[12:13], v[10:11], 3, s[16:17]
	s_nor_b64 s[30:31], s[20:21], s[22:23]
	v_mov_b64_e32 v[128:129], 0
	v_mov_b64_e32 v[130:131], 0
	s_and_saveexec_b64 s[22:23], s[30:31]
	s_cbranch_execz .LBB140_18
; %bb.17:
	v_mad_i64_i32 v[14:15], s[30:31], v136, s27, 0
	v_lshl_add_u64 v[14:15], v[14:15], 3, v[12:13]
	flat_load_dwordx2 v[14:15], v[14:15]
	s_waitcnt vmcnt(0) lgkmcnt(0)
	v_mul_f64 v[130:131], s[12:13], v[14:15]
.LBB140_18:
	s_or_b64 exec, exec, s[22:23]
	s_or_b64 s[22:23], vcc, s[4:5]
	s_nor_b64 s[30:31], s[20:21], s[22:23]
	s_and_saveexec_b64 s[22:23], s[30:31]
	s_cbranch_execz .LBB140_20
; %bb.19:
	v_mad_i64_i32 v[14:15], s[30:31], v138, s27, 0
	v_lshl_add_u64 v[12:13], v[14:15], 3, v[12:13]
	flat_load_dwordx2 v[12:13], v[12:13]
	s_waitcnt vmcnt(0) lgkmcnt(0)
	v_mul_f64 v[128:129], s[12:13], v[12:13]
.LBB140_20:
	s_or_b64 exec, exec, s[22:23]
	s_or_b64 s[22:23], vcc, s[6:7]
	v_lshl_add_u64 v[10:11], v[10:11], 3, s[18:19]
	s_nor_b64 s[30:31], s[20:21], s[22:23]
	v_mov_b64_e32 v[132:133], 0
	v_mov_b64_e32 v[134:135], 0
	s_and_saveexec_b64 s[22:23], s[30:31]
	s_cbranch_execz .LBB140_22
; %bb.21:
	s_waitcnt lgkmcnt(0)
	v_mad_i64_i32 v[12:13], s[30:31], v139, s28, 0
	v_lshl_add_u64 v[12:13], v[12:13], 3, v[10:11]
	flat_load_dwordx2 v[12:13], v[12:13]
	s_waitcnt vmcnt(0) lgkmcnt(0)
	v_mul_f64 v[134:135], s[12:13], v[12:13]
.LBB140_22:
	s_or_b64 exec, exec, s[22:23]
	s_load_dwordx2 s[14:15], s[14:15], 0x0
	s_or_b64 s[22:23], vcc, s[8:9]
	v_and_b32_e32 v147, 0x3ff, v0
	s_nor_b64 s[30:31], s[20:21], s[22:23]
	s_and_saveexec_b64 s[22:23], s[30:31]
	s_cbranch_execz .LBB140_24
; %bb.23:
	s_waitcnt lgkmcnt(0)
	v_mad_i64_i32 v[0:1], s[30:31], v140, s28, 0
	v_lshl_add_u64 v[0:1], v[0:1], 3, v[10:11]
	flat_load_dwordx2 v[0:1], v[0:1]
	s_waitcnt vmcnt(0) lgkmcnt(0)
	v_mul_f64 v[132:133], s[12:13], v[0:1]
.LBB140_24:
	s_or_b64 exec, exec, s[22:23]
	v_lshlrev_b32_e32 v0, 5, v137
	v_lshl_or_b32 v150, v148, 3, v0
	v_lshlrev_b32_e32 v141, 5, v146
	ds_write2st64_b64 v150, v[4:5], v[2:3] offset1:4
	v_add_u32_e32 v151, 0x2000, v150
	ds_write2st64_b64 v150, v[8:9], v[6:7] offset0:16 offset1:20
	v_lshlrev_b32_e32 v152, 5, v147
	v_add_u32_e32 v153, 0x2000, v141
	v_mov_b64_e32 v[126:127], 0
	s_mov_b32 s22, 0
	v_mov_b64_e32 v[124:125], 0
	v_mov_b64_e32 v[122:123], 0
	;; [unrolled: 1-line block ×63, first 2 shown]
	s_waitcnt lgkmcnt(0)
	s_barrier
.LBB140_25:                             ; =>This Inner Loop Header: Depth=1
	v_add_u32_e32 v149, s22, v152
	v_add_u32_e32 v182, s22, v153
	ds_read2_b64 v[142:145], v149 offset1:16
	ds_read2_b64 v[154:157], v149 offset0:32 offset1:48
	ds_read2_b64 v[158:161], v149 offset0:64 offset1:80
	;; [unrolled: 1-line block ×7, first 2 shown]
	ds_read2st64_b64 v[182:185], v182 offset1:4
	v_add_u32_e32 v149, 0x800, v149
	ds_read2_b64 v[186:189], v149 offset1:16
	ds_read2_b64 v[190:193], v149 offset0:32 offset1:48
	ds_read2_b64 v[194:197], v149 offset0:64 offset1:80
	;; [unrolled: 1-line block ×7, first 2 shown]
	s_waitcnt lgkmcnt(14)
	v_max_f64 v[142:143], v[142:143], v[142:143]
	v_max_f64 v[144:145], v[144:145], v[144:145]
	;; [unrolled: 1-line block ×6, first 2 shown]
	s_waitcnt lgkmcnt(13)
	v_max_f64 v[162:163], v[162:163], v[162:163]
	v_max_f64 v[164:165], v[164:165], v[164:165]
	s_waitcnt lgkmcnt(12)
	v_max_f64 v[166:167], v[166:167], v[166:167]
	v_max_f64 v[168:169], v[168:169], v[168:169]
	;; [unrolled: 3-line block ×14, first 2 shown]
	v_min_f64 v[218:219], v[142:143], v[182:183]
	v_min_f64 v[220:221], v[144:145], v[182:183]
	;; [unrolled: 1-line block ×32, first 2 shown]
	s_add_i32 s22, s22, 8
	v_add_f64 v[62:63], v[62:63], v[142:143]
	v_add_f64 v[60:61], v[60:61], v[144:145]
	;; [unrolled: 1-line block ×16, first 2 shown]
	v_min_f64 v[142:143], v[186:187], v[182:183]
	v_min_f64 v[144:145], v[188:189], v[182:183]
	;; [unrolled: 1-line block ×32, first 2 shown]
	s_cmp_eq_u32 s22, 32
	v_add_f64 v[126:127], v[126:127], v[218:219]
	v_add_f64 v[124:125], v[124:125], v[220:221]
	;; [unrolled: 1-line block ×48, first 2 shown]
	s_cbranch_scc0 .LBB140_25
; %bb.26:
	v_lshlrev_b32_e32 v142, 3, v148
	v_lshl_or_b32 v137, v137, 5, v142
	s_cmp_gt_i32 s74, 8
	ds_write2st64_b64 v137, v[130:131], v[128:129] offset0:8 offset1:12
	ds_write2st64_b64 v137, v[134:135], v[132:133] offset0:24 offset1:28
	s_waitcnt lgkmcnt(0)
	s_barrier
	s_cbranch_scc1 .LBB140_28
; %bb.27:
	v_add_u32_e32 v149, 0x3000, v141
	s_cbranch_execz .LBB140_29
	s_branch .LBB140_51
.LBB140_28:
                                        ; implicit-def: $vgpr149
.LBB140_29:
	s_or_b64 s[2:3], s[2:3], s[20:21]
	s_or_b64 s[4:5], s[4:5], s[20:21]
	;; [unrolled: 1-line block ×4, first 2 shown]
	v_mad_i64_i32 v[128:129], s[20:21], v136, s27, 0
	v_mov_b32_e32 v136, 0x1000
	v_add_u32_e32 v154, 0x1000, v137
	v_add_u32_e32 v155, 0x3000, v137
	s_add_i32 s22, s74, -8
	v_mad_i64_i32 v[130:131], s[20:21], v138, s27, 0
	v_mad_i64_i32 v[132:133], s[20:21], v139, s28, 0
	;; [unrolled: 1-line block ×3, first 2 shown]
	v_lshl_add_u32 v156, v147, 5, v136
	v_add_u32_e32 v149, 0x3000, v141
	s_mov_b32 s23, 8
	s_mov_b32 s27, 0
.LBB140_30:                             ; =>This Loop Header: Depth=1
                                        ;     Child Loop BB140_39 Depth 2
                                        ;     Child Loop BB140_49 Depth 2
	v_or_b32_e32 v157, s23, v148
	v_min_i32_e32 v140, s26, v157
	v_cmp_le_i32_e32 vcc, s74, v157
	v_ashrrev_i32_e32 v141, 31, v140
	v_lshl_add_u64 v[142:143], v[140:141], 3, s[16:17]
	s_nor_b64 s[28:29], vcc, s[2:3]
	v_mov_b64_e32 v[136:137], 0
	v_mov_b64_e32 v[138:139], 0
	s_and_saveexec_b64 s[20:21], s[28:29]
	s_cbranch_execz .LBB140_32
; %bb.31:                               ;   in Loop: Header=BB140_30 Depth=1
	v_lshl_add_u64 v[138:139], v[128:129], 3, v[142:143]
	flat_load_dwordx2 v[138:139], v[138:139]
	s_waitcnt vmcnt(0) lgkmcnt(0)
	v_mul_f64 v[138:139], s[12:13], v[138:139]
.LBB140_32:                             ;   in Loop: Header=BB140_30 Depth=1
	s_or_b64 exec, exec, s[20:21]
	s_nor_b64 s[28:29], vcc, s[4:5]
	s_and_saveexec_b64 s[20:21], s[28:29]
	s_cbranch_execz .LBB140_34
; %bb.33:                               ;   in Loop: Header=BB140_30 Depth=1
	v_lshl_add_u64 v[136:137], v[130:131], 3, v[142:143]
	flat_load_dwordx2 v[136:137], v[136:137]
	s_waitcnt vmcnt(0) lgkmcnt(0)
	v_mul_f64 v[136:137], s[12:13], v[136:137]
.LBB140_34:                             ;   in Loop: Header=BB140_30 Depth=1
	s_or_b64 exec, exec, s[20:21]
	v_lshl_add_u64 v[144:145], v[140:141], 3, s[18:19]
	s_nor_b64 s[28:29], vcc, s[6:7]
	v_mov_b64_e32 v[140:141], 0
	v_mov_b64_e32 v[142:143], 0
	s_and_saveexec_b64 s[20:21], s[28:29]
	s_cbranch_execz .LBB140_36
; %bb.35:                               ;   in Loop: Header=BB140_30 Depth=1
	v_lshl_add_u64 v[142:143], v[132:133], 3, v[144:145]
	flat_load_dwordx2 v[142:143], v[142:143]
	s_waitcnt vmcnt(0) lgkmcnt(0)
	v_mul_f64 v[142:143], s[12:13], v[142:143]
.LBB140_36:                             ;   in Loop: Header=BB140_30 Depth=1
	s_or_b64 exec, exec, s[20:21]
	s_nor_b64 s[28:29], vcc, s[8:9]
	s_and_saveexec_b64 s[20:21], s[28:29]
	s_cbranch_execz .LBB140_38
; %bb.37:                               ;   in Loop: Header=BB140_30 Depth=1
	v_lshl_add_u64 v[140:141], v[134:135], 3, v[144:145]
	flat_load_dwordx2 v[140:141], v[140:141]
	s_waitcnt vmcnt(0) lgkmcnt(0)
	v_mul_f64 v[140:141], s[12:13], v[140:141]
.LBB140_38:                             ;   in Loop: Header=BB140_30 Depth=1
	s_or_b64 exec, exec, s[20:21]
	s_mov_b32 s20, 0
.LBB140_39:                             ;   Parent Loop BB140_30 Depth=1
                                        ; =>  This Inner Loop Header: Depth=2
	v_add_u32_e32 v144, s20, v156
	ds_read2_b64 v[158:161], v144 offset1:16
	ds_read2_b64 v[162:165], v144 offset0:32 offset1:48
	ds_read2_b64 v[166:169], v144 offset0:64 offset1:80
	;; [unrolled: 1-line block ×7, first 2 shown]
	v_add_u32_e32 v144, 0x800, v144
	ds_read2_b64 v[190:193], v144 offset1:16
	ds_read2_b64 v[194:197], v144 offset0:32 offset1:48
	ds_read2_b64 v[198:201], v144 offset0:64 offset1:80
	;; [unrolled: 1-line block ×7, first 2 shown]
	v_add_u32_e32 v144, s20, v149
	ds_read2st64_b64 v[222:225], v144 offset1:4
	s_waitcnt lgkmcnt(14)
	v_max_f64 v[158:159], v[158:159], v[158:159]
	v_max_f64 v[160:161], v[160:161], v[160:161]
	;; [unrolled: 1-line block ×4, first 2 shown]
	s_waitcnt lgkmcnt(0)
	v_max_f64 v[144:145], v[222:223], v[222:223]
	v_min_f64 v[222:223], v[158:159], v[144:145]
	v_add_f64 v[126:127], v[126:127], v[222:223]
	v_min_f64 v[222:223], v[160:161], v[144:145]
	v_add_f64 v[124:125], v[124:125], v[222:223]
	;; [unrolled: 2-line block ×3, first 2 shown]
	v_min_f64 v[222:223], v[164:165], v[144:145]
	v_max_f64 v[166:167], v[166:167], v[166:167]
	v_add_f64 v[120:121], v[120:121], v[222:223]
	v_min_f64 v[222:223], v[166:167], v[144:145]
	v_max_f64 v[168:169], v[168:169], v[168:169]
	v_add_f64 v[118:119], v[118:119], v[222:223]
	;; [unrolled: 3-line block ×26, first 2 shown]
	v_min_f64 v[222:223], v[216:217], v[144:145]
	v_max_f64 v[218:219], v[218:219], v[218:219]
	v_max_f64 v[220:221], v[220:221], v[220:221]
	v_add_f64 v[68:69], v[68:69], v[222:223]
	v_min_f64 v[222:223], v[218:219], v[144:145]
	v_min_f64 v[144:145], v[220:221], v[144:145]
	v_add_f64 v[64:65], v[64:65], v[144:145]
	v_max_f64 v[144:145], v[224:225], v[224:225]
	v_min_f64 v[158:159], v[158:159], v[144:145]
	v_add_f64 v[62:63], v[62:63], v[158:159]
	v_min_f64 v[158:159], v[160:161], v[144:145]
	v_add_f64 v[60:61], v[60:61], v[158:159]
	;; [unrolled: 2-line block ×30, first 2 shown]
	v_min_f64 v[158:159], v[218:219], v[144:145]
	v_min_f64 v[144:145], v[220:221], v[144:145]
	s_add_i32 s20, s20, 8
	v_add_f64 v[66:67], v[66:67], v[222:223]
	v_add_f64 v[2:3], v[2:3], v[158:159]
	;; [unrolled: 1-line block ×3, first 2 shown]
	s_cmp_eq_u32 s20, 32
	s_cbranch_scc0 .LBB140_39
; %bb.40:                               ;   in Loop: Header=BB140_30 Depth=1
	ds_write2st64_b64 v150, v[138:139], v[136:137] offset1:4
	ds_write2st64_b64 v151, v[142:143], v[140:141] offset1:4
	v_or_b32_e32 v136, 4, v157
	v_min_i32_e32 v140, s26, v136
	v_cmp_le_i32_e32 vcc, s74, v136
	v_ashrrev_i32_e32 v141, 31, v140
	v_lshl_add_u64 v[142:143], v[140:141], 3, s[16:17]
	s_nor_b64 s[28:29], vcc, s[2:3]
	v_mov_b64_e32 v[136:137], 0
	v_mov_b64_e32 v[138:139], 0
	s_waitcnt lgkmcnt(0)
	s_barrier
	s_and_saveexec_b64 s[20:21], s[28:29]
	s_cbranch_execz .LBB140_42
; %bb.41:                               ;   in Loop: Header=BB140_30 Depth=1
	v_lshl_add_u64 v[138:139], v[128:129], 3, v[142:143]
	flat_load_dwordx2 v[138:139], v[138:139]
	s_waitcnt vmcnt(0) lgkmcnt(0)
	v_mul_f64 v[138:139], s[12:13], v[138:139]
.LBB140_42:                             ;   in Loop: Header=BB140_30 Depth=1
	s_or_b64 exec, exec, s[20:21]
	s_nor_b64 s[28:29], vcc, s[4:5]
	s_and_saveexec_b64 s[20:21], s[28:29]
	s_cbranch_execz .LBB140_44
; %bb.43:                               ;   in Loop: Header=BB140_30 Depth=1
	v_lshl_add_u64 v[136:137], v[130:131], 3, v[142:143]
	flat_load_dwordx2 v[136:137], v[136:137]
	s_waitcnt vmcnt(0) lgkmcnt(0)
	v_mul_f64 v[136:137], s[12:13], v[136:137]
.LBB140_44:                             ;   in Loop: Header=BB140_30 Depth=1
	s_or_b64 exec, exec, s[20:21]
	v_lshl_add_u64 v[144:145], v[140:141], 3, s[18:19]
	s_nor_b64 s[28:29], vcc, s[6:7]
	v_mov_b64_e32 v[140:141], 0
	v_mov_b64_e32 v[142:143], 0
	s_and_saveexec_b64 s[20:21], s[28:29]
	s_cbranch_execz .LBB140_46
; %bb.45:                               ;   in Loop: Header=BB140_30 Depth=1
	v_lshl_add_u64 v[142:143], v[132:133], 3, v[144:145]
	flat_load_dwordx2 v[142:143], v[142:143]
	s_waitcnt vmcnt(0) lgkmcnt(0)
	v_mul_f64 v[142:143], s[12:13], v[142:143]
.LBB140_46:                             ;   in Loop: Header=BB140_30 Depth=1
	s_or_b64 exec, exec, s[20:21]
	s_nor_b64 s[28:29], vcc, s[8:9]
	s_and_saveexec_b64 s[20:21], s[28:29]
	s_cbranch_execz .LBB140_48
; %bb.47:                               ;   in Loop: Header=BB140_30 Depth=1
	v_lshl_add_u64 v[140:141], v[134:135], 3, v[144:145]
	flat_load_dwordx2 v[140:141], v[140:141]
	s_waitcnt vmcnt(0) lgkmcnt(0)
	v_mul_f64 v[140:141], s[12:13], v[140:141]
.LBB140_48:                             ;   in Loop: Header=BB140_30 Depth=1
	s_or_b64 exec, exec, s[20:21]
	s_mov_b32 s20, 0
.LBB140_49:                             ;   Parent Loop BB140_30 Depth=1
                                        ; =>  This Inner Loop Header: Depth=2
	v_add_u32_e32 v144, s20, v152
	ds_read2_b64 v[158:161], v144 offset1:16
	ds_read2_b64 v[162:165], v144 offset0:32 offset1:48
	ds_read2_b64 v[166:169], v144 offset0:64 offset1:80
	;; [unrolled: 1-line block ×7, first 2 shown]
	v_add_u32_e32 v144, 0x800, v144
	ds_read2_b64 v[190:193], v144 offset1:16
	ds_read2_b64 v[194:197], v144 offset0:32 offset1:48
	ds_read2_b64 v[198:201], v144 offset0:64 offset1:80
	ds_read2_b64 v[202:205], v144 offset0:96 offset1:112
	ds_read2_b64 v[206:209], v144 offset0:128 offset1:144
	ds_read2_b64 v[210:213], v144 offset0:160 offset1:176
	ds_read2_b64 v[214:217], v144 offset0:192 offset1:208
	ds_read2_b64 v[218:221], v144 offset0:224 offset1:240
	v_add_u32_e32 v144, s20, v153
	ds_read2st64_b64 v[222:225], v144 offset1:4
	s_waitcnt lgkmcnt(14)
	v_max_f64 v[158:159], v[158:159], v[158:159]
	v_max_f64 v[160:161], v[160:161], v[160:161]
	;; [unrolled: 1-line block ×4, first 2 shown]
	s_waitcnt lgkmcnt(0)
	v_max_f64 v[144:145], v[222:223], v[222:223]
	v_min_f64 v[222:223], v[158:159], v[144:145]
	v_add_f64 v[126:127], v[126:127], v[222:223]
	v_min_f64 v[222:223], v[160:161], v[144:145]
	v_add_f64 v[124:125], v[124:125], v[222:223]
	;; [unrolled: 2-line block ×3, first 2 shown]
	v_min_f64 v[222:223], v[164:165], v[144:145]
	v_max_f64 v[166:167], v[166:167], v[166:167]
	v_add_f64 v[120:121], v[120:121], v[222:223]
	v_min_f64 v[222:223], v[166:167], v[144:145]
	v_max_f64 v[168:169], v[168:169], v[168:169]
	v_add_f64 v[118:119], v[118:119], v[222:223]
	;; [unrolled: 3-line block ×26, first 2 shown]
	v_min_f64 v[222:223], v[216:217], v[144:145]
	v_max_f64 v[218:219], v[218:219], v[218:219]
	v_max_f64 v[220:221], v[220:221], v[220:221]
	v_add_f64 v[68:69], v[68:69], v[222:223]
	v_min_f64 v[222:223], v[218:219], v[144:145]
	v_min_f64 v[144:145], v[220:221], v[144:145]
	v_add_f64 v[64:65], v[64:65], v[144:145]
	v_max_f64 v[144:145], v[224:225], v[224:225]
	v_min_f64 v[158:159], v[158:159], v[144:145]
	v_add_f64 v[62:63], v[62:63], v[158:159]
	v_min_f64 v[158:159], v[160:161], v[144:145]
	v_add_f64 v[60:61], v[60:61], v[158:159]
	;; [unrolled: 2-line block ×30, first 2 shown]
	v_min_f64 v[158:159], v[218:219], v[144:145]
	v_min_f64 v[144:145], v[220:221], v[144:145]
	s_add_i32 s20, s20, 8
	v_add_f64 v[66:67], v[66:67], v[222:223]
	v_add_f64 v[2:3], v[2:3], v[158:159]
	;; [unrolled: 1-line block ×3, first 2 shown]
	s_cmp_eq_u32 s20, 32
	s_cbranch_scc0 .LBB140_49
; %bb.50:                               ;   in Loop: Header=BB140_30 Depth=1
	s_add_i32 s23, s23, 8
	s_add_i32 s27, s27, 8
	s_cmp_ge_i32 s27, s22
	ds_write2st64_b64 v154, v[138:139], v[136:137] offset1:4
	ds_write2st64_b64 v155, v[142:143], v[140:141] offset1:4
	s_waitcnt lgkmcnt(0)
	s_barrier
	s_cbranch_scc0 .LBB140_30
.LBB140_51:
	v_mov_b32_e32 v128, 0x1000
	v_lshl_add_u32 v128, v147, 5, v128
	s_mov_b32 s2, 0
.LBB140_52:                             ; =>This Inner Loop Header: Depth=1
	v_add_u32_e32 v129, s2, v128
	v_add_u32_e32 v148, s2, v149
	ds_read2_b64 v[130:133], v129 offset1:16
	ds_read2_b64 v[134:137], v129 offset0:32 offset1:48
	ds_read2_b64 v[138:141], v129 offset0:64 offset1:80
	;; [unrolled: 1-line block ×7, first 2 shown]
	v_add_u32_e32 v129, 0x800, v129
	ds_read2st64_b64 v[166:169], v148 offset1:4
	ds_read2_b64 v[170:173], v129 offset1:16
	ds_read2_b64 v[174:177], v129 offset0:32 offset1:48
	ds_read2_b64 v[178:181], v129 offset0:64 offset1:80
	;; [unrolled: 1-line block ×7, first 2 shown]
	s_waitcnt lgkmcnt(14)
	v_max_f64 v[130:131], v[130:131], v[130:131]
	v_max_f64 v[132:133], v[132:133], v[132:133]
	v_max_f64 v[134:135], v[134:135], v[134:135]
	s_waitcnt lgkmcnt(8)
	v_max_f64 v[166:167], v[166:167], v[166:167]
	v_max_f64 v[136:137], v[136:137], v[136:137]
	;; [unrolled: 1-line block ×15, first 2 shown]
	v_min_f64 v[202:203], v[130:131], v[166:167]
	v_min_f64 v[204:205], v[132:133], v[166:167]
	;; [unrolled: 1-line block ×16, first 2 shown]
	s_waitcnt lgkmcnt(7)
	v_max_f64 v[170:171], v[170:171], v[170:171]
	v_max_f64 v[172:173], v[172:173], v[172:173]
	s_waitcnt lgkmcnt(6)
	v_max_f64 v[174:175], v[174:175], v[174:175]
	v_max_f64 v[176:177], v[176:177], v[176:177]
	s_waitcnt lgkmcnt(5)
	v_max_f64 v[178:179], v[178:179], v[178:179]
	v_max_f64 v[180:181], v[180:181], v[180:181]
	s_waitcnt lgkmcnt(4)
	v_max_f64 v[182:183], v[182:183], v[182:183]
	v_max_f64 v[184:185], v[184:185], v[184:185]
	s_waitcnt lgkmcnt(3)
	v_max_f64 v[186:187], v[186:187], v[186:187]
	v_max_f64 v[188:189], v[188:189], v[188:189]
	s_waitcnt lgkmcnt(2)
	v_max_f64 v[190:191], v[190:191], v[190:191]
	v_max_f64 v[192:193], v[192:193], v[192:193]
	s_waitcnt lgkmcnt(1)
	v_max_f64 v[194:195], v[194:195], v[194:195]
	v_max_f64 v[196:197], v[196:197], v[196:197]
	s_waitcnt lgkmcnt(0)
	v_max_f64 v[198:199], v[198:199], v[198:199]
	v_max_f64 v[200:201], v[200:201], v[200:201]
	v_min_f64 v[130:131], v[130:131], v[168:169]
	v_min_f64 v[132:133], v[132:133], v[168:169]
	;; [unrolled: 1-line block ×16, first 2 shown]
	s_add_i32 s2, s2, 8
	v_add_f64 v[126:127], v[126:127], v[202:203]
	v_add_f64 v[124:125], v[124:125], v[204:205]
	;; [unrolled: 1-line block ×15, first 2 shown]
	v_min_f64 v[202:203], v[170:171], v[166:167]
	v_min_f64 v[204:205], v[172:173], v[166:167]
	;; [unrolled: 1-line block ×16, first 2 shown]
	v_add_f64 v[62:63], v[62:63], v[130:131]
	v_add_f64 v[60:61], v[60:61], v[132:133]
	;; [unrolled: 1-line block ×16, first 2 shown]
	v_min_f64 v[130:131], v[170:171], v[168:169]
	v_min_f64 v[132:133], v[172:173], v[168:169]
	v_min_f64 v[134:135], v[174:175], v[168:169]
	v_min_f64 v[136:137], v[176:177], v[168:169]
	v_min_f64 v[138:139], v[178:179], v[168:169]
	v_min_f64 v[140:141], v[180:181], v[168:169]
	v_min_f64 v[142:143], v[182:183], v[168:169]
	v_min_f64 v[144:145], v[184:185], v[168:169]
	v_min_f64 v[150:151], v[186:187], v[168:169]
	v_min_f64 v[152:153], v[188:189], v[168:169]
	v_min_f64 v[154:155], v[190:191], v[168:169]
	v_min_f64 v[156:157], v[192:193], v[168:169]
	v_min_f64 v[158:159], v[194:195], v[168:169]
	v_min_f64 v[160:161], v[196:197], v[168:169]
	v_min_f64 v[162:163], v[198:199], v[168:169]
	v_min_f64 v[164:165], v[200:201], v[168:169]
	s_cmp_eq_u32 s2, 32
	v_add_f64 v[96:97], v[96:97], v[232:233]
	v_add_f64 v[94:95], v[94:95], v[202:203]
	;; [unrolled: 1-line block ×33, first 2 shown]
	s_cbranch_scc0 .LBB140_52
; %bb.53:
	s_load_dwordx2 s[2:3], s[0:1], 0x78
	s_load_dword s78, s[0:1], 0x58
	s_load_dword s33, s[0:1], 0x70
	v_add_u32_e32 v136, s25, v146
	v_add_u32_e32 v128, s24, v147
	s_waitcnt lgkmcnt(0)
	s_lshl_b64 s[0:1], s[2:3], 3
	s_add_u32 s74, s14, s0
	s_addc_u32 s75, s15, s1
	v_mad_i64_i32 v[130:131], s[0:1], v136, s78, 0
	v_cmp_gt_i32_e64 s[24:25], s73, v136
	v_lshl_add_u64 v[132:133], v[130:131], 3, s[76:77]
	v_mad_i64_i32 v[130:131], s[0:1], v136, s33, 0
	v_cmp_gt_i32_e64 s[2:3], s72, v128
	v_cndmask_b32_e64 v134, 0, 1, s[10:11]
	v_lshl_add_u64 v[130:131], v[130:131], 3, s[74:75]
	s_and_b64 s[6:7], s[24:25], s[2:3]
	v_ashrrev_i32_e32 v129, 31, v128
	v_cmp_ne_u32_e64 s[0:1], 1, v134
	s_and_saveexec_b64 s[4:5], s[6:7]
	s_cbranch_execz .LBB140_58
; %bb.54:
	s_and_b64 vcc, exec, s[0:1]
	s_cbranch_vccnz .LBB140_56
; %bb.55:
	v_lshl_add_u64 v[134:135], v[128:129], 3, v[132:133]
	flat_load_dwordx2 v[134:135], v[134:135]
	s_waitcnt vmcnt(0) lgkmcnt(0)
	v_mul_f64 v[134:135], s[70:71], v[134:135]
	s_branch .LBB140_57
.LBB140_56:
	v_mov_b64_e32 v[134:135], 0
.LBB140_57:
	v_add_f64 v[126:127], v[126:127], v[134:135]
	v_lshl_add_u64 v[134:135], v[128:129], 3, v[130:131]
	flat_store_dwordx2 v[134:135], v[126:127]
.LBB140_58:
	s_or_b64 exec, exec, s[4:5]
	v_add_u32_e32 v126, 4, v128
	v_cmp_gt_i32_e64 s[4:5], s72, v126
	s_and_b64 s[8:9], s[24:25], s[4:5]
	v_ashrrev_i32_e32 v127, 31, v126
	s_and_saveexec_b64 s[6:7], s[8:9]
	s_cbranch_execz .LBB140_63
; %bb.59:
	s_and_b64 vcc, exec, s[0:1]
	s_cbranch_vccnz .LBB140_61
; %bb.60:
	v_lshl_add_u64 v[134:135], v[126:127], 3, v[132:133]
	flat_load_dwordx2 v[134:135], v[134:135]
	s_waitcnt vmcnt(0) lgkmcnt(0)
	v_mul_f64 v[134:135], s[70:71], v[134:135]
	s_branch .LBB140_62
.LBB140_61:
	v_mov_b64_e32 v[134:135], 0
.LBB140_62:
	v_add_f64 v[124:125], v[124:125], v[134:135]
	v_lshl_add_u64 v[134:135], v[126:127], 3, v[130:131]
	flat_store_dwordx2 v[134:135], v[124:125]
.LBB140_63:
	s_or_b64 exec, exec, s[6:7]
	v_add_u32_e32 v124, 8, v128
	v_cmp_gt_i32_e64 s[6:7], s72, v124
	s_and_b64 s[10:11], s[24:25], s[6:7]
	v_ashrrev_i32_e32 v125, 31, v124
	;; [unrolled: 23-line block ×31, first 2 shown]
	s_and_saveexec_b64 s[24:25], s[80:81]
	s_cbranch_execz .LBB140_213
; %bb.209:
	s_and_b64 vcc, exec, s[0:1]
	s_cbranch_vccnz .LBB140_211
; %bb.210:
	v_lshl_add_u64 v[132:133], v[66:67], 3, v[132:133]
	flat_load_dwordx2 v[132:133], v[132:133]
	s_waitcnt vmcnt(0) lgkmcnt(0)
	v_mul_f64 v[132:133], s[70:71], v[132:133]
	s_branch .LBB140_212
.LBB140_211:
	v_mov_b64_e32 v[132:133], 0
.LBB140_212:
	v_add_f64 v[64:65], v[64:65], v[132:133]
	v_lshl_add_u64 v[130:131], v[66:67], 3, v[130:131]
	flat_store_dwordx2 v[130:131], v[64:65]
.LBB140_213:
	s_or_b64 exec, exec, s[24:25]
	v_add_u32_e32 v132, 64, v136
	v_cmp_gt_i32_e64 s[24:25], s73, v132
	v_mad_i64_i32 v[64:65], s[72:73], v132, s78, 0
	v_lshl_add_u64 v[130:131], v[64:65], 3, s[76:77]
	v_mad_i64_i32 v[64:65], s[72:73], v132, s33, 0
	v_lshl_add_u64 v[64:65], v[64:65], 3, s[74:75]
	s_and_b64 s[2:3], s[24:25], s[2:3]
	s_and_saveexec_b64 s[72:73], s[2:3]
	s_xor_b64 s[2:3], exec, s[72:73]
	s_cbranch_execnz .LBB140_246
; %bb.214:
	s_or_b64 exec, exec, s[2:3]
	s_and_b64 s[4:5], s[24:25], s[4:5]
	s_and_saveexec_b64 s[2:3], s[4:5]
	s_cbranch_execnz .LBB140_250
.LBB140_215:
	s_or_b64 exec, exec, s[2:3]
	s_and_b64 s[4:5], s[24:25], s[6:7]
	s_and_saveexec_b64 s[2:3], s[4:5]
	s_cbranch_execnz .LBB140_254
.LBB140_216:
	s_or_b64 exec, exec, s[2:3]
	s_and_b64 s[4:5], s[24:25], s[8:9]
	s_and_saveexec_b64 s[2:3], s[4:5]
	s_cbranch_execnz .LBB140_258
.LBB140_217:
	s_or_b64 exec, exec, s[2:3]
	s_and_b64 s[4:5], s[24:25], s[10:11]
	s_and_saveexec_b64 s[2:3], s[4:5]
	s_cbranch_execnz .LBB140_262
.LBB140_218:
	s_or_b64 exec, exec, s[2:3]
	s_and_b64 s[4:5], s[24:25], s[12:13]
	s_and_saveexec_b64 s[2:3], s[4:5]
	s_cbranch_execnz .LBB140_266
.LBB140_219:
	s_or_b64 exec, exec, s[2:3]
	s_and_b64 s[4:5], s[24:25], s[14:15]
	s_and_saveexec_b64 s[2:3], s[4:5]
	s_cbranch_execnz .LBB140_270
.LBB140_220:
	s_or_b64 exec, exec, s[2:3]
	s_and_b64 s[4:5], s[24:25], s[16:17]
	s_and_saveexec_b64 s[2:3], s[4:5]
	s_cbranch_execnz .LBB140_274
.LBB140_221:
	s_or_b64 exec, exec, s[2:3]
	s_and_b64 s[4:5], s[24:25], s[18:19]
	s_and_saveexec_b64 s[2:3], s[4:5]
	s_cbranch_execnz .LBB140_278
.LBB140_222:
	s_or_b64 exec, exec, s[2:3]
	s_and_b64 s[4:5], s[24:25], s[20:21]
	s_and_saveexec_b64 s[2:3], s[4:5]
	s_cbranch_execnz .LBB140_282
.LBB140_223:
	s_or_b64 exec, exec, s[2:3]
	s_and_b64 s[4:5], s[24:25], s[22:23]
	s_and_saveexec_b64 s[2:3], s[4:5]
	s_cbranch_execnz .LBB140_286
.LBB140_224:
	s_or_b64 exec, exec, s[2:3]
	s_and_b64 s[4:5], s[24:25], s[26:27]
	s_and_saveexec_b64 s[2:3], s[4:5]
	s_cbranch_execnz .LBB140_290
.LBB140_225:
	s_or_b64 exec, exec, s[2:3]
	s_and_b64 s[4:5], s[24:25], s[28:29]
	s_and_saveexec_b64 s[2:3], s[4:5]
	s_cbranch_execnz .LBB140_294
.LBB140_226:
	s_or_b64 exec, exec, s[2:3]
	s_and_b64 s[4:5], s[24:25], s[30:31]
	s_and_saveexec_b64 s[2:3], s[4:5]
	s_cbranch_execnz .LBB140_298
.LBB140_227:
	s_or_b64 exec, exec, s[2:3]
	s_and_b64 s[4:5], s[24:25], s[34:35]
	s_and_saveexec_b64 s[2:3], s[4:5]
	s_cbranch_execnz .LBB140_302
.LBB140_228:
	s_or_b64 exec, exec, s[2:3]
	s_and_b64 s[4:5], s[24:25], s[36:37]
	s_and_saveexec_b64 s[2:3], s[4:5]
	s_cbranch_execnz .LBB140_306
.LBB140_229:
	s_or_b64 exec, exec, s[2:3]
	s_and_b64 s[4:5], s[24:25], s[38:39]
	s_and_saveexec_b64 s[2:3], s[4:5]
	s_cbranch_execnz .LBB140_310
.LBB140_230:
	s_or_b64 exec, exec, s[2:3]
	s_and_b64 s[4:5], s[24:25], s[40:41]
	s_and_saveexec_b64 s[2:3], s[4:5]
	s_cbranch_execnz .LBB140_314
.LBB140_231:
	s_or_b64 exec, exec, s[2:3]
	s_and_b64 s[4:5], s[24:25], s[42:43]
	s_and_saveexec_b64 s[2:3], s[4:5]
	s_cbranch_execnz .LBB140_318
.LBB140_232:
	s_or_b64 exec, exec, s[2:3]
	s_and_b64 s[4:5], s[24:25], s[44:45]
	s_and_saveexec_b64 s[2:3], s[4:5]
	s_cbranch_execnz .LBB140_322
.LBB140_233:
	s_or_b64 exec, exec, s[2:3]
	s_and_b64 s[4:5], s[24:25], s[46:47]
	s_and_saveexec_b64 s[2:3], s[4:5]
	s_cbranch_execnz .LBB140_326
.LBB140_234:
	s_or_b64 exec, exec, s[2:3]
	s_and_b64 s[4:5], s[24:25], s[48:49]
	s_and_saveexec_b64 s[2:3], s[4:5]
	s_cbranch_execnz .LBB140_330
.LBB140_235:
	s_or_b64 exec, exec, s[2:3]
	s_and_b64 s[4:5], s[24:25], s[50:51]
	s_and_saveexec_b64 s[2:3], s[4:5]
	s_cbranch_execnz .LBB140_334
.LBB140_236:
	s_or_b64 exec, exec, s[2:3]
	s_and_b64 s[4:5], s[24:25], s[52:53]
	s_and_saveexec_b64 s[2:3], s[4:5]
	s_cbranch_execnz .LBB140_338
.LBB140_237:
	s_or_b64 exec, exec, s[2:3]
	s_and_b64 s[4:5], s[24:25], s[54:55]
	s_and_saveexec_b64 s[2:3], s[4:5]
	s_cbranch_execnz .LBB140_342
.LBB140_238:
	s_or_b64 exec, exec, s[2:3]
	s_and_b64 s[4:5], s[24:25], s[56:57]
	s_and_saveexec_b64 s[2:3], s[4:5]
	s_cbranch_execnz .LBB140_346
.LBB140_239:
	s_or_b64 exec, exec, s[2:3]
	s_and_b64 s[4:5], s[24:25], s[58:59]
	s_and_saveexec_b64 s[2:3], s[4:5]
	s_cbranch_execnz .LBB140_350
.LBB140_240:
	s_or_b64 exec, exec, s[2:3]
	s_and_b64 s[4:5], s[24:25], s[60:61]
	s_and_saveexec_b64 s[2:3], s[4:5]
	s_cbranch_execnz .LBB140_354
.LBB140_241:
	s_or_b64 exec, exec, s[2:3]
	s_and_b64 s[4:5], s[24:25], s[62:63]
	s_and_saveexec_b64 s[2:3], s[4:5]
	s_cbranch_execnz .LBB140_358
.LBB140_242:
	s_or_b64 exec, exec, s[2:3]
	s_and_b64 s[4:5], s[24:25], s[64:65]
	s_and_saveexec_b64 s[2:3], s[4:5]
	s_cbranch_execnz .LBB140_362
.LBB140_243:
	s_or_b64 exec, exec, s[2:3]
	s_and_b64 s[4:5], s[24:25], s[66:67]
	s_and_saveexec_b64 s[2:3], s[4:5]
	s_cbranch_execnz .LBB140_366
.LBB140_244:
	s_or_b64 exec, exec, s[2:3]
	s_and_b64 s[2:3], s[24:25], s[68:69]
	s_and_saveexec_b64 s[4:5], s[2:3]
	s_cbranch_execnz .LBB140_370
.LBB140_245:
	s_endpgm
.LBB140_246:
	s_and_b64 vcc, exec, s[0:1]
	s_cbranch_vccnz .LBB140_248
; %bb.247:
	v_lshl_add_u64 v[132:133], v[128:129], 3, v[130:131]
	flat_load_dwordx2 v[132:133], v[132:133]
	s_waitcnt vmcnt(0) lgkmcnt(0)
	v_mul_f64 v[132:133], s[70:71], v[132:133]
	s_branch .LBB140_249
.LBB140_248:
	v_mov_b64_e32 v[132:133], 0
.LBB140_249:
	v_add_f64 v[62:63], v[62:63], v[132:133]
	v_lshl_add_u64 v[128:129], v[128:129], 3, v[64:65]
	flat_store_dwordx2 v[128:129], v[62:63]
	s_or_b64 exec, exec, s[2:3]
	s_and_b64 s[4:5], s[24:25], s[4:5]
	s_and_saveexec_b64 s[2:3], s[4:5]
	s_cbranch_execz .LBB140_215
.LBB140_250:
	s_and_b64 vcc, exec, s[0:1]
	s_cbranch_vccnz .LBB140_252
; %bb.251:
	v_lshl_add_u64 v[62:63], v[126:127], 3, v[130:131]
	flat_load_dwordx2 v[62:63], v[62:63]
	s_waitcnt vmcnt(0) lgkmcnt(0)
	v_mul_f64 v[62:63], s[70:71], v[62:63]
	s_branch .LBB140_253
.LBB140_252:
	v_mov_b64_e32 v[62:63], 0
.LBB140_253:
	v_add_f64 v[60:61], v[60:61], v[62:63]
	v_lshl_add_u64 v[62:63], v[126:127], 3, v[64:65]
	flat_store_dwordx2 v[62:63], v[60:61]
	s_or_b64 exec, exec, s[2:3]
	s_and_b64 s[4:5], s[24:25], s[6:7]
	s_and_saveexec_b64 s[2:3], s[4:5]
	s_cbranch_execz .LBB140_216
.LBB140_254:
	s_and_b64 vcc, exec, s[0:1]
	s_cbranch_vccnz .LBB140_256
; %bb.255:
	v_lshl_add_u64 v[60:61], v[124:125], 3, v[130:131]
	flat_load_dwordx2 v[60:61], v[60:61]
	s_waitcnt vmcnt(0) lgkmcnt(0)
	v_mul_f64 v[60:61], s[70:71], v[60:61]
	s_branch .LBB140_257
.LBB140_256:
	v_mov_b64_e32 v[60:61], 0
.LBB140_257:
	v_add_f64 v[58:59], v[58:59], v[60:61]
	v_lshl_add_u64 v[60:61], v[124:125], 3, v[64:65]
	flat_store_dwordx2 v[60:61], v[58:59]
	s_or_b64 exec, exec, s[2:3]
	s_and_b64 s[4:5], s[24:25], s[8:9]
	s_and_saveexec_b64 s[2:3], s[4:5]
	s_cbranch_execz .LBB140_217
.LBB140_258:
	s_and_b64 vcc, exec, s[0:1]
	s_cbranch_vccnz .LBB140_260
; %bb.259:
	v_lshl_add_u64 v[58:59], v[122:123], 3, v[130:131]
	flat_load_dwordx2 v[58:59], v[58:59]
	s_waitcnt vmcnt(0) lgkmcnt(0)
	v_mul_f64 v[58:59], s[70:71], v[58:59]
	s_branch .LBB140_261
.LBB140_260:
	v_mov_b64_e32 v[58:59], 0
.LBB140_261:
	v_add_f64 v[56:57], v[56:57], v[58:59]
	v_lshl_add_u64 v[58:59], v[122:123], 3, v[64:65]
	flat_store_dwordx2 v[58:59], v[56:57]
	s_or_b64 exec, exec, s[2:3]
	s_and_b64 s[4:5], s[24:25], s[10:11]
	s_and_saveexec_b64 s[2:3], s[4:5]
	s_cbranch_execz .LBB140_218
.LBB140_262:
	s_and_b64 vcc, exec, s[0:1]
	s_cbranch_vccnz .LBB140_264
; %bb.263:
	v_lshl_add_u64 v[56:57], v[120:121], 3, v[130:131]
	flat_load_dwordx2 v[56:57], v[56:57]
	s_waitcnt vmcnt(0) lgkmcnt(0)
	v_mul_f64 v[56:57], s[70:71], v[56:57]
	s_branch .LBB140_265
.LBB140_264:
	v_mov_b64_e32 v[56:57], 0
.LBB140_265:
	v_add_f64 v[54:55], v[54:55], v[56:57]
	v_lshl_add_u64 v[56:57], v[120:121], 3, v[64:65]
	flat_store_dwordx2 v[56:57], v[54:55]
	s_or_b64 exec, exec, s[2:3]
	s_and_b64 s[4:5], s[24:25], s[12:13]
	s_and_saveexec_b64 s[2:3], s[4:5]
	s_cbranch_execz .LBB140_219
.LBB140_266:
	s_and_b64 vcc, exec, s[0:1]
	s_cbranch_vccnz .LBB140_268
; %bb.267:
	v_lshl_add_u64 v[54:55], v[118:119], 3, v[130:131]
	flat_load_dwordx2 v[54:55], v[54:55]
	s_waitcnt vmcnt(0) lgkmcnt(0)
	v_mul_f64 v[54:55], s[70:71], v[54:55]
	s_branch .LBB140_269
.LBB140_268:
	v_mov_b64_e32 v[54:55], 0
.LBB140_269:
	v_add_f64 v[52:53], v[52:53], v[54:55]
	v_lshl_add_u64 v[54:55], v[118:119], 3, v[64:65]
	flat_store_dwordx2 v[54:55], v[52:53]
	s_or_b64 exec, exec, s[2:3]
	s_and_b64 s[4:5], s[24:25], s[14:15]
	s_and_saveexec_b64 s[2:3], s[4:5]
	s_cbranch_execz .LBB140_220
.LBB140_270:
	s_and_b64 vcc, exec, s[0:1]
	s_cbranch_vccnz .LBB140_272
; %bb.271:
	v_lshl_add_u64 v[52:53], v[116:117], 3, v[130:131]
	flat_load_dwordx2 v[52:53], v[52:53]
	s_waitcnt vmcnt(0) lgkmcnt(0)
	v_mul_f64 v[52:53], s[70:71], v[52:53]
	s_branch .LBB140_273
.LBB140_272:
	v_mov_b64_e32 v[52:53], 0
.LBB140_273:
	v_add_f64 v[50:51], v[50:51], v[52:53]
	v_lshl_add_u64 v[52:53], v[116:117], 3, v[64:65]
	flat_store_dwordx2 v[52:53], v[50:51]
	s_or_b64 exec, exec, s[2:3]
	s_and_b64 s[4:5], s[24:25], s[16:17]
	s_and_saveexec_b64 s[2:3], s[4:5]
	s_cbranch_execz .LBB140_221
.LBB140_274:
	s_and_b64 vcc, exec, s[0:1]
	s_cbranch_vccnz .LBB140_276
; %bb.275:
	v_lshl_add_u64 v[50:51], v[114:115], 3, v[130:131]
	flat_load_dwordx2 v[50:51], v[50:51]
	s_waitcnt vmcnt(0) lgkmcnt(0)
	v_mul_f64 v[50:51], s[70:71], v[50:51]
	s_branch .LBB140_277
.LBB140_276:
	v_mov_b64_e32 v[50:51], 0
.LBB140_277:
	v_add_f64 v[48:49], v[48:49], v[50:51]
	v_lshl_add_u64 v[50:51], v[114:115], 3, v[64:65]
	flat_store_dwordx2 v[50:51], v[48:49]
	s_or_b64 exec, exec, s[2:3]
	s_and_b64 s[4:5], s[24:25], s[18:19]
	s_and_saveexec_b64 s[2:3], s[4:5]
	s_cbranch_execz .LBB140_222
.LBB140_278:
	s_and_b64 vcc, exec, s[0:1]
	s_cbranch_vccnz .LBB140_280
; %bb.279:
	v_lshl_add_u64 v[48:49], v[112:113], 3, v[130:131]
	flat_load_dwordx2 v[48:49], v[48:49]
	s_waitcnt vmcnt(0) lgkmcnt(0)
	v_mul_f64 v[48:49], s[70:71], v[48:49]
	s_branch .LBB140_281
.LBB140_280:
	v_mov_b64_e32 v[48:49], 0
.LBB140_281:
	v_add_f64 v[46:47], v[46:47], v[48:49]
	v_lshl_add_u64 v[48:49], v[112:113], 3, v[64:65]
	flat_store_dwordx2 v[48:49], v[46:47]
	s_or_b64 exec, exec, s[2:3]
	s_and_b64 s[4:5], s[24:25], s[20:21]
	s_and_saveexec_b64 s[2:3], s[4:5]
	s_cbranch_execz .LBB140_223
.LBB140_282:
	s_and_b64 vcc, exec, s[0:1]
	s_cbranch_vccnz .LBB140_284
; %bb.283:
	v_lshl_add_u64 v[46:47], v[110:111], 3, v[130:131]
	flat_load_dwordx2 v[46:47], v[46:47]
	s_waitcnt vmcnt(0) lgkmcnt(0)
	v_mul_f64 v[46:47], s[70:71], v[46:47]
	s_branch .LBB140_285
.LBB140_284:
	v_mov_b64_e32 v[46:47], 0
.LBB140_285:
	v_add_f64 v[44:45], v[44:45], v[46:47]
	v_lshl_add_u64 v[46:47], v[110:111], 3, v[64:65]
	flat_store_dwordx2 v[46:47], v[44:45]
	s_or_b64 exec, exec, s[2:3]
	s_and_b64 s[4:5], s[24:25], s[22:23]
	s_and_saveexec_b64 s[2:3], s[4:5]
	s_cbranch_execz .LBB140_224
.LBB140_286:
	s_and_b64 vcc, exec, s[0:1]
	s_cbranch_vccnz .LBB140_288
; %bb.287:
	v_lshl_add_u64 v[44:45], v[108:109], 3, v[130:131]
	flat_load_dwordx2 v[44:45], v[44:45]
	s_waitcnt vmcnt(0) lgkmcnt(0)
	v_mul_f64 v[44:45], s[70:71], v[44:45]
	s_branch .LBB140_289
.LBB140_288:
	v_mov_b64_e32 v[44:45], 0
.LBB140_289:
	v_add_f64 v[42:43], v[42:43], v[44:45]
	v_lshl_add_u64 v[44:45], v[108:109], 3, v[64:65]
	flat_store_dwordx2 v[44:45], v[42:43]
	s_or_b64 exec, exec, s[2:3]
	s_and_b64 s[4:5], s[24:25], s[26:27]
	s_and_saveexec_b64 s[2:3], s[4:5]
	s_cbranch_execz .LBB140_225
.LBB140_290:
	s_and_b64 vcc, exec, s[0:1]
	s_cbranch_vccnz .LBB140_292
; %bb.291:
	v_lshl_add_u64 v[42:43], v[106:107], 3, v[130:131]
	flat_load_dwordx2 v[42:43], v[42:43]
	s_waitcnt vmcnt(0) lgkmcnt(0)
	v_mul_f64 v[42:43], s[70:71], v[42:43]
	s_branch .LBB140_293
.LBB140_292:
	v_mov_b64_e32 v[42:43], 0
.LBB140_293:
	v_add_f64 v[40:41], v[40:41], v[42:43]
	v_lshl_add_u64 v[42:43], v[106:107], 3, v[64:65]
	flat_store_dwordx2 v[42:43], v[40:41]
	s_or_b64 exec, exec, s[2:3]
	s_and_b64 s[4:5], s[24:25], s[28:29]
	s_and_saveexec_b64 s[2:3], s[4:5]
	s_cbranch_execz .LBB140_226
.LBB140_294:
	s_and_b64 vcc, exec, s[0:1]
	s_cbranch_vccnz .LBB140_296
; %bb.295:
	v_lshl_add_u64 v[40:41], v[104:105], 3, v[130:131]
	flat_load_dwordx2 v[40:41], v[40:41]
	s_waitcnt vmcnt(0) lgkmcnt(0)
	v_mul_f64 v[40:41], s[70:71], v[40:41]
	s_branch .LBB140_297
.LBB140_296:
	v_mov_b64_e32 v[40:41], 0
.LBB140_297:
	v_add_f64 v[38:39], v[38:39], v[40:41]
	v_lshl_add_u64 v[40:41], v[104:105], 3, v[64:65]
	flat_store_dwordx2 v[40:41], v[38:39]
	s_or_b64 exec, exec, s[2:3]
	s_and_b64 s[4:5], s[24:25], s[30:31]
	s_and_saveexec_b64 s[2:3], s[4:5]
	s_cbranch_execz .LBB140_227
.LBB140_298:
	s_and_b64 vcc, exec, s[0:1]
	s_cbranch_vccnz .LBB140_300
; %bb.299:
	v_lshl_add_u64 v[38:39], v[102:103], 3, v[130:131]
	flat_load_dwordx2 v[38:39], v[38:39]
	s_waitcnt vmcnt(0) lgkmcnt(0)
	v_mul_f64 v[38:39], s[70:71], v[38:39]
	s_branch .LBB140_301
.LBB140_300:
	v_mov_b64_e32 v[38:39], 0
.LBB140_301:
	v_add_f64 v[36:37], v[36:37], v[38:39]
	v_lshl_add_u64 v[38:39], v[102:103], 3, v[64:65]
	flat_store_dwordx2 v[38:39], v[36:37]
	s_or_b64 exec, exec, s[2:3]
	s_and_b64 s[4:5], s[24:25], s[34:35]
	s_and_saveexec_b64 s[2:3], s[4:5]
	s_cbranch_execz .LBB140_228
.LBB140_302:
	s_and_b64 vcc, exec, s[0:1]
	s_cbranch_vccnz .LBB140_304
; %bb.303:
	v_lshl_add_u64 v[36:37], v[100:101], 3, v[130:131]
	flat_load_dwordx2 v[36:37], v[36:37]
	s_waitcnt vmcnt(0) lgkmcnt(0)
	v_mul_f64 v[36:37], s[70:71], v[36:37]
	s_branch .LBB140_305
.LBB140_304:
	v_mov_b64_e32 v[36:37], 0
.LBB140_305:
	v_add_f64 v[34:35], v[34:35], v[36:37]
	v_lshl_add_u64 v[36:37], v[100:101], 3, v[64:65]
	flat_store_dwordx2 v[36:37], v[34:35]
	s_or_b64 exec, exec, s[2:3]
	s_and_b64 s[4:5], s[24:25], s[36:37]
	s_and_saveexec_b64 s[2:3], s[4:5]
	s_cbranch_execz .LBB140_229
.LBB140_306:
	s_and_b64 vcc, exec, s[0:1]
	s_cbranch_vccnz .LBB140_308
; %bb.307:
	v_lshl_add_u64 v[34:35], v[98:99], 3, v[130:131]
	flat_load_dwordx2 v[34:35], v[34:35]
	s_waitcnt vmcnt(0) lgkmcnt(0)
	v_mul_f64 v[34:35], s[70:71], v[34:35]
	s_branch .LBB140_309
.LBB140_308:
	v_mov_b64_e32 v[34:35], 0
.LBB140_309:
	v_add_f64 v[32:33], v[32:33], v[34:35]
	v_lshl_add_u64 v[34:35], v[98:99], 3, v[64:65]
	flat_store_dwordx2 v[34:35], v[32:33]
	s_or_b64 exec, exec, s[2:3]
	s_and_b64 s[4:5], s[24:25], s[38:39]
	s_and_saveexec_b64 s[2:3], s[4:5]
	s_cbranch_execz .LBB140_230
.LBB140_310:
	s_and_b64 vcc, exec, s[0:1]
	s_cbranch_vccnz .LBB140_312
; %bb.311:
	v_lshl_add_u64 v[32:33], v[96:97], 3, v[130:131]
	flat_load_dwordx2 v[32:33], v[32:33]
	s_waitcnt vmcnt(0) lgkmcnt(0)
	v_mul_f64 v[32:33], s[70:71], v[32:33]
	s_branch .LBB140_313
.LBB140_312:
	v_mov_b64_e32 v[32:33], 0
.LBB140_313:
	v_add_f64 v[30:31], v[30:31], v[32:33]
	v_lshl_add_u64 v[32:33], v[96:97], 3, v[64:65]
	flat_store_dwordx2 v[32:33], v[30:31]
	s_or_b64 exec, exec, s[2:3]
	s_and_b64 s[4:5], s[24:25], s[40:41]
	s_and_saveexec_b64 s[2:3], s[4:5]
	s_cbranch_execz .LBB140_231
.LBB140_314:
	s_and_b64 vcc, exec, s[0:1]
	s_cbranch_vccnz .LBB140_316
; %bb.315:
	v_lshl_add_u64 v[30:31], v[94:95], 3, v[130:131]
	flat_load_dwordx2 v[30:31], v[30:31]
	s_waitcnt vmcnt(0) lgkmcnt(0)
	v_mul_f64 v[30:31], s[70:71], v[30:31]
	s_branch .LBB140_317
.LBB140_316:
	v_mov_b64_e32 v[30:31], 0
.LBB140_317:
	v_add_f64 v[28:29], v[28:29], v[30:31]
	v_lshl_add_u64 v[30:31], v[94:95], 3, v[64:65]
	flat_store_dwordx2 v[30:31], v[28:29]
	s_or_b64 exec, exec, s[2:3]
	s_and_b64 s[4:5], s[24:25], s[42:43]
	s_and_saveexec_b64 s[2:3], s[4:5]
	s_cbranch_execz .LBB140_232
.LBB140_318:
	s_and_b64 vcc, exec, s[0:1]
	s_cbranch_vccnz .LBB140_320
; %bb.319:
	v_lshl_add_u64 v[28:29], v[92:93], 3, v[130:131]
	flat_load_dwordx2 v[28:29], v[28:29]
	s_waitcnt vmcnt(0) lgkmcnt(0)
	v_mul_f64 v[28:29], s[70:71], v[28:29]
	s_branch .LBB140_321
.LBB140_320:
	v_mov_b64_e32 v[28:29], 0
.LBB140_321:
	v_add_f64 v[26:27], v[26:27], v[28:29]
	v_lshl_add_u64 v[28:29], v[92:93], 3, v[64:65]
	flat_store_dwordx2 v[28:29], v[26:27]
	s_or_b64 exec, exec, s[2:3]
	s_and_b64 s[4:5], s[24:25], s[44:45]
	s_and_saveexec_b64 s[2:3], s[4:5]
	s_cbranch_execz .LBB140_233
.LBB140_322:
	s_and_b64 vcc, exec, s[0:1]
	s_cbranch_vccnz .LBB140_324
; %bb.323:
	v_lshl_add_u64 v[26:27], v[90:91], 3, v[130:131]
	flat_load_dwordx2 v[26:27], v[26:27]
	s_waitcnt vmcnt(0) lgkmcnt(0)
	v_mul_f64 v[26:27], s[70:71], v[26:27]
	s_branch .LBB140_325
.LBB140_324:
	v_mov_b64_e32 v[26:27], 0
.LBB140_325:
	v_add_f64 v[24:25], v[24:25], v[26:27]
	v_lshl_add_u64 v[26:27], v[90:91], 3, v[64:65]
	flat_store_dwordx2 v[26:27], v[24:25]
	s_or_b64 exec, exec, s[2:3]
	s_and_b64 s[4:5], s[24:25], s[46:47]
	s_and_saveexec_b64 s[2:3], s[4:5]
	s_cbranch_execz .LBB140_234
.LBB140_326:
	s_and_b64 vcc, exec, s[0:1]
	s_cbranch_vccnz .LBB140_328
; %bb.327:
	v_lshl_add_u64 v[24:25], v[88:89], 3, v[130:131]
	flat_load_dwordx2 v[24:25], v[24:25]
	s_waitcnt vmcnt(0) lgkmcnt(0)
	v_mul_f64 v[24:25], s[70:71], v[24:25]
	s_branch .LBB140_329
.LBB140_328:
	v_mov_b64_e32 v[24:25], 0
.LBB140_329:
	v_add_f64 v[22:23], v[22:23], v[24:25]
	v_lshl_add_u64 v[24:25], v[88:89], 3, v[64:65]
	flat_store_dwordx2 v[24:25], v[22:23]
	s_or_b64 exec, exec, s[2:3]
	s_and_b64 s[4:5], s[24:25], s[48:49]
	s_and_saveexec_b64 s[2:3], s[4:5]
	s_cbranch_execz .LBB140_235
.LBB140_330:
	s_and_b64 vcc, exec, s[0:1]
	s_cbranch_vccnz .LBB140_332
; %bb.331:
	v_lshl_add_u64 v[22:23], v[86:87], 3, v[130:131]
	flat_load_dwordx2 v[22:23], v[22:23]
	s_waitcnt vmcnt(0) lgkmcnt(0)
	v_mul_f64 v[22:23], s[70:71], v[22:23]
	s_branch .LBB140_333
.LBB140_332:
	v_mov_b64_e32 v[22:23], 0
.LBB140_333:
	v_add_f64 v[20:21], v[20:21], v[22:23]
	v_lshl_add_u64 v[22:23], v[86:87], 3, v[64:65]
	flat_store_dwordx2 v[22:23], v[20:21]
	s_or_b64 exec, exec, s[2:3]
	s_and_b64 s[4:5], s[24:25], s[50:51]
	s_and_saveexec_b64 s[2:3], s[4:5]
	s_cbranch_execz .LBB140_236
.LBB140_334:
	s_and_b64 vcc, exec, s[0:1]
	s_cbranch_vccnz .LBB140_336
; %bb.335:
	v_lshl_add_u64 v[20:21], v[84:85], 3, v[130:131]
	flat_load_dwordx2 v[20:21], v[20:21]
	s_waitcnt vmcnt(0) lgkmcnt(0)
	v_mul_f64 v[20:21], s[70:71], v[20:21]
	s_branch .LBB140_337
.LBB140_336:
	v_mov_b64_e32 v[20:21], 0
.LBB140_337:
	v_add_f64 v[18:19], v[18:19], v[20:21]
	v_lshl_add_u64 v[20:21], v[84:85], 3, v[64:65]
	flat_store_dwordx2 v[20:21], v[18:19]
	s_or_b64 exec, exec, s[2:3]
	s_and_b64 s[4:5], s[24:25], s[52:53]
	s_and_saveexec_b64 s[2:3], s[4:5]
	s_cbranch_execz .LBB140_237
.LBB140_338:
	s_and_b64 vcc, exec, s[0:1]
	s_cbranch_vccnz .LBB140_340
; %bb.339:
	v_lshl_add_u64 v[18:19], v[82:83], 3, v[130:131]
	flat_load_dwordx2 v[18:19], v[18:19]
	s_waitcnt vmcnt(0) lgkmcnt(0)
	v_mul_f64 v[18:19], s[70:71], v[18:19]
	s_branch .LBB140_341
.LBB140_340:
	v_mov_b64_e32 v[18:19], 0
.LBB140_341:
	v_add_f64 v[16:17], v[16:17], v[18:19]
	v_lshl_add_u64 v[18:19], v[82:83], 3, v[64:65]
	flat_store_dwordx2 v[18:19], v[16:17]
	s_or_b64 exec, exec, s[2:3]
	s_and_b64 s[4:5], s[24:25], s[54:55]
	s_and_saveexec_b64 s[2:3], s[4:5]
	s_cbranch_execz .LBB140_238
.LBB140_342:
	s_and_b64 vcc, exec, s[0:1]
	s_cbranch_vccnz .LBB140_344
; %bb.343:
	v_lshl_add_u64 v[16:17], v[80:81], 3, v[130:131]
	flat_load_dwordx2 v[16:17], v[16:17]
	s_waitcnt vmcnt(0) lgkmcnt(0)
	v_mul_f64 v[16:17], s[70:71], v[16:17]
	s_branch .LBB140_345
.LBB140_344:
	v_mov_b64_e32 v[16:17], 0
.LBB140_345:
	v_add_f64 v[14:15], v[14:15], v[16:17]
	v_lshl_add_u64 v[16:17], v[80:81], 3, v[64:65]
	flat_store_dwordx2 v[16:17], v[14:15]
	s_or_b64 exec, exec, s[2:3]
	s_and_b64 s[4:5], s[24:25], s[56:57]
	s_and_saveexec_b64 s[2:3], s[4:5]
	s_cbranch_execz .LBB140_239
.LBB140_346:
	s_and_b64 vcc, exec, s[0:1]
	s_cbranch_vccnz .LBB140_348
; %bb.347:
	v_lshl_add_u64 v[14:15], v[78:79], 3, v[130:131]
	flat_load_dwordx2 v[14:15], v[14:15]
	s_waitcnt vmcnt(0) lgkmcnt(0)
	v_mul_f64 v[14:15], s[70:71], v[14:15]
	s_branch .LBB140_349
.LBB140_348:
	v_mov_b64_e32 v[14:15], 0
.LBB140_349:
	v_add_f64 v[12:13], v[12:13], v[14:15]
	v_lshl_add_u64 v[14:15], v[78:79], 3, v[64:65]
	flat_store_dwordx2 v[14:15], v[12:13]
	s_or_b64 exec, exec, s[2:3]
	s_and_b64 s[4:5], s[24:25], s[58:59]
	s_and_saveexec_b64 s[2:3], s[4:5]
	s_cbranch_execz .LBB140_240
.LBB140_350:
	s_and_b64 vcc, exec, s[0:1]
	s_cbranch_vccnz .LBB140_352
; %bb.351:
	v_lshl_add_u64 v[12:13], v[76:77], 3, v[130:131]
	flat_load_dwordx2 v[12:13], v[12:13]
	s_waitcnt vmcnt(0) lgkmcnt(0)
	v_mul_f64 v[12:13], s[70:71], v[12:13]
	s_branch .LBB140_353
.LBB140_352:
	v_mov_b64_e32 v[12:13], 0
.LBB140_353:
	v_add_f64 v[10:11], v[10:11], v[12:13]
	v_lshl_add_u64 v[12:13], v[76:77], 3, v[64:65]
	flat_store_dwordx2 v[12:13], v[10:11]
	s_or_b64 exec, exec, s[2:3]
	s_and_b64 s[4:5], s[24:25], s[60:61]
	s_and_saveexec_b64 s[2:3], s[4:5]
	s_cbranch_execz .LBB140_241
.LBB140_354:
	s_and_b64 vcc, exec, s[0:1]
	s_cbranch_vccnz .LBB140_356
; %bb.355:
	v_lshl_add_u64 v[10:11], v[74:75], 3, v[130:131]
	flat_load_dwordx2 v[10:11], v[10:11]
	s_waitcnt vmcnt(0) lgkmcnt(0)
	v_mul_f64 v[10:11], s[70:71], v[10:11]
	s_branch .LBB140_357
.LBB140_356:
	v_mov_b64_e32 v[10:11], 0
.LBB140_357:
	v_add_f64 v[8:9], v[8:9], v[10:11]
	v_lshl_add_u64 v[10:11], v[74:75], 3, v[64:65]
	flat_store_dwordx2 v[10:11], v[8:9]
	s_or_b64 exec, exec, s[2:3]
	s_and_b64 s[4:5], s[24:25], s[62:63]
	s_and_saveexec_b64 s[2:3], s[4:5]
	s_cbranch_execz .LBB140_242
.LBB140_358:
	s_and_b64 vcc, exec, s[0:1]
	s_cbranch_vccnz .LBB140_360
; %bb.359:
	v_lshl_add_u64 v[8:9], v[72:73], 3, v[130:131]
	flat_load_dwordx2 v[8:9], v[8:9]
	s_waitcnt vmcnt(0) lgkmcnt(0)
	v_mul_f64 v[8:9], s[70:71], v[8:9]
	s_branch .LBB140_361
.LBB140_360:
	v_mov_b64_e32 v[8:9], 0
.LBB140_361:
	v_add_f64 v[6:7], v[6:7], v[8:9]
	v_lshl_add_u64 v[8:9], v[72:73], 3, v[64:65]
	flat_store_dwordx2 v[8:9], v[6:7]
	s_or_b64 exec, exec, s[2:3]
	s_and_b64 s[4:5], s[24:25], s[64:65]
	s_and_saveexec_b64 s[2:3], s[4:5]
	s_cbranch_execz .LBB140_243
.LBB140_362:
	s_and_b64 vcc, exec, s[0:1]
	s_cbranch_vccnz .LBB140_364
; %bb.363:
	v_lshl_add_u64 v[6:7], v[70:71], 3, v[130:131]
	flat_load_dwordx2 v[6:7], v[6:7]
	s_waitcnt vmcnt(0) lgkmcnt(0)
	v_mul_f64 v[6:7], s[70:71], v[6:7]
	s_branch .LBB140_365
.LBB140_364:
	v_mov_b64_e32 v[6:7], 0
.LBB140_365:
	v_add_f64 v[4:5], v[4:5], v[6:7]
	v_lshl_add_u64 v[6:7], v[70:71], 3, v[64:65]
	flat_store_dwordx2 v[6:7], v[4:5]
	s_or_b64 exec, exec, s[2:3]
	s_and_b64 s[4:5], s[24:25], s[66:67]
	s_and_saveexec_b64 s[2:3], s[4:5]
	s_cbranch_execz .LBB140_244
.LBB140_366:
	s_and_b64 vcc, exec, s[0:1]
	s_cbranch_vccnz .LBB140_368
; %bb.367:
	v_lshl_add_u64 v[4:5], v[68:69], 3, v[130:131]
	flat_load_dwordx2 v[4:5], v[4:5]
	s_waitcnt vmcnt(0) lgkmcnt(0)
	v_mul_f64 v[4:5], s[70:71], v[4:5]
	s_branch .LBB140_369
.LBB140_368:
	v_mov_b64_e32 v[4:5], 0
.LBB140_369:
	v_add_f64 v[2:3], v[2:3], v[4:5]
	v_lshl_add_u64 v[4:5], v[68:69], 3, v[64:65]
	flat_store_dwordx2 v[4:5], v[2:3]
	s_or_b64 exec, exec, s[2:3]
	s_and_b64 s[2:3], s[24:25], s[68:69]
	s_and_saveexec_b64 s[4:5], s[2:3]
	s_cbranch_execz .LBB140_245
.LBB140_370:
	s_and_b64 vcc, exec, s[0:1]
	s_cbranch_vccnz .LBB140_372
; %bb.371:
	v_lshl_add_u64 v[2:3], v[66:67], 3, v[130:131]
	flat_load_dwordx2 v[2:3], v[2:3]
	s_waitcnt vmcnt(0) lgkmcnt(0)
	v_mul_f64 v[2:3], s[70:71], v[2:3]
	v_add_f64 v[0:1], v[0:1], v[2:3]
	v_lshl_add_u64 v[2:3], v[66:67], 3, v[64:65]
	flat_store_dwordx2 v[2:3], v[0:1]
	s_endpgm
.LBB140_372:
	v_mov_b64_e32 v[2:3], 0
	v_add_f64 v[0:1], v[0:1], v[2:3]
	v_lshl_add_u64 v[2:3], v[66:67], 3, v[64:65]
	flat_store_dwordx2 v[2:3], v[0:1]
	s_endpgm
	.section	.rodata,"a",@progbits
	.p2align	6, 0x0
	.amdhsa_kernel _ZN12_GLOBAL__N_120geam_min_plus_kernelIdddLi4ELi64ELi128ELi128ELi4ELi4ELi64ELi4ELi64ELc84ELc78ELb0ELb1ELb0EdKPKdKPdEEviiiT16_PT17_ilS8_ilS6_S8_ilPT18_ili26rocblas_geam_ex_operation_
		.amdhsa_group_segment_fixed_size 16384
		.amdhsa_private_segment_fixed_size 0
		.amdhsa_kernarg_size 136
		.amdhsa_user_sgpr_count 2
		.amdhsa_user_sgpr_dispatch_ptr 0
		.amdhsa_user_sgpr_queue_ptr 0
		.amdhsa_user_sgpr_kernarg_segment_ptr 1
		.amdhsa_user_sgpr_dispatch_id 0
		.amdhsa_user_sgpr_kernarg_preload_length 0
		.amdhsa_user_sgpr_kernarg_preload_offset 0
		.amdhsa_user_sgpr_private_segment_size 0
		.amdhsa_uses_dynamic_stack 0
		.amdhsa_enable_private_segment 0
		.amdhsa_system_sgpr_workgroup_id_x 1
		.amdhsa_system_sgpr_workgroup_id_y 0
		.amdhsa_system_sgpr_workgroup_id_z 1
		.amdhsa_system_sgpr_workgroup_info 0
		.amdhsa_system_vgpr_workitem_id 1
		.amdhsa_next_free_vgpr 250
		.amdhsa_next_free_sgpr 82
		.amdhsa_accum_offset 252
		.amdhsa_reserve_vcc 1
		.amdhsa_float_round_mode_32 0
		.amdhsa_float_round_mode_16_64 0
		.amdhsa_float_denorm_mode_32 3
		.amdhsa_float_denorm_mode_16_64 3
		.amdhsa_dx10_clamp 1
		.amdhsa_ieee_mode 1
		.amdhsa_fp16_overflow 0
		.amdhsa_tg_split 0
		.amdhsa_exception_fp_ieee_invalid_op 0
		.amdhsa_exception_fp_denorm_src 0
		.amdhsa_exception_fp_ieee_div_zero 0
		.amdhsa_exception_fp_ieee_overflow 0
		.amdhsa_exception_fp_ieee_underflow 0
		.amdhsa_exception_fp_ieee_inexact 0
		.amdhsa_exception_int_div_zero 0
	.end_amdhsa_kernel
	.section	.text._ZN12_GLOBAL__N_120geam_min_plus_kernelIdddLi4ELi64ELi128ELi128ELi4ELi4ELi64ELi4ELi64ELc84ELc78ELb0ELb1ELb0EdKPKdKPdEEviiiT16_PT17_ilS8_ilS6_S8_ilPT18_ili26rocblas_geam_ex_operation_,"axG",@progbits,_ZN12_GLOBAL__N_120geam_min_plus_kernelIdddLi4ELi64ELi128ELi128ELi4ELi4ELi64ELi4ELi64ELc84ELc78ELb0ELb1ELb0EdKPKdKPdEEviiiT16_PT17_ilS8_ilS6_S8_ilPT18_ili26rocblas_geam_ex_operation_,comdat
.Lfunc_end140:
	.size	_ZN12_GLOBAL__N_120geam_min_plus_kernelIdddLi4ELi64ELi128ELi128ELi4ELi4ELi64ELi4ELi64ELc84ELc78ELb0ELb1ELb0EdKPKdKPdEEviiiT16_PT17_ilS8_ilS6_S8_ilPT18_ili26rocblas_geam_ex_operation_, .Lfunc_end140-_ZN12_GLOBAL__N_120geam_min_plus_kernelIdddLi4ELi64ELi128ELi128ELi4ELi4ELi64ELi4ELi64ELc84ELc78ELb0ELb1ELb0EdKPKdKPdEEviiiT16_PT17_ilS8_ilS6_S8_ilPT18_ili26rocblas_geam_ex_operation_
                                        ; -- End function
	.set _ZN12_GLOBAL__N_120geam_min_plus_kernelIdddLi4ELi64ELi128ELi128ELi4ELi4ELi64ELi4ELi64ELc84ELc78ELb0ELb1ELb0EdKPKdKPdEEviiiT16_PT17_ilS8_ilS6_S8_ilPT18_ili26rocblas_geam_ex_operation_.num_vgpr, 250
	.set _ZN12_GLOBAL__N_120geam_min_plus_kernelIdddLi4ELi64ELi128ELi128ELi4ELi4ELi64ELi4ELi64ELc84ELc78ELb0ELb1ELb0EdKPKdKPdEEviiiT16_PT17_ilS8_ilS6_S8_ilPT18_ili26rocblas_geam_ex_operation_.num_agpr, 0
	.set _ZN12_GLOBAL__N_120geam_min_plus_kernelIdddLi4ELi64ELi128ELi128ELi4ELi4ELi64ELi4ELi64ELc84ELc78ELb0ELb1ELb0EdKPKdKPdEEviiiT16_PT17_ilS8_ilS6_S8_ilPT18_ili26rocblas_geam_ex_operation_.numbered_sgpr, 82
	.set _ZN12_GLOBAL__N_120geam_min_plus_kernelIdddLi4ELi64ELi128ELi128ELi4ELi4ELi64ELi4ELi64ELc84ELc78ELb0ELb1ELb0EdKPKdKPdEEviiiT16_PT17_ilS8_ilS6_S8_ilPT18_ili26rocblas_geam_ex_operation_.num_named_barrier, 0
	.set _ZN12_GLOBAL__N_120geam_min_plus_kernelIdddLi4ELi64ELi128ELi128ELi4ELi4ELi64ELi4ELi64ELc84ELc78ELb0ELb1ELb0EdKPKdKPdEEviiiT16_PT17_ilS8_ilS6_S8_ilPT18_ili26rocblas_geam_ex_operation_.private_seg_size, 0
	.set _ZN12_GLOBAL__N_120geam_min_plus_kernelIdddLi4ELi64ELi128ELi128ELi4ELi4ELi64ELi4ELi64ELc84ELc78ELb0ELb1ELb0EdKPKdKPdEEviiiT16_PT17_ilS8_ilS6_S8_ilPT18_ili26rocblas_geam_ex_operation_.uses_vcc, 1
	.set _ZN12_GLOBAL__N_120geam_min_plus_kernelIdddLi4ELi64ELi128ELi128ELi4ELi4ELi64ELi4ELi64ELc84ELc78ELb0ELb1ELb0EdKPKdKPdEEviiiT16_PT17_ilS8_ilS6_S8_ilPT18_ili26rocblas_geam_ex_operation_.uses_flat_scratch, 0
	.set _ZN12_GLOBAL__N_120geam_min_plus_kernelIdddLi4ELi64ELi128ELi128ELi4ELi4ELi64ELi4ELi64ELc84ELc78ELb0ELb1ELb0EdKPKdKPdEEviiiT16_PT17_ilS8_ilS6_S8_ilPT18_ili26rocblas_geam_ex_operation_.has_dyn_sized_stack, 0
	.set _ZN12_GLOBAL__N_120geam_min_plus_kernelIdddLi4ELi64ELi128ELi128ELi4ELi4ELi64ELi4ELi64ELc84ELc78ELb0ELb1ELb0EdKPKdKPdEEviiiT16_PT17_ilS8_ilS6_S8_ilPT18_ili26rocblas_geam_ex_operation_.has_recursion, 0
	.set _ZN12_GLOBAL__N_120geam_min_plus_kernelIdddLi4ELi64ELi128ELi128ELi4ELi4ELi64ELi4ELi64ELc84ELc78ELb0ELb1ELb0EdKPKdKPdEEviiiT16_PT17_ilS8_ilS6_S8_ilPT18_ili26rocblas_geam_ex_operation_.has_indirect_call, 0
	.section	.AMDGPU.csdata,"",@progbits
; Kernel info:
; codeLenInByte = 14660
; TotalNumSgprs: 88
; NumVgprs: 250
; NumAgprs: 0
; TotalNumVgprs: 250
; ScratchSize: 0
; MemoryBound: 0
; FloatMode: 240
; IeeeMode: 1
; LDSByteSize: 16384 bytes/workgroup (compile time only)
; SGPRBlocks: 10
; VGPRBlocks: 31
; NumSGPRsForWavesPerEU: 88
; NumVGPRsForWavesPerEU: 250
; AccumOffset: 252
; Occupancy: 2
; WaveLimiterHint : 1
; COMPUTE_PGM_RSRC2:SCRATCH_EN: 0
; COMPUTE_PGM_RSRC2:USER_SGPR: 2
; COMPUTE_PGM_RSRC2:TRAP_HANDLER: 0
; COMPUTE_PGM_RSRC2:TGID_X_EN: 1
; COMPUTE_PGM_RSRC2:TGID_Y_EN: 0
; COMPUTE_PGM_RSRC2:TGID_Z_EN: 1
; COMPUTE_PGM_RSRC2:TIDIG_COMP_CNT: 1
; COMPUTE_PGM_RSRC3_GFX90A:ACCUM_OFFSET: 62
; COMPUTE_PGM_RSRC3_GFX90A:TG_SPLIT: 0
	.section	.text._ZN12_GLOBAL__N_120geam_min_plus_kernelIdddLi4ELi64ELi128ELi128ELi4ELi64ELi4ELi64ELi4ELc78ELc84ELb0ELb0ELb0EPKdKS2_KPdEEviiiT16_PT17_ilS8_ilS6_S8_ilPT18_ili26rocblas_geam_ex_operation_,"axG",@progbits,_ZN12_GLOBAL__N_120geam_min_plus_kernelIdddLi4ELi64ELi128ELi128ELi4ELi64ELi4ELi64ELi4ELc78ELc84ELb0ELb0ELb0EPKdKS2_KPdEEviiiT16_PT17_ilS8_ilS6_S8_ilPT18_ili26rocblas_geam_ex_operation_,comdat
	.globl	_ZN12_GLOBAL__N_120geam_min_plus_kernelIdddLi4ELi64ELi128ELi128ELi4ELi64ELi4ELi64ELi4ELc78ELc84ELb0ELb0ELb0EPKdKS2_KPdEEviiiT16_PT17_ilS8_ilS6_S8_ilPT18_ili26rocblas_geam_ex_operation_ ; -- Begin function _ZN12_GLOBAL__N_120geam_min_plus_kernelIdddLi4ELi64ELi128ELi128ELi4ELi64ELi4ELi64ELi4ELc78ELc84ELb0ELb0ELb0EPKdKS2_KPdEEviiiT16_PT17_ilS8_ilS6_S8_ilPT18_ili26rocblas_geam_ex_operation_
	.p2align	8
	.type	_ZN12_GLOBAL__N_120geam_min_plus_kernelIdddLi4ELi64ELi128ELi128ELi4ELi64ELi4ELi64ELi4ELc78ELc84ELb0ELb0ELb0EPKdKS2_KPdEEviiiT16_PT17_ilS8_ilS6_S8_ilPT18_ili26rocblas_geam_ex_operation_,@function
_ZN12_GLOBAL__N_120geam_min_plus_kernelIdddLi4ELi64ELi128ELi128ELi4ELi64ELi4ELi64ELi4ELc78ELc84ELb0ELb0ELb0EPKdKS2_KPdEEviiiT16_PT17_ilS8_ilS6_S8_ilPT18_ili26rocblas_geam_ex_operation_: ; @_ZN12_GLOBAL__N_120geam_min_plus_kernelIdddLi4ELi64ELi128ELi128ELi4ELi64ELi4ELi64ELi4ELc78ELc84ELb0ELb0ELb0EPKdKS2_KPdEEviiiT16_PT17_ilS8_ilS6_S8_ilPT18_ili26rocblas_geam_ex_operation_
; %bb.0:
	s_load_dwordx4 s[4:7], s[0:1], 0x10
	s_load_dwordx4 s[12:15], s[0:1], 0x28
	;; [unrolled: 1-line block ×3, first 2 shown]
	s_mov_b32 s16, s3
	s_mov_b32 s17, 0
	s_lshl_b64 s[24:25], s[16:17], 3
	s_waitcnt lgkmcnt(0)
	s_add_u32 s4, s4, s24
	s_addc_u32 s5, s5, s25
	s_load_dwordx2 s[18:19], s[4:5], 0x0
	s_load_dwordx2 s[26:27], s[0:1], 0x50
	s_add_u32 s10, s10, s24
	s_addc_u32 s11, s11, s25
	s_mov_b64 s[20:21], 0
	s_waitcnt lgkmcnt(0)
	v_cmp_eq_f64_e64 s[4:5], s[18:19], 0
	s_and_b64 s[4:5], exec, s[4:5]
	v_cmp_neq_f64_e64 s[16:17], s[18:19], 0
	s_mov_b64 s[22:23], 0
	s_mov_b64 vcc, s[4:5]
	s_cbranch_vccnz .LBB141_2
; %bb.1:
	s_add_u32 s6, s6, s24
	s_addc_u32 s7, s7, s25
	s_load_dwordx2 s[6:7], s[6:7], 0x0
	s_lshl_b64 s[12:13], s[12:13], 3
	s_waitcnt lgkmcnt(0)
	s_add_u32 s22, s6, s12
	s_addc_u32 s23, s7, s13
.LBB141_2:
	s_load_dwordx2 s[10:11], s[10:11], 0x0
	v_cndmask_b32_e64 v1, 0, 1, s[16:17]
	v_cmp_ne_u32_e64 s[6:7], 1, v1
	s_andn2_b64 vcc, exec, s[16:17]
	s_cbranch_vccnz .LBB141_4
; %bb.3:
	s_add_u32 s12, s14, s24
	s_addc_u32 s13, s15, s25
	s_load_dwordx2 s[12:13], s[12:13], 0x0
	s_lshl_b64 s[8:9], s[8:9], 3
	s_waitcnt lgkmcnt(0)
	s_add_u32 s20, s12, s8
	s_addc_u32 s21, s13, s9
.LBB141_4:
	s_load_dwordx4 s[12:15], s[0:1], 0x60
	s_waitcnt lgkmcnt(0)
	v_cmp_eq_f64_e64 s[8:9], s[10:11], 0
	s_and_b64 s[8:9], exec, s[8:9]
	s_mov_b64 s[16:17], 0
	s_mov_b64 vcc, s[8:9]
	s_cbranch_vccnz .LBB141_6
; %bb.5:
	s_add_u32 s16, s26, s24
	s_addc_u32 s17, s27, s25
	s_load_dwordx2 s[16:17], s[16:17], 0x0
	s_lshl_b64 s[12:13], s[12:13], 3
	s_waitcnt lgkmcnt(0)
	s_add_u32 s16, s16, s12
	s_addc_u32 s17, s17, s13
.LBB141_6:
	s_load_dword s26, s[0:1], 0x20
	s_load_dword s3, s[0:1], 0x0
	v_and_b32_e32 v140, 0x3ff, v0
	v_bfe_u32 v141, v0, 10, 10
	v_mov_b64_e32 v[6:7], 0
	s_waitcnt lgkmcnt(0)
	s_ashr_i32 s27, s26, 31
	s_add_u32 s12, s14, s24
	s_addc_u32 s13, s15, s25
	s_add_i32 s3, s3, -1
	s_ashr_i32 s14, s3, 31
	s_lshr_b32 s14, s14, 25
	s_add_i32 s3, s3, s14
	s_ashr_i32 s3, s3, 7
	s_add_i32 s14, s3, 1
	v_cvt_f32_u32_e32 v1, s14
	s_not_b32 s3, s3
	v_mov_b64_e32 v[8:9], 0
	v_mov_b64_e32 v[10:11], 0
	v_rcp_iflag_f32_e32 v0, v1
	v_lshl_add_u32 v1, v141, 2, v140
	v_and_b32_e32 v143, 63, v1
	v_lshrrev_b32_e32 v142, 6, v1
	v_mul_f32_e32 v0, 0x4f7ffffe, v0
	v_cvt_u32_f32_e32 v0, v0
	s_nop 0
	v_readfirstlane_b32 s15, v0
	s_mul_i32 s3, s3, s15
	s_mul_hi_u32 s3, s15, s3
	s_add_i32 s15, s15, s3
	s_mul_hi_u32 s3, s2, s15
	s_mul_i32 s15, s3, s14
	s_sub_i32 s15, s2, s15
	s_add_i32 s24, s3, 1
	s_sub_i32 s25, s15, s14
	s_cmp_ge_u32 s15, s14
	s_cselect_b32 s3, s24, s3
	s_cselect_b32 s15, s25, s15
	s_add_i32 s24, s3, 1
	s_cmp_ge_u32 s15, s14
	s_cselect_b32 s3, s24, s3
	s_mul_i32 s14, s3, s14
	s_sub_i32 s2, s2, s14
	s_lshl_b32 s14, s2, 7
	v_or_b32_e32 v0, s14, v143
	s_and_b64 vcc, exec, s[6:7]
	v_ashrrev_i32_e32 v1, 31, v0
	s_cbranch_vccnz .LBB141_8
; %bb.7:
	v_mad_i64_i32 v[2:3], s[24:25], s26, v142, 0
	v_lshl_add_u64 v[2:3], v[2:3], 3, s[22:23]
	v_lshl_add_u64 v[2:3], v[0:1], 3, v[2:3]
	flat_load_dwordx2 v[4:5], v[2:3]
	flat_load_dwordx2 v[8:9], v[2:3] offset:512
	s_waitcnt vmcnt(0) lgkmcnt(0)
	v_mul_f64 v[10:11], s[18:19], v[4:5]
	v_mul_f64 v[8:9], s[18:19], v[8:9]
.LBB141_8:
	s_load_dword s24, s[0:1], 0x38
	s_lshl_b32 s15, s3, 7
	v_or_b32_e32 v2, s15, v143
	s_and_b64 vcc, exec, s[6:7]
	v_ashrrev_i32_e32 v3, 31, v2
	s_waitcnt lgkmcnt(0)
	s_ashr_i32 s25, s24, 31
	v_mov_b64_e32 v[12:13], 0
	s_cbranch_vccnz .LBB141_10
; %bb.9:
	v_mad_i64_i32 v[4:5], s[2:3], s24, v142, 0
	v_lshl_add_u64 v[4:5], v[4:5], 3, s[20:21]
	v_lshl_add_u64 v[4:5], v[2:3], 3, v[4:5]
	flat_load_dwordx2 v[6:7], v[4:5]
	flat_load_dwordx2 v[14:15], v[4:5] offset:512
	s_waitcnt vmcnt(0) lgkmcnt(0)
	v_mul_f64 v[12:13], s[18:19], v[6:7]
	v_mul_f64 v[6:7], s[18:19], v[14:15]
.LBB141_10:
	v_mov_b64_e32 v[4:5], 0
	s_and_b64 vcc, exec, s[6:7]
	v_add_u32_e32 v144, 4, v142
	v_mov_b64_e32 v[134:135], 0
	v_mov_b64_e32 v[136:137], 0
	s_cbranch_vccnz .LBB141_12
; %bb.11:
	v_mad_i64_i32 v[14:15], s[2:3], s26, v144, 0
	v_lshl_add_u64 v[14:15], v[14:15], 3, s[22:23]
	v_lshl_add_u64 v[14:15], v[0:1], 3, v[14:15]
	flat_load_dwordx2 v[16:17], v[14:15]
	flat_load_dwordx2 v[18:19], v[14:15] offset:512
	s_waitcnt vmcnt(0) lgkmcnt(0)
	v_mul_f64 v[136:137], s[18:19], v[16:17]
	v_mul_f64 v[134:135], s[18:19], v[18:19]
.LBB141_12:
	s_load_dwordx2 s[2:3], s[12:13], 0x0
	s_and_b64 vcc, exec, s[6:7]
	v_mov_b64_e32 v[138:139], 0
	s_cbranch_vccnz .LBB141_14
; %bb.13:
	v_mad_i64_i32 v[4:5], s[6:7], s24, v144, 0
	v_lshl_add_u64 v[4:5], v[4:5], 3, s[20:21]
	v_lshl_add_u64 v[4:5], v[2:3], 3, v[4:5]
	flat_load_dwordx2 v[14:15], v[4:5]
	flat_load_dwordx2 v[16:17], v[4:5] offset:512
	s_waitcnt vmcnt(0) lgkmcnt(0)
	v_mul_f64 v[138:139], s[18:19], v[14:15]
	v_mul_f64 v[4:5], s[18:19], v[16:17]
.LBB141_14:
	v_lshlrev_b32_e32 v14, 5, v143
	v_lshl_add_u32 v145, v142, 3, v14
	v_lshlrev_b32_e32 v152, 5, v141
	ds_write2st64_b64 v145, v[10:11], v[8:9] offset1:4
	v_or_b32_e32 v146, 0x2000, v145
	ds_write2st64_b64 v145, v[12:13], v[6:7] offset0:16 offset1:20
	v_lshlrev_b32_e32 v147, 5, v140
	v_add_u32_e32 v148, 0x2000, v152
	v_mov_b64_e32 v[132:133], 0
	s_mov_b32 s6, 0
	v_mov_b64_e32 v[130:131], 0
	v_mov_b64_e32 v[128:129], 0
	;; [unrolled: 1-line block ×63, first 2 shown]
	s_waitcnt lgkmcnt(0)
	s_barrier
.LBB141_15:                             ; =>This Inner Loop Header: Depth=1
	v_add_u32_e32 v149, s6, v147
	v_add_u32_e32 v150, s6, v148
	ds_read2_b64 v[154:157], v149 offset1:16
	ds_read2_b64 v[158:161], v149 offset0:32 offset1:48
	ds_read2_b64 v[162:165], v149 offset0:64 offset1:80
	;; [unrolled: 1-line block ×7, first 2 shown]
	ds_read2st64_b64 v[186:189], v150 offset1:4
	v_add_u32_e32 v149, 0x800, v149
	ds_read2_b64 v[190:193], v149 offset1:16
	ds_read2_b64 v[194:197], v149 offset0:32 offset1:48
	ds_read2_b64 v[198:201], v149 offset0:64 offset1:80
	;; [unrolled: 1-line block ×7, first 2 shown]
	s_waitcnt lgkmcnt(14)
	v_max_f64 v[150:151], v[154:155], v[154:155]
	v_max_f64 v[154:155], v[156:157], v[156:157]
	;; [unrolled: 1-line block ×6, first 2 shown]
	s_waitcnt lgkmcnt(13)
	v_max_f64 v[164:165], v[166:167], v[166:167]
	v_max_f64 v[166:167], v[168:169], v[168:169]
	s_waitcnt lgkmcnt(12)
	v_max_f64 v[168:169], v[170:171], v[170:171]
	v_max_f64 v[170:171], v[172:173], v[172:173]
	;; [unrolled: 3-line block ×14, first 2 shown]
	v_min_f64 v[220:221], v[150:151], v[184:185]
	v_min_f64 v[222:223], v[154:155], v[184:185]
	;; [unrolled: 1-line block ×32, first 2 shown]
	s_add_i32 s6, s6, 8
	v_add_f64 v[68:69], v[68:69], v[150:151]
	v_add_f64 v[66:67], v[66:67], v[154:155]
	;; [unrolled: 1-line block ×16, first 2 shown]
	v_min_f64 v[150:151], v[188:189], v[184:185]
	v_min_f64 v[154:155], v[190:191], v[184:185]
	;; [unrolled: 1-line block ×32, first 2 shown]
	s_cmp_eq_u32 s6, 32
	v_add_f64 v[132:133], v[132:133], v[220:221]
	v_add_f64 v[130:131], v[130:131], v[222:223]
	;; [unrolled: 1-line block ×48, first 2 shown]
	s_cbranch_scc0 .LBB141_15
; %bb.16:
	s_load_dword s12, s[0:1], 0x8
	v_lshlrev_b32_e32 v149, 3, v142
	v_lshl_add_u32 v150, v143, 5, v149
	ds_write2st64_b64 v150, v[136:137], v[134:135] offset0:8 offset1:12
	ds_write2st64_b64 v150, v[138:139], v[4:5] offset0:24 offset1:28
	s_waitcnt lgkmcnt(0)
	s_cmp_gt_i32 s12, 8
	s_barrier
	s_cbranch_scc1 .LBB141_18
; %bb.17:
	v_add_u32_e32 v143, 0x3000, v152
	s_cbranch_execz .LBB141_19
	s_branch .LBB141_41
.LBB141_18:
                                        ; implicit-def: $vgpr143
.LBB141_19:
	v_lshl_add_u64 v[134:135], v[0:1], 3, s[22:23]
	v_mov_b32_e32 v0, 0x1000
	v_or_b32_e32 v149, 0x1000, v150
	v_or_b32_e32 v150, 0x3000, v150
	s_add_i32 s12, s12, -8
	v_lshl_add_u64 v[136:137], v[2:3], 3, s[20:21]
	v_lshl_add_u32 v151, v140, 5, v0
	v_add_u32_e32 v143, 0x3000, v152
	s_mov_b32 s13, 8
	s_mov_b32 s20, 0
	s_mov_b32 s21, 0
.LBB141_20:                             ; =>This Loop Header: Depth=1
                                        ;     Child Loop BB141_26 Depth 2
                                        ;     Child Loop BB141_33 Depth 2
	s_mov_b64 s[6:7], -1
	s_mov_b64 vcc, s[4:5]
                                        ; implicit-def: $vgpr0_vgpr1_vgpr2_vgpr3
	s_cbranch_vccnz .LBB141_35
; %bb.21:                               ;   in Loop: Header=BB141_20 Depth=1
	v_mov_b64_e32 v[138:139], 0
	s_andn2_b64 vcc, exec, s[6:7]
	v_add_u32_e32 v152, s13, v142
	s_cbranch_vccz .LBB141_36
.LBB141_22:                             ;   in Loop: Header=BB141_20 Depth=1
	s_mov_b64 s[6:7], -1
	s_mov_b64 vcc, s[4:5]
                                        ; implicit-def: $vgpr2_vgpr3_vgpr4_vgpr5
	s_cbranch_vccnz .LBB141_37
.LBB141_23:                             ;   in Loop: Header=BB141_20 Depth=1
	s_andn2_b64 vcc, exec, s[6:7]
	v_mov_b64_e32 v[4:5], 0
	s_cbranch_vccnz .LBB141_25
.LBB141_24:                             ;   in Loop: Header=BB141_20 Depth=1
	v_mad_u64_u32 v[2:3], s[6:7], v152, s24, 0
	v_mov_b32_e32 v4, v3
	v_mad_u64_u32 v[4:5], s[6:7], v152, s25, v[4:5]
	v_mov_b32_e32 v3, v4
	v_lshl_add_u64 v[2:3], v[2:3], 3, v[136:137]
	flat_load_dwordx2 v[4:5], v[2:3]
	flat_load_dwordx2 v[152:153], v[2:3] offset:512
	s_waitcnt vmcnt(0) lgkmcnt(0)
	v_mul_f64 v[2:3], s[18:19], v[4:5]
	v_mul_f64 v[4:5], s[18:19], v[152:153]
.LBB141_25:                             ;   in Loop: Header=BB141_20 Depth=1
	s_mov_b32 s6, 0
.LBB141_26:                             ;   Parent Loop BB141_20 Depth=1
                                        ; =>  This Inner Loop Header: Depth=2
	v_add_u32_e32 v184, s6, v151
	v_add_u32_e32 v185, s6, v143
	ds_read2_b64 v[152:155], v184 offset1:16
	ds_read2_b64 v[156:159], v184 offset0:32 offset1:48
	ds_read2_b64 v[160:163], v184 offset0:64 offset1:80
	;; [unrolled: 1-line block ×7, first 2 shown]
	v_add_u32_e32 v216, 0x800, v184
	ds_read2st64_b64 v[184:187], v185 offset1:4
	ds_read2_b64 v[188:191], v216 offset1:16
	ds_read2_b64 v[192:195], v216 offset0:32 offset1:48
	ds_read2_b64 v[196:199], v216 offset0:64 offset1:80
	ds_read2_b64 v[200:203], v216 offset0:96 offset1:112
	ds_read2_b64 v[204:207], v216 offset0:128 offset1:144
	ds_read2_b64 v[208:211], v216 offset0:160 offset1:176
	ds_read2_b64 v[212:215], v216 offset0:192 offset1:208
	ds_read2_b64 v[216:219], v216 offset0:224 offset1:240
	s_waitcnt lgkmcnt(14)
	v_max_f64 v[152:153], v[152:153], v[152:153]
	v_max_f64 v[154:155], v[154:155], v[154:155]
	;; [unrolled: 1-line block ×3, first 2 shown]
	s_waitcnt lgkmcnt(8)
	v_max_f64 v[184:185], v[184:185], v[184:185]
	v_max_f64 v[158:159], v[158:159], v[158:159]
	;; [unrolled: 1-line block ×15, first 2 shown]
	v_min_f64 v[220:221], v[152:153], v[184:185]
	v_min_f64 v[222:223], v[154:155], v[184:185]
	;; [unrolled: 1-line block ×16, first 2 shown]
	s_waitcnt lgkmcnt(7)
	v_max_f64 v[188:189], v[188:189], v[188:189]
	v_max_f64 v[190:191], v[190:191], v[190:191]
	s_waitcnt lgkmcnt(6)
	v_max_f64 v[192:193], v[192:193], v[192:193]
	v_max_f64 v[194:195], v[194:195], v[194:195]
	;; [unrolled: 3-line block ×8, first 2 shown]
	v_min_f64 v[152:153], v[152:153], v[186:187]
	v_min_f64 v[154:155], v[154:155], v[186:187]
	;; [unrolled: 1-line block ×16, first 2 shown]
	s_add_i32 s6, s6, 8
	v_add_f64 v[132:133], v[132:133], v[220:221]
	v_add_f64 v[130:131], v[130:131], v[222:223]
	;; [unrolled: 1-line block ×15, first 2 shown]
	v_min_f64 v[220:221], v[188:189], v[184:185]
	v_min_f64 v[222:223], v[190:191], v[184:185]
	v_min_f64 v[224:225], v[192:193], v[184:185]
	v_min_f64 v[226:227], v[194:195], v[184:185]
	v_min_f64 v[228:229], v[196:197], v[184:185]
	v_min_f64 v[230:231], v[198:199], v[184:185]
	v_min_f64 v[232:233], v[200:201], v[184:185]
	v_min_f64 v[234:235], v[202:203], v[184:185]
	v_min_f64 v[236:237], v[204:205], v[184:185]
	v_min_f64 v[238:239], v[206:207], v[184:185]
	v_min_f64 v[240:241], v[208:209], v[184:185]
	v_min_f64 v[242:243], v[210:211], v[184:185]
	v_min_f64 v[244:245], v[212:213], v[184:185]
	v_min_f64 v[246:247], v[214:215], v[184:185]
	v_min_f64 v[248:249], v[216:217], v[184:185]
	v_min_f64 v[184:185], v[218:219], v[184:185]
	v_add_f64 v[68:69], v[68:69], v[152:153]
	v_add_f64 v[66:67], v[66:67], v[154:155]
	;; [unrolled: 1-line block ×16, first 2 shown]
	v_min_f64 v[152:153], v[188:189], v[186:187]
	v_min_f64 v[154:155], v[190:191], v[186:187]
	;; [unrolled: 1-line block ×16, first 2 shown]
	s_cmp_eq_u32 s6, 32
	v_add_f64 v[102:103], v[102:103], v[250:251]
	v_add_f64 v[100:101], v[100:101], v[220:221]
	;; [unrolled: 1-line block ×33, first 2 shown]
	s_cbranch_scc0 .LBB141_26
; %bb.27:                               ;   in Loop: Header=BB141_20 Depth=1
	s_mov_b64 s[6:7], -1
	s_mov_b64 vcc, s[4:5]
	ds_write2st64_b64 v145, v[0:1], v[138:139] offset1:4
	ds_write2st64_b64 v146, v[2:3], v[4:5] offset1:4
	s_waitcnt lgkmcnt(0)
	s_barrier
                                        ; implicit-def: $vgpr0_vgpr1_vgpr2_vgpr3
	s_cbranch_vccnz .LBB141_38
; %bb.28:                               ;   in Loop: Header=BB141_20 Depth=1
	v_mov_b64_e32 v[138:139], 0
	s_andn2_b64 vcc, exec, s[6:7]
	v_add_u32_e32 v152, s13, v144
	s_cbranch_vccz .LBB141_39
.LBB141_29:                             ;   in Loop: Header=BB141_20 Depth=1
	s_mov_b64 s[6:7], -1
	s_mov_b64 vcc, s[4:5]
                                        ; implicit-def: $vgpr2_vgpr3_vgpr4_vgpr5
	s_cbranch_vccnz .LBB141_40
.LBB141_30:                             ;   in Loop: Header=BB141_20 Depth=1
	s_andn2_b64 vcc, exec, s[6:7]
	v_mov_b64_e32 v[4:5], 0
	s_cbranch_vccnz .LBB141_32
.LBB141_31:                             ;   in Loop: Header=BB141_20 Depth=1
	v_mad_u64_u32 v[2:3], s[6:7], v152, s24, 0
	v_mov_b32_e32 v4, v3
	v_mad_u64_u32 v[4:5], s[6:7], v152, s25, v[4:5]
	v_mov_b32_e32 v3, v4
	v_lshl_add_u64 v[2:3], v[2:3], 3, v[136:137]
	flat_load_dwordx2 v[4:5], v[2:3]
	flat_load_dwordx2 v[152:153], v[2:3] offset:512
	s_waitcnt vmcnt(0) lgkmcnt(0)
	v_mul_f64 v[2:3], s[18:19], v[4:5]
	v_mul_f64 v[4:5], s[18:19], v[152:153]
.LBB141_32:                             ;   in Loop: Header=BB141_20 Depth=1
	s_mov_b32 s6, 0
.LBB141_33:                             ;   Parent Loop BB141_20 Depth=1
                                        ; =>  This Inner Loop Header: Depth=2
	v_add_u32_e32 v184, s6, v147
	v_add_u32_e32 v185, s6, v148
	ds_read2_b64 v[152:155], v184 offset1:16
	ds_read2_b64 v[156:159], v184 offset0:32 offset1:48
	ds_read2_b64 v[160:163], v184 offset0:64 offset1:80
	;; [unrolled: 1-line block ×7, first 2 shown]
	v_add_u32_e32 v216, 0x800, v184
	ds_read2st64_b64 v[184:187], v185 offset1:4
	ds_read2_b64 v[188:191], v216 offset1:16
	ds_read2_b64 v[192:195], v216 offset0:32 offset1:48
	ds_read2_b64 v[196:199], v216 offset0:64 offset1:80
	;; [unrolled: 1-line block ×7, first 2 shown]
	s_waitcnt lgkmcnt(14)
	v_max_f64 v[152:153], v[152:153], v[152:153]
	v_max_f64 v[154:155], v[154:155], v[154:155]
	;; [unrolled: 1-line block ×3, first 2 shown]
	s_waitcnt lgkmcnt(8)
	v_max_f64 v[184:185], v[184:185], v[184:185]
	v_max_f64 v[158:159], v[158:159], v[158:159]
	;; [unrolled: 1-line block ×15, first 2 shown]
	v_min_f64 v[220:221], v[152:153], v[184:185]
	v_min_f64 v[222:223], v[154:155], v[184:185]
	;; [unrolled: 1-line block ×16, first 2 shown]
	s_waitcnt lgkmcnt(7)
	v_max_f64 v[188:189], v[188:189], v[188:189]
	v_max_f64 v[190:191], v[190:191], v[190:191]
	s_waitcnt lgkmcnt(6)
	v_max_f64 v[192:193], v[192:193], v[192:193]
	v_max_f64 v[194:195], v[194:195], v[194:195]
	;; [unrolled: 3-line block ×8, first 2 shown]
	v_min_f64 v[152:153], v[152:153], v[186:187]
	v_min_f64 v[154:155], v[154:155], v[186:187]
	v_min_f64 v[156:157], v[156:157], v[186:187]
	v_min_f64 v[158:159], v[158:159], v[186:187]
	v_min_f64 v[160:161], v[160:161], v[186:187]
	v_min_f64 v[162:163], v[162:163], v[186:187]
	v_min_f64 v[164:165], v[164:165], v[186:187]
	v_min_f64 v[166:167], v[166:167], v[186:187]
	v_min_f64 v[168:169], v[168:169], v[186:187]
	v_min_f64 v[170:171], v[170:171], v[186:187]
	v_min_f64 v[172:173], v[172:173], v[186:187]
	v_min_f64 v[174:175], v[174:175], v[186:187]
	v_min_f64 v[176:177], v[176:177], v[186:187]
	v_min_f64 v[178:179], v[178:179], v[186:187]
	v_min_f64 v[180:181], v[180:181], v[186:187]
	v_min_f64 v[182:183], v[182:183], v[186:187]
	s_add_i32 s6, s6, 8
	v_add_f64 v[132:133], v[132:133], v[220:221]
	v_add_f64 v[130:131], v[130:131], v[222:223]
	;; [unrolled: 1-line block ×15, first 2 shown]
	v_min_f64 v[220:221], v[188:189], v[184:185]
	v_min_f64 v[222:223], v[190:191], v[184:185]
	;; [unrolled: 1-line block ×16, first 2 shown]
	v_add_f64 v[68:69], v[68:69], v[152:153]
	v_add_f64 v[66:67], v[66:67], v[154:155]
	;; [unrolled: 1-line block ×16, first 2 shown]
	v_min_f64 v[152:153], v[188:189], v[186:187]
	v_min_f64 v[154:155], v[190:191], v[186:187]
	;; [unrolled: 1-line block ×16, first 2 shown]
	s_cmp_eq_u32 s6, 32
	v_add_f64 v[102:103], v[102:103], v[250:251]
	v_add_f64 v[100:101], v[100:101], v[220:221]
	;; [unrolled: 1-line block ×33, first 2 shown]
	s_cbranch_scc0 .LBB141_33
; %bb.34:                               ;   in Loop: Header=BB141_20 Depth=1
	s_add_i32 s13, s13, 8
	s_add_i32 s21, s21, 8
	s_cmp_ge_i32 s21, s12
	ds_write2st64_b64 v149, v[0:1], v[138:139] offset1:4
	ds_write2st64_b64 v150, v[2:3], v[4:5] offset1:4
	s_waitcnt lgkmcnt(0)
	s_barrier
	s_cbranch_scc0 .LBB141_20
	s_branch .LBB141_41
.LBB141_35:                             ;   in Loop: Header=BB141_20 Depth=1
	v_mov_b32_e32 v0, s20
	v_mov_b32_e32 v1, s20
	v_mov_b64_e32 v[138:139], 0
	v_add_u32_e32 v152, s13, v142
	s_cbranch_execnz .LBB141_22
.LBB141_36:                             ;   in Loop: Header=BB141_20 Depth=1
	v_mad_u64_u32 v[0:1], s[6:7], v152, s26, 0
	v_mov_b32_e32 v2, v1
	v_mad_u64_u32 v[2:3], s[6:7], v152, s27, v[2:3]
	v_mov_b32_e32 v1, v2
	v_lshl_add_u64 v[0:1], v[0:1], 3, v[134:135]
	flat_load_dwordx2 v[2:3], v[0:1]
	flat_load_dwordx2 v[4:5], v[0:1] offset:512
	s_waitcnt vmcnt(0) lgkmcnt(0)
	v_mul_f64 v[0:1], s[18:19], v[2:3]
	v_mul_f64 v[138:139], s[18:19], v[4:5]
	s_mov_b64 s[6:7], -1
	s_mov_b64 vcc, s[4:5]
                                        ; implicit-def: $vgpr2_vgpr3_vgpr4_vgpr5
	s_cbranch_vccz .LBB141_23
.LBB141_37:                             ;   in Loop: Header=BB141_20 Depth=1
	v_mov_b32_e32 v2, s20
	v_mov_b32_e32 v3, s20
	v_mov_b64_e32 v[4:5], 0
	s_cbranch_execz .LBB141_24
	s_branch .LBB141_25
.LBB141_38:                             ;   in Loop: Header=BB141_20 Depth=1
	v_mov_b32_e32 v0, s20
	v_mov_b32_e32 v1, s20
	v_mov_b64_e32 v[138:139], 0
	v_add_u32_e32 v152, s13, v144
	s_cbranch_execnz .LBB141_29
.LBB141_39:                             ;   in Loop: Header=BB141_20 Depth=1
	v_mad_u64_u32 v[0:1], s[6:7], v152, s26, 0
	v_mov_b32_e32 v2, v1
	v_mad_u64_u32 v[2:3], s[6:7], v152, s27, v[2:3]
	v_mov_b32_e32 v1, v2
	v_lshl_add_u64 v[0:1], v[0:1], 3, v[134:135]
	flat_load_dwordx2 v[2:3], v[0:1]
	flat_load_dwordx2 v[4:5], v[0:1] offset:512
	s_waitcnt vmcnt(0) lgkmcnt(0)
	v_mul_f64 v[0:1], s[18:19], v[2:3]
	v_mul_f64 v[138:139], s[18:19], v[4:5]
	s_mov_b64 s[6:7], -1
	s_mov_b64 vcc, s[4:5]
                                        ; implicit-def: $vgpr2_vgpr3_vgpr4_vgpr5
	s_cbranch_vccz .LBB141_30
.LBB141_40:                             ;   in Loop: Header=BB141_20 Depth=1
	v_mov_b32_e32 v2, s20
	v_mov_b32_e32 v3, s20
	v_mov_b64_e32 v[4:5], 0
	s_cbranch_execz .LBB141_31
	s_branch .LBB141_32
.LBB141_41:
	v_mov_b32_e32 v0, 0x1000
	v_lshl_add_u32 v0, v140, 5, v0
	s_mov_b32 s4, 0
.LBB141_42:                             ; =>This Inner Loop Header: Depth=1
	v_add_u32_e32 v1, s4, v0
	v_add_u32_e32 v138, s4, v143
	ds_read2_b64 v[2:5], v1 offset1:16
	ds_read2_b64 v[134:137], v1 offset0:32 offset1:48
	ds_read2_b64 v[144:147], v1 offset0:64 offset1:80
	;; [unrolled: 1-line block ×7, first 2 shown]
	v_add_u32_e32 v1, 0x800, v1
	ds_read2st64_b64 v[168:171], v138 offset1:4
	ds_read2_b64 v[172:175], v1 offset1:16
	ds_read2_b64 v[176:179], v1 offset0:32 offset1:48
	ds_read2_b64 v[180:183], v1 offset0:64 offset1:80
	;; [unrolled: 1-line block ×7, first 2 shown]
	s_waitcnt lgkmcnt(14)
	v_max_f64 v[2:3], v[2:3], v[2:3]
	v_max_f64 v[4:5], v[4:5], v[4:5]
	;; [unrolled: 1-line block ×3, first 2 shown]
	s_waitcnt lgkmcnt(8)
	v_max_f64 v[138:139], v[168:169], v[168:169]
	v_max_f64 v[136:137], v[136:137], v[136:137]
	;; [unrolled: 1-line block ×15, first 2 shown]
	v_min_f64 v[170:171], v[2:3], v[138:139]
	v_min_f64 v[204:205], v[4:5], v[138:139]
	;; [unrolled: 1-line block ×16, first 2 shown]
	s_waitcnt lgkmcnt(7)
	v_max_f64 v[172:173], v[172:173], v[172:173]
	v_max_f64 v[174:175], v[174:175], v[174:175]
	s_waitcnt lgkmcnt(6)
	v_max_f64 v[176:177], v[176:177], v[176:177]
	v_max_f64 v[178:179], v[178:179], v[178:179]
	;; [unrolled: 3-line block ×8, first 2 shown]
	v_min_f64 v[2:3], v[2:3], v[168:169]
	v_min_f64 v[4:5], v[4:5], v[168:169]
	;; [unrolled: 1-line block ×16, first 2 shown]
	s_add_i32 s4, s4, 8
	v_add_f64 v[132:133], v[132:133], v[170:171]
	v_add_f64 v[130:131], v[130:131], v[204:205]
	;; [unrolled: 1-line block ×15, first 2 shown]
	v_min_f64 v[170:171], v[172:173], v[138:139]
	v_min_f64 v[204:205], v[174:175], v[138:139]
	;; [unrolled: 1-line block ×16, first 2 shown]
	v_add_f64 v[68:69], v[68:69], v[2:3]
	v_add_f64 v[66:67], v[66:67], v[4:5]
	;; [unrolled: 1-line block ×16, first 2 shown]
	v_min_f64 v[2:3], v[172:173], v[168:169]
	v_min_f64 v[4:5], v[174:175], v[168:169]
	;; [unrolled: 1-line block ×16, first 2 shown]
	s_cmp_eq_u32 s4, 32
	v_add_f64 v[102:103], v[102:103], v[232:233]
	v_add_f64 v[100:101], v[100:101], v[170:171]
	;; [unrolled: 1-line block ×33, first 2 shown]
	s_cbranch_scc0 .LBB141_42
; %bb.43:
	s_load_dwordx2 s[6:7], s[0:1], 0x78
	s_load_dword s4, s[0:1], 0x58
	s_load_dword s5, s[0:1], 0x70
	v_add_u32_e32 v170, s15, v141
	v_add_u32_e32 v134, s14, v140
	s_waitcnt lgkmcnt(0)
	s_lshl_b64 s[0:1], s[6:7], 3
	s_add_u32 s0, s2, s0
	s_addc_u32 s1, s3, s1
	v_mad_i64_i32 v[2:3], s[2:3], v170, s5, 0
	v_add_u32_e32 v0, 4, v134
	v_lshl_add_u64 v[138:139], v[2:3], 3, s[0:1]
	v_mad_i64_i32 v[2:3], s[2:3], v170, s4, 0
	v_ashrrev_i32_e32 v135, 31, v134
	v_ashrrev_i32_e32 v1, 31, v0
	s_mov_b64 s[2:3], -1
	s_mov_b64 vcc, s[8:9]
	s_cbranch_vccz .LBB141_45
; %bb.44:
	v_add_f64 v[4:5], v[132:133], 0
	v_lshl_add_u64 v[136:137], v[134:135], 3, v[138:139]
	s_mov_b64 s[2:3], 0
	flat_store_dwordx2 v[136:137], v[4:5]
.LBB141_45:
	v_lshl_add_u64 v[146:147], v[2:3], 3, s[16:17]
	v_mov_b64_e32 v[4:5], 0
	s_andn2_b64 vcc, exec, s[2:3]
	v_lshlrev_b64 v[136:137], 3, v[134:135]
	s_cbranch_vccnz .LBB141_47
; %bb.46:
	v_lshl_add_u64 v[2:3], v[146:147], 0, v[136:137]
	flat_load_dwordx2 v[2:3], v[2:3]
	v_lshl_add_u64 v[4:5], v[138:139], 0, v[136:137]
	s_waitcnt vmcnt(0) lgkmcnt(0)
	v_fmac_f64_e32 v[132:133], s[10:11], v[2:3]
	flat_store_dwordx2 v[4:5], v[132:133]
	v_lshl_add_u64 v[2:3], v[0:1], 3, v[146:147]
	flat_load_dwordx2 v[2:3], v[2:3]
	s_waitcnt vmcnt(0) lgkmcnt(0)
	v_mul_f64 v[4:5], s[10:11], v[2:3]
.LBB141_47:
	v_add_u32_e32 v132, 8, v134
	v_add_u32_e32 v2, 12, v134
	v_ashrrev_i32_e32 v133, 31, v132
	v_ashrrev_i32_e32 v3, 31, v2
	v_add_f64 v[4:5], v[130:131], v[4:5]
	v_lshl_add_u64 v[130:131], v[0:1], 3, v[138:139]
	s_mov_b64 s[2:3], -1
	s_mov_b64 vcc, s[8:9]
	flat_store_dwordx2 v[130:131], v[4:5]
	s_cbranch_vccz .LBB141_49
; %bb.48:
	v_add_f64 v[4:5], v[128:129], 0
	v_lshl_add_u64 v[130:131], v[132:133], 3, v[138:139]
	s_mov_b64 s[2:3], 0
	flat_store_dwordx2 v[130:131], v[4:5]
.LBB141_49:
	v_mov_b64_e32 v[140:141], 0
	s_andn2_b64 vcc, exec, s[2:3]
	v_lshlrev_b64 v[130:131], 3, v[132:133]
	s_cbranch_vccnz .LBB141_51
; %bb.50:
	v_lshl_add_u64 v[4:5], v[146:147], 0, v[130:131]
	flat_load_dwordx2 v[4:5], v[4:5]
	v_lshl_add_u64 v[140:141], v[138:139], 0, v[130:131]
	s_waitcnt vmcnt(0) lgkmcnt(0)
	v_fmac_f64_e32 v[128:129], s[10:11], v[4:5]
	flat_store_dwordx2 v[140:141], v[128:129]
	v_lshl_add_u64 v[4:5], v[2:3], 3, v[146:147]
	flat_load_dwordx2 v[4:5], v[4:5]
	s_waitcnt vmcnt(0) lgkmcnt(0)
	v_mul_f64 v[140:141], s[10:11], v[4:5]
.LBB141_51:
	v_add_u32_e32 v128, 16, v134
	v_add_u32_e32 v4, 20, v134
	v_ashrrev_i32_e32 v129, 31, v128
	v_ashrrev_i32_e32 v5, 31, v4
	v_add_f64 v[126:127], v[126:127], v[140:141]
	v_lshl_add_u64 v[140:141], v[2:3], 3, v[138:139]
	s_mov_b64 s[2:3], -1
	s_mov_b64 vcc, s[8:9]
	flat_store_dwordx2 v[140:141], v[126:127]
	s_cbranch_vccz .LBB141_53
; %bb.52:
	v_add_f64 v[126:127], v[124:125], 0
	v_lshl_add_u64 v[140:141], v[128:129], 3, v[138:139]
	s_mov_b64 s[2:3], 0
	flat_store_dwordx2 v[140:141], v[126:127]
.LBB141_53:
	;; [unrolled: 32-line block ×15, first 2 shown]
	v_mov_b64_e32 v[168:169], 0
	s_andn2_b64 vcc, exec, s[2:3]
	v_lshlrev_b64 v[74:75], 3, v[78:79]
	s_cbranch_vccnz .LBB141_107
; %bb.106:
	v_lshl_add_u64 v[168:169], v[146:147], 0, v[74:75]
	flat_load_dwordx2 v[168:169], v[168:169]
	v_lshl_add_u64 v[172:173], v[138:139], 0, v[74:75]
	s_waitcnt vmcnt(0) lgkmcnt(0)
	v_fmac_f64_e32 v[72:73], s[10:11], v[168:169]
	flat_store_dwordx2 v[172:173], v[72:73]
	v_lshl_add_u64 v[72:73], v[76:77], 3, v[146:147]
	flat_load_dwordx2 v[72:73], v[72:73]
	s_waitcnt vmcnt(0) lgkmcnt(0)
	v_mul_f64 v[168:169], s[10:11], v[72:73]
.LBB141_107:
	v_add_f64 v[70:71], v[70:71], v[168:169]
	v_lshl_add_u64 v[72:73], v[76:77], 3, v[138:139]
	flat_store_dwordx2 v[72:73], v[70:71]
	v_add_u32_e32 v72, 64, v170
	v_mad_i64_i32 v[70:71], s[2:3], v72, s5, 0
	v_lshl_add_u64 v[70:71], v[70:71], 3, s[0:1]
	v_mad_i64_i32 v[72:73], s[0:1], v72, s4, 0
	s_mov_b64 s[0:1], -1
	s_mov_b64 vcc, s[8:9]
	s_cbranch_vccz .LBB141_109
; %bb.108:
	v_add_f64 v[138:139], v[68:69], 0
	v_lshl_add_u64 v[134:135], v[134:135], 3, v[70:71]
	s_mov_b64 s[0:1], 0
	flat_store_dwordx2 v[134:135], v[138:139]
.LBB141_109:
	v_lshl_add_u64 v[72:73], v[72:73], 3, s[16:17]
	s_andn2_b64 vcc, exec, s[0:1]
	v_mov_b64_e32 v[134:135], 0
	s_cbranch_vccnz .LBB141_111
; %bb.110:
	v_lshl_add_u64 v[134:135], v[72:73], 0, v[136:137]
	flat_load_dwordx2 v[134:135], v[134:135]
	v_lshl_add_u64 v[136:137], v[70:71], 0, v[136:137]
	s_waitcnt vmcnt(0) lgkmcnt(0)
	v_fmac_f64_e32 v[68:69], s[10:11], v[134:135]
	flat_store_dwordx2 v[136:137], v[68:69]
	v_lshl_add_u64 v[68:69], v[0:1], 3, v[72:73]
	flat_load_dwordx2 v[68:69], v[68:69]
	s_waitcnt vmcnt(0) lgkmcnt(0)
	v_mul_f64 v[134:135], s[10:11], v[68:69]
.LBB141_111:
	v_add_f64 v[66:67], v[66:67], v[134:135]
	v_lshl_add_u64 v[0:1], v[0:1], 3, v[70:71]
	s_mov_b64 s[0:1], -1
	s_mov_b64 vcc, s[8:9]
	flat_store_dwordx2 v[0:1], v[66:67]
	s_cbranch_vccz .LBB141_113
; %bb.112:
	v_add_f64 v[0:1], v[64:65], 0
	v_lshl_add_u64 v[66:67], v[132:133], 3, v[70:71]
	s_mov_b64 s[0:1], 0
	flat_store_dwordx2 v[66:67], v[0:1]
.LBB141_113:
	s_andn2_b64 vcc, exec, s[0:1]
	v_mov_b64_e32 v[0:1], 0
	s_cbranch_vccnz .LBB141_115
; %bb.114:
	v_lshl_add_u64 v[0:1], v[72:73], 0, v[130:131]
	flat_load_dwordx2 v[0:1], v[0:1]
	v_lshl_add_u64 v[66:67], v[70:71], 0, v[130:131]
	s_waitcnt vmcnt(0) lgkmcnt(0)
	v_fmac_f64_e32 v[64:65], s[10:11], v[0:1]
	flat_store_dwordx2 v[66:67], v[64:65]
	v_lshl_add_u64 v[0:1], v[2:3], 3, v[72:73]
	flat_load_dwordx2 v[0:1], v[0:1]
	s_waitcnt vmcnt(0) lgkmcnt(0)
	v_mul_f64 v[0:1], s[10:11], v[0:1]
.LBB141_115:
	v_add_f64 v[0:1], v[62:63], v[0:1]
	v_lshl_add_u64 v[2:3], v[2:3], 3, v[70:71]
	s_mov_b64 s[0:1], -1
	s_mov_b64 vcc, s[8:9]
	flat_store_dwordx2 v[2:3], v[0:1]
	s_cbranch_vccz .LBB141_117
; %bb.116:
	v_add_f64 v[0:1], v[60:61], 0
	v_lshl_add_u64 v[2:3], v[128:129], 3, v[70:71]
	s_mov_b64 s[0:1], 0
	flat_store_dwordx2 v[2:3], v[0:1]
.LBB141_117:
	s_andn2_b64 vcc, exec, s[0:1]
	v_mov_b64_e32 v[0:1], 0
	s_cbranch_vccnz .LBB141_119
; %bb.118:
	v_lshl_add_u64 v[0:1], v[72:73], 0, v[140:141]
	flat_load_dwordx2 v[0:1], v[0:1]
	v_lshl_add_u64 v[2:3], v[70:71], 0, v[140:141]
	s_waitcnt vmcnt(0) lgkmcnt(0)
	v_fmac_f64_e32 v[60:61], s[10:11], v[0:1]
	flat_store_dwordx2 v[2:3], v[60:61]
	v_lshl_add_u64 v[0:1], v[4:5], 3, v[72:73]
	flat_load_dwordx2 v[0:1], v[0:1]
	s_waitcnt vmcnt(0) lgkmcnt(0)
	v_mul_f64 v[0:1], s[10:11], v[0:1]
.LBB141_119:
	v_add_f64 v[0:1], v[58:59], v[0:1]
	v_lshl_add_u64 v[2:3], v[4:5], 3, v[70:71]
	s_mov_b64 s[0:1], -1
	s_mov_b64 vcc, s[8:9]
	flat_store_dwordx2 v[2:3], v[0:1]
	s_cbranch_vccz .LBB141_121
; %bb.120:
	v_add_f64 v[0:1], v[56:57], 0
	v_lshl_add_u64 v[2:3], v[126:127], 3, v[70:71]
	s_mov_b64 s[0:1], 0
	flat_store_dwordx2 v[2:3], v[0:1]
.LBB141_121:
	s_andn2_b64 vcc, exec, s[0:1]
	v_mov_b64_e32 v[0:1], 0
	s_cbranch_vccnz .LBB141_123
; %bb.122:
	v_lshl_add_u64 v[0:1], v[72:73], 0, v[142:143]
	flat_load_dwordx2 v[0:1], v[0:1]
	v_lshl_add_u64 v[2:3], v[70:71], 0, v[142:143]
	s_waitcnt vmcnt(0) lgkmcnt(0)
	v_fmac_f64_e32 v[56:57], s[10:11], v[0:1]
	flat_store_dwordx2 v[2:3], v[56:57]
	v_lshl_add_u64 v[0:1], v[124:125], 3, v[72:73]
	flat_load_dwordx2 v[0:1], v[0:1]
	s_waitcnt vmcnt(0) lgkmcnt(0)
	v_mul_f64 v[0:1], s[10:11], v[0:1]
.LBB141_123:
	v_add_f64 v[0:1], v[54:55], v[0:1]
	v_lshl_add_u64 v[2:3], v[124:125], 3, v[70:71]
	s_mov_b64 s[0:1], -1
	s_mov_b64 vcc, s[8:9]
	flat_store_dwordx2 v[2:3], v[0:1]
	s_cbranch_vccz .LBB141_125
; %bb.124:
	v_add_f64 v[0:1], v[52:53], 0
	v_lshl_add_u64 v[2:3], v[122:123], 3, v[70:71]
	s_mov_b64 s[0:1], 0
	flat_store_dwordx2 v[2:3], v[0:1]
.LBB141_125:
	s_andn2_b64 vcc, exec, s[0:1]
	v_mov_b64_e32 v[0:1], 0
	s_cbranch_vccnz .LBB141_127
; %bb.126:
	v_lshl_add_u64 v[0:1], v[72:73], 0, v[144:145]
	flat_load_dwordx2 v[0:1], v[0:1]
	v_lshl_add_u64 v[2:3], v[70:71], 0, v[144:145]
	s_waitcnt vmcnt(0) lgkmcnt(0)
	v_fmac_f64_e32 v[52:53], s[10:11], v[0:1]
	flat_store_dwordx2 v[2:3], v[52:53]
	v_lshl_add_u64 v[0:1], v[120:121], 3, v[72:73]
	flat_load_dwordx2 v[0:1], v[0:1]
	s_waitcnt vmcnt(0) lgkmcnt(0)
	v_mul_f64 v[0:1], s[10:11], v[0:1]
.LBB141_127:
	v_add_f64 v[0:1], v[50:51], v[0:1]
	v_lshl_add_u64 v[2:3], v[120:121], 3, v[70:71]
	s_mov_b64 s[0:1], -1
	s_mov_b64 vcc, s[8:9]
	flat_store_dwordx2 v[2:3], v[0:1]
	s_cbranch_vccz .LBB141_129
; %bb.128:
	v_add_f64 v[0:1], v[48:49], 0
	v_lshl_add_u64 v[2:3], v[118:119], 3, v[70:71]
	s_mov_b64 s[0:1], 0
	flat_store_dwordx2 v[2:3], v[0:1]
.LBB141_129:
	s_andn2_b64 vcc, exec, s[0:1]
	v_mov_b64_e32 v[0:1], 0
	s_cbranch_vccnz .LBB141_131
; %bb.130:
	v_lshl_add_u64 v[0:1], v[72:73], 0, v[148:149]
	flat_load_dwordx2 v[0:1], v[0:1]
	v_lshl_add_u64 v[2:3], v[70:71], 0, v[148:149]
	s_waitcnt vmcnt(0) lgkmcnt(0)
	v_fmac_f64_e32 v[48:49], s[10:11], v[0:1]
	flat_store_dwordx2 v[2:3], v[48:49]
	v_lshl_add_u64 v[0:1], v[116:117], 3, v[72:73]
	flat_load_dwordx2 v[0:1], v[0:1]
	s_waitcnt vmcnt(0) lgkmcnt(0)
	v_mul_f64 v[0:1], s[10:11], v[0:1]
.LBB141_131:
	v_add_f64 v[0:1], v[46:47], v[0:1]
	v_lshl_add_u64 v[2:3], v[116:117], 3, v[70:71]
	s_mov_b64 s[0:1], -1
	s_mov_b64 vcc, s[8:9]
	flat_store_dwordx2 v[2:3], v[0:1]
	s_cbranch_vccz .LBB141_133
; %bb.132:
	v_add_f64 v[0:1], v[44:45], 0
	v_lshl_add_u64 v[2:3], v[114:115], 3, v[70:71]
	s_mov_b64 s[0:1], 0
	flat_store_dwordx2 v[2:3], v[0:1]
.LBB141_133:
	s_andn2_b64 vcc, exec, s[0:1]
	v_mov_b64_e32 v[0:1], 0
	s_cbranch_vccnz .LBB141_135
; %bb.134:
	v_lshl_add_u64 v[0:1], v[72:73], 0, v[150:151]
	flat_load_dwordx2 v[0:1], v[0:1]
	v_lshl_add_u64 v[2:3], v[70:71], 0, v[150:151]
	s_waitcnt vmcnt(0) lgkmcnt(0)
	v_fmac_f64_e32 v[44:45], s[10:11], v[0:1]
	flat_store_dwordx2 v[2:3], v[44:45]
	v_lshl_add_u64 v[0:1], v[112:113], 3, v[72:73]
	flat_load_dwordx2 v[0:1], v[0:1]
	s_waitcnt vmcnt(0) lgkmcnt(0)
	v_mul_f64 v[0:1], s[10:11], v[0:1]
.LBB141_135:
	v_add_f64 v[0:1], v[42:43], v[0:1]
	v_lshl_add_u64 v[2:3], v[112:113], 3, v[70:71]
	s_mov_b64 s[0:1], -1
	s_mov_b64 vcc, s[8:9]
	flat_store_dwordx2 v[2:3], v[0:1]
	s_cbranch_vccz .LBB141_137
; %bb.136:
	v_add_f64 v[0:1], v[40:41], 0
	v_lshl_add_u64 v[2:3], v[110:111], 3, v[70:71]
	s_mov_b64 s[0:1], 0
	flat_store_dwordx2 v[2:3], v[0:1]
.LBB141_137:
	s_andn2_b64 vcc, exec, s[0:1]
	v_mov_b64_e32 v[0:1], 0
	s_cbranch_vccnz .LBB141_139
; %bb.138:
	v_lshl_add_u64 v[0:1], v[72:73], 0, v[152:153]
	flat_load_dwordx2 v[0:1], v[0:1]
	v_lshl_add_u64 v[2:3], v[70:71], 0, v[152:153]
	s_waitcnt vmcnt(0) lgkmcnt(0)
	v_fmac_f64_e32 v[40:41], s[10:11], v[0:1]
	flat_store_dwordx2 v[2:3], v[40:41]
	v_lshl_add_u64 v[0:1], v[108:109], 3, v[72:73]
	flat_load_dwordx2 v[0:1], v[0:1]
	s_waitcnt vmcnt(0) lgkmcnt(0)
	v_mul_f64 v[0:1], s[10:11], v[0:1]
.LBB141_139:
	v_add_f64 v[0:1], v[38:39], v[0:1]
	v_lshl_add_u64 v[2:3], v[108:109], 3, v[70:71]
	s_mov_b64 s[0:1], -1
	s_mov_b64 vcc, s[8:9]
	flat_store_dwordx2 v[2:3], v[0:1]
	s_cbranch_vccz .LBB141_141
; %bb.140:
	v_add_f64 v[0:1], v[36:37], 0
	v_lshl_add_u64 v[2:3], v[106:107], 3, v[70:71]
	s_mov_b64 s[0:1], 0
	flat_store_dwordx2 v[2:3], v[0:1]
.LBB141_141:
	s_andn2_b64 vcc, exec, s[0:1]
	v_mov_b64_e32 v[0:1], 0
	s_cbranch_vccnz .LBB141_143
; %bb.142:
	v_lshl_add_u64 v[0:1], v[72:73], 0, v[154:155]
	flat_load_dwordx2 v[0:1], v[0:1]
	v_lshl_add_u64 v[2:3], v[70:71], 0, v[154:155]
	s_waitcnt vmcnt(0) lgkmcnt(0)
	v_fmac_f64_e32 v[36:37], s[10:11], v[0:1]
	flat_store_dwordx2 v[2:3], v[36:37]
	v_lshl_add_u64 v[0:1], v[104:105], 3, v[72:73]
	flat_load_dwordx2 v[0:1], v[0:1]
	s_waitcnt vmcnt(0) lgkmcnt(0)
	v_mul_f64 v[0:1], s[10:11], v[0:1]
.LBB141_143:
	v_add_f64 v[0:1], v[34:35], v[0:1]
	v_lshl_add_u64 v[2:3], v[104:105], 3, v[70:71]
	s_mov_b64 s[0:1], -1
	s_mov_b64 vcc, s[8:9]
	flat_store_dwordx2 v[2:3], v[0:1]
	s_cbranch_vccz .LBB141_145
; %bb.144:
	v_add_f64 v[0:1], v[32:33], 0
	v_lshl_add_u64 v[2:3], v[102:103], 3, v[70:71]
	s_mov_b64 s[0:1], 0
	flat_store_dwordx2 v[2:3], v[0:1]
.LBB141_145:
	s_andn2_b64 vcc, exec, s[0:1]
	v_mov_b64_e32 v[0:1], 0
	s_cbranch_vccnz .LBB141_147
; %bb.146:
	v_lshl_add_u64 v[0:1], v[72:73], 0, v[156:157]
	flat_load_dwordx2 v[0:1], v[0:1]
	v_lshl_add_u64 v[2:3], v[70:71], 0, v[156:157]
	s_waitcnt vmcnt(0) lgkmcnt(0)
	v_fmac_f64_e32 v[32:33], s[10:11], v[0:1]
	flat_store_dwordx2 v[2:3], v[32:33]
	v_lshl_add_u64 v[0:1], v[100:101], 3, v[72:73]
	flat_load_dwordx2 v[0:1], v[0:1]
	s_waitcnt vmcnt(0) lgkmcnt(0)
	v_mul_f64 v[0:1], s[10:11], v[0:1]
.LBB141_147:
	v_add_f64 v[0:1], v[30:31], v[0:1]
	v_lshl_add_u64 v[2:3], v[100:101], 3, v[70:71]
	s_mov_b64 s[0:1], -1
	s_mov_b64 vcc, s[8:9]
	flat_store_dwordx2 v[2:3], v[0:1]
	s_cbranch_vccz .LBB141_149
; %bb.148:
	v_add_f64 v[0:1], v[28:29], 0
	v_lshl_add_u64 v[2:3], v[98:99], 3, v[70:71]
	s_mov_b64 s[0:1], 0
	flat_store_dwordx2 v[2:3], v[0:1]
.LBB141_149:
	s_andn2_b64 vcc, exec, s[0:1]
	v_mov_b64_e32 v[0:1], 0
	s_cbranch_vccnz .LBB141_151
; %bb.150:
	v_lshl_add_u64 v[0:1], v[72:73], 0, v[158:159]
	flat_load_dwordx2 v[0:1], v[0:1]
	v_lshl_add_u64 v[2:3], v[70:71], 0, v[158:159]
	s_waitcnt vmcnt(0) lgkmcnt(0)
	v_fmac_f64_e32 v[28:29], s[10:11], v[0:1]
	flat_store_dwordx2 v[2:3], v[28:29]
	v_lshl_add_u64 v[0:1], v[96:97], 3, v[72:73]
	flat_load_dwordx2 v[0:1], v[0:1]
	s_waitcnt vmcnt(0) lgkmcnt(0)
	v_mul_f64 v[0:1], s[10:11], v[0:1]
.LBB141_151:
	v_add_f64 v[0:1], v[26:27], v[0:1]
	v_lshl_add_u64 v[2:3], v[96:97], 3, v[70:71]
	s_mov_b64 s[0:1], -1
	s_mov_b64 vcc, s[8:9]
	flat_store_dwordx2 v[2:3], v[0:1]
	s_cbranch_vccz .LBB141_153
; %bb.152:
	v_add_f64 v[0:1], v[24:25], 0
	v_lshl_add_u64 v[2:3], v[94:95], 3, v[70:71]
	s_mov_b64 s[0:1], 0
	flat_store_dwordx2 v[2:3], v[0:1]
.LBB141_153:
	s_andn2_b64 vcc, exec, s[0:1]
	v_mov_b64_e32 v[0:1], 0
	s_cbranch_vccnz .LBB141_155
; %bb.154:
	v_lshl_add_u64 v[0:1], v[72:73], 0, v[160:161]
	flat_load_dwordx2 v[0:1], v[0:1]
	v_lshl_add_u64 v[2:3], v[70:71], 0, v[160:161]
	s_waitcnt vmcnt(0) lgkmcnt(0)
	v_fmac_f64_e32 v[24:25], s[10:11], v[0:1]
	flat_store_dwordx2 v[2:3], v[24:25]
	v_lshl_add_u64 v[0:1], v[92:93], 3, v[72:73]
	flat_load_dwordx2 v[0:1], v[0:1]
	s_waitcnt vmcnt(0) lgkmcnt(0)
	v_mul_f64 v[0:1], s[10:11], v[0:1]
.LBB141_155:
	v_add_f64 v[0:1], v[22:23], v[0:1]
	v_lshl_add_u64 v[2:3], v[92:93], 3, v[70:71]
	s_mov_b64 s[0:1], -1
	s_mov_b64 vcc, s[8:9]
	flat_store_dwordx2 v[2:3], v[0:1]
	s_cbranch_vccz .LBB141_157
; %bb.156:
	v_add_f64 v[0:1], v[20:21], 0
	v_lshl_add_u64 v[2:3], v[90:91], 3, v[70:71]
	s_mov_b64 s[0:1], 0
	flat_store_dwordx2 v[2:3], v[0:1]
.LBB141_157:
	s_andn2_b64 vcc, exec, s[0:1]
	v_mov_b64_e32 v[0:1], 0
	s_cbranch_vccnz .LBB141_159
; %bb.158:
	v_lshl_add_u64 v[0:1], v[72:73], 0, v[162:163]
	flat_load_dwordx2 v[0:1], v[0:1]
	v_lshl_add_u64 v[2:3], v[70:71], 0, v[162:163]
	s_waitcnt vmcnt(0) lgkmcnt(0)
	v_fmac_f64_e32 v[20:21], s[10:11], v[0:1]
	flat_store_dwordx2 v[2:3], v[20:21]
	v_lshl_add_u64 v[0:1], v[88:89], 3, v[72:73]
	flat_load_dwordx2 v[0:1], v[0:1]
	s_waitcnt vmcnt(0) lgkmcnt(0)
	v_mul_f64 v[0:1], s[10:11], v[0:1]
.LBB141_159:
	v_add_f64 v[0:1], v[18:19], v[0:1]
	v_lshl_add_u64 v[2:3], v[88:89], 3, v[70:71]
	s_mov_b64 s[0:1], -1
	s_mov_b64 vcc, s[8:9]
	flat_store_dwordx2 v[2:3], v[0:1]
	s_cbranch_vccz .LBB141_161
; %bb.160:
	v_add_f64 v[0:1], v[16:17], 0
	v_lshl_add_u64 v[2:3], v[86:87], 3, v[70:71]
	s_mov_b64 s[0:1], 0
	flat_store_dwordx2 v[2:3], v[0:1]
.LBB141_161:
	s_andn2_b64 vcc, exec, s[0:1]
	v_mov_b64_e32 v[0:1], 0
	s_cbranch_vccnz .LBB141_163
; %bb.162:
	v_lshl_add_u64 v[0:1], v[72:73], 0, v[164:165]
	flat_load_dwordx2 v[0:1], v[0:1]
	v_lshl_add_u64 v[2:3], v[70:71], 0, v[164:165]
	s_waitcnt vmcnt(0) lgkmcnt(0)
	v_fmac_f64_e32 v[16:17], s[10:11], v[0:1]
	flat_store_dwordx2 v[2:3], v[16:17]
	v_lshl_add_u64 v[0:1], v[84:85], 3, v[72:73]
	flat_load_dwordx2 v[0:1], v[0:1]
	s_waitcnt vmcnt(0) lgkmcnt(0)
	v_mul_f64 v[0:1], s[10:11], v[0:1]
.LBB141_163:
	v_add_f64 v[0:1], v[14:15], v[0:1]
	v_lshl_add_u64 v[2:3], v[84:85], 3, v[70:71]
	s_mov_b64 s[0:1], -1
	s_mov_b64 vcc, s[8:9]
	flat_store_dwordx2 v[2:3], v[0:1]
	s_cbranch_vccz .LBB141_165
; %bb.164:
	v_add_f64 v[0:1], v[12:13], 0
	v_lshl_add_u64 v[2:3], v[82:83], 3, v[70:71]
	s_mov_b64 s[0:1], 0
	flat_store_dwordx2 v[2:3], v[0:1]
.LBB141_165:
	s_andn2_b64 vcc, exec, s[0:1]
	v_mov_b64_e32 v[0:1], 0
	s_cbranch_vccnz .LBB141_167
; %bb.166:
	v_lshl_add_u64 v[0:1], v[72:73], 0, v[166:167]
	flat_load_dwordx2 v[0:1], v[0:1]
	v_lshl_add_u64 v[2:3], v[70:71], 0, v[166:167]
	s_waitcnt vmcnt(0) lgkmcnt(0)
	v_fmac_f64_e32 v[12:13], s[10:11], v[0:1]
	flat_store_dwordx2 v[2:3], v[12:13]
	v_lshl_add_u64 v[0:1], v[80:81], 3, v[72:73]
	flat_load_dwordx2 v[0:1], v[0:1]
	s_waitcnt vmcnt(0) lgkmcnt(0)
	v_mul_f64 v[0:1], s[10:11], v[0:1]
.LBB141_167:
	v_add_f64 v[0:1], v[10:11], v[0:1]
	v_lshl_add_u64 v[2:3], v[80:81], 3, v[70:71]
	s_mov_b64 s[0:1], -1
	s_mov_b64 vcc, s[8:9]
	flat_store_dwordx2 v[2:3], v[0:1]
	s_cbranch_vccnz .LBB141_170
; %bb.168:
	s_andn2_b64 vcc, exec, s[0:1]
	v_mov_b64_e32 v[0:1], 0
	s_cbranch_vccz .LBB141_171
.LBB141_169:
	v_add_f64 v[0:1], v[6:7], v[0:1]
	v_lshl_add_u64 v[2:3], v[76:77], 3, v[70:71]
	flat_store_dwordx2 v[2:3], v[0:1]
	s_endpgm
.LBB141_170:
	v_add_f64 v[0:1], v[8:9], 0
	v_lshl_add_u64 v[2:3], v[78:79], 3, v[70:71]
	flat_store_dwordx2 v[2:3], v[0:1]
	v_mov_b64_e32 v[0:1], 0
	s_cbranch_execnz .LBB141_169
.LBB141_171:
	v_lshl_add_u64 v[0:1], v[72:73], 0, v[74:75]
	flat_load_dwordx2 v[0:1], v[0:1]
	v_lshl_add_u64 v[2:3], v[70:71], 0, v[74:75]
	s_waitcnt vmcnt(0) lgkmcnt(0)
	v_fmac_f64_e32 v[8:9], s[10:11], v[0:1]
	flat_store_dwordx2 v[2:3], v[8:9]
	v_lshl_add_u64 v[0:1], v[76:77], 3, v[72:73]
	flat_load_dwordx2 v[0:1], v[0:1]
	s_waitcnt vmcnt(0) lgkmcnt(0)
	v_mul_f64 v[0:1], s[10:11], v[0:1]
	v_add_f64 v[0:1], v[6:7], v[0:1]
	v_lshl_add_u64 v[2:3], v[76:77], 3, v[70:71]
	flat_store_dwordx2 v[2:3], v[0:1]
	s_endpgm
	.section	.rodata,"a",@progbits
	.p2align	6, 0x0
	.amdhsa_kernel _ZN12_GLOBAL__N_120geam_min_plus_kernelIdddLi4ELi64ELi128ELi128ELi4ELi64ELi4ELi64ELi4ELc78ELc84ELb0ELb0ELb0EPKdKS2_KPdEEviiiT16_PT17_ilS8_ilS6_S8_ilPT18_ili26rocblas_geam_ex_operation_
		.amdhsa_group_segment_fixed_size 16384
		.amdhsa_private_segment_fixed_size 0
		.amdhsa_kernarg_size 136
		.amdhsa_user_sgpr_count 2
		.amdhsa_user_sgpr_dispatch_ptr 0
		.amdhsa_user_sgpr_queue_ptr 0
		.amdhsa_user_sgpr_kernarg_segment_ptr 1
		.amdhsa_user_sgpr_dispatch_id 0
		.amdhsa_user_sgpr_kernarg_preload_length 0
		.amdhsa_user_sgpr_kernarg_preload_offset 0
		.amdhsa_user_sgpr_private_segment_size 0
		.amdhsa_uses_dynamic_stack 0
		.amdhsa_enable_private_segment 0
		.amdhsa_system_sgpr_workgroup_id_x 1
		.amdhsa_system_sgpr_workgroup_id_y 0
		.amdhsa_system_sgpr_workgroup_id_z 1
		.amdhsa_system_sgpr_workgroup_info 0
		.amdhsa_system_vgpr_workitem_id 1
		.amdhsa_next_free_vgpr 252
		.amdhsa_next_free_sgpr 28
		.amdhsa_accum_offset 252
		.amdhsa_reserve_vcc 1
		.amdhsa_float_round_mode_32 0
		.amdhsa_float_round_mode_16_64 0
		.amdhsa_float_denorm_mode_32 3
		.amdhsa_float_denorm_mode_16_64 3
		.amdhsa_dx10_clamp 1
		.amdhsa_ieee_mode 1
		.amdhsa_fp16_overflow 0
		.amdhsa_tg_split 0
		.amdhsa_exception_fp_ieee_invalid_op 0
		.amdhsa_exception_fp_denorm_src 0
		.amdhsa_exception_fp_ieee_div_zero 0
		.amdhsa_exception_fp_ieee_overflow 0
		.amdhsa_exception_fp_ieee_underflow 0
		.amdhsa_exception_fp_ieee_inexact 0
		.amdhsa_exception_int_div_zero 0
	.end_amdhsa_kernel
	.section	.text._ZN12_GLOBAL__N_120geam_min_plus_kernelIdddLi4ELi64ELi128ELi128ELi4ELi64ELi4ELi64ELi4ELc78ELc84ELb0ELb0ELb0EPKdKS2_KPdEEviiiT16_PT17_ilS8_ilS6_S8_ilPT18_ili26rocblas_geam_ex_operation_,"axG",@progbits,_ZN12_GLOBAL__N_120geam_min_plus_kernelIdddLi4ELi64ELi128ELi128ELi4ELi64ELi4ELi64ELi4ELc78ELc84ELb0ELb0ELb0EPKdKS2_KPdEEviiiT16_PT17_ilS8_ilS6_S8_ilPT18_ili26rocblas_geam_ex_operation_,comdat
.Lfunc_end141:
	.size	_ZN12_GLOBAL__N_120geam_min_plus_kernelIdddLi4ELi64ELi128ELi128ELi4ELi64ELi4ELi64ELi4ELc78ELc84ELb0ELb0ELb0EPKdKS2_KPdEEviiiT16_PT17_ilS8_ilS6_S8_ilPT18_ili26rocblas_geam_ex_operation_, .Lfunc_end141-_ZN12_GLOBAL__N_120geam_min_plus_kernelIdddLi4ELi64ELi128ELi128ELi4ELi64ELi4ELi64ELi4ELc78ELc84ELb0ELb0ELb0EPKdKS2_KPdEEviiiT16_PT17_ilS8_ilS6_S8_ilPT18_ili26rocblas_geam_ex_operation_
                                        ; -- End function
	.set _ZN12_GLOBAL__N_120geam_min_plus_kernelIdddLi4ELi64ELi128ELi128ELi4ELi64ELi4ELi64ELi4ELc78ELc84ELb0ELb0ELb0EPKdKS2_KPdEEviiiT16_PT17_ilS8_ilS6_S8_ilPT18_ili26rocblas_geam_ex_operation_.num_vgpr, 252
	.set _ZN12_GLOBAL__N_120geam_min_plus_kernelIdddLi4ELi64ELi128ELi128ELi4ELi64ELi4ELi64ELi4ELc78ELc84ELb0ELb0ELb0EPKdKS2_KPdEEviiiT16_PT17_ilS8_ilS6_S8_ilPT18_ili26rocblas_geam_ex_operation_.num_agpr, 0
	.set _ZN12_GLOBAL__N_120geam_min_plus_kernelIdddLi4ELi64ELi128ELi128ELi4ELi64ELi4ELi64ELi4ELc78ELc84ELb0ELb0ELb0EPKdKS2_KPdEEviiiT16_PT17_ilS8_ilS6_S8_ilPT18_ili26rocblas_geam_ex_operation_.numbered_sgpr, 28
	.set _ZN12_GLOBAL__N_120geam_min_plus_kernelIdddLi4ELi64ELi128ELi128ELi4ELi64ELi4ELi64ELi4ELc78ELc84ELb0ELb0ELb0EPKdKS2_KPdEEviiiT16_PT17_ilS8_ilS6_S8_ilPT18_ili26rocblas_geam_ex_operation_.num_named_barrier, 0
	.set _ZN12_GLOBAL__N_120geam_min_plus_kernelIdddLi4ELi64ELi128ELi128ELi4ELi64ELi4ELi64ELi4ELc78ELc84ELb0ELb0ELb0EPKdKS2_KPdEEviiiT16_PT17_ilS8_ilS6_S8_ilPT18_ili26rocblas_geam_ex_operation_.private_seg_size, 0
	.set _ZN12_GLOBAL__N_120geam_min_plus_kernelIdddLi4ELi64ELi128ELi128ELi4ELi64ELi4ELi64ELi4ELc78ELc84ELb0ELb0ELb0EPKdKS2_KPdEEviiiT16_PT17_ilS8_ilS6_S8_ilPT18_ili26rocblas_geam_ex_operation_.uses_vcc, 1
	.set _ZN12_GLOBAL__N_120geam_min_plus_kernelIdddLi4ELi64ELi128ELi128ELi4ELi64ELi4ELi64ELi4ELc78ELc84ELb0ELb0ELb0EPKdKS2_KPdEEviiiT16_PT17_ilS8_ilS6_S8_ilPT18_ili26rocblas_geam_ex_operation_.uses_flat_scratch, 0
	.set _ZN12_GLOBAL__N_120geam_min_plus_kernelIdddLi4ELi64ELi128ELi128ELi4ELi64ELi4ELi64ELi4ELc78ELc84ELb0ELb0ELb0EPKdKS2_KPdEEviiiT16_PT17_ilS8_ilS6_S8_ilPT18_ili26rocblas_geam_ex_operation_.has_dyn_sized_stack, 0
	.set _ZN12_GLOBAL__N_120geam_min_plus_kernelIdddLi4ELi64ELi128ELi128ELi4ELi64ELi4ELi64ELi4ELc78ELc84ELb0ELb0ELb0EPKdKS2_KPdEEviiiT16_PT17_ilS8_ilS6_S8_ilPT18_ili26rocblas_geam_ex_operation_.has_recursion, 0
	.set _ZN12_GLOBAL__N_120geam_min_plus_kernelIdddLi4ELi64ELi128ELi128ELi4ELi64ELi4ELi64ELi4ELc78ELc84ELb0ELb0ELb0EPKdKS2_KPdEEviiiT16_PT17_ilS8_ilS6_S8_ilPT18_ili26rocblas_geam_ex_operation_.has_indirect_call, 0
	.section	.AMDGPU.csdata,"",@progbits
; Kernel info:
; codeLenInByte = 13072
; TotalNumSgprs: 34
; NumVgprs: 252
; NumAgprs: 0
; TotalNumVgprs: 252
; ScratchSize: 0
; MemoryBound: 0
; FloatMode: 240
; IeeeMode: 1
; LDSByteSize: 16384 bytes/workgroup (compile time only)
; SGPRBlocks: 4
; VGPRBlocks: 31
; NumSGPRsForWavesPerEU: 34
; NumVGPRsForWavesPerEU: 252
; AccumOffset: 252
; Occupancy: 2
; WaveLimiterHint : 1
; COMPUTE_PGM_RSRC2:SCRATCH_EN: 0
; COMPUTE_PGM_RSRC2:USER_SGPR: 2
; COMPUTE_PGM_RSRC2:TRAP_HANDLER: 0
; COMPUTE_PGM_RSRC2:TGID_X_EN: 1
; COMPUTE_PGM_RSRC2:TGID_Y_EN: 0
; COMPUTE_PGM_RSRC2:TGID_Z_EN: 1
; COMPUTE_PGM_RSRC2:TIDIG_COMP_CNT: 1
; COMPUTE_PGM_RSRC3_GFX90A:ACCUM_OFFSET: 62
; COMPUTE_PGM_RSRC3_GFX90A:TG_SPLIT: 0
	.section	.text._ZN12_GLOBAL__N_120geam_min_plus_kernelIdddLi4ELi64ELi128ELi128ELi4ELi64ELi4ELi64ELi4ELc78ELc84ELb1ELb0ELb0EdKPKdKPdEEviiiT16_PT17_ilS8_ilS6_S8_ilPT18_ili26rocblas_geam_ex_operation_,"axG",@progbits,_ZN12_GLOBAL__N_120geam_min_plus_kernelIdddLi4ELi64ELi128ELi128ELi4ELi64ELi4ELi64ELi4ELc78ELc84ELb1ELb0ELb0EdKPKdKPdEEviiiT16_PT17_ilS8_ilS6_S8_ilPT18_ili26rocblas_geam_ex_operation_,comdat
	.globl	_ZN12_GLOBAL__N_120geam_min_plus_kernelIdddLi4ELi64ELi128ELi128ELi4ELi64ELi4ELi64ELi4ELc78ELc84ELb1ELb0ELb0EdKPKdKPdEEviiiT16_PT17_ilS8_ilS6_S8_ilPT18_ili26rocblas_geam_ex_operation_ ; -- Begin function _ZN12_GLOBAL__N_120geam_min_plus_kernelIdddLi4ELi64ELi128ELi128ELi4ELi64ELi4ELi64ELi4ELc78ELc84ELb1ELb0ELb0EdKPKdKPdEEviiiT16_PT17_ilS8_ilS6_S8_ilPT18_ili26rocblas_geam_ex_operation_
	.p2align	8
	.type	_ZN12_GLOBAL__N_120geam_min_plus_kernelIdddLi4ELi64ELi128ELi128ELi4ELi64ELi4ELi64ELi4ELc78ELc84ELb1ELb0ELb0EdKPKdKPdEEviiiT16_PT17_ilS8_ilS6_S8_ilPT18_ili26rocblas_geam_ex_operation_,@function
_ZN12_GLOBAL__N_120geam_min_plus_kernelIdddLi4ELi64ELi128ELi128ELi4ELi64ELi4ELi64ELi4ELc78ELc84ELb1ELb0ELb0EdKPKdKPdEEviiiT16_PT17_ilS8_ilS6_S8_ilPT18_ili26rocblas_geam_ex_operation_: ; @_ZN12_GLOBAL__N_120geam_min_plus_kernelIdddLi4ELi64ELi128ELi128ELi4ELi64ELi4ELi64ELi4ELc78ELc84ELb1ELb0ELb0EdKPKdKPdEEviiiT16_PT17_ilS8_ilS6_S8_ilPT18_ili26rocblas_geam_ex_operation_
; %bb.0:
	s_load_dwordx4 s[4:7], s[0:1], 0x10
	s_load_dwordx4 s[8:11], s[0:1], 0x28
	s_mov_b32 s18, s3
	s_mov_b64 s[14:15], 0
	s_waitcnt lgkmcnt(0)
	v_cmp_eq_f64_e64 s[12:13], s[4:5], 0
	s_and_b64 vcc, exec, s[12:13]
	s_cbranch_vccnz .LBB142_2
; %bb.1:
	s_mov_b32 s19, 0
	s_lshl_b64 s[4:5], s[18:19], 3
	s_add_u32 s4, s6, s4
	s_addc_u32 s5, s7, s5
	s_load_dwordx2 s[4:5], s[4:5], 0x0
	s_lshl_b64 s[6:7], s[8:9], 3
	s_waitcnt lgkmcnt(0)
	s_add_u32 s14, s4, s6
	s_addc_u32 s15, s5, s7
.LBB142_2:
	s_load_dwordx4 s[4:7], s[0:1], 0x40
	s_load_dwordx2 s[20:21], s[0:1], 0x50
	s_andn2_b64 vcc, exec, s[12:13]
	s_mov_b32 s19, 0
	s_cbranch_vccnz .LBB142_4
; %bb.3:
	s_mov_b64 s[12:13], 0
	s_mov_b64 s[16:17], 0
	s_cbranch_execz .LBB142_5
	s_branch .LBB142_6
.LBB142_4:
	s_mov_b64 s[12:13], 0
	s_mov_b64 s[16:17], 0
.LBB142_5:
	s_lshl_b64 s[8:9], s[18:19], 3
	s_add_u32 s8, s10, s8
	s_addc_u32 s9, s11, s9
	s_load_dwordx2 s[8:9], s[8:9], 0x0
	s_waitcnt lgkmcnt(0)
	s_lshl_b64 s[4:5], s[4:5], 3
	s_add_u32 s16, s8, s4
	s_addc_u32 s17, s9, s5
.LBB142_6:
	s_load_dwordx4 s[8:11], s[0:1], 0x60
	s_waitcnt lgkmcnt(0)
	v_cmp_eq_f64_e64 s[4:5], s[6:7], 0
	s_and_b64 s[4:5], exec, s[4:5]
	s_mov_b64 vcc, s[4:5]
	s_cbranch_vccnz .LBB142_8
; %bb.7:
	s_lshl_b64 s[12:13], s[18:19], 3
	s_add_u32 s12, s20, s12
	s_addc_u32 s13, s21, s13
	s_load_dwordx2 s[12:13], s[12:13], 0x0
	s_lshl_b64 s[8:9], s[8:9], 3
	s_waitcnt lgkmcnt(0)
	s_add_u32 s12, s12, s8
	s_addc_u32 s13, s13, s9
.LBB142_8:
	s_load_dword s20, s[0:1], 0x20
	s_load_dword s21, s[0:1], 0x38
	;; [unrolled: 1-line block ×3, first 2 shown]
	s_lshl_b64 s[8:9], s[18:19], 3
	v_and_b32_e32 v140, 0x3ff, v0
	s_waitcnt lgkmcnt(0)
	s_ashr_i32 s18, s20, 31
	s_ashr_i32 s19, s21, 31
	s_add_u32 s8, s10, s8
	s_addc_u32 s9, s11, s9
	s_add_i32 s3, s3, -1
	s_ashr_i32 s10, s3, 31
	s_lshr_b32 s10, s10, 25
	s_add_i32 s3, s3, s10
	s_ashr_i32 s3, s3, 7
	s_add_i32 s10, s3, 1
	v_cvt_f32_u32_e32 v1, s10
	s_not_b32 s3, s3
	v_bfe_u32 v141, v0, 10, 10
	v_lshl_add_u32 v0, v141, 2, v140
	v_rcp_iflag_f32_e32 v1, v1
	v_and_b32_e32 v143, 63, v0
	v_lshrrev_b32_e32 v142, 6, v0
	v_add_u32_e32 v146, 4, v142
	v_mul_f32_e32 v1, 0x4f7ffffe, v1
	v_cvt_u32_f32_e32 v1, v1
	v_lshlrev_b32_e32 v152, 5, v141
	v_mov_b64_e32 v[126:127], 0
	v_mov_b64_e32 v[124:125], 0
	v_readfirstlane_b32 s11, v1
	s_mul_i32 s3, s3, s11
	s_mul_hi_u32 s3, s11, s3
	s_add_i32 s11, s11, s3
	s_mul_hi_u32 s3, s2, s11
	s_mul_i32 s11, s3, s10
	s_sub_i32 s11, s2, s11
	s_add_i32 s22, s3, 1
	s_sub_i32 s23, s11, s10
	s_cmp_ge_u32 s11, s10
	s_cselect_b32 s3, s22, s3
	s_cselect_b32 s11, s23, s11
	s_add_i32 s22, s3, 1
	s_cmp_ge_u32 s11, s10
	s_cselect_b32 s3, s22, s3
	s_mul_i32 s10, s3, s10
	s_lshl_b32 s11, s3, 7
	s_sub_i32 s2, s2, s10
	v_or_b32_e32 v130, s11, v143
	s_lshl_b32 s10, s2, 7
	v_mad_i64_i32 v[2:3], s[2:3], s21, v142, 0
	v_ashrrev_i32_e32 v131, 31, v130
	v_or_b32_e32 v128, s10, v143
	v_lshl_add_u64 v[2:3], v[2:3], 3, s[16:17]
	v_lshlrev_b64 v[4:5], 3, v[130:131]
	v_mad_i64_i32 v[0:1], s[2:3], s20, v142, 0
	v_lshl_add_u64 v[2:3], v[2:3], 0, v[4:5]
	v_ashrrev_i32_e32 v129, 31, v128
	v_lshl_add_u64 v[0:1], v[0:1], 3, s[14:15]
	flat_load_dwordx2 v[6:7], v[2:3]
	flat_load_dwordx2 v[8:9], v[2:3] offset:512
	v_lshlrev_b64 v[2:3], 3, v[128:129]
	v_lshl_add_u64 v[0:1], v[0:1], 0, v[2:3]
	flat_load_dwordx2 v[10:11], v[0:1]
	flat_load_dwordx2 v[12:13], v[0:1] offset:512
	v_lshlrev_b32_e32 v0, 5, v143
	v_lshl_add_u32 v147, v142, 3, v0
	v_mad_i64_i32 v[0:1], s[2:3], s20, v146, 0
	v_mad_i64_i32 v[14:15], s[2:3], s21, v146, 0
	v_lshl_add_u64 v[0:1], v[0:1], 3, s[14:15]
	v_lshl_add_u64 v[14:15], v[14:15], 3, s[16:17]
	;; [unrolled: 1-line block ×4, first 2 shown]
	s_load_dwordx2 s[2:3], s[8:9], 0x0
	flat_load_dwordx2 v[132:133], v[4:5]
	flat_load_dwordx2 v[134:135], v[4:5] offset:512
	flat_load_dwordx2 v[136:137], v[0:1]
	flat_load_dwordx2 v[138:139], v[0:1] offset:512
	s_mov_b32 s22, 0
	v_mov_b64_e32 v[122:123], 0
	v_mov_b64_e32 v[120:121], 0
	;; [unrolled: 1-line block ×18, first 2 shown]
	v_lshlrev_b32_e32 v144, 5, v140
	v_add_u32_e32 v145, 0x2000, v152
	v_or_b32_e32 v148, 0x2000, v147
	v_mov_b64_e32 v[86:87], 0
	v_mov_b64_e32 v[84:85], 0
	v_mov_b64_e32 v[82:83], 0
	v_mov_b64_e32 v[80:81], 0
	v_mov_b64_e32 v[78:79], 0
	v_mov_b64_e32 v[76:77], 0
	v_mov_b64_e32 v[74:75], 0
	v_mov_b64_e32 v[72:73], 0
	v_mov_b64_e32 v[70:71], 0
	v_mov_b64_e32 v[68:69], 0
	v_mov_b64_e32 v[66:67], 0
	v_mov_b64_e32 v[64:65], 0
	v_mov_b64_e32 v[62:63], 0
	v_mov_b64_e32 v[60:61], 0
	v_mov_b64_e32 v[58:59], 0
	v_mov_b64_e32 v[56:57], 0
	v_mov_b64_e32 v[54:55], 0
	v_mov_b64_e32 v[52:53], 0
	v_mov_b64_e32 v[50:51], 0
	v_mov_b64_e32 v[48:49], 0
	v_mov_b64_e32 v[46:47], 0
	v_mov_b64_e32 v[44:45], 0
	v_mov_b64_e32 v[42:43], 0
	v_mov_b64_e32 v[40:41], 0
	v_mov_b64_e32 v[38:39], 0
	v_mov_b64_e32 v[36:37], 0
	v_mov_b64_e32 v[34:35], 0
	v_mov_b64_e32 v[32:33], 0
	v_mov_b64_e32 v[30:31], 0
	s_waitcnt vmcnt(0) lgkmcnt(0)
	ds_write2st64_b64 v147, v[6:7], v[8:9] offset0:16 offset1:20
	ds_write2st64_b64 v147, v[10:11], v[12:13] offset1:4
	v_mov_b64_e32 v[28:29], 0
	v_mov_b64_e32 v[26:27], 0
	;; [unrolled: 1-line block ×15, first 2 shown]
	s_waitcnt lgkmcnt(0)
	s_barrier
.LBB142_9:                              ; =>This Inner Loop Header: Depth=1
	v_add_u32_e32 v149, s22, v144
	v_add_u32_e32 v150, s22, v145
	ds_read2_b64 v[154:157], v149 offset1:16
	ds_read2_b64 v[158:161], v149 offset0:32 offset1:48
	ds_read2_b64 v[162:165], v149 offset0:64 offset1:80
	;; [unrolled: 1-line block ×7, first 2 shown]
	ds_read2st64_b64 v[186:189], v150 offset1:4
	v_add_u32_e32 v149, 0x800, v149
	ds_read2_b64 v[190:193], v149 offset1:16
	ds_read2_b64 v[194:197], v149 offset0:32 offset1:48
	ds_read2_b64 v[198:201], v149 offset0:64 offset1:80
	;; [unrolled: 1-line block ×7, first 2 shown]
	s_waitcnt lgkmcnt(14)
	v_max_f64 v[150:151], v[154:155], v[154:155]
	v_max_f64 v[154:155], v[156:157], v[156:157]
	;; [unrolled: 1-line block ×6, first 2 shown]
	s_waitcnt lgkmcnt(13)
	v_max_f64 v[164:165], v[166:167], v[166:167]
	v_max_f64 v[166:167], v[168:169], v[168:169]
	s_waitcnt lgkmcnt(12)
	v_max_f64 v[168:169], v[170:171], v[170:171]
	v_max_f64 v[170:171], v[172:173], v[172:173]
	;; [unrolled: 3-line block ×14, first 2 shown]
	v_min_f64 v[220:221], v[150:151], v[184:185]
	v_min_f64 v[222:223], v[154:155], v[184:185]
	;; [unrolled: 1-line block ×32, first 2 shown]
	s_add_i32 s22, s22, 8
	v_add_f64 v[62:63], v[62:63], v[150:151]
	v_add_f64 v[60:61], v[60:61], v[154:155]
	;; [unrolled: 1-line block ×16, first 2 shown]
	v_min_f64 v[150:151], v[188:189], v[184:185]
	v_min_f64 v[154:155], v[190:191], v[184:185]
	;; [unrolled: 1-line block ×32, first 2 shown]
	s_cmp_eq_u32 s22, 32
	v_add_f64 v[126:127], v[126:127], v[220:221]
	v_add_f64 v[124:125], v[124:125], v[222:223]
	;; [unrolled: 1-line block ×48, first 2 shown]
	s_cbranch_scc0 .LBB142_9
; %bb.10:
	s_load_dword s22, s[0:1], 0x8
	v_lshlrev_b32_e32 v149, 3, v142
	v_lshl_add_u32 v150, v143, 5, v149
	ds_write2st64_b64 v150, v[136:137], v[138:139] offset0:8 offset1:12
	ds_write2st64_b64 v150, v[132:133], v[134:135] offset0:24 offset1:28
	s_waitcnt lgkmcnt(0)
	s_cmp_gt_i32 s22, 8
	s_barrier
	s_cbranch_scc1 .LBB142_12
; %bb.11:
	v_add_u32_e32 v143, 0x3000, v152
	s_cbranch_execz .LBB142_13
	s_branch .LBB142_19
.LBB142_12:
                                        ; implicit-def: $vgpr143
.LBB142_13:
	v_mov_b32_e32 v132, 0x1000
	v_or_b32_e32 v149, 0x1000, v150
	v_or_b32_e32 v150, 0x3000, v150
	s_add_i32 s8, s22, -8
	v_lshl_add_u32 v151, v140, 5, v132
	v_lshl_add_u64 v[128:129], v[128:129], 3, s[14:15]
	v_lshl_add_u64 v[130:131], v[130:131], 3, s[16:17]
	v_add_u32_e32 v143, 0x3000, v152
	s_mov_b32 s9, 8
	s_mov_b32 s14, 0
.LBB142_14:                             ; =>This Loop Header: Depth=1
                                        ;     Child Loop BB142_15 Depth 2
                                        ;     Child Loop BB142_17 Depth 2
	v_add_u32_e32 v139, s9, v142
	v_mad_u64_u32 v[132:133], s[16:17], v139, s20, 0
	v_mad_u64_u32 v[136:137], s[16:17], v139, s21, 0
	v_mov_b32_e32 v134, v133
	v_mov_b32_e32 v138, v137
	v_mad_u64_u32 v[134:135], s[16:17], v139, s18, v[134:135]
	v_mad_u64_u32 v[138:139], s[16:17], v139, s19, v[138:139]
	v_mov_b32_e32 v133, v134
	v_mov_b32_e32 v137, v138
	v_lshl_add_u64 v[134:135], v[132:133], 3, v[128:129]
	v_lshl_add_u64 v[138:139], v[136:137], 3, v[130:131]
	flat_load_dwordx2 v[132:133], v[134:135]
	s_nop 0
	flat_load_dwordx2 v[134:135], v[134:135] offset:512
	s_nop 0
	flat_load_dwordx2 v[136:137], v[138:139]
	s_nop 0
	flat_load_dwordx2 v[138:139], v[138:139] offset:512
	s_mov_b32 s15, 0
.LBB142_15:                             ;   Parent Loop BB142_14 Depth=1
                                        ; =>  This Inner Loop Header: Depth=2
	v_add_u32_e32 v184, s15, v151
	v_add_u32_e32 v185, s15, v143
	ds_read2_b64 v[152:155], v184 offset1:16
	ds_read2_b64 v[156:159], v184 offset0:32 offset1:48
	ds_read2_b64 v[160:163], v184 offset0:64 offset1:80
	;; [unrolled: 1-line block ×7, first 2 shown]
	v_add_u32_e32 v216, 0x800, v184
	ds_read2st64_b64 v[184:187], v185 offset1:4
	ds_read2_b64 v[188:191], v216 offset1:16
	ds_read2_b64 v[192:195], v216 offset0:32 offset1:48
	ds_read2_b64 v[196:199], v216 offset0:64 offset1:80
	;; [unrolled: 1-line block ×7, first 2 shown]
	s_waitcnt lgkmcnt(0)
	v_max_f64 v[152:153], v[152:153], v[152:153]
	v_max_f64 v[154:155], v[154:155], v[154:155]
	;; [unrolled: 1-line block ×18, first 2 shown]
	v_min_f64 v[220:221], v[152:153], v[184:185]
	v_min_f64 v[222:223], v[154:155], v[184:185]
	;; [unrolled: 1-line block ×16, first 2 shown]
	v_max_f64 v[188:189], v[188:189], v[188:189]
	v_max_f64 v[190:191], v[190:191], v[190:191]
	;; [unrolled: 1-line block ×16, first 2 shown]
	v_min_f64 v[152:153], v[152:153], v[186:187]
	v_min_f64 v[154:155], v[154:155], v[186:187]
	;; [unrolled: 1-line block ×16, first 2 shown]
	s_add_i32 s15, s15, 8
	v_add_f64 v[126:127], v[126:127], v[220:221]
	v_add_f64 v[124:125], v[124:125], v[222:223]
	;; [unrolled: 1-line block ×15, first 2 shown]
	v_min_f64 v[220:221], v[188:189], v[184:185]
	v_min_f64 v[222:223], v[190:191], v[184:185]
	;; [unrolled: 1-line block ×16, first 2 shown]
	v_add_f64 v[62:63], v[62:63], v[152:153]
	v_add_f64 v[60:61], v[60:61], v[154:155]
	;; [unrolled: 1-line block ×16, first 2 shown]
	v_min_f64 v[152:153], v[188:189], v[186:187]
	v_min_f64 v[154:155], v[190:191], v[186:187]
	;; [unrolled: 1-line block ×16, first 2 shown]
	s_cmp_eq_u32 s15, 32
	v_add_f64 v[96:97], v[96:97], v[250:251]
	v_add_f64 v[92:93], v[92:93], v[220:221]
	;; [unrolled: 1-line block ×33, first 2 shown]
	s_cbranch_scc0 .LBB142_15
; %bb.16:                               ;   in Loop: Header=BB142_14 Depth=1
	s_waitcnt vmcnt(0)
	ds_write2st64_b64 v147, v[132:133], v[134:135] offset1:4
	ds_write2st64_b64 v148, v[136:137], v[138:139] offset1:4
	v_add_u32_e32 v139, s9, v146
	v_mad_u64_u32 v[132:133], s[16:17], v139, s20, 0
	v_mad_u64_u32 v[136:137], s[16:17], v139, s21, 0
	v_mov_b32_e32 v134, v133
	v_mov_b32_e32 v138, v137
	v_mad_u64_u32 v[134:135], s[16:17], v139, s18, v[134:135]
	v_mad_u64_u32 v[138:139], s[16:17], v139, s19, v[138:139]
	v_mov_b32_e32 v133, v134
	v_mov_b32_e32 v137, v138
	v_lshl_add_u64 v[134:135], v[132:133], 3, v[128:129]
	v_lshl_add_u64 v[138:139], v[136:137], 3, v[130:131]
	s_waitcnt lgkmcnt(0)
	s_barrier
	flat_load_dwordx2 v[132:133], v[134:135]
	s_nop 0
	flat_load_dwordx2 v[134:135], v[134:135] offset:512
	s_nop 0
	flat_load_dwordx2 v[136:137], v[138:139]
	s_nop 0
	flat_load_dwordx2 v[138:139], v[138:139] offset:512
	s_mov_b32 s15, 0
.LBB142_17:                             ;   Parent Loop BB142_14 Depth=1
                                        ; =>  This Inner Loop Header: Depth=2
	v_add_u32_e32 v184, s15, v144
	v_add_u32_e32 v185, s15, v145
	ds_read2_b64 v[152:155], v184 offset1:16
	ds_read2_b64 v[156:159], v184 offset0:32 offset1:48
	ds_read2_b64 v[160:163], v184 offset0:64 offset1:80
	;; [unrolled: 1-line block ×7, first 2 shown]
	v_add_u32_e32 v216, 0x800, v184
	ds_read2st64_b64 v[184:187], v185 offset1:4
	ds_read2_b64 v[188:191], v216 offset1:16
	ds_read2_b64 v[192:195], v216 offset0:32 offset1:48
	ds_read2_b64 v[196:199], v216 offset0:64 offset1:80
	;; [unrolled: 1-line block ×7, first 2 shown]
	s_waitcnt lgkmcnt(0)
	v_max_f64 v[152:153], v[152:153], v[152:153]
	v_max_f64 v[154:155], v[154:155], v[154:155]
	;; [unrolled: 1-line block ×18, first 2 shown]
	v_min_f64 v[220:221], v[152:153], v[184:185]
	v_min_f64 v[222:223], v[154:155], v[184:185]
	;; [unrolled: 1-line block ×16, first 2 shown]
	v_max_f64 v[188:189], v[188:189], v[188:189]
	v_max_f64 v[190:191], v[190:191], v[190:191]
	;; [unrolled: 1-line block ×16, first 2 shown]
	v_min_f64 v[152:153], v[152:153], v[186:187]
	v_min_f64 v[154:155], v[154:155], v[186:187]
	;; [unrolled: 1-line block ×16, first 2 shown]
	s_add_i32 s15, s15, 8
	v_add_f64 v[126:127], v[126:127], v[220:221]
	v_add_f64 v[124:125], v[124:125], v[222:223]
	;; [unrolled: 1-line block ×15, first 2 shown]
	v_min_f64 v[220:221], v[188:189], v[184:185]
	v_min_f64 v[222:223], v[190:191], v[184:185]
	;; [unrolled: 1-line block ×16, first 2 shown]
	v_add_f64 v[62:63], v[62:63], v[152:153]
	v_add_f64 v[60:61], v[60:61], v[154:155]
	v_add_f64 v[58:59], v[58:59], v[156:157]
	v_add_f64 v[56:57], v[56:57], v[158:159]
	v_add_f64 v[54:55], v[54:55], v[160:161]
	v_add_f64 v[52:53], v[52:53], v[162:163]
	v_add_f64 v[50:51], v[50:51], v[164:165]
	v_add_f64 v[48:49], v[48:49], v[166:167]
	v_add_f64 v[46:47], v[46:47], v[168:169]
	v_add_f64 v[44:45], v[44:45], v[170:171]
	v_add_f64 v[42:43], v[42:43], v[172:173]
	v_add_f64 v[40:41], v[40:41], v[174:175]
	v_add_f64 v[38:39], v[38:39], v[176:177]
	v_add_f64 v[36:37], v[36:37], v[178:179]
	v_add_f64 v[34:35], v[34:35], v[180:181]
	v_add_f64 v[32:33], v[32:33], v[182:183]
	v_min_f64 v[152:153], v[188:189], v[186:187]
	v_min_f64 v[154:155], v[190:191], v[186:187]
	;; [unrolled: 1-line block ×16, first 2 shown]
	s_cmp_eq_u32 s15, 32
	v_add_f64 v[96:97], v[96:97], v[250:251]
	v_add_f64 v[92:93], v[92:93], v[220:221]
	;; [unrolled: 1-line block ×33, first 2 shown]
	s_cbranch_scc0 .LBB142_17
; %bb.18:                               ;   in Loop: Header=BB142_14 Depth=1
	s_add_i32 s9, s9, 8
	s_add_i32 s14, s14, 8
	s_cmp_ge_i32 s14, s8
	s_waitcnt vmcnt(0)
	ds_write2st64_b64 v149, v[132:133], v[134:135] offset1:4
	ds_write2st64_b64 v150, v[136:137], v[138:139] offset1:4
	s_waitcnt lgkmcnt(0)
	s_barrier
	s_cbranch_scc0 .LBB142_14
.LBB142_19:
	v_mov_b32_e32 v128, 0x1000
	v_lshl_add_u32 v128, v140, 5, v128
	s_mov_b32 s8, 0
.LBB142_20:                             ; =>This Inner Loop Header: Depth=1
	v_add_u32_e32 v129, s8, v128
	v_add_u32_e32 v138, s8, v143
	ds_read2_b64 v[130:133], v129 offset1:16
	ds_read2_b64 v[134:137], v129 offset0:32 offset1:48
	ds_read2_b64 v[144:147], v129 offset0:64 offset1:80
	;; [unrolled: 1-line block ×7, first 2 shown]
	v_add_u32_e32 v129, 0x800, v129
	ds_read2st64_b64 v[168:171], v138 offset1:4
	ds_read2_b64 v[172:175], v129 offset1:16
	ds_read2_b64 v[176:179], v129 offset0:32 offset1:48
	ds_read2_b64 v[180:183], v129 offset0:64 offset1:80
	;; [unrolled: 1-line block ×7, first 2 shown]
	s_waitcnt lgkmcnt(14)
	v_max_f64 v[130:131], v[130:131], v[130:131]
	v_max_f64 v[132:133], v[132:133], v[132:133]
	;; [unrolled: 1-line block ×3, first 2 shown]
	s_waitcnt lgkmcnt(8)
	v_max_f64 v[138:139], v[168:169], v[168:169]
	v_max_f64 v[136:137], v[136:137], v[136:137]
	;; [unrolled: 1-line block ×15, first 2 shown]
	v_min_f64 v[170:171], v[130:131], v[138:139]
	v_min_f64 v[204:205], v[132:133], v[138:139]
	;; [unrolled: 1-line block ×16, first 2 shown]
	s_waitcnt lgkmcnt(7)
	v_max_f64 v[172:173], v[172:173], v[172:173]
	v_max_f64 v[174:175], v[174:175], v[174:175]
	s_waitcnt lgkmcnt(6)
	v_max_f64 v[176:177], v[176:177], v[176:177]
	v_max_f64 v[178:179], v[178:179], v[178:179]
	;; [unrolled: 3-line block ×8, first 2 shown]
	v_min_f64 v[130:131], v[130:131], v[168:169]
	v_min_f64 v[132:133], v[132:133], v[168:169]
	;; [unrolled: 1-line block ×16, first 2 shown]
	s_add_i32 s8, s8, 8
	v_add_f64 v[126:127], v[126:127], v[170:171]
	v_add_f64 v[124:125], v[124:125], v[204:205]
	;; [unrolled: 1-line block ×15, first 2 shown]
	v_min_f64 v[170:171], v[172:173], v[138:139]
	v_min_f64 v[204:205], v[174:175], v[138:139]
	;; [unrolled: 1-line block ×16, first 2 shown]
	v_add_f64 v[62:63], v[62:63], v[130:131]
	v_add_f64 v[60:61], v[60:61], v[132:133]
	;; [unrolled: 1-line block ×16, first 2 shown]
	v_min_f64 v[130:131], v[172:173], v[168:169]
	v_min_f64 v[132:133], v[174:175], v[168:169]
	;; [unrolled: 1-line block ×16, first 2 shown]
	s_cmp_eq_u32 s8, 32
	v_add_f64 v[96:97], v[96:97], v[232:233]
	v_add_f64 v[92:93], v[92:93], v[170:171]
	;; [unrolled: 1-line block ×33, first 2 shown]
	s_cbranch_scc0 .LBB142_20
; %bb.21:
	s_load_dwordx2 s[14:15], s[0:1], 0x78
	s_load_dword s8, s[0:1], 0x58
	s_load_dword s9, s[0:1], 0x70
	v_add_u32_e32 v170, s11, v141
	v_add_u32_e32 v130, s10, v140
	s_waitcnt lgkmcnt(0)
	s_lshl_b64 s[0:1], s[14:15], 3
	s_add_u32 s0, s2, s0
	s_addc_u32 s1, s3, s1
	v_mad_i64_i32 v[132:133], s[2:3], v170, s9, 0
	v_add_u32_e32 v128, 4, v130
	v_lshl_add_u64 v[138:139], v[132:133], 3, s[0:1]
	v_mad_i64_i32 v[132:133], s[2:3], v170, s8, 0
	v_ashrrev_i32_e32 v131, 31, v130
	v_ashrrev_i32_e32 v129, 31, v128
	s_mov_b64 s[2:3], -1
	s_mov_b64 vcc, s[4:5]
	s_cbranch_vccz .LBB142_23
; %bb.22:
	v_add_f64 v[134:135], v[126:127], 0
	v_lshl_add_u64 v[136:137], v[130:131], 3, v[138:139]
	s_mov_b64 s[2:3], 0
	flat_store_dwordx2 v[136:137], v[134:135]
.LBB142_23:
	v_lshl_add_u64 v[146:147], v[132:133], 3, s[12:13]
	v_mov_b64_e32 v[136:137], 0
	s_andn2_b64 vcc, exec, s[2:3]
	v_lshlrev_b64 v[134:135], 3, v[130:131]
	s_cbranch_vccnz .LBB142_25
; %bb.24:
	v_lshl_add_u64 v[132:133], v[146:147], 0, v[134:135]
	flat_load_dwordx2 v[132:133], v[132:133]
	v_lshl_add_u64 v[136:137], v[138:139], 0, v[134:135]
	s_waitcnt vmcnt(0) lgkmcnt(0)
	v_fmac_f64_e32 v[126:127], s[6:7], v[132:133]
	flat_store_dwordx2 v[136:137], v[126:127]
	v_lshl_add_u64 v[126:127], v[128:129], 3, v[146:147]
	flat_load_dwordx2 v[126:127], v[126:127]
	s_waitcnt vmcnt(0) lgkmcnt(0)
	v_mul_f64 v[136:137], s[6:7], v[126:127]
.LBB142_25:
	v_add_u32_e32 v132, 8, v130
	v_add_u32_e32 v126, 12, v130
	v_ashrrev_i32_e32 v133, 31, v132
	v_ashrrev_i32_e32 v127, 31, v126
	v_add_f64 v[124:125], v[124:125], v[136:137]
	v_lshl_add_u64 v[136:137], v[128:129], 3, v[138:139]
	s_mov_b64 s[2:3], -1
	s_mov_b64 vcc, s[4:5]
	flat_store_dwordx2 v[136:137], v[124:125]
	s_cbranch_vccz .LBB142_27
; %bb.26:
	v_add_f64 v[124:125], v[122:123], 0
	v_lshl_add_u64 v[136:137], v[132:133], 3, v[138:139]
	s_mov_b64 s[2:3], 0
	flat_store_dwordx2 v[136:137], v[124:125]
.LBB142_27:
	v_mov_b64_e32 v[140:141], 0
	s_andn2_b64 vcc, exec, s[2:3]
	v_lshlrev_b64 v[136:137], 3, v[132:133]
	s_cbranch_vccnz .LBB142_29
; %bb.28:
	v_lshl_add_u64 v[124:125], v[146:147], 0, v[136:137]
	flat_load_dwordx2 v[124:125], v[124:125]
	v_lshl_add_u64 v[140:141], v[138:139], 0, v[136:137]
	s_waitcnt vmcnt(0) lgkmcnt(0)
	v_fmac_f64_e32 v[122:123], s[6:7], v[124:125]
	flat_store_dwordx2 v[140:141], v[122:123]
	v_lshl_add_u64 v[122:123], v[126:127], 3, v[146:147]
	flat_load_dwordx2 v[122:123], v[122:123]
	s_waitcnt vmcnt(0) lgkmcnt(0)
	v_mul_f64 v[140:141], s[6:7], v[122:123]
.LBB142_29:
	v_add_u32_e32 v124, 16, v130
	v_add_u32_e32 v122, 20, v130
	v_ashrrev_i32_e32 v125, 31, v124
	v_ashrrev_i32_e32 v123, 31, v122
	v_add_f64 v[120:121], v[120:121], v[140:141]
	v_lshl_add_u64 v[140:141], v[126:127], 3, v[138:139]
	s_mov_b64 s[2:3], -1
	s_mov_b64 vcc, s[4:5]
	flat_store_dwordx2 v[140:141], v[120:121]
	s_cbranch_vccz .LBB142_31
; %bb.30:
	v_add_f64 v[120:121], v[118:119], 0
	v_lshl_add_u64 v[140:141], v[124:125], 3, v[138:139]
	s_mov_b64 s[2:3], 0
	flat_store_dwordx2 v[140:141], v[120:121]
.LBB142_31:
	;; [unrolled: 32-line block ×15, first 2 shown]
	v_mov_b64_e32 v[168:169], 0
	s_andn2_b64 vcc, exec, s[2:3]
	v_lshlrev_b64 v[68:69], 3, v[72:73]
	s_cbranch_vccnz .LBB142_85
; %bb.84:
	v_lshl_add_u64 v[168:169], v[146:147], 0, v[68:69]
	flat_load_dwordx2 v[168:169], v[168:169]
	v_lshl_add_u64 v[172:173], v[138:139], 0, v[68:69]
	s_waitcnt vmcnt(0) lgkmcnt(0)
	v_fmac_f64_e32 v[66:67], s[6:7], v[168:169]
	flat_store_dwordx2 v[172:173], v[66:67]
	v_lshl_add_u64 v[66:67], v[70:71], 3, v[146:147]
	flat_load_dwordx2 v[66:67], v[66:67]
	s_waitcnt vmcnt(0) lgkmcnt(0)
	v_mul_f64 v[168:169], s[6:7], v[66:67]
.LBB142_85:
	v_add_f64 v[64:65], v[64:65], v[168:169]
	v_lshl_add_u64 v[66:67], v[70:71], 3, v[138:139]
	flat_store_dwordx2 v[66:67], v[64:65]
	v_add_u32_e32 v66, 64, v170
	v_mad_i64_i32 v[64:65], s[2:3], v66, s9, 0
	v_lshl_add_u64 v[64:65], v[64:65], 3, s[0:1]
	v_mad_i64_i32 v[66:67], s[0:1], v66, s8, 0
	s_mov_b64 s[0:1], -1
	s_mov_b64 vcc, s[4:5]
	s_cbranch_vccz .LBB142_87
; %bb.86:
	v_add_f64 v[138:139], v[62:63], 0
	v_lshl_add_u64 v[130:131], v[130:131], 3, v[64:65]
	s_mov_b64 s[0:1], 0
	flat_store_dwordx2 v[130:131], v[138:139]
.LBB142_87:
	v_lshl_add_u64 v[66:67], v[66:67], 3, s[12:13]
	s_andn2_b64 vcc, exec, s[0:1]
	v_mov_b64_e32 v[130:131], 0
	s_cbranch_vccnz .LBB142_89
; %bb.88:
	v_lshl_add_u64 v[130:131], v[66:67], 0, v[134:135]
	flat_load_dwordx2 v[130:131], v[130:131]
	v_lshl_add_u64 v[134:135], v[64:65], 0, v[134:135]
	s_waitcnt vmcnt(0) lgkmcnt(0)
	v_fmac_f64_e32 v[62:63], s[6:7], v[130:131]
	flat_store_dwordx2 v[134:135], v[62:63]
	v_lshl_add_u64 v[62:63], v[128:129], 3, v[66:67]
	flat_load_dwordx2 v[62:63], v[62:63]
	s_waitcnt vmcnt(0) lgkmcnt(0)
	v_mul_f64 v[130:131], s[6:7], v[62:63]
.LBB142_89:
	v_add_f64 v[60:61], v[60:61], v[130:131]
	v_lshl_add_u64 v[62:63], v[128:129], 3, v[64:65]
	s_mov_b64 s[0:1], -1
	s_mov_b64 vcc, s[4:5]
	flat_store_dwordx2 v[62:63], v[60:61]
	s_cbranch_vccz .LBB142_91
; %bb.90:
	v_add_f64 v[60:61], v[58:59], 0
	v_lshl_add_u64 v[62:63], v[132:133], 3, v[64:65]
	s_mov_b64 s[0:1], 0
	flat_store_dwordx2 v[62:63], v[60:61]
.LBB142_91:
	s_andn2_b64 vcc, exec, s[0:1]
	v_mov_b64_e32 v[60:61], 0
	s_cbranch_vccnz .LBB142_93
; %bb.92:
	v_lshl_add_u64 v[60:61], v[66:67], 0, v[136:137]
	flat_load_dwordx2 v[60:61], v[60:61]
	v_lshl_add_u64 v[62:63], v[64:65], 0, v[136:137]
	s_waitcnt vmcnt(0) lgkmcnt(0)
	v_fmac_f64_e32 v[58:59], s[6:7], v[60:61]
	flat_store_dwordx2 v[62:63], v[58:59]
	v_lshl_add_u64 v[58:59], v[126:127], 3, v[66:67]
	flat_load_dwordx2 v[58:59], v[58:59]
	s_waitcnt vmcnt(0) lgkmcnt(0)
	v_mul_f64 v[60:61], s[6:7], v[58:59]
.LBB142_93:
	v_add_f64 v[56:57], v[56:57], v[60:61]
	v_lshl_add_u64 v[58:59], v[126:127], 3, v[64:65]
	s_mov_b64 s[0:1], -1
	s_mov_b64 vcc, s[4:5]
	flat_store_dwordx2 v[58:59], v[56:57]
	s_cbranch_vccz .LBB142_95
; %bb.94:
	v_add_f64 v[56:57], v[54:55], 0
	v_lshl_add_u64 v[58:59], v[124:125], 3, v[64:65]
	s_mov_b64 s[0:1], 0
	flat_store_dwordx2 v[58:59], v[56:57]
.LBB142_95:
	;; [unrolled: 27-line block ×14, first 2 shown]
	s_andn2_b64 vcc, exec, s[0:1]
	v_mov_b64_e32 v[8:9], 0
	s_cbranch_vccnz .LBB142_145
; %bb.144:
	v_lshl_add_u64 v[8:9], v[66:67], 0, v[166:167]
	flat_load_dwordx2 v[8:9], v[8:9]
	v_lshl_add_u64 v[10:11], v[64:65], 0, v[166:167]
	s_waitcnt vmcnt(0) lgkmcnt(0)
	v_fmac_f64_e32 v[6:7], s[6:7], v[8:9]
	flat_store_dwordx2 v[10:11], v[6:7]
	v_lshl_add_u64 v[6:7], v[74:75], 3, v[66:67]
	flat_load_dwordx2 v[6:7], v[6:7]
	s_waitcnt vmcnt(0) lgkmcnt(0)
	v_mul_f64 v[8:9], s[6:7], v[6:7]
.LBB142_145:
	v_add_f64 v[4:5], v[4:5], v[8:9]
	v_lshl_add_u64 v[6:7], v[74:75], 3, v[64:65]
	s_mov_b64 s[0:1], -1
	s_mov_b64 vcc, s[4:5]
	flat_store_dwordx2 v[6:7], v[4:5]
	s_cbranch_vccnz .LBB142_148
; %bb.146:
	s_andn2_b64 vcc, exec, s[0:1]
	v_mov_b64_e32 v[4:5], 0
	s_cbranch_vccz .LBB142_149
.LBB142_147:
	v_add_f64 v[0:1], v[0:1], v[4:5]
	v_lshl_add_u64 v[2:3], v[70:71], 3, v[64:65]
	flat_store_dwordx2 v[2:3], v[0:1]
	s_endpgm
.LBB142_148:
	v_add_f64 v[4:5], v[2:3], 0
	v_lshl_add_u64 v[6:7], v[72:73], 3, v[64:65]
	flat_store_dwordx2 v[6:7], v[4:5]
	v_mov_b64_e32 v[4:5], 0
	s_cbranch_execnz .LBB142_147
.LBB142_149:
	v_lshl_add_u64 v[4:5], v[66:67], 0, v[68:69]
	flat_load_dwordx2 v[4:5], v[4:5]
	v_lshl_add_u64 v[6:7], v[64:65], 0, v[68:69]
	s_waitcnt vmcnt(0) lgkmcnt(0)
	v_fmac_f64_e32 v[2:3], s[6:7], v[4:5]
	flat_store_dwordx2 v[6:7], v[2:3]
	v_lshl_add_u64 v[2:3], v[70:71], 3, v[66:67]
	flat_load_dwordx2 v[2:3], v[2:3]
	s_waitcnt vmcnt(0) lgkmcnt(0)
	v_mul_f64 v[4:5], s[6:7], v[2:3]
	v_add_f64 v[0:1], v[0:1], v[4:5]
	v_lshl_add_u64 v[2:3], v[70:71], 3, v[64:65]
	flat_store_dwordx2 v[2:3], v[0:1]
	s_endpgm
	.section	.rodata,"a",@progbits
	.p2align	6, 0x0
	.amdhsa_kernel _ZN12_GLOBAL__N_120geam_min_plus_kernelIdddLi4ELi64ELi128ELi128ELi4ELi64ELi4ELi64ELi4ELc78ELc84ELb1ELb0ELb0EdKPKdKPdEEviiiT16_PT17_ilS8_ilS6_S8_ilPT18_ili26rocblas_geam_ex_operation_
		.amdhsa_group_segment_fixed_size 16384
		.amdhsa_private_segment_fixed_size 0
		.amdhsa_kernarg_size 136
		.amdhsa_user_sgpr_count 2
		.amdhsa_user_sgpr_dispatch_ptr 0
		.amdhsa_user_sgpr_queue_ptr 0
		.amdhsa_user_sgpr_kernarg_segment_ptr 1
		.amdhsa_user_sgpr_dispatch_id 0
		.amdhsa_user_sgpr_kernarg_preload_length 0
		.amdhsa_user_sgpr_kernarg_preload_offset 0
		.amdhsa_user_sgpr_private_segment_size 0
		.amdhsa_uses_dynamic_stack 0
		.amdhsa_enable_private_segment 0
		.amdhsa_system_sgpr_workgroup_id_x 1
		.amdhsa_system_sgpr_workgroup_id_y 0
		.amdhsa_system_sgpr_workgroup_id_z 1
		.amdhsa_system_sgpr_workgroup_info 0
		.amdhsa_system_vgpr_workitem_id 1
		.amdhsa_next_free_vgpr 252
		.amdhsa_next_free_sgpr 24
		.amdhsa_accum_offset 252
		.amdhsa_reserve_vcc 1
		.amdhsa_float_round_mode_32 0
		.amdhsa_float_round_mode_16_64 0
		.amdhsa_float_denorm_mode_32 3
		.amdhsa_float_denorm_mode_16_64 3
		.amdhsa_dx10_clamp 1
		.amdhsa_ieee_mode 1
		.amdhsa_fp16_overflow 0
		.amdhsa_tg_split 0
		.amdhsa_exception_fp_ieee_invalid_op 0
		.amdhsa_exception_fp_denorm_src 0
		.amdhsa_exception_fp_ieee_div_zero 0
		.amdhsa_exception_fp_ieee_overflow 0
		.amdhsa_exception_fp_ieee_underflow 0
		.amdhsa_exception_fp_ieee_inexact 0
		.amdhsa_exception_int_div_zero 0
	.end_amdhsa_kernel
	.section	.text._ZN12_GLOBAL__N_120geam_min_plus_kernelIdddLi4ELi64ELi128ELi128ELi4ELi64ELi4ELi64ELi4ELc78ELc84ELb1ELb0ELb0EdKPKdKPdEEviiiT16_PT17_ilS8_ilS6_S8_ilPT18_ili26rocblas_geam_ex_operation_,"axG",@progbits,_ZN12_GLOBAL__N_120geam_min_plus_kernelIdddLi4ELi64ELi128ELi128ELi4ELi64ELi4ELi64ELi4ELc78ELc84ELb1ELb0ELb0EdKPKdKPdEEviiiT16_PT17_ilS8_ilS6_S8_ilPT18_ili26rocblas_geam_ex_operation_,comdat
.Lfunc_end142:
	.size	_ZN12_GLOBAL__N_120geam_min_plus_kernelIdddLi4ELi64ELi128ELi128ELi4ELi64ELi4ELi64ELi4ELc78ELc84ELb1ELb0ELb0EdKPKdKPdEEviiiT16_PT17_ilS8_ilS6_S8_ilPT18_ili26rocblas_geam_ex_operation_, .Lfunc_end142-_ZN12_GLOBAL__N_120geam_min_plus_kernelIdddLi4ELi64ELi128ELi128ELi4ELi64ELi4ELi64ELi4ELc78ELc84ELb1ELb0ELb0EdKPKdKPdEEviiiT16_PT17_ilS8_ilS6_S8_ilPT18_ili26rocblas_geam_ex_operation_
                                        ; -- End function
	.set _ZN12_GLOBAL__N_120geam_min_plus_kernelIdddLi4ELi64ELi128ELi128ELi4ELi64ELi4ELi64ELi4ELc78ELc84ELb1ELb0ELb0EdKPKdKPdEEviiiT16_PT17_ilS8_ilS6_S8_ilPT18_ili26rocblas_geam_ex_operation_.num_vgpr, 252
	.set _ZN12_GLOBAL__N_120geam_min_plus_kernelIdddLi4ELi64ELi128ELi128ELi4ELi64ELi4ELi64ELi4ELc78ELc84ELb1ELb0ELb0EdKPKdKPdEEviiiT16_PT17_ilS8_ilS6_S8_ilPT18_ili26rocblas_geam_ex_operation_.num_agpr, 0
	.set _ZN12_GLOBAL__N_120geam_min_plus_kernelIdddLi4ELi64ELi128ELi128ELi4ELi64ELi4ELi64ELi4ELc78ELc84ELb1ELb0ELb0EdKPKdKPdEEviiiT16_PT17_ilS8_ilS6_S8_ilPT18_ili26rocblas_geam_ex_operation_.numbered_sgpr, 24
	.set _ZN12_GLOBAL__N_120geam_min_plus_kernelIdddLi4ELi64ELi128ELi128ELi4ELi64ELi4ELi64ELi4ELc78ELc84ELb1ELb0ELb0EdKPKdKPdEEviiiT16_PT17_ilS8_ilS6_S8_ilPT18_ili26rocblas_geam_ex_operation_.num_named_barrier, 0
	.set _ZN12_GLOBAL__N_120geam_min_plus_kernelIdddLi4ELi64ELi128ELi128ELi4ELi64ELi4ELi64ELi4ELc78ELc84ELb1ELb0ELb0EdKPKdKPdEEviiiT16_PT17_ilS8_ilS6_S8_ilPT18_ili26rocblas_geam_ex_operation_.private_seg_size, 0
	.set _ZN12_GLOBAL__N_120geam_min_plus_kernelIdddLi4ELi64ELi128ELi128ELi4ELi64ELi4ELi64ELi4ELc78ELc84ELb1ELb0ELb0EdKPKdKPdEEviiiT16_PT17_ilS8_ilS6_S8_ilPT18_ili26rocblas_geam_ex_operation_.uses_vcc, 1
	.set _ZN12_GLOBAL__N_120geam_min_plus_kernelIdddLi4ELi64ELi128ELi128ELi4ELi64ELi4ELi64ELi4ELc78ELc84ELb1ELb0ELb0EdKPKdKPdEEviiiT16_PT17_ilS8_ilS6_S8_ilPT18_ili26rocblas_geam_ex_operation_.uses_flat_scratch, 0
	.set _ZN12_GLOBAL__N_120geam_min_plus_kernelIdddLi4ELi64ELi128ELi128ELi4ELi64ELi4ELi64ELi4ELc78ELc84ELb1ELb0ELb0EdKPKdKPdEEviiiT16_PT17_ilS8_ilS6_S8_ilPT18_ili26rocblas_geam_ex_operation_.has_dyn_sized_stack, 0
	.set _ZN12_GLOBAL__N_120geam_min_plus_kernelIdddLi4ELi64ELi128ELi128ELi4ELi64ELi4ELi64ELi4ELc78ELc84ELb1ELb0ELb0EdKPKdKPdEEviiiT16_PT17_ilS8_ilS6_S8_ilPT18_ili26rocblas_geam_ex_operation_.has_recursion, 0
	.set _ZN12_GLOBAL__N_120geam_min_plus_kernelIdddLi4ELi64ELi128ELi128ELi4ELi64ELi4ELi64ELi4ELc78ELc84ELb1ELb0ELb0EdKPKdKPdEEviiiT16_PT17_ilS8_ilS6_S8_ilPT18_ili26rocblas_geam_ex_operation_.has_indirect_call, 0
	.section	.AMDGPU.csdata,"",@progbits
; Kernel info:
; codeLenInByte = 12580
; TotalNumSgprs: 30
; NumVgprs: 252
; NumAgprs: 0
; TotalNumVgprs: 252
; ScratchSize: 0
; MemoryBound: 0
; FloatMode: 240
; IeeeMode: 1
; LDSByteSize: 16384 bytes/workgroup (compile time only)
; SGPRBlocks: 3
; VGPRBlocks: 31
; NumSGPRsForWavesPerEU: 30
; NumVGPRsForWavesPerEU: 252
; AccumOffset: 252
; Occupancy: 2
; WaveLimiterHint : 1
; COMPUTE_PGM_RSRC2:SCRATCH_EN: 0
; COMPUTE_PGM_RSRC2:USER_SGPR: 2
; COMPUTE_PGM_RSRC2:TRAP_HANDLER: 0
; COMPUTE_PGM_RSRC2:TGID_X_EN: 1
; COMPUTE_PGM_RSRC2:TGID_Y_EN: 0
; COMPUTE_PGM_RSRC2:TGID_Z_EN: 1
; COMPUTE_PGM_RSRC2:TIDIG_COMP_CNT: 1
; COMPUTE_PGM_RSRC3_GFX90A:ACCUM_OFFSET: 62
; COMPUTE_PGM_RSRC3_GFX90A:TG_SPLIT: 0
	.section	.text._ZN12_GLOBAL__N_120geam_min_plus_kernelIdddLi4ELi64ELi128ELi128ELi4ELi64ELi4ELi64ELi4ELc78ELc84ELb0ELb0ELb0EdKPKdKPdEEviiiT16_PT17_ilS8_ilS6_S8_ilPT18_ili26rocblas_geam_ex_operation_,"axG",@progbits,_ZN12_GLOBAL__N_120geam_min_plus_kernelIdddLi4ELi64ELi128ELi128ELi4ELi64ELi4ELi64ELi4ELc78ELc84ELb0ELb0ELb0EdKPKdKPdEEviiiT16_PT17_ilS8_ilS6_S8_ilPT18_ili26rocblas_geam_ex_operation_,comdat
	.globl	_ZN12_GLOBAL__N_120geam_min_plus_kernelIdddLi4ELi64ELi128ELi128ELi4ELi64ELi4ELi64ELi4ELc78ELc84ELb0ELb0ELb0EdKPKdKPdEEviiiT16_PT17_ilS8_ilS6_S8_ilPT18_ili26rocblas_geam_ex_operation_ ; -- Begin function _ZN12_GLOBAL__N_120geam_min_plus_kernelIdddLi4ELi64ELi128ELi128ELi4ELi64ELi4ELi64ELi4ELc78ELc84ELb0ELb0ELb0EdKPKdKPdEEviiiT16_PT17_ilS8_ilS6_S8_ilPT18_ili26rocblas_geam_ex_operation_
	.p2align	8
	.type	_ZN12_GLOBAL__N_120geam_min_plus_kernelIdddLi4ELi64ELi128ELi128ELi4ELi64ELi4ELi64ELi4ELc78ELc84ELb0ELb0ELb0EdKPKdKPdEEviiiT16_PT17_ilS8_ilS6_S8_ilPT18_ili26rocblas_geam_ex_operation_,@function
_ZN12_GLOBAL__N_120geam_min_plus_kernelIdddLi4ELi64ELi128ELi128ELi4ELi64ELi4ELi64ELi4ELc78ELc84ELb0ELb0ELb0EdKPKdKPdEEviiiT16_PT17_ilS8_ilS6_S8_ilPT18_ili26rocblas_geam_ex_operation_: ; @_ZN12_GLOBAL__N_120geam_min_plus_kernelIdddLi4ELi64ELi128ELi128ELi4ELi64ELi4ELi64ELi4ELc78ELc84ELb0ELb0ELb0EdKPKdKPdEEviiiT16_PT17_ilS8_ilS6_S8_ilPT18_ili26rocblas_geam_ex_operation_
; %bb.0:
	s_load_dwordx4 s[12:15], s[0:1], 0x10
	s_load_dwordx4 s[16:19], s[0:1], 0x28
	s_mov_b32 s6, s3
	s_mov_b64 s[20:21], 0
	s_waitcnt lgkmcnt(0)
	v_cmp_eq_f64_e64 s[22:23], s[12:13], 0
	s_and_b64 s[4:5], exec, s[22:23]
	s_mov_b64 vcc, s[4:5]
	s_cbranch_vccnz .LBB143_2
; %bb.1:
	s_mov_b32 s7, 0
	s_lshl_b64 s[8:9], s[6:7], 3
	s_add_u32 s8, s14, s8
	s_addc_u32 s9, s15, s9
	s_load_dwordx2 s[8:9], s[8:9], 0x0
	s_lshl_b64 s[10:11], s[16:17], 3
	s_waitcnt lgkmcnt(0)
	s_add_u32 s20, s8, s10
	s_addc_u32 s21, s9, s11
.LBB143_2:
	s_load_dwordx4 s[8:11], s[0:1], 0x40
	s_load_dwordx2 s[26:27], s[0:1], 0x50
	s_andn2_b64 vcc, exec, s[22:23]
	s_mov_b32 s7, 0
	s_cbranch_vccnz .LBB143_4
; %bb.3:
	s_mov_b64 s[14:15], 0
	s_mov_b64 s[22:23], 0
	s_cbranch_execz .LBB143_5
	s_branch .LBB143_6
.LBB143_4:
	s_mov_b64 s[14:15], 0
	s_mov_b64 s[22:23], 0
.LBB143_5:
	s_lshl_b64 s[16:17], s[6:7], 3
	s_add_u32 s16, s18, s16
	s_addc_u32 s17, s19, s17
	s_load_dwordx2 s[16:17], s[16:17], 0x0
	s_waitcnt lgkmcnt(0)
	s_lshl_b64 s[8:9], s[8:9], 3
	s_add_u32 s22, s16, s8
	s_addc_u32 s23, s17, s9
.LBB143_6:
	s_load_dwordx4 s[16:19], s[0:1], 0x60
	s_waitcnt lgkmcnt(0)
	v_cmp_eq_f64_e64 s[8:9], s[10:11], 0
	s_and_b64 s[8:9], exec, s[8:9]
	v_cmp_neq_f64_e64 s[24:25], s[12:13], 0
	s_mov_b64 vcc, s[8:9]
	s_cbranch_vccnz .LBB143_8
; %bb.7:
	s_lshl_b64 s[14:15], s[6:7], 3
	s_add_u32 s14, s26, s14
	s_addc_u32 s15, s27, s15
	s_load_dwordx2 s[14:15], s[14:15], 0x0
	s_lshl_b64 s[16:17], s[16:17], 3
	s_waitcnt lgkmcnt(0)
	s_add_u32 s14, s14, s16
	s_addc_u32 s15, s15, s17
.LBB143_8:
	s_load_dword s26, s[0:1], 0x20
	s_load_dword s3, s[0:1], 0x0
	s_lshl_b64 s[6:7], s[6:7], 3
	v_and_b32_e32 v140, 0x3ff, v0
	v_bfe_u32 v141, v0, 10, 10
	s_waitcnt lgkmcnt(0)
	s_ashr_i32 s27, s26, 31
	s_add_u32 s16, s18, s6
	s_addc_u32 s17, s19, s7
	s_add_i32 s3, s3, -1
	s_ashr_i32 s6, s3, 31
	s_lshr_b32 s6, s6, 25
	s_add_i32 s3, s3, s6
	s_ashr_i32 s3, s3, 7
	s_add_i32 s6, s3, 1
	v_cvt_f32_u32_e32 v1, s6
	s_not_b32 s3, s3
	v_mov_b64_e32 v[6:7], 0
	v_mov_b64_e32 v[8:9], 0
	v_rcp_iflag_f32_e32 v0, v1
	v_lshl_add_u32 v1, v141, 2, v140
	v_and_b32_e32 v143, 63, v1
	v_lshrrev_b32_e32 v142, 6, v1
	v_mul_f32_e32 v0, 0x4f7ffffe, v0
	v_cvt_u32_f32_e32 v0, v0
	v_mov_b64_e32 v[10:11], 0
	v_readfirstlane_b32 s7, v0
	s_mul_i32 s3, s3, s7
	s_mul_hi_u32 s3, s7, s3
	s_add_i32 s7, s7, s3
	s_mul_hi_u32 s3, s2, s7
	s_mul_i32 s7, s3, s6
	s_sub_i32 s7, s2, s7
	s_add_i32 s18, s3, 1
	s_sub_i32 s19, s7, s6
	s_cmp_ge_u32 s7, s6
	s_cselect_b32 s3, s18, s3
	s_cselect_b32 s7, s19, s7
	s_add_i32 s18, s3, 1
	s_cmp_ge_u32 s7, s6
	s_cselect_b32 s3, s18, s3
	s_mul_i32 s6, s3, s6
	s_sub_i32 s2, s2, s6
	s_lshl_b32 s18, s2, 7
	v_cndmask_b32_e64 v0, 0, 1, s[24:25]
	v_cmp_ne_u32_e64 s[6:7], 1, v0
	v_or_b32_e32 v0, s18, v143
	s_andn2_b64 vcc, exec, s[24:25]
	v_ashrrev_i32_e32 v1, 31, v0
	s_cbranch_vccnz .LBB143_10
; %bb.9:
	v_mad_i64_i32 v[2:3], s[24:25], s26, v142, 0
	v_lshl_add_u64 v[2:3], v[2:3], 3, s[20:21]
	v_lshl_add_u64 v[2:3], v[0:1], 3, v[2:3]
	flat_load_dwordx2 v[4:5], v[2:3]
	flat_load_dwordx2 v[8:9], v[2:3] offset:512
	s_waitcnt vmcnt(0) lgkmcnt(0)
	v_mul_f64 v[10:11], s[12:13], v[4:5]
	v_mul_f64 v[8:9], s[12:13], v[8:9]
.LBB143_10:
	s_load_dword s24, s[0:1], 0x38
	s_lshl_b32 s19, s3, 7
	v_or_b32_e32 v2, s19, v143
	s_and_b64 vcc, exec, s[6:7]
	v_ashrrev_i32_e32 v3, 31, v2
	s_waitcnt lgkmcnt(0)
	s_ashr_i32 s25, s24, 31
	v_mov_b64_e32 v[12:13], 0
	s_cbranch_vccnz .LBB143_12
; %bb.11:
	v_mad_i64_i32 v[4:5], s[2:3], s24, v142, 0
	v_lshl_add_u64 v[4:5], v[4:5], 3, s[22:23]
	v_lshl_add_u64 v[4:5], v[2:3], 3, v[4:5]
	flat_load_dwordx2 v[6:7], v[4:5]
	flat_load_dwordx2 v[14:15], v[4:5] offset:512
	s_waitcnt vmcnt(0) lgkmcnt(0)
	v_mul_f64 v[12:13], s[12:13], v[6:7]
	v_mul_f64 v[6:7], s[12:13], v[14:15]
.LBB143_12:
	v_mov_b64_e32 v[4:5], 0
	s_and_b64 vcc, exec, s[6:7]
	v_add_u32_e32 v144, 4, v142
	v_mov_b64_e32 v[134:135], 0
	v_mov_b64_e32 v[136:137], 0
	s_cbranch_vccnz .LBB143_14
; %bb.13:
	v_mad_i64_i32 v[14:15], s[2:3], s26, v144, 0
	v_lshl_add_u64 v[14:15], v[14:15], 3, s[20:21]
	v_lshl_add_u64 v[14:15], v[0:1], 3, v[14:15]
	flat_load_dwordx2 v[16:17], v[14:15]
	flat_load_dwordx2 v[18:19], v[14:15] offset:512
	s_waitcnt vmcnt(0) lgkmcnt(0)
	v_mul_f64 v[136:137], s[12:13], v[16:17]
	v_mul_f64 v[134:135], s[12:13], v[18:19]
.LBB143_14:
	s_load_dwordx2 s[2:3], s[16:17], 0x0
	s_and_b64 vcc, exec, s[6:7]
	v_mov_b64_e32 v[138:139], 0
	s_cbranch_vccnz .LBB143_16
; %bb.15:
	v_mad_i64_i32 v[4:5], s[6:7], s24, v144, 0
	v_lshl_add_u64 v[4:5], v[4:5], 3, s[22:23]
	v_lshl_add_u64 v[4:5], v[2:3], 3, v[4:5]
	flat_load_dwordx2 v[14:15], v[4:5]
	flat_load_dwordx2 v[16:17], v[4:5] offset:512
	s_waitcnt vmcnt(0) lgkmcnt(0)
	v_mul_f64 v[138:139], s[12:13], v[14:15]
	v_mul_f64 v[4:5], s[12:13], v[16:17]
.LBB143_16:
	v_lshlrev_b32_e32 v14, 5, v143
	v_lshl_add_u32 v145, v142, 3, v14
	v_lshlrev_b32_e32 v152, 5, v141
	ds_write2st64_b64 v145, v[10:11], v[8:9] offset1:4
	v_or_b32_e32 v146, 0x2000, v145
	ds_write2st64_b64 v145, v[12:13], v[6:7] offset0:16 offset1:20
	v_lshlrev_b32_e32 v147, 5, v140
	v_add_u32_e32 v148, 0x2000, v152
	v_mov_b64_e32 v[132:133], 0
	s_mov_b32 s6, 0
	v_mov_b64_e32 v[130:131], 0
	v_mov_b64_e32 v[128:129], 0
	;; [unrolled: 1-line block ×63, first 2 shown]
	s_waitcnt lgkmcnt(0)
	s_barrier
.LBB143_17:                             ; =>This Inner Loop Header: Depth=1
	v_add_u32_e32 v149, s6, v147
	v_add_u32_e32 v150, s6, v148
	ds_read2_b64 v[154:157], v149 offset1:16
	ds_read2_b64 v[158:161], v149 offset0:32 offset1:48
	ds_read2_b64 v[162:165], v149 offset0:64 offset1:80
	;; [unrolled: 1-line block ×7, first 2 shown]
	ds_read2st64_b64 v[186:189], v150 offset1:4
	v_add_u32_e32 v149, 0x800, v149
	ds_read2_b64 v[190:193], v149 offset1:16
	ds_read2_b64 v[194:197], v149 offset0:32 offset1:48
	ds_read2_b64 v[198:201], v149 offset0:64 offset1:80
	;; [unrolled: 1-line block ×7, first 2 shown]
	s_waitcnt lgkmcnt(14)
	v_max_f64 v[150:151], v[154:155], v[154:155]
	v_max_f64 v[154:155], v[156:157], v[156:157]
	;; [unrolled: 1-line block ×6, first 2 shown]
	s_waitcnt lgkmcnt(13)
	v_max_f64 v[164:165], v[166:167], v[166:167]
	v_max_f64 v[166:167], v[168:169], v[168:169]
	s_waitcnt lgkmcnt(12)
	v_max_f64 v[168:169], v[170:171], v[170:171]
	v_max_f64 v[170:171], v[172:173], v[172:173]
	;; [unrolled: 3-line block ×14, first 2 shown]
	v_min_f64 v[220:221], v[150:151], v[184:185]
	v_min_f64 v[222:223], v[154:155], v[184:185]
	;; [unrolled: 1-line block ×32, first 2 shown]
	s_add_i32 s6, s6, 8
	v_add_f64 v[68:69], v[68:69], v[150:151]
	v_add_f64 v[66:67], v[66:67], v[154:155]
	;; [unrolled: 1-line block ×16, first 2 shown]
	v_min_f64 v[150:151], v[188:189], v[184:185]
	v_min_f64 v[154:155], v[190:191], v[184:185]
	;; [unrolled: 1-line block ×32, first 2 shown]
	s_cmp_eq_u32 s6, 32
	v_add_f64 v[132:133], v[132:133], v[220:221]
	v_add_f64 v[130:131], v[130:131], v[222:223]
	v_add_f64 v[128:129], v[128:129], v[224:225]
	v_add_f64 v[126:127], v[126:127], v[226:227]
	v_add_f64 v[124:125], v[124:125], v[228:229]
	v_add_f64 v[122:123], v[122:123], v[230:231]
	v_add_f64 v[120:121], v[120:121], v[232:233]
	v_add_f64 v[118:119], v[118:119], v[234:235]
	v_add_f64 v[116:117], v[116:117], v[236:237]
	v_add_f64 v[114:115], v[114:115], v[238:239]
	v_add_f64 v[112:113], v[112:113], v[240:241]
	v_add_f64 v[110:111], v[110:111], v[242:243]
	v_add_f64 v[108:109], v[108:109], v[244:245]
	v_add_f64 v[106:107], v[106:107], v[246:247]
	v_add_f64 v[104:105], v[104:105], v[248:249]
	v_add_f64 v[102:103], v[102:103], v[250:251]
	v_add_f64 v[100:101], v[100:101], v[150:151]
	v_add_f64 v[98:99], v[98:99], v[154:155]
	v_add_f64 v[96:97], v[96:97], v[156:157]
	v_add_f64 v[94:95], v[94:95], v[158:159]
	v_add_f64 v[92:93], v[92:93], v[160:161]
	v_add_f64 v[90:91], v[90:91], v[162:163]
	v_add_f64 v[88:89], v[88:89], v[164:165]
	v_add_f64 v[86:87], v[86:87], v[166:167]
	v_add_f64 v[84:85], v[84:85], v[168:169]
	v_add_f64 v[82:83], v[82:83], v[170:171]
	v_add_f64 v[80:81], v[80:81], v[172:173]
	v_add_f64 v[78:79], v[78:79], v[174:175]
	v_add_f64 v[76:77], v[76:77], v[176:177]
	v_add_f64 v[74:75], v[74:75], v[178:179]
	v_add_f64 v[72:73], v[72:73], v[180:181]
	v_add_f64 v[70:71], v[70:71], v[182:183]
	v_add_f64 v[36:37], v[36:37], v[184:185]
	v_add_f64 v[34:35], v[34:35], v[188:189]
	v_add_f64 v[32:33], v[32:33], v[190:191]
	v_add_f64 v[30:31], v[30:31], v[192:193]
	v_add_f64 v[28:29], v[28:29], v[194:195]
	v_add_f64 v[26:27], v[26:27], v[196:197]
	v_add_f64 v[24:25], v[24:25], v[198:199]
	v_add_f64 v[22:23], v[22:23], v[200:201]
	v_add_f64 v[20:21], v[20:21], v[202:203]
	v_add_f64 v[18:19], v[18:19], v[204:205]
	v_add_f64 v[16:17], v[16:17], v[206:207]
	v_add_f64 v[14:15], v[14:15], v[208:209]
	v_add_f64 v[12:13], v[12:13], v[210:211]
	v_add_f64 v[10:11], v[10:11], v[212:213]
	v_add_f64 v[8:9], v[8:9], v[214:215]
	v_add_f64 v[6:7], v[6:7], v[186:187]
	s_cbranch_scc0 .LBB143_17
; %bb.18:
	s_load_dword s16, s[0:1], 0x8
	v_lshlrev_b32_e32 v149, 3, v142
	v_lshl_add_u32 v150, v143, 5, v149
	ds_write2st64_b64 v150, v[136:137], v[134:135] offset0:8 offset1:12
	ds_write2st64_b64 v150, v[138:139], v[4:5] offset0:24 offset1:28
	s_waitcnt lgkmcnt(0)
	s_cmp_gt_i32 s16, 8
	s_barrier
	s_cbranch_scc1 .LBB143_20
; %bb.19:
	v_add_u32_e32 v143, 0x3000, v152
	s_cbranch_execz .LBB143_21
	s_branch .LBB143_43
.LBB143_20:
                                        ; implicit-def: $vgpr143
.LBB143_21:
	v_lshl_add_u64 v[134:135], v[0:1], 3, s[20:21]
	v_mov_b32_e32 v0, 0x1000
	v_or_b32_e32 v149, 0x1000, v150
	v_or_b32_e32 v150, 0x3000, v150
	s_add_i32 s16, s16, -8
	v_lshl_add_u64 v[136:137], v[2:3], 3, s[22:23]
	v_lshl_add_u32 v151, v140, 5, v0
	v_add_u32_e32 v143, 0x3000, v152
	s_mov_b32 s17, 8
	s_mov_b32 s20, 0
	;; [unrolled: 1-line block ×3, first 2 shown]
.LBB143_22:                             ; =>This Loop Header: Depth=1
                                        ;     Child Loop BB143_28 Depth 2
                                        ;     Child Loop BB143_35 Depth 2
	s_mov_b64 s[6:7], -1
	s_mov_b64 vcc, s[4:5]
                                        ; implicit-def: $vgpr0_vgpr1_vgpr2_vgpr3
	s_cbranch_vccnz .LBB143_37
; %bb.23:                               ;   in Loop: Header=BB143_22 Depth=1
	v_mov_b64_e32 v[138:139], 0
	s_andn2_b64 vcc, exec, s[6:7]
	v_add_u32_e32 v152, s17, v142
	s_cbranch_vccz .LBB143_38
.LBB143_24:                             ;   in Loop: Header=BB143_22 Depth=1
	s_mov_b64 s[6:7], -1
	s_mov_b64 vcc, s[4:5]
                                        ; implicit-def: $vgpr2_vgpr3_vgpr4_vgpr5
	s_cbranch_vccnz .LBB143_39
.LBB143_25:                             ;   in Loop: Header=BB143_22 Depth=1
	s_andn2_b64 vcc, exec, s[6:7]
	v_mov_b64_e32 v[4:5], 0
	s_cbranch_vccnz .LBB143_27
.LBB143_26:                             ;   in Loop: Header=BB143_22 Depth=1
	v_mad_u64_u32 v[2:3], s[6:7], v152, s24, 0
	v_mov_b32_e32 v4, v3
	v_mad_u64_u32 v[4:5], s[6:7], v152, s25, v[4:5]
	v_mov_b32_e32 v3, v4
	v_lshl_add_u64 v[2:3], v[2:3], 3, v[136:137]
	flat_load_dwordx2 v[4:5], v[2:3]
	flat_load_dwordx2 v[152:153], v[2:3] offset:512
	s_waitcnt vmcnt(0) lgkmcnt(0)
	v_mul_f64 v[2:3], s[12:13], v[4:5]
	v_mul_f64 v[4:5], s[12:13], v[152:153]
.LBB143_27:                             ;   in Loop: Header=BB143_22 Depth=1
	s_mov_b32 s6, 0
.LBB143_28:                             ;   Parent Loop BB143_22 Depth=1
                                        ; =>  This Inner Loop Header: Depth=2
	v_add_u32_e32 v184, s6, v151
	v_add_u32_e32 v185, s6, v143
	ds_read2_b64 v[152:155], v184 offset1:16
	ds_read2_b64 v[156:159], v184 offset0:32 offset1:48
	ds_read2_b64 v[160:163], v184 offset0:64 offset1:80
	;; [unrolled: 1-line block ×7, first 2 shown]
	v_add_u32_e32 v216, 0x800, v184
	ds_read2st64_b64 v[184:187], v185 offset1:4
	ds_read2_b64 v[188:191], v216 offset1:16
	ds_read2_b64 v[192:195], v216 offset0:32 offset1:48
	ds_read2_b64 v[196:199], v216 offset0:64 offset1:80
	;; [unrolled: 1-line block ×7, first 2 shown]
	s_waitcnt lgkmcnt(14)
	v_max_f64 v[152:153], v[152:153], v[152:153]
	v_max_f64 v[154:155], v[154:155], v[154:155]
	;; [unrolled: 1-line block ×3, first 2 shown]
	s_waitcnt lgkmcnt(8)
	v_max_f64 v[184:185], v[184:185], v[184:185]
	v_max_f64 v[158:159], v[158:159], v[158:159]
	;; [unrolled: 1-line block ×15, first 2 shown]
	v_min_f64 v[220:221], v[152:153], v[184:185]
	v_min_f64 v[222:223], v[154:155], v[184:185]
	;; [unrolled: 1-line block ×16, first 2 shown]
	s_waitcnt lgkmcnt(7)
	v_max_f64 v[188:189], v[188:189], v[188:189]
	v_max_f64 v[190:191], v[190:191], v[190:191]
	s_waitcnt lgkmcnt(6)
	v_max_f64 v[192:193], v[192:193], v[192:193]
	v_max_f64 v[194:195], v[194:195], v[194:195]
	;; [unrolled: 3-line block ×8, first 2 shown]
	v_min_f64 v[152:153], v[152:153], v[186:187]
	v_min_f64 v[154:155], v[154:155], v[186:187]
	;; [unrolled: 1-line block ×16, first 2 shown]
	s_add_i32 s6, s6, 8
	v_add_f64 v[132:133], v[132:133], v[220:221]
	v_add_f64 v[130:131], v[130:131], v[222:223]
	;; [unrolled: 1-line block ×15, first 2 shown]
	v_min_f64 v[220:221], v[188:189], v[184:185]
	v_min_f64 v[222:223], v[190:191], v[184:185]
	;; [unrolled: 1-line block ×16, first 2 shown]
	v_add_f64 v[68:69], v[68:69], v[152:153]
	v_add_f64 v[66:67], v[66:67], v[154:155]
	;; [unrolled: 1-line block ×16, first 2 shown]
	v_min_f64 v[152:153], v[188:189], v[186:187]
	v_min_f64 v[154:155], v[190:191], v[186:187]
	;; [unrolled: 1-line block ×16, first 2 shown]
	s_cmp_eq_u32 s6, 32
	v_add_f64 v[102:103], v[102:103], v[250:251]
	v_add_f64 v[100:101], v[100:101], v[220:221]
	;; [unrolled: 1-line block ×33, first 2 shown]
	s_cbranch_scc0 .LBB143_28
; %bb.29:                               ;   in Loop: Header=BB143_22 Depth=1
	s_mov_b64 s[6:7], -1
	s_mov_b64 vcc, s[4:5]
	ds_write2st64_b64 v145, v[0:1], v[138:139] offset1:4
	ds_write2st64_b64 v146, v[2:3], v[4:5] offset1:4
	s_waitcnt lgkmcnt(0)
	s_barrier
                                        ; implicit-def: $vgpr0_vgpr1_vgpr2_vgpr3
	s_cbranch_vccnz .LBB143_40
; %bb.30:                               ;   in Loop: Header=BB143_22 Depth=1
	v_mov_b64_e32 v[138:139], 0
	s_andn2_b64 vcc, exec, s[6:7]
	v_add_u32_e32 v152, s17, v144
	s_cbranch_vccz .LBB143_41
.LBB143_31:                             ;   in Loop: Header=BB143_22 Depth=1
	s_mov_b64 s[6:7], -1
	s_mov_b64 vcc, s[4:5]
                                        ; implicit-def: $vgpr2_vgpr3_vgpr4_vgpr5
	s_cbranch_vccnz .LBB143_42
.LBB143_32:                             ;   in Loop: Header=BB143_22 Depth=1
	s_andn2_b64 vcc, exec, s[6:7]
	v_mov_b64_e32 v[4:5], 0
	s_cbranch_vccnz .LBB143_34
.LBB143_33:                             ;   in Loop: Header=BB143_22 Depth=1
	v_mad_u64_u32 v[2:3], s[6:7], v152, s24, 0
	v_mov_b32_e32 v4, v3
	v_mad_u64_u32 v[4:5], s[6:7], v152, s25, v[4:5]
	v_mov_b32_e32 v3, v4
	v_lshl_add_u64 v[2:3], v[2:3], 3, v[136:137]
	flat_load_dwordx2 v[4:5], v[2:3]
	flat_load_dwordx2 v[152:153], v[2:3] offset:512
	s_waitcnt vmcnt(0) lgkmcnt(0)
	v_mul_f64 v[2:3], s[12:13], v[4:5]
	v_mul_f64 v[4:5], s[12:13], v[152:153]
.LBB143_34:                             ;   in Loop: Header=BB143_22 Depth=1
	s_mov_b32 s6, 0
.LBB143_35:                             ;   Parent Loop BB143_22 Depth=1
                                        ; =>  This Inner Loop Header: Depth=2
	v_add_u32_e32 v184, s6, v147
	v_add_u32_e32 v185, s6, v148
	ds_read2_b64 v[152:155], v184 offset1:16
	ds_read2_b64 v[156:159], v184 offset0:32 offset1:48
	ds_read2_b64 v[160:163], v184 offset0:64 offset1:80
	;; [unrolled: 1-line block ×7, first 2 shown]
	v_add_u32_e32 v216, 0x800, v184
	ds_read2st64_b64 v[184:187], v185 offset1:4
	ds_read2_b64 v[188:191], v216 offset1:16
	ds_read2_b64 v[192:195], v216 offset0:32 offset1:48
	ds_read2_b64 v[196:199], v216 offset0:64 offset1:80
	;; [unrolled: 1-line block ×7, first 2 shown]
	s_waitcnt lgkmcnt(14)
	v_max_f64 v[152:153], v[152:153], v[152:153]
	v_max_f64 v[154:155], v[154:155], v[154:155]
	;; [unrolled: 1-line block ×3, first 2 shown]
	s_waitcnt lgkmcnt(8)
	v_max_f64 v[184:185], v[184:185], v[184:185]
	v_max_f64 v[158:159], v[158:159], v[158:159]
	;; [unrolled: 1-line block ×15, first 2 shown]
	v_min_f64 v[220:221], v[152:153], v[184:185]
	v_min_f64 v[222:223], v[154:155], v[184:185]
	;; [unrolled: 1-line block ×16, first 2 shown]
	s_waitcnt lgkmcnt(7)
	v_max_f64 v[188:189], v[188:189], v[188:189]
	v_max_f64 v[190:191], v[190:191], v[190:191]
	s_waitcnt lgkmcnt(6)
	v_max_f64 v[192:193], v[192:193], v[192:193]
	v_max_f64 v[194:195], v[194:195], v[194:195]
	;; [unrolled: 3-line block ×8, first 2 shown]
	v_min_f64 v[152:153], v[152:153], v[186:187]
	v_min_f64 v[154:155], v[154:155], v[186:187]
	;; [unrolled: 1-line block ×16, first 2 shown]
	s_add_i32 s6, s6, 8
	v_add_f64 v[132:133], v[132:133], v[220:221]
	v_add_f64 v[130:131], v[130:131], v[222:223]
	;; [unrolled: 1-line block ×15, first 2 shown]
	v_min_f64 v[220:221], v[188:189], v[184:185]
	v_min_f64 v[222:223], v[190:191], v[184:185]
	;; [unrolled: 1-line block ×16, first 2 shown]
	v_add_f64 v[68:69], v[68:69], v[152:153]
	v_add_f64 v[66:67], v[66:67], v[154:155]
	v_add_f64 v[64:65], v[64:65], v[156:157]
	v_add_f64 v[62:63], v[62:63], v[158:159]
	v_add_f64 v[60:61], v[60:61], v[160:161]
	v_add_f64 v[58:59], v[58:59], v[162:163]
	v_add_f64 v[56:57], v[56:57], v[164:165]
	v_add_f64 v[54:55], v[54:55], v[166:167]
	v_add_f64 v[52:53], v[52:53], v[168:169]
	v_add_f64 v[50:51], v[50:51], v[170:171]
	v_add_f64 v[48:49], v[48:49], v[172:173]
	v_add_f64 v[46:47], v[46:47], v[174:175]
	v_add_f64 v[44:45], v[44:45], v[176:177]
	v_add_f64 v[42:43], v[42:43], v[178:179]
	v_add_f64 v[40:41], v[40:41], v[180:181]
	v_add_f64 v[38:39], v[38:39], v[182:183]
	v_min_f64 v[152:153], v[188:189], v[186:187]
	v_min_f64 v[154:155], v[190:191], v[186:187]
	;; [unrolled: 1-line block ×16, first 2 shown]
	s_cmp_eq_u32 s6, 32
	v_add_f64 v[102:103], v[102:103], v[250:251]
	v_add_f64 v[100:101], v[100:101], v[220:221]
	;; [unrolled: 1-line block ×33, first 2 shown]
	s_cbranch_scc0 .LBB143_35
; %bb.36:                               ;   in Loop: Header=BB143_22 Depth=1
	s_add_i32 s17, s17, 8
	s_add_i32 s21, s21, 8
	s_cmp_ge_i32 s21, s16
	ds_write2st64_b64 v149, v[0:1], v[138:139] offset1:4
	ds_write2st64_b64 v150, v[2:3], v[4:5] offset1:4
	s_waitcnt lgkmcnt(0)
	s_barrier
	s_cbranch_scc0 .LBB143_22
	s_branch .LBB143_43
.LBB143_37:                             ;   in Loop: Header=BB143_22 Depth=1
	v_mov_b32_e32 v0, s20
	v_mov_b32_e32 v1, s20
	v_mov_b64_e32 v[138:139], 0
	v_add_u32_e32 v152, s17, v142
	s_cbranch_execnz .LBB143_24
.LBB143_38:                             ;   in Loop: Header=BB143_22 Depth=1
	v_mad_u64_u32 v[0:1], s[6:7], v152, s26, 0
	v_mov_b32_e32 v2, v1
	v_mad_u64_u32 v[2:3], s[6:7], v152, s27, v[2:3]
	v_mov_b32_e32 v1, v2
	v_lshl_add_u64 v[0:1], v[0:1], 3, v[134:135]
	flat_load_dwordx2 v[2:3], v[0:1]
	flat_load_dwordx2 v[4:5], v[0:1] offset:512
	s_waitcnt vmcnt(0) lgkmcnt(0)
	v_mul_f64 v[0:1], s[12:13], v[2:3]
	v_mul_f64 v[138:139], s[12:13], v[4:5]
	s_mov_b64 s[6:7], -1
	s_mov_b64 vcc, s[4:5]
                                        ; implicit-def: $vgpr2_vgpr3_vgpr4_vgpr5
	s_cbranch_vccz .LBB143_25
.LBB143_39:                             ;   in Loop: Header=BB143_22 Depth=1
	v_mov_b32_e32 v2, s20
	v_mov_b32_e32 v3, s20
	v_mov_b64_e32 v[4:5], 0
	s_cbranch_execz .LBB143_26
	s_branch .LBB143_27
.LBB143_40:                             ;   in Loop: Header=BB143_22 Depth=1
	v_mov_b32_e32 v0, s20
	v_mov_b32_e32 v1, s20
	v_mov_b64_e32 v[138:139], 0
	v_add_u32_e32 v152, s17, v144
	s_cbranch_execnz .LBB143_31
.LBB143_41:                             ;   in Loop: Header=BB143_22 Depth=1
	v_mad_u64_u32 v[0:1], s[6:7], v152, s26, 0
	v_mov_b32_e32 v2, v1
	v_mad_u64_u32 v[2:3], s[6:7], v152, s27, v[2:3]
	v_mov_b32_e32 v1, v2
	v_lshl_add_u64 v[0:1], v[0:1], 3, v[134:135]
	flat_load_dwordx2 v[2:3], v[0:1]
	flat_load_dwordx2 v[4:5], v[0:1] offset:512
	s_waitcnt vmcnt(0) lgkmcnt(0)
	v_mul_f64 v[0:1], s[12:13], v[2:3]
	v_mul_f64 v[138:139], s[12:13], v[4:5]
	s_mov_b64 s[6:7], -1
	s_mov_b64 vcc, s[4:5]
                                        ; implicit-def: $vgpr2_vgpr3_vgpr4_vgpr5
	s_cbranch_vccz .LBB143_32
.LBB143_42:                             ;   in Loop: Header=BB143_22 Depth=1
	v_mov_b32_e32 v2, s20
	v_mov_b32_e32 v3, s20
	v_mov_b64_e32 v[4:5], 0
	s_cbranch_execz .LBB143_33
	s_branch .LBB143_34
.LBB143_43:
	v_mov_b32_e32 v0, 0x1000
	v_lshl_add_u32 v0, v140, 5, v0
	s_mov_b32 s4, 0
.LBB143_44:                             ; =>This Inner Loop Header: Depth=1
	v_add_u32_e32 v1, s4, v0
	v_add_u32_e32 v138, s4, v143
	ds_read2_b64 v[2:5], v1 offset1:16
	ds_read2_b64 v[134:137], v1 offset0:32 offset1:48
	ds_read2_b64 v[144:147], v1 offset0:64 offset1:80
	;; [unrolled: 1-line block ×7, first 2 shown]
	v_add_u32_e32 v1, 0x800, v1
	ds_read2st64_b64 v[168:171], v138 offset1:4
	ds_read2_b64 v[172:175], v1 offset1:16
	ds_read2_b64 v[176:179], v1 offset0:32 offset1:48
	ds_read2_b64 v[180:183], v1 offset0:64 offset1:80
	;; [unrolled: 1-line block ×7, first 2 shown]
	s_waitcnt lgkmcnt(14)
	v_max_f64 v[2:3], v[2:3], v[2:3]
	v_max_f64 v[4:5], v[4:5], v[4:5]
	;; [unrolled: 1-line block ×3, first 2 shown]
	s_waitcnt lgkmcnt(8)
	v_max_f64 v[138:139], v[168:169], v[168:169]
	v_max_f64 v[136:137], v[136:137], v[136:137]
	;; [unrolled: 1-line block ×15, first 2 shown]
	v_min_f64 v[170:171], v[2:3], v[138:139]
	v_min_f64 v[204:205], v[4:5], v[138:139]
	;; [unrolled: 1-line block ×16, first 2 shown]
	s_waitcnt lgkmcnt(7)
	v_max_f64 v[172:173], v[172:173], v[172:173]
	v_max_f64 v[174:175], v[174:175], v[174:175]
	s_waitcnt lgkmcnt(6)
	v_max_f64 v[176:177], v[176:177], v[176:177]
	v_max_f64 v[178:179], v[178:179], v[178:179]
	;; [unrolled: 3-line block ×8, first 2 shown]
	v_min_f64 v[2:3], v[2:3], v[168:169]
	v_min_f64 v[4:5], v[4:5], v[168:169]
	;; [unrolled: 1-line block ×16, first 2 shown]
	s_add_i32 s4, s4, 8
	v_add_f64 v[132:133], v[132:133], v[170:171]
	v_add_f64 v[130:131], v[130:131], v[204:205]
	;; [unrolled: 1-line block ×15, first 2 shown]
	v_min_f64 v[170:171], v[172:173], v[138:139]
	v_min_f64 v[204:205], v[174:175], v[138:139]
	;; [unrolled: 1-line block ×16, first 2 shown]
	v_add_f64 v[68:69], v[68:69], v[2:3]
	v_add_f64 v[66:67], v[66:67], v[4:5]
	;; [unrolled: 1-line block ×16, first 2 shown]
	v_min_f64 v[2:3], v[172:173], v[168:169]
	v_min_f64 v[4:5], v[174:175], v[168:169]
	;; [unrolled: 1-line block ×16, first 2 shown]
	s_cmp_eq_u32 s4, 32
	v_add_f64 v[102:103], v[102:103], v[232:233]
	v_add_f64 v[100:101], v[100:101], v[170:171]
	;; [unrolled: 1-line block ×33, first 2 shown]
	s_cbranch_scc0 .LBB143_44
; %bb.45:
	s_load_dwordx2 s[6:7], s[0:1], 0x78
	s_load_dword s4, s[0:1], 0x58
	s_load_dword s5, s[0:1], 0x70
	v_add_u32_e32 v170, s19, v141
	v_add_u32_e32 v134, s18, v140
	s_waitcnt lgkmcnt(0)
	s_lshl_b64 s[0:1], s[6:7], 3
	s_add_u32 s0, s2, s0
	s_addc_u32 s1, s3, s1
	v_mad_i64_i32 v[2:3], s[2:3], v170, s5, 0
	v_add_u32_e32 v0, 4, v134
	v_lshl_add_u64 v[138:139], v[2:3], 3, s[0:1]
	v_mad_i64_i32 v[2:3], s[2:3], v170, s4, 0
	v_ashrrev_i32_e32 v135, 31, v134
	v_ashrrev_i32_e32 v1, 31, v0
	s_mov_b64 s[2:3], -1
	s_mov_b64 vcc, s[8:9]
	s_cbranch_vccz .LBB143_47
; %bb.46:
	v_add_f64 v[4:5], v[132:133], 0
	v_lshl_add_u64 v[136:137], v[134:135], 3, v[138:139]
	s_mov_b64 s[2:3], 0
	flat_store_dwordx2 v[136:137], v[4:5]
.LBB143_47:
	v_lshl_add_u64 v[146:147], v[2:3], 3, s[14:15]
	v_mov_b64_e32 v[4:5], 0
	s_andn2_b64 vcc, exec, s[2:3]
	v_lshlrev_b64 v[136:137], 3, v[134:135]
	s_cbranch_vccnz .LBB143_49
; %bb.48:
	v_lshl_add_u64 v[2:3], v[146:147], 0, v[136:137]
	flat_load_dwordx2 v[2:3], v[2:3]
	v_lshl_add_u64 v[4:5], v[138:139], 0, v[136:137]
	s_waitcnt vmcnt(0) lgkmcnt(0)
	v_fmac_f64_e32 v[132:133], s[10:11], v[2:3]
	flat_store_dwordx2 v[4:5], v[132:133]
	v_lshl_add_u64 v[2:3], v[0:1], 3, v[146:147]
	flat_load_dwordx2 v[2:3], v[2:3]
	s_waitcnt vmcnt(0) lgkmcnt(0)
	v_mul_f64 v[4:5], s[10:11], v[2:3]
.LBB143_49:
	v_add_u32_e32 v132, 8, v134
	v_add_u32_e32 v2, 12, v134
	v_ashrrev_i32_e32 v133, 31, v132
	v_ashrrev_i32_e32 v3, 31, v2
	v_add_f64 v[4:5], v[130:131], v[4:5]
	v_lshl_add_u64 v[130:131], v[0:1], 3, v[138:139]
	s_mov_b64 s[2:3], -1
	s_mov_b64 vcc, s[8:9]
	flat_store_dwordx2 v[130:131], v[4:5]
	s_cbranch_vccz .LBB143_51
; %bb.50:
	v_add_f64 v[4:5], v[128:129], 0
	v_lshl_add_u64 v[130:131], v[132:133], 3, v[138:139]
	s_mov_b64 s[2:3], 0
	flat_store_dwordx2 v[130:131], v[4:5]
.LBB143_51:
	v_mov_b64_e32 v[140:141], 0
	s_andn2_b64 vcc, exec, s[2:3]
	v_lshlrev_b64 v[130:131], 3, v[132:133]
	s_cbranch_vccnz .LBB143_53
; %bb.52:
	v_lshl_add_u64 v[4:5], v[146:147], 0, v[130:131]
	flat_load_dwordx2 v[4:5], v[4:5]
	v_lshl_add_u64 v[140:141], v[138:139], 0, v[130:131]
	s_waitcnt vmcnt(0) lgkmcnt(0)
	v_fmac_f64_e32 v[128:129], s[10:11], v[4:5]
	flat_store_dwordx2 v[140:141], v[128:129]
	v_lshl_add_u64 v[4:5], v[2:3], 3, v[146:147]
	flat_load_dwordx2 v[4:5], v[4:5]
	s_waitcnt vmcnt(0) lgkmcnt(0)
	v_mul_f64 v[140:141], s[10:11], v[4:5]
.LBB143_53:
	v_add_u32_e32 v128, 16, v134
	v_add_u32_e32 v4, 20, v134
	v_ashrrev_i32_e32 v129, 31, v128
	v_ashrrev_i32_e32 v5, 31, v4
	v_add_f64 v[126:127], v[126:127], v[140:141]
	v_lshl_add_u64 v[140:141], v[2:3], 3, v[138:139]
	s_mov_b64 s[2:3], -1
	s_mov_b64 vcc, s[8:9]
	flat_store_dwordx2 v[140:141], v[126:127]
	s_cbranch_vccz .LBB143_55
; %bb.54:
	v_add_f64 v[126:127], v[124:125], 0
	v_lshl_add_u64 v[140:141], v[128:129], 3, v[138:139]
	s_mov_b64 s[2:3], 0
	flat_store_dwordx2 v[140:141], v[126:127]
.LBB143_55:
	;; [unrolled: 32-line block ×15, first 2 shown]
	v_mov_b64_e32 v[168:169], 0
	s_andn2_b64 vcc, exec, s[2:3]
	v_lshlrev_b64 v[74:75], 3, v[78:79]
	s_cbranch_vccnz .LBB143_109
; %bb.108:
	v_lshl_add_u64 v[168:169], v[146:147], 0, v[74:75]
	flat_load_dwordx2 v[168:169], v[168:169]
	v_lshl_add_u64 v[172:173], v[138:139], 0, v[74:75]
	s_waitcnt vmcnt(0) lgkmcnt(0)
	v_fmac_f64_e32 v[72:73], s[10:11], v[168:169]
	flat_store_dwordx2 v[172:173], v[72:73]
	v_lshl_add_u64 v[72:73], v[76:77], 3, v[146:147]
	flat_load_dwordx2 v[72:73], v[72:73]
	s_waitcnt vmcnt(0) lgkmcnt(0)
	v_mul_f64 v[168:169], s[10:11], v[72:73]
.LBB143_109:
	v_add_f64 v[70:71], v[70:71], v[168:169]
	v_lshl_add_u64 v[72:73], v[76:77], 3, v[138:139]
	flat_store_dwordx2 v[72:73], v[70:71]
	v_add_u32_e32 v72, 64, v170
	v_mad_i64_i32 v[70:71], s[2:3], v72, s5, 0
	v_lshl_add_u64 v[70:71], v[70:71], 3, s[0:1]
	v_mad_i64_i32 v[72:73], s[0:1], v72, s4, 0
	s_mov_b64 s[0:1], -1
	s_mov_b64 vcc, s[8:9]
	s_cbranch_vccz .LBB143_111
; %bb.110:
	v_add_f64 v[138:139], v[68:69], 0
	v_lshl_add_u64 v[134:135], v[134:135], 3, v[70:71]
	s_mov_b64 s[0:1], 0
	flat_store_dwordx2 v[134:135], v[138:139]
.LBB143_111:
	v_lshl_add_u64 v[72:73], v[72:73], 3, s[14:15]
	s_andn2_b64 vcc, exec, s[0:1]
	v_mov_b64_e32 v[134:135], 0
	s_cbranch_vccnz .LBB143_113
; %bb.112:
	v_lshl_add_u64 v[134:135], v[72:73], 0, v[136:137]
	flat_load_dwordx2 v[134:135], v[134:135]
	v_lshl_add_u64 v[136:137], v[70:71], 0, v[136:137]
	s_waitcnt vmcnt(0) lgkmcnt(0)
	v_fmac_f64_e32 v[68:69], s[10:11], v[134:135]
	flat_store_dwordx2 v[136:137], v[68:69]
	v_lshl_add_u64 v[68:69], v[0:1], 3, v[72:73]
	flat_load_dwordx2 v[68:69], v[68:69]
	s_waitcnt vmcnt(0) lgkmcnt(0)
	v_mul_f64 v[134:135], s[10:11], v[68:69]
.LBB143_113:
	v_add_f64 v[66:67], v[66:67], v[134:135]
	v_lshl_add_u64 v[0:1], v[0:1], 3, v[70:71]
	s_mov_b64 s[0:1], -1
	s_mov_b64 vcc, s[8:9]
	flat_store_dwordx2 v[0:1], v[66:67]
	s_cbranch_vccz .LBB143_115
; %bb.114:
	v_add_f64 v[0:1], v[64:65], 0
	v_lshl_add_u64 v[66:67], v[132:133], 3, v[70:71]
	s_mov_b64 s[0:1], 0
	flat_store_dwordx2 v[66:67], v[0:1]
.LBB143_115:
	s_andn2_b64 vcc, exec, s[0:1]
	v_mov_b64_e32 v[0:1], 0
	s_cbranch_vccnz .LBB143_117
; %bb.116:
	v_lshl_add_u64 v[0:1], v[72:73], 0, v[130:131]
	flat_load_dwordx2 v[0:1], v[0:1]
	v_lshl_add_u64 v[66:67], v[70:71], 0, v[130:131]
	s_waitcnt vmcnt(0) lgkmcnt(0)
	v_fmac_f64_e32 v[64:65], s[10:11], v[0:1]
	flat_store_dwordx2 v[66:67], v[64:65]
	v_lshl_add_u64 v[0:1], v[2:3], 3, v[72:73]
	flat_load_dwordx2 v[0:1], v[0:1]
	s_waitcnt vmcnt(0) lgkmcnt(0)
	v_mul_f64 v[0:1], s[10:11], v[0:1]
.LBB143_117:
	v_add_f64 v[0:1], v[62:63], v[0:1]
	v_lshl_add_u64 v[2:3], v[2:3], 3, v[70:71]
	s_mov_b64 s[0:1], -1
	s_mov_b64 vcc, s[8:9]
	flat_store_dwordx2 v[2:3], v[0:1]
	s_cbranch_vccz .LBB143_119
; %bb.118:
	v_add_f64 v[0:1], v[60:61], 0
	v_lshl_add_u64 v[2:3], v[128:129], 3, v[70:71]
	s_mov_b64 s[0:1], 0
	flat_store_dwordx2 v[2:3], v[0:1]
.LBB143_119:
	;; [unrolled: 27-line block ×14, first 2 shown]
	s_andn2_b64 vcc, exec, s[0:1]
	v_mov_b64_e32 v[0:1], 0
	s_cbranch_vccnz .LBB143_169
; %bb.168:
	v_lshl_add_u64 v[0:1], v[72:73], 0, v[166:167]
	flat_load_dwordx2 v[0:1], v[0:1]
	v_lshl_add_u64 v[2:3], v[70:71], 0, v[166:167]
	s_waitcnt vmcnt(0) lgkmcnt(0)
	v_fmac_f64_e32 v[12:13], s[10:11], v[0:1]
	flat_store_dwordx2 v[2:3], v[12:13]
	v_lshl_add_u64 v[0:1], v[80:81], 3, v[72:73]
	flat_load_dwordx2 v[0:1], v[0:1]
	s_waitcnt vmcnt(0) lgkmcnt(0)
	v_mul_f64 v[0:1], s[10:11], v[0:1]
.LBB143_169:
	v_add_f64 v[0:1], v[10:11], v[0:1]
	v_lshl_add_u64 v[2:3], v[80:81], 3, v[70:71]
	s_mov_b64 s[0:1], -1
	s_mov_b64 vcc, s[8:9]
	flat_store_dwordx2 v[2:3], v[0:1]
	s_cbranch_vccnz .LBB143_172
; %bb.170:
	s_andn2_b64 vcc, exec, s[0:1]
	v_mov_b64_e32 v[0:1], 0
	s_cbranch_vccz .LBB143_173
.LBB143_171:
	v_add_f64 v[0:1], v[6:7], v[0:1]
	v_lshl_add_u64 v[2:3], v[76:77], 3, v[70:71]
	flat_store_dwordx2 v[2:3], v[0:1]
	s_endpgm
.LBB143_172:
	v_add_f64 v[0:1], v[8:9], 0
	v_lshl_add_u64 v[2:3], v[78:79], 3, v[70:71]
	flat_store_dwordx2 v[2:3], v[0:1]
	v_mov_b64_e32 v[0:1], 0
	s_cbranch_execnz .LBB143_171
.LBB143_173:
	v_lshl_add_u64 v[0:1], v[72:73], 0, v[74:75]
	flat_load_dwordx2 v[0:1], v[0:1]
	v_lshl_add_u64 v[2:3], v[70:71], 0, v[74:75]
	s_waitcnt vmcnt(0) lgkmcnt(0)
	v_fmac_f64_e32 v[8:9], s[10:11], v[0:1]
	flat_store_dwordx2 v[2:3], v[8:9]
	v_lshl_add_u64 v[0:1], v[76:77], 3, v[72:73]
	flat_load_dwordx2 v[0:1], v[0:1]
	s_waitcnt vmcnt(0) lgkmcnt(0)
	v_mul_f64 v[0:1], s[10:11], v[0:1]
	v_add_f64 v[0:1], v[6:7], v[0:1]
	v_lshl_add_u64 v[2:3], v[76:77], 3, v[70:71]
	flat_store_dwordx2 v[2:3], v[0:1]
	s_endpgm
	.section	.rodata,"a",@progbits
	.p2align	6, 0x0
	.amdhsa_kernel _ZN12_GLOBAL__N_120geam_min_plus_kernelIdddLi4ELi64ELi128ELi128ELi4ELi64ELi4ELi64ELi4ELc78ELc84ELb0ELb0ELb0EdKPKdKPdEEviiiT16_PT17_ilS8_ilS6_S8_ilPT18_ili26rocblas_geam_ex_operation_
		.amdhsa_group_segment_fixed_size 16384
		.amdhsa_private_segment_fixed_size 0
		.amdhsa_kernarg_size 136
		.amdhsa_user_sgpr_count 2
		.amdhsa_user_sgpr_dispatch_ptr 0
		.amdhsa_user_sgpr_queue_ptr 0
		.amdhsa_user_sgpr_kernarg_segment_ptr 1
		.amdhsa_user_sgpr_dispatch_id 0
		.amdhsa_user_sgpr_kernarg_preload_length 0
		.amdhsa_user_sgpr_kernarg_preload_offset 0
		.amdhsa_user_sgpr_private_segment_size 0
		.amdhsa_uses_dynamic_stack 0
		.amdhsa_enable_private_segment 0
		.amdhsa_system_sgpr_workgroup_id_x 1
		.amdhsa_system_sgpr_workgroup_id_y 0
		.amdhsa_system_sgpr_workgroup_id_z 1
		.amdhsa_system_sgpr_workgroup_info 0
		.amdhsa_system_vgpr_workitem_id 1
		.amdhsa_next_free_vgpr 252
		.amdhsa_next_free_sgpr 28
		.amdhsa_accum_offset 252
		.amdhsa_reserve_vcc 1
		.amdhsa_float_round_mode_32 0
		.amdhsa_float_round_mode_16_64 0
		.amdhsa_float_denorm_mode_32 3
		.amdhsa_float_denorm_mode_16_64 3
		.amdhsa_dx10_clamp 1
		.amdhsa_ieee_mode 1
		.amdhsa_fp16_overflow 0
		.amdhsa_tg_split 0
		.amdhsa_exception_fp_ieee_invalid_op 0
		.amdhsa_exception_fp_denorm_src 0
		.amdhsa_exception_fp_ieee_div_zero 0
		.amdhsa_exception_fp_ieee_overflow 0
		.amdhsa_exception_fp_ieee_underflow 0
		.amdhsa_exception_fp_ieee_inexact 0
		.amdhsa_exception_int_div_zero 0
	.end_amdhsa_kernel
	.section	.text._ZN12_GLOBAL__N_120geam_min_plus_kernelIdddLi4ELi64ELi128ELi128ELi4ELi64ELi4ELi64ELi4ELc78ELc84ELb0ELb0ELb0EdKPKdKPdEEviiiT16_PT17_ilS8_ilS6_S8_ilPT18_ili26rocblas_geam_ex_operation_,"axG",@progbits,_ZN12_GLOBAL__N_120geam_min_plus_kernelIdddLi4ELi64ELi128ELi128ELi4ELi64ELi4ELi64ELi4ELc78ELc84ELb0ELb0ELb0EdKPKdKPdEEviiiT16_PT17_ilS8_ilS6_S8_ilPT18_ili26rocblas_geam_ex_operation_,comdat
.Lfunc_end143:
	.size	_ZN12_GLOBAL__N_120geam_min_plus_kernelIdddLi4ELi64ELi128ELi128ELi4ELi64ELi4ELi64ELi4ELc78ELc84ELb0ELb0ELb0EdKPKdKPdEEviiiT16_PT17_ilS8_ilS6_S8_ilPT18_ili26rocblas_geam_ex_operation_, .Lfunc_end143-_ZN12_GLOBAL__N_120geam_min_plus_kernelIdddLi4ELi64ELi128ELi128ELi4ELi64ELi4ELi64ELi4ELc78ELc84ELb0ELb0ELb0EdKPKdKPdEEviiiT16_PT17_ilS8_ilS6_S8_ilPT18_ili26rocblas_geam_ex_operation_
                                        ; -- End function
	.set _ZN12_GLOBAL__N_120geam_min_plus_kernelIdddLi4ELi64ELi128ELi128ELi4ELi64ELi4ELi64ELi4ELc78ELc84ELb0ELb0ELb0EdKPKdKPdEEviiiT16_PT17_ilS8_ilS6_S8_ilPT18_ili26rocblas_geam_ex_operation_.num_vgpr, 252
	.set _ZN12_GLOBAL__N_120geam_min_plus_kernelIdddLi4ELi64ELi128ELi128ELi4ELi64ELi4ELi64ELi4ELc78ELc84ELb0ELb0ELb0EdKPKdKPdEEviiiT16_PT17_ilS8_ilS6_S8_ilPT18_ili26rocblas_geam_ex_operation_.num_agpr, 0
	.set _ZN12_GLOBAL__N_120geam_min_plus_kernelIdddLi4ELi64ELi128ELi128ELi4ELi64ELi4ELi64ELi4ELc78ELc84ELb0ELb0ELb0EdKPKdKPdEEviiiT16_PT17_ilS8_ilS6_S8_ilPT18_ili26rocblas_geam_ex_operation_.numbered_sgpr, 28
	.set _ZN12_GLOBAL__N_120geam_min_plus_kernelIdddLi4ELi64ELi128ELi128ELi4ELi64ELi4ELi64ELi4ELc78ELc84ELb0ELb0ELb0EdKPKdKPdEEviiiT16_PT17_ilS8_ilS6_S8_ilPT18_ili26rocblas_geam_ex_operation_.num_named_barrier, 0
	.set _ZN12_GLOBAL__N_120geam_min_plus_kernelIdddLi4ELi64ELi128ELi128ELi4ELi64ELi4ELi64ELi4ELc78ELc84ELb0ELb0ELb0EdKPKdKPdEEviiiT16_PT17_ilS8_ilS6_S8_ilPT18_ili26rocblas_geam_ex_operation_.private_seg_size, 0
	.set _ZN12_GLOBAL__N_120geam_min_plus_kernelIdddLi4ELi64ELi128ELi128ELi4ELi64ELi4ELi64ELi4ELc78ELc84ELb0ELb0ELb0EdKPKdKPdEEviiiT16_PT17_ilS8_ilS6_S8_ilPT18_ili26rocblas_geam_ex_operation_.uses_vcc, 1
	.set _ZN12_GLOBAL__N_120geam_min_plus_kernelIdddLi4ELi64ELi128ELi128ELi4ELi64ELi4ELi64ELi4ELc78ELc84ELb0ELb0ELb0EdKPKdKPdEEviiiT16_PT17_ilS8_ilS6_S8_ilPT18_ili26rocblas_geam_ex_operation_.uses_flat_scratch, 0
	.set _ZN12_GLOBAL__N_120geam_min_plus_kernelIdddLi4ELi64ELi128ELi128ELi4ELi64ELi4ELi64ELi4ELc78ELc84ELb0ELb0ELb0EdKPKdKPdEEviiiT16_PT17_ilS8_ilS6_S8_ilPT18_ili26rocblas_geam_ex_operation_.has_dyn_sized_stack, 0
	.set _ZN12_GLOBAL__N_120geam_min_plus_kernelIdddLi4ELi64ELi128ELi128ELi4ELi64ELi4ELi64ELi4ELc78ELc84ELb0ELb0ELb0EdKPKdKPdEEviiiT16_PT17_ilS8_ilS6_S8_ilPT18_ili26rocblas_geam_ex_operation_.has_recursion, 0
	.set _ZN12_GLOBAL__N_120geam_min_plus_kernelIdddLi4ELi64ELi128ELi128ELi4ELi64ELi4ELi64ELi4ELc78ELc84ELb0ELb0ELb0EdKPKdKPdEEviiiT16_PT17_ilS8_ilS6_S8_ilPT18_ili26rocblas_geam_ex_operation_.has_indirect_call, 0
	.section	.AMDGPU.csdata,"",@progbits
; Kernel info:
; codeLenInByte = 13064
; TotalNumSgprs: 34
; NumVgprs: 252
; NumAgprs: 0
; TotalNumVgprs: 252
; ScratchSize: 0
; MemoryBound: 0
; FloatMode: 240
; IeeeMode: 1
; LDSByteSize: 16384 bytes/workgroup (compile time only)
; SGPRBlocks: 4
; VGPRBlocks: 31
; NumSGPRsForWavesPerEU: 34
; NumVGPRsForWavesPerEU: 252
; AccumOffset: 252
; Occupancy: 2
; WaveLimiterHint : 1
; COMPUTE_PGM_RSRC2:SCRATCH_EN: 0
; COMPUTE_PGM_RSRC2:USER_SGPR: 2
; COMPUTE_PGM_RSRC2:TRAP_HANDLER: 0
; COMPUTE_PGM_RSRC2:TGID_X_EN: 1
; COMPUTE_PGM_RSRC2:TGID_Y_EN: 0
; COMPUTE_PGM_RSRC2:TGID_Z_EN: 1
; COMPUTE_PGM_RSRC2:TIDIG_COMP_CNT: 1
; COMPUTE_PGM_RSRC3_GFX90A:ACCUM_OFFSET: 62
; COMPUTE_PGM_RSRC3_GFX90A:TG_SPLIT: 0
	.section	.text._ZN12_GLOBAL__N_120geam_min_plus_kernelIdddLi4ELi64ELi128ELi128ELi4ELi64ELi4ELi64ELi4ELc78ELc84ELb0ELb1ELb0EPKdKS2_KPdEEviiiT16_PT17_ilS8_ilS6_S8_ilPT18_ili26rocblas_geam_ex_operation_,"axG",@progbits,_ZN12_GLOBAL__N_120geam_min_plus_kernelIdddLi4ELi64ELi128ELi128ELi4ELi64ELi4ELi64ELi4ELc78ELc84ELb0ELb1ELb0EPKdKS2_KPdEEviiiT16_PT17_ilS8_ilS6_S8_ilPT18_ili26rocblas_geam_ex_operation_,comdat
	.globl	_ZN12_GLOBAL__N_120geam_min_plus_kernelIdddLi4ELi64ELi128ELi128ELi4ELi64ELi4ELi64ELi4ELc78ELc84ELb0ELb1ELb0EPKdKS2_KPdEEviiiT16_PT17_ilS8_ilS6_S8_ilPT18_ili26rocblas_geam_ex_operation_ ; -- Begin function _ZN12_GLOBAL__N_120geam_min_plus_kernelIdddLi4ELi64ELi128ELi128ELi4ELi64ELi4ELi64ELi4ELc78ELc84ELb0ELb1ELb0EPKdKS2_KPdEEviiiT16_PT17_ilS8_ilS6_S8_ilPT18_ili26rocblas_geam_ex_operation_
	.p2align	8
	.type	_ZN12_GLOBAL__N_120geam_min_plus_kernelIdddLi4ELi64ELi128ELi128ELi4ELi64ELi4ELi64ELi4ELc78ELc84ELb0ELb1ELb0EPKdKS2_KPdEEviiiT16_PT17_ilS8_ilS6_S8_ilPT18_ili26rocblas_geam_ex_operation_,@function
_ZN12_GLOBAL__N_120geam_min_plus_kernelIdddLi4ELi64ELi128ELi128ELi4ELi64ELi4ELi64ELi4ELc78ELc84ELb0ELb1ELb0EPKdKS2_KPdEEviiiT16_PT17_ilS8_ilS6_S8_ilPT18_ili26rocblas_geam_ex_operation_: ; @_ZN12_GLOBAL__N_120geam_min_plus_kernelIdddLi4ELi64ELi128ELi128ELi4ELi64ELi4ELi64ELi4ELc78ELc84ELb0ELb1ELb0EPKdKS2_KPdEEviiiT16_PT17_ilS8_ilS6_S8_ilPT18_ili26rocblas_geam_ex_operation_
; %bb.0:
	s_load_dwordx4 s[12:15], s[0:1], 0x10
	s_load_dwordx4 s[8:11], s[0:1], 0x28
	;; [unrolled: 1-line block ×3, first 2 shown]
	s_mov_b32 s16, s3
	s_mov_b32 s17, 0
	s_lshl_b64 s[22:23], s[16:17], 3
	s_waitcnt lgkmcnt(0)
	s_add_u32 s18, s12, s22
	s_addc_u32 s19, s13, s23
	s_load_dwordx2 s[16:17], s[18:19], 0x0
	s_load_dwordx2 s[12:13], s[0:1], 0x50
	s_add_u32 s6, s6, s22
	s_addc_u32 s7, s7, s23
	s_mov_b64 s[18:19], 0
	s_waitcnt lgkmcnt(0)
	v_cmp_eq_f64_e64 s[20:21], s[16:17], 0
	v_cmp_neq_f64_e64 s[24:25], s[16:17], 0
	s_and_b64 vcc, exec, s[20:21]
	s_mov_b64 s[20:21], 0
	s_cbranch_vccnz .LBB144_2
; %bb.1:
	s_add_u32 s14, s14, s22
	s_addc_u32 s15, s15, s23
	s_load_dwordx2 s[14:15], s[14:15], 0x0
	s_lshl_b64 s[8:9], s[8:9], 3
	s_waitcnt lgkmcnt(0)
	s_add_u32 s20, s14, s8
	s_addc_u32 s21, s15, s9
.LBB144_2:
	s_load_dwordx2 s[70:71], s[6:7], 0x0
	s_andn2_b64 vcc, exec, s[24:25]
	s_cbranch_vccnz .LBB144_4
; %bb.3:
	s_add_u32 s6, s10, s22
	s_addc_u32 s7, s11, s23
	s_load_dwordx2 s[6:7], s[6:7], 0x0
	s_lshl_b64 s[4:5], s[4:5], 3
	s_waitcnt lgkmcnt(0)
	s_add_u32 s18, s6, s4
	s_addc_u32 s19, s7, s5
.LBB144_4:
	s_load_dwordx4 s[4:7], s[0:1], 0x60
	s_waitcnt lgkmcnt(0)
	v_cmp_eq_f64_e64 s[8:9], s[70:71], 0
	s_mov_b64 s[76:77], 0
	v_cmp_neq_f64_e64 s[10:11], s[70:71], 0
	s_and_b64 vcc, exec, s[8:9]
	s_cbranch_vccnz .LBB144_6
; %bb.5:
	s_add_u32 s8, s12, s22
	s_addc_u32 s9, s13, s23
	s_load_dwordx2 s[8:9], s[8:9], 0x0
	s_lshl_b64 s[4:5], s[4:5], 3
	s_waitcnt lgkmcnt(0)
	s_add_u32 s76, s8, s4
	s_addc_u32 s77, s9, s5
.LBB144_6:
	s_load_dwordx4 s[72:75], s[0:1], 0x0
	s_load_dword s26, s[0:1], 0x20
	s_add_u32 s12, s6, s22
	s_addc_u32 s13, s7, s23
	v_and_b32_e32 v142, 0x3ff, v0
	s_waitcnt lgkmcnt(0)
	s_add_i32 s3, s72, -1
	s_ashr_i32 s4, s3, 31
	s_lshr_b32 s4, s4, 25
	s_add_i32 s3, s3, s4
	s_ashr_i32 s3, s3, 7
	s_add_i32 s4, s3, 1
	v_cvt_f32_u32_e32 v1, s4
	s_not_b32 s3, s3
	v_bfe_u32 v143, v0, 10, 10
	v_lshl_add_u32 v0, v143, 2, v142
	v_rcp_iflag_f32_e32 v1, v1
	v_lshrrev_b32_e32 v144, 6, v0
	v_and_b32_e32 v140, 63, v0
	v_cmp_le_i32_e32 vcc, s74, v144
	v_mul_f32_e32 v1, 0x4f7ffffe, v1
	v_cvt_u32_f32_e32 v1, v1
	v_cmp_eq_f64_e64 s[14:15], s[16:17], 0
	v_readfirstlane_b32 s5, v1
	s_mul_i32 s3, s3, s5
	s_mul_hi_u32 s3, s5, s3
	s_add_i32 s5, s5, s3
	s_mul_hi_u32 s3, s2, s5
	s_mul_i32 s5, s3, s4
	s_sub_i32 s5, s2, s5
	s_add_i32 s6, s3, 1
	s_sub_i32 s7, s5, s4
	s_cmp_ge_u32 s5, s4
	s_cselect_b32 s3, s6, s3
	s_cselect_b32 s5, s7, s5
	s_add_i32 s6, s3, 1
	s_cmp_ge_u32 s5, s4
	s_cselect_b32 s8, s6, s3
	s_mul_i32 s3, s8, s4
	s_add_i32 s27, s74, -1
	s_sub_i32 s2, s2, s3
	s_lshl_b32 s24, s2, 7
	v_min_i32_e32 v6, s27, v144
	v_or_b32_e32 v128, s24, v140
	v_mad_i64_i32 v[2:3], s[2:3], s26, v6, 0
	v_cmp_le_i32_e64 s[2:3], s72, v128
	s_or_b64 s[4:5], s[2:3], vcc
	v_mov_b64_e32 v[0:1], 0
	v_lshl_add_u64 v[4:5], v[2:3], 3, s[20:21]
	s_nor_b64 s[6:7], s[14:15], s[4:5]
	v_ashrrev_i32_e32 v129, 31, v128
	v_mov_b64_e32 v[2:3], 0
	s_and_saveexec_b64 s[4:5], s[6:7]
	s_cbranch_execz .LBB144_8
; %bb.7:
	v_lshl_add_u64 v[2:3], v[128:129], 3, v[4:5]
	flat_load_dwordx2 v[2:3], v[2:3]
	s_waitcnt vmcnt(0) lgkmcnt(0)
	v_mul_f64 v[2:3], s[16:17], v[2:3]
.LBB144_8:
	s_or_b64 exec, exec, s[4:5]
	v_or_b32_e32 v7, 64, v128
	v_cmp_le_i32_e64 s[4:5], s72, v7
	s_or_b64 s[6:7], s[4:5], vcc
	s_nor_b64 s[22:23], s[14:15], s[6:7]
	s_and_saveexec_b64 s[6:7], s[22:23]
	s_cbranch_execz .LBB144_10
; %bb.9:
	v_lshl_add_u64 v[0:1], v[128:129], 3, v[4:5]
	flat_load_dwordx2 v[0:1], v[0:1] offset:512
	s_waitcnt vmcnt(0) lgkmcnt(0)
	v_mul_f64 v[0:1], s[16:17], v[0:1]
.LBB144_10:
	s_or_b64 exec, exec, s[6:7]
	s_load_dword s28, s[0:1], 0x38
	s_lshl_b32 s25, s8, 7
	v_or_b32_e32 v130, s25, v140
	v_cmp_le_i32_e64 s[6:7], s73, v130
	v_ashrrev_i32_e32 v131, 31, v130
	s_waitcnt lgkmcnt(0)
	v_mad_i64_i32 v[4:5], s[8:9], s28, v6, 0
	s_or_b64 s[8:9], s[6:7], vcc
	v_lshl_add_u64 v[8:9], v[4:5], 3, s[18:19]
	s_nor_b64 s[22:23], s[14:15], s[8:9]
	v_mov_b64_e32 v[4:5], 0
	v_mov_b64_e32 v[6:7], 0
	s_and_saveexec_b64 s[8:9], s[22:23]
	s_cbranch_execz .LBB144_12
; %bb.11:
	v_lshl_add_u64 v[6:7], v[130:131], 3, v[8:9]
	flat_load_dwordx2 v[6:7], v[6:7]
	s_waitcnt vmcnt(0) lgkmcnt(0)
	v_mul_f64 v[6:7], s[16:17], v[6:7]
.LBB144_12:
	s_or_b64 exec, exec, s[8:9]
	v_or_b32_e32 v10, 64, v130
	v_cmp_le_i32_e64 s[8:9], s73, v10
	s_or_b64 s[22:23], s[8:9], vcc
	s_nor_b64 s[30:31], s[14:15], s[22:23]
	s_and_saveexec_b64 s[22:23], s[30:31]
	s_cbranch_execz .LBB144_14
; %bb.13:
	v_lshl_add_u64 v[4:5], v[130:131], 3, v[8:9]
	flat_load_dwordx2 v[4:5], v[4:5] offset:512
	s_waitcnt vmcnt(0) lgkmcnt(0)
	v_mul_f64 v[4:5], s[16:17], v[4:5]
.LBB144_14:
	s_or_b64 exec, exec, s[22:23]
	v_add_u32_e32 v8, 4, v144
	v_min_i32_e32 v10, s27, v8
	v_cmp_le_i32_e32 vcc, s74, v8
	v_mad_i64_i32 v[8:9], s[22:23], s26, v10, 0
	s_or_b64 s[22:23], s[2:3], vcc
	v_lshl_add_u64 v[8:9], v[8:9], 3, s[20:21]
	s_nor_b64 s[30:31], s[14:15], s[22:23]
	v_mov_b64_e32 v[132:133], 0
	v_mov_b64_e32 v[134:135], 0
	s_and_saveexec_b64 s[22:23], s[30:31]
	s_cbranch_execz .LBB144_16
; %bb.15:
	v_lshl_add_u64 v[12:13], v[128:129], 3, v[8:9]
	flat_load_dwordx2 v[12:13], v[12:13]
	s_waitcnt vmcnt(0) lgkmcnt(0)
	v_mul_f64 v[134:135], s[16:17], v[12:13]
.LBB144_16:
	s_or_b64 exec, exec, s[22:23]
	s_or_b64 s[22:23], s[4:5], vcc
	s_nor_b64 s[30:31], s[14:15], s[22:23]
	s_and_saveexec_b64 s[22:23], s[30:31]
	s_cbranch_execz .LBB144_18
; %bb.17:
	v_lshl_add_u64 v[8:9], v[128:129], 3, v[8:9]
	flat_load_dwordx2 v[8:9], v[8:9] offset:512
	s_waitcnt vmcnt(0) lgkmcnt(0)
	v_mul_f64 v[132:133], s[16:17], v[8:9]
.LBB144_18:
	s_or_b64 exec, exec, s[22:23]
	v_mad_i64_i32 v[8:9], s[22:23], s28, v10, 0
	s_or_b64 s[22:23], s[6:7], vcc
	v_lshl_add_u64 v[8:9], v[8:9], 3, s[18:19]
	s_nor_b64 s[30:31], s[14:15], s[22:23]
	v_mov_b64_e32 v[136:137], 0
	v_mov_b64_e32 v[138:139], 0
	s_and_saveexec_b64 s[22:23], s[30:31]
	s_cbranch_execz .LBB144_20
; %bb.19:
	v_lshl_add_u64 v[10:11], v[130:131], 3, v[8:9]
	flat_load_dwordx2 v[10:11], v[10:11]
	s_waitcnt vmcnt(0) lgkmcnt(0)
	v_mul_f64 v[138:139], s[16:17], v[10:11]
.LBB144_20:
	s_or_b64 exec, exec, s[22:23]
	s_load_dwordx2 s[12:13], s[12:13], 0x0
	s_or_b64 s[22:23], s[8:9], vcc
	s_nor_b64 s[30:31], s[14:15], s[22:23]
	s_and_saveexec_b64 s[22:23], s[30:31]
	s_cbranch_execz .LBB144_22
; %bb.21:
	v_lshl_add_u64 v[8:9], v[130:131], 3, v[8:9]
	flat_load_dwordx2 v[8:9], v[8:9] offset:512
	s_waitcnt vmcnt(0) lgkmcnt(0)
	v_mul_f64 v[136:137], s[16:17], v[8:9]
.LBB144_22:
	s_or_b64 exec, exec, s[22:23]
	v_lshlrev_b32_e32 v8, 5, v140
	v_lshl_add_u32 v146, v144, 3, v8
	v_lshlrev_b32_e32 v141, 5, v143
	ds_write2st64_b64 v146, v[2:3], v[0:1] offset1:4
	v_or_b32_e32 v147, 0x2000, v146
	ds_write2st64_b64 v146, v[6:7], v[4:5] offset0:16 offset1:20
	v_lshlrev_b32_e32 v148, 5, v142
	v_add_u32_e32 v149, 0x2000, v141
	v_mov_b64_e32 v[126:127], 0
	s_mov_b32 s22, 0
	v_mov_b64_e32 v[124:125], 0
	v_mov_b64_e32 v[122:123], 0
	;; [unrolled: 1-line block ×63, first 2 shown]
	s_waitcnt lgkmcnt(0)
	s_barrier
.LBB144_23:                             ; =>This Inner Loop Header: Depth=1
	v_add_u32_e32 v145, s22, v148
	v_add_u32_e32 v182, s22, v149
	ds_read2_b64 v[150:153], v145 offset1:16
	ds_read2_b64 v[154:157], v145 offset0:32 offset1:48
	ds_read2_b64 v[158:161], v145 offset0:64 offset1:80
	;; [unrolled: 1-line block ×7, first 2 shown]
	ds_read2st64_b64 v[182:185], v182 offset1:4
	v_add_u32_e32 v145, 0x800, v145
	ds_read2_b64 v[186:189], v145 offset1:16
	ds_read2_b64 v[190:193], v145 offset0:32 offset1:48
	ds_read2_b64 v[194:197], v145 offset0:64 offset1:80
	;; [unrolled: 1-line block ×7, first 2 shown]
	s_waitcnt lgkmcnt(14)
	v_max_f64 v[150:151], v[150:151], v[150:151]
	v_max_f64 v[152:153], v[152:153], v[152:153]
	;; [unrolled: 1-line block ×6, first 2 shown]
	s_waitcnt lgkmcnt(13)
	v_max_f64 v[162:163], v[162:163], v[162:163]
	v_max_f64 v[164:165], v[164:165], v[164:165]
	s_waitcnt lgkmcnt(12)
	v_max_f64 v[166:167], v[166:167], v[166:167]
	v_max_f64 v[168:169], v[168:169], v[168:169]
	;; [unrolled: 3-line block ×14, first 2 shown]
	v_min_f64 v[218:219], v[150:151], v[182:183]
	v_min_f64 v[220:221], v[152:153], v[182:183]
	;; [unrolled: 1-line block ×32, first 2 shown]
	s_add_i32 s22, s22, 8
	v_add_f64 v[62:63], v[62:63], v[150:151]
	v_add_f64 v[60:61], v[60:61], v[152:153]
	;; [unrolled: 1-line block ×16, first 2 shown]
	v_min_f64 v[150:151], v[186:187], v[182:183]
	v_min_f64 v[152:153], v[188:189], v[182:183]
	;; [unrolled: 1-line block ×32, first 2 shown]
	s_cmp_eq_u32 s22, 32
	v_add_f64 v[126:127], v[126:127], v[218:219]
	v_add_f64 v[124:125], v[124:125], v[220:221]
	;; [unrolled: 1-line block ×48, first 2 shown]
	s_cbranch_scc0 .LBB144_23
; %bb.24:
	v_lshlrev_b32_e32 v145, 3, v144
	v_lshl_add_u32 v140, v140, 5, v145
	s_cmp_gt_i32 s74, 8
	ds_write2st64_b64 v140, v[134:135], v[132:133] offset0:8 offset1:12
	ds_write2st64_b64 v140, v[138:139], v[136:137] offset0:24 offset1:28
	s_waitcnt lgkmcnt(0)
	s_barrier
	s_cbranch_scc1 .LBB144_26
; %bb.25:
	v_add_u32_e32 v145, 0x3000, v141
	s_cbranch_execz .LBB144_27
	s_branch .LBB144_49
.LBB144_26:
                                        ; implicit-def: $vgpr145
.LBB144_27:
	v_mov_b32_e32 v132, 0x1000
	v_or_b32_e32 v150, 0x1000, v140
	v_or_b32_e32 v151, 0x3000, v140
	s_add_i32 s29, s74, -8
	v_lshl_add_u32 v152, v142, 5, v132
	v_add_u32_e32 v145, 0x3000, v141
	s_mov_b32 s30, 8
	s_mov_b32 s31, 0
.LBB144_28:                             ; =>This Loop Header: Depth=1
                                        ;     Child Loop BB144_37 Depth 2
                                        ;     Child Loop BB144_47 Depth 2
	v_add_u32_e32 v132, s30, v144
	v_min_i32_e32 v138, s27, v132
	v_cmp_le_i32_e32 vcc, s74, v132
	v_mad_i64_i32 v[132:133], s[22:23], v138, s26, 0
	v_lshl_add_u64 v[134:135], v[132:133], 3, s[20:21]
	s_or_b64 s[22:23], s[2:3], vcc
	s_nor_b64 s[34:35], s[14:15], s[22:23]
	v_mov_b64_e32 v[132:133], 0
	v_lshl_add_u64 v[136:137], v[128:129], 3, v[134:135]
	v_mov_b64_e32 v[134:135], 0
	s_and_saveexec_b64 s[22:23], s[34:35]
	s_cbranch_execz .LBB144_30
; %bb.29:                               ;   in Loop: Header=BB144_28 Depth=1
	flat_load_dwordx2 v[134:135], v[136:137]
	s_waitcnt vmcnt(0) lgkmcnt(0)
	v_mul_f64 v[134:135], s[16:17], v[134:135]
.LBB144_30:                             ;   in Loop: Header=BB144_28 Depth=1
	s_or_b64 exec, exec, s[22:23]
	s_or_b64 s[22:23], s[4:5], vcc
	s_nor_b64 s[34:35], s[14:15], s[22:23]
	s_and_saveexec_b64 s[22:23], s[34:35]
	s_cbranch_execz .LBB144_32
; %bb.31:                               ;   in Loop: Header=BB144_28 Depth=1
	flat_load_dwordx2 v[132:133], v[136:137] offset:512
	s_waitcnt vmcnt(0) lgkmcnt(0)
	v_mul_f64 v[132:133], s[16:17], v[132:133]
.LBB144_32:                             ;   in Loop: Header=BB144_28 Depth=1
	s_or_b64 exec, exec, s[22:23]
	v_mad_i64_i32 v[136:137], s[22:23], v138, s28, 0
	v_lshl_add_u64 v[138:139], v[136:137], 3, s[18:19]
	s_or_b64 s[22:23], s[6:7], vcc
	s_nor_b64 s[34:35], s[14:15], s[22:23]
	v_mov_b64_e32 v[136:137], 0
	v_lshl_add_u64 v[140:141], v[130:131], 3, v[138:139]
	v_mov_b64_e32 v[138:139], 0
	s_and_saveexec_b64 s[22:23], s[34:35]
	s_cbranch_execz .LBB144_34
; %bb.33:                               ;   in Loop: Header=BB144_28 Depth=1
	flat_load_dwordx2 v[138:139], v[140:141]
	s_waitcnt vmcnt(0) lgkmcnt(0)
	v_mul_f64 v[138:139], s[16:17], v[138:139]
.LBB144_34:                             ;   in Loop: Header=BB144_28 Depth=1
	s_or_b64 exec, exec, s[22:23]
	s_or_b64 s[22:23], s[8:9], vcc
	s_nor_b64 s[34:35], s[14:15], s[22:23]
	s_and_saveexec_b64 s[22:23], s[34:35]
	s_cbranch_execz .LBB144_36
; %bb.35:                               ;   in Loop: Header=BB144_28 Depth=1
	flat_load_dwordx2 v[136:137], v[140:141] offset:512
	s_waitcnt vmcnt(0) lgkmcnt(0)
	v_mul_f64 v[136:137], s[16:17], v[136:137]
.LBB144_36:                             ;   in Loop: Header=BB144_28 Depth=1
	s_or_b64 exec, exec, s[22:23]
	s_mov_b32 s22, 0
.LBB144_37:                             ;   Parent Loop BB144_28 Depth=1
                                        ; =>  This Inner Loop Header: Depth=2
	v_add_u32_e32 v140, s22, v152
	v_add_u32_e32 v141, s22, v145
	ds_read2_b64 v[154:157], v140 offset1:16
	ds_read2_b64 v[158:161], v140 offset0:32 offset1:48
	ds_read2_b64 v[162:165], v140 offset0:64 offset1:80
	;; [unrolled: 1-line block ×7, first 2 shown]
	v_add_u32_e32 v140, 0x800, v140
	ds_read2st64_b64 v[186:189], v141 offset1:4
	ds_read2_b64 v[190:193], v140 offset1:16
	ds_read2_b64 v[194:197], v140 offset0:32 offset1:48
	ds_read2_b64 v[198:201], v140 offset0:64 offset1:80
	;; [unrolled: 1-line block ×7, first 2 shown]
	s_waitcnt lgkmcnt(14)
	v_max_f64 v[154:155], v[154:155], v[154:155]
	v_max_f64 v[156:157], v[156:157], v[156:157]
	;; [unrolled: 1-line block ×3, first 2 shown]
	s_waitcnt lgkmcnt(8)
	v_max_f64 v[140:141], v[186:187], v[186:187]
	v_max_f64 v[160:161], v[160:161], v[160:161]
	;; [unrolled: 1-line block ×15, first 2 shown]
	v_min_f64 v[188:189], v[154:155], v[140:141]
	v_min_f64 v[222:223], v[156:157], v[140:141]
	;; [unrolled: 1-line block ×16, first 2 shown]
	s_waitcnt lgkmcnt(7)
	v_max_f64 v[190:191], v[190:191], v[190:191]
	v_max_f64 v[192:193], v[192:193], v[192:193]
	s_waitcnt lgkmcnt(6)
	v_max_f64 v[194:195], v[194:195], v[194:195]
	v_max_f64 v[196:197], v[196:197], v[196:197]
	;; [unrolled: 3-line block ×8, first 2 shown]
	v_min_f64 v[154:155], v[154:155], v[186:187]
	v_min_f64 v[156:157], v[156:157], v[186:187]
	;; [unrolled: 1-line block ×16, first 2 shown]
	s_add_i32 s22, s22, 8
	v_add_f64 v[126:127], v[126:127], v[188:189]
	v_add_f64 v[124:125], v[124:125], v[222:223]
	;; [unrolled: 1-line block ×15, first 2 shown]
	v_min_f64 v[188:189], v[190:191], v[140:141]
	v_min_f64 v[222:223], v[192:193], v[140:141]
	;; [unrolled: 1-line block ×16, first 2 shown]
	v_add_f64 v[62:63], v[62:63], v[154:155]
	v_add_f64 v[60:61], v[60:61], v[156:157]
	;; [unrolled: 1-line block ×16, first 2 shown]
	v_min_f64 v[154:155], v[190:191], v[186:187]
	v_min_f64 v[156:157], v[192:193], v[186:187]
	v_min_f64 v[158:159], v[194:195], v[186:187]
	v_min_f64 v[160:161], v[196:197], v[186:187]
	v_min_f64 v[162:163], v[198:199], v[186:187]
	v_min_f64 v[164:165], v[200:201], v[186:187]
	v_min_f64 v[166:167], v[202:203], v[186:187]
	v_min_f64 v[168:169], v[204:205], v[186:187]
	v_min_f64 v[170:171], v[206:207], v[186:187]
	v_min_f64 v[172:173], v[208:209], v[186:187]
	v_min_f64 v[174:175], v[210:211], v[186:187]
	v_min_f64 v[176:177], v[212:213], v[186:187]
	v_min_f64 v[178:179], v[214:215], v[186:187]
	v_min_f64 v[180:181], v[216:217], v[186:187]
	v_min_f64 v[182:183], v[218:219], v[186:187]
	v_min_f64 v[184:185], v[220:221], v[186:187]
	s_cmp_eq_u32 s22, 32
	v_add_f64 v[96:97], v[96:97], v[250:251]
	v_add_f64 v[94:95], v[94:95], v[188:189]
	;; [unrolled: 1-line block ×33, first 2 shown]
	s_cbranch_scc0 .LBB144_37
; %bb.38:                               ;   in Loop: Header=BB144_28 Depth=1
	ds_write2st64_b64 v146, v[134:135], v[132:133] offset1:4
	ds_write2st64_b64 v147, v[138:139], v[136:137] offset1:4
	v_add3_u32 v132, v144, s30, 4
	v_min_i32_e32 v138, s27, v132
	v_cmp_le_i32_e32 vcc, s74, v132
	v_mad_i64_i32 v[132:133], s[22:23], v138, s26, 0
	v_lshl_add_u64 v[134:135], v[132:133], 3, s[20:21]
	s_or_b64 s[22:23], s[2:3], vcc
	s_nor_b64 s[34:35], s[14:15], s[22:23]
	v_mov_b64_e32 v[132:133], 0
	v_lshl_add_u64 v[136:137], v[128:129], 3, v[134:135]
	v_mov_b64_e32 v[134:135], 0
	s_waitcnt lgkmcnt(0)
	s_barrier
	s_and_saveexec_b64 s[22:23], s[34:35]
	s_cbranch_execz .LBB144_40
; %bb.39:                               ;   in Loop: Header=BB144_28 Depth=1
	flat_load_dwordx2 v[134:135], v[136:137]
	s_waitcnt vmcnt(0) lgkmcnt(0)
	v_mul_f64 v[134:135], s[16:17], v[134:135]
.LBB144_40:                             ;   in Loop: Header=BB144_28 Depth=1
	s_or_b64 exec, exec, s[22:23]
	s_or_b64 s[22:23], s[4:5], vcc
	s_nor_b64 s[34:35], s[14:15], s[22:23]
	s_and_saveexec_b64 s[22:23], s[34:35]
	s_cbranch_execz .LBB144_42
; %bb.41:                               ;   in Loop: Header=BB144_28 Depth=1
	flat_load_dwordx2 v[132:133], v[136:137] offset:512
	s_waitcnt vmcnt(0) lgkmcnt(0)
	v_mul_f64 v[132:133], s[16:17], v[132:133]
.LBB144_42:                             ;   in Loop: Header=BB144_28 Depth=1
	s_or_b64 exec, exec, s[22:23]
	v_mad_i64_i32 v[136:137], s[22:23], v138, s28, 0
	v_lshl_add_u64 v[138:139], v[136:137], 3, s[18:19]
	s_or_b64 s[22:23], s[6:7], vcc
	s_nor_b64 s[34:35], s[14:15], s[22:23]
	v_mov_b64_e32 v[136:137], 0
	v_lshl_add_u64 v[140:141], v[130:131], 3, v[138:139]
	v_mov_b64_e32 v[138:139], 0
	s_and_saveexec_b64 s[22:23], s[34:35]
	s_cbranch_execz .LBB144_44
; %bb.43:                               ;   in Loop: Header=BB144_28 Depth=1
	flat_load_dwordx2 v[138:139], v[140:141]
	s_waitcnt vmcnt(0) lgkmcnt(0)
	v_mul_f64 v[138:139], s[16:17], v[138:139]
.LBB144_44:                             ;   in Loop: Header=BB144_28 Depth=1
	s_or_b64 exec, exec, s[22:23]
	s_or_b64 s[22:23], s[8:9], vcc
	s_nor_b64 s[34:35], s[14:15], s[22:23]
	s_and_saveexec_b64 s[22:23], s[34:35]
	s_cbranch_execz .LBB144_46
; %bb.45:                               ;   in Loop: Header=BB144_28 Depth=1
	flat_load_dwordx2 v[136:137], v[140:141] offset:512
	s_waitcnt vmcnt(0) lgkmcnt(0)
	v_mul_f64 v[136:137], s[16:17], v[136:137]
.LBB144_46:                             ;   in Loop: Header=BB144_28 Depth=1
	s_or_b64 exec, exec, s[22:23]
	s_mov_b32 s22, 0
.LBB144_47:                             ;   Parent Loop BB144_28 Depth=1
                                        ; =>  This Inner Loop Header: Depth=2
	v_add_u32_e32 v140, s22, v148
	v_add_u32_e32 v141, s22, v149
	ds_read2_b64 v[154:157], v140 offset1:16
	ds_read2_b64 v[158:161], v140 offset0:32 offset1:48
	ds_read2_b64 v[162:165], v140 offset0:64 offset1:80
	;; [unrolled: 1-line block ×7, first 2 shown]
	v_add_u32_e32 v140, 0x800, v140
	ds_read2st64_b64 v[186:189], v141 offset1:4
	ds_read2_b64 v[190:193], v140 offset1:16
	ds_read2_b64 v[194:197], v140 offset0:32 offset1:48
	ds_read2_b64 v[198:201], v140 offset0:64 offset1:80
	;; [unrolled: 1-line block ×7, first 2 shown]
	s_waitcnt lgkmcnt(14)
	v_max_f64 v[154:155], v[154:155], v[154:155]
	v_max_f64 v[156:157], v[156:157], v[156:157]
	v_max_f64 v[158:159], v[158:159], v[158:159]
	s_waitcnt lgkmcnt(8)
	v_max_f64 v[140:141], v[186:187], v[186:187]
	v_max_f64 v[160:161], v[160:161], v[160:161]
	;; [unrolled: 1-line block ×15, first 2 shown]
	v_min_f64 v[188:189], v[154:155], v[140:141]
	v_min_f64 v[222:223], v[156:157], v[140:141]
	;; [unrolled: 1-line block ×16, first 2 shown]
	s_waitcnt lgkmcnt(7)
	v_max_f64 v[190:191], v[190:191], v[190:191]
	v_max_f64 v[192:193], v[192:193], v[192:193]
	s_waitcnt lgkmcnt(6)
	v_max_f64 v[194:195], v[194:195], v[194:195]
	v_max_f64 v[196:197], v[196:197], v[196:197]
	;; [unrolled: 3-line block ×8, first 2 shown]
	v_min_f64 v[154:155], v[154:155], v[186:187]
	v_min_f64 v[156:157], v[156:157], v[186:187]
	;; [unrolled: 1-line block ×16, first 2 shown]
	s_add_i32 s22, s22, 8
	v_add_f64 v[126:127], v[126:127], v[188:189]
	v_add_f64 v[124:125], v[124:125], v[222:223]
	;; [unrolled: 1-line block ×15, first 2 shown]
	v_min_f64 v[188:189], v[190:191], v[140:141]
	v_min_f64 v[222:223], v[192:193], v[140:141]
	;; [unrolled: 1-line block ×16, first 2 shown]
	v_add_f64 v[62:63], v[62:63], v[154:155]
	v_add_f64 v[60:61], v[60:61], v[156:157]
	;; [unrolled: 1-line block ×16, first 2 shown]
	v_min_f64 v[154:155], v[190:191], v[186:187]
	v_min_f64 v[156:157], v[192:193], v[186:187]
	;; [unrolled: 1-line block ×16, first 2 shown]
	s_cmp_eq_u32 s22, 32
	v_add_f64 v[96:97], v[96:97], v[250:251]
	v_add_f64 v[94:95], v[94:95], v[188:189]
	;; [unrolled: 1-line block ×33, first 2 shown]
	s_cbranch_scc0 .LBB144_47
; %bb.48:                               ;   in Loop: Header=BB144_28 Depth=1
	s_add_i32 s30, s30, 8
	s_add_i32 s31, s31, 8
	s_cmp_ge_i32 s31, s29
	ds_write2st64_b64 v150, v[134:135], v[132:133] offset1:4
	ds_write2st64_b64 v151, v[138:139], v[136:137] offset1:4
	s_waitcnt lgkmcnt(0)
	s_barrier
	s_cbranch_scc0 .LBB144_28
.LBB144_49:
	v_mov_b32_e32 v128, 0x1000
	v_lshl_add_u32 v128, v142, 5, v128
	s_mov_b32 s2, 0
.LBB144_50:                             ; =>This Inner Loop Header: Depth=1
	v_add_u32_e32 v129, s2, v128
	v_add_u32_e32 v144, s2, v145
	ds_read2_b64 v[130:133], v129 offset1:16
	ds_read2_b64 v[134:137], v129 offset0:32 offset1:48
	ds_read2_b64 v[138:141], v129 offset0:64 offset1:80
	;; [unrolled: 1-line block ×7, first 2 shown]
	v_add_u32_e32 v129, 0x800, v129
	ds_read2st64_b64 v[166:169], v144 offset1:4
	ds_read2_b64 v[170:173], v129 offset1:16
	ds_read2_b64 v[174:177], v129 offset0:32 offset1:48
	ds_read2_b64 v[178:181], v129 offset0:64 offset1:80
	;; [unrolled: 1-line block ×7, first 2 shown]
	s_waitcnt lgkmcnt(14)
	v_max_f64 v[130:131], v[130:131], v[130:131]
	v_max_f64 v[132:133], v[132:133], v[132:133]
	;; [unrolled: 1-line block ×3, first 2 shown]
	s_waitcnt lgkmcnt(8)
	v_max_f64 v[166:167], v[166:167], v[166:167]
	v_max_f64 v[136:137], v[136:137], v[136:137]
	;; [unrolled: 1-line block ×15, first 2 shown]
	v_min_f64 v[202:203], v[130:131], v[166:167]
	v_min_f64 v[204:205], v[132:133], v[166:167]
	;; [unrolled: 1-line block ×16, first 2 shown]
	s_waitcnt lgkmcnt(7)
	v_max_f64 v[170:171], v[170:171], v[170:171]
	v_max_f64 v[172:173], v[172:173], v[172:173]
	s_waitcnt lgkmcnt(6)
	v_max_f64 v[174:175], v[174:175], v[174:175]
	v_max_f64 v[176:177], v[176:177], v[176:177]
	;; [unrolled: 3-line block ×8, first 2 shown]
	v_min_f64 v[130:131], v[130:131], v[168:169]
	v_min_f64 v[132:133], v[132:133], v[168:169]
	;; [unrolled: 1-line block ×16, first 2 shown]
	s_add_i32 s2, s2, 8
	v_add_f64 v[126:127], v[126:127], v[202:203]
	v_add_f64 v[124:125], v[124:125], v[204:205]
	;; [unrolled: 1-line block ×15, first 2 shown]
	v_min_f64 v[202:203], v[170:171], v[166:167]
	v_min_f64 v[204:205], v[172:173], v[166:167]
	;; [unrolled: 1-line block ×16, first 2 shown]
	v_add_f64 v[62:63], v[62:63], v[130:131]
	v_add_f64 v[60:61], v[60:61], v[132:133]
	;; [unrolled: 1-line block ×16, first 2 shown]
	v_min_f64 v[130:131], v[170:171], v[168:169]
	v_min_f64 v[132:133], v[172:173], v[168:169]
	;; [unrolled: 1-line block ×16, first 2 shown]
	s_cmp_eq_u32 s2, 32
	v_add_f64 v[96:97], v[96:97], v[232:233]
	v_add_f64 v[94:95], v[94:95], v[202:203]
	;; [unrolled: 1-line block ×33, first 2 shown]
	s_cbranch_scc0 .LBB144_50
; %bb.51:
	s_load_dwordx2 s[2:3], s[0:1], 0x78
	s_load_dword s78, s[0:1], 0x58
	s_load_dword s33, s[0:1], 0x70
	v_add_u32_e32 v136, s25, v143
	v_add_u32_e32 v128, s24, v142
	s_waitcnt lgkmcnt(0)
	s_lshl_b64 s[0:1], s[2:3], 3
	s_add_u32 s74, s12, s0
	s_addc_u32 s75, s13, s1
	v_mad_i64_i32 v[130:131], s[0:1], v136, s78, 0
	v_cmp_gt_i32_e64 s[24:25], s73, v136
	v_lshl_add_u64 v[132:133], v[130:131], 3, s[76:77]
	v_mad_i64_i32 v[130:131], s[0:1], v136, s33, 0
	v_cmp_gt_i32_e64 s[2:3], s72, v128
	v_cndmask_b32_e64 v134, 0, 1, s[10:11]
	v_lshl_add_u64 v[130:131], v[130:131], 3, s[74:75]
	s_and_b64 s[6:7], s[24:25], s[2:3]
	v_ashrrev_i32_e32 v129, 31, v128
	v_cmp_ne_u32_e64 s[0:1], 1, v134
	s_and_saveexec_b64 s[4:5], s[6:7]
	s_cbranch_execz .LBB144_56
; %bb.52:
	s_and_b64 vcc, exec, s[0:1]
	s_cbranch_vccnz .LBB144_54
; %bb.53:
	v_lshl_add_u64 v[134:135], v[128:129], 3, v[132:133]
	flat_load_dwordx2 v[134:135], v[134:135]
	s_waitcnt vmcnt(0) lgkmcnt(0)
	v_mul_f64 v[134:135], s[70:71], v[134:135]
	s_branch .LBB144_55
.LBB144_54:
	v_mov_b64_e32 v[134:135], 0
.LBB144_55:
	v_add_f64 v[126:127], v[126:127], v[134:135]
	v_lshl_add_u64 v[134:135], v[128:129], 3, v[130:131]
	flat_store_dwordx2 v[134:135], v[126:127]
.LBB144_56:
	s_or_b64 exec, exec, s[4:5]
	v_add_u32_e32 v126, 4, v128
	v_cmp_gt_i32_e64 s[4:5], s72, v126
	s_and_b64 s[8:9], s[24:25], s[4:5]
	v_ashrrev_i32_e32 v127, 31, v126
	s_and_saveexec_b64 s[6:7], s[8:9]
	s_cbranch_execz .LBB144_61
; %bb.57:
	s_and_b64 vcc, exec, s[0:1]
	s_cbranch_vccnz .LBB144_59
; %bb.58:
	v_lshl_add_u64 v[134:135], v[126:127], 3, v[132:133]
	flat_load_dwordx2 v[134:135], v[134:135]
	s_waitcnt vmcnt(0) lgkmcnt(0)
	v_mul_f64 v[134:135], s[70:71], v[134:135]
	s_branch .LBB144_60
.LBB144_59:
	v_mov_b64_e32 v[134:135], 0
.LBB144_60:
	v_add_f64 v[124:125], v[124:125], v[134:135]
	v_lshl_add_u64 v[134:135], v[126:127], 3, v[130:131]
	flat_store_dwordx2 v[134:135], v[124:125]
.LBB144_61:
	s_or_b64 exec, exec, s[6:7]
	v_add_u32_e32 v124, 8, v128
	v_cmp_gt_i32_e64 s[6:7], s72, v124
	s_and_b64 s[10:11], s[24:25], s[6:7]
	v_ashrrev_i32_e32 v125, 31, v124
	s_and_saveexec_b64 s[8:9], s[10:11]
	s_cbranch_execz .LBB144_66
; %bb.62:
	s_and_b64 vcc, exec, s[0:1]
	s_cbranch_vccnz .LBB144_64
; %bb.63:
	v_lshl_add_u64 v[134:135], v[124:125], 3, v[132:133]
	flat_load_dwordx2 v[134:135], v[134:135]
	s_waitcnt vmcnt(0) lgkmcnt(0)
	v_mul_f64 v[134:135], s[70:71], v[134:135]
	s_branch .LBB144_65
.LBB144_64:
	v_mov_b64_e32 v[134:135], 0
.LBB144_65:
	v_add_f64 v[122:123], v[122:123], v[134:135]
	v_lshl_add_u64 v[134:135], v[124:125], 3, v[130:131]
	flat_store_dwordx2 v[134:135], v[122:123]
.LBB144_66:
	s_or_b64 exec, exec, s[8:9]
	v_add_u32_e32 v122, 12, v128
	v_cmp_gt_i32_e64 s[8:9], s72, v122
	s_and_b64 s[12:13], s[24:25], s[8:9]
	v_ashrrev_i32_e32 v123, 31, v122
	s_and_saveexec_b64 s[10:11], s[12:13]
	s_cbranch_execz .LBB144_71
; %bb.67:
	s_and_b64 vcc, exec, s[0:1]
	s_cbranch_vccnz .LBB144_69
; %bb.68:
	v_lshl_add_u64 v[134:135], v[122:123], 3, v[132:133]
	flat_load_dwordx2 v[134:135], v[134:135]
	s_waitcnt vmcnt(0) lgkmcnt(0)
	v_mul_f64 v[134:135], s[70:71], v[134:135]
	s_branch .LBB144_70
.LBB144_69:
	v_mov_b64_e32 v[134:135], 0
.LBB144_70:
	v_add_f64 v[120:121], v[120:121], v[134:135]
	v_lshl_add_u64 v[134:135], v[122:123], 3, v[130:131]
	flat_store_dwordx2 v[134:135], v[120:121]
.LBB144_71:
	s_or_b64 exec, exec, s[10:11]
	v_add_u32_e32 v120, 16, v128
	v_cmp_gt_i32_e64 s[10:11], s72, v120
	s_and_b64 s[14:15], s[24:25], s[10:11]
	v_ashrrev_i32_e32 v121, 31, v120
	s_and_saveexec_b64 s[12:13], s[14:15]
	s_cbranch_execz .LBB144_76
; %bb.72:
	s_and_b64 vcc, exec, s[0:1]
	s_cbranch_vccnz .LBB144_74
; %bb.73:
	v_lshl_add_u64 v[134:135], v[120:121], 3, v[132:133]
	flat_load_dwordx2 v[134:135], v[134:135]
	s_waitcnt vmcnt(0) lgkmcnt(0)
	v_mul_f64 v[134:135], s[70:71], v[134:135]
	s_branch .LBB144_75
.LBB144_74:
	v_mov_b64_e32 v[134:135], 0
.LBB144_75:
	v_add_f64 v[118:119], v[118:119], v[134:135]
	v_lshl_add_u64 v[134:135], v[120:121], 3, v[130:131]
	flat_store_dwordx2 v[134:135], v[118:119]
.LBB144_76:
	s_or_b64 exec, exec, s[12:13]
	v_add_u32_e32 v118, 20, v128
	v_cmp_gt_i32_e64 s[12:13], s72, v118
	s_and_b64 s[16:17], s[24:25], s[12:13]
	v_ashrrev_i32_e32 v119, 31, v118
	s_and_saveexec_b64 s[14:15], s[16:17]
	s_cbranch_execz .LBB144_81
; %bb.77:
	s_and_b64 vcc, exec, s[0:1]
	s_cbranch_vccnz .LBB144_79
; %bb.78:
	v_lshl_add_u64 v[134:135], v[118:119], 3, v[132:133]
	flat_load_dwordx2 v[134:135], v[134:135]
	s_waitcnt vmcnt(0) lgkmcnt(0)
	v_mul_f64 v[134:135], s[70:71], v[134:135]
	s_branch .LBB144_80
.LBB144_79:
	v_mov_b64_e32 v[134:135], 0
.LBB144_80:
	v_add_f64 v[116:117], v[116:117], v[134:135]
	v_lshl_add_u64 v[134:135], v[118:119], 3, v[130:131]
	flat_store_dwordx2 v[134:135], v[116:117]
.LBB144_81:
	s_or_b64 exec, exec, s[14:15]
	v_add_u32_e32 v116, 24, v128
	v_cmp_gt_i32_e64 s[14:15], s72, v116
	s_and_b64 s[18:19], s[24:25], s[14:15]
	v_ashrrev_i32_e32 v117, 31, v116
	s_and_saveexec_b64 s[16:17], s[18:19]
	s_cbranch_execz .LBB144_86
; %bb.82:
	s_and_b64 vcc, exec, s[0:1]
	s_cbranch_vccnz .LBB144_84
; %bb.83:
	v_lshl_add_u64 v[134:135], v[116:117], 3, v[132:133]
	flat_load_dwordx2 v[134:135], v[134:135]
	s_waitcnt vmcnt(0) lgkmcnt(0)
	v_mul_f64 v[134:135], s[70:71], v[134:135]
	s_branch .LBB144_85
.LBB144_84:
	v_mov_b64_e32 v[134:135], 0
.LBB144_85:
	v_add_f64 v[114:115], v[114:115], v[134:135]
	v_lshl_add_u64 v[134:135], v[116:117], 3, v[130:131]
	flat_store_dwordx2 v[134:135], v[114:115]
.LBB144_86:
	s_or_b64 exec, exec, s[16:17]
	v_add_u32_e32 v114, 28, v128
	v_cmp_gt_i32_e64 s[16:17], s72, v114
	s_and_b64 s[20:21], s[24:25], s[16:17]
	v_ashrrev_i32_e32 v115, 31, v114
	s_and_saveexec_b64 s[18:19], s[20:21]
	s_cbranch_execz .LBB144_91
; %bb.87:
	s_and_b64 vcc, exec, s[0:1]
	s_cbranch_vccnz .LBB144_89
; %bb.88:
	v_lshl_add_u64 v[134:135], v[114:115], 3, v[132:133]
	flat_load_dwordx2 v[134:135], v[134:135]
	s_waitcnt vmcnt(0) lgkmcnt(0)
	v_mul_f64 v[134:135], s[70:71], v[134:135]
	s_branch .LBB144_90
.LBB144_89:
	v_mov_b64_e32 v[134:135], 0
.LBB144_90:
	v_add_f64 v[112:113], v[112:113], v[134:135]
	v_lshl_add_u64 v[134:135], v[114:115], 3, v[130:131]
	flat_store_dwordx2 v[134:135], v[112:113]
.LBB144_91:
	s_or_b64 exec, exec, s[18:19]
	v_add_u32_e32 v112, 32, v128
	v_cmp_gt_i32_e64 s[18:19], s72, v112
	s_and_b64 s[22:23], s[24:25], s[18:19]
	v_ashrrev_i32_e32 v113, 31, v112
	s_and_saveexec_b64 s[20:21], s[22:23]
	s_cbranch_execz .LBB144_96
; %bb.92:
	s_and_b64 vcc, exec, s[0:1]
	s_cbranch_vccnz .LBB144_94
; %bb.93:
	v_lshl_add_u64 v[134:135], v[112:113], 3, v[132:133]
	flat_load_dwordx2 v[134:135], v[134:135]
	s_waitcnt vmcnt(0) lgkmcnt(0)
	v_mul_f64 v[134:135], s[70:71], v[134:135]
	s_branch .LBB144_95
.LBB144_94:
	v_mov_b64_e32 v[134:135], 0
.LBB144_95:
	v_add_f64 v[110:111], v[110:111], v[134:135]
	v_lshl_add_u64 v[134:135], v[112:113], 3, v[130:131]
	flat_store_dwordx2 v[134:135], v[110:111]
.LBB144_96:
	s_or_b64 exec, exec, s[20:21]
	v_add_u32_e32 v110, 36, v128
	v_cmp_gt_i32_e64 s[20:21], s72, v110
	s_and_b64 s[26:27], s[24:25], s[20:21]
	v_ashrrev_i32_e32 v111, 31, v110
	s_and_saveexec_b64 s[22:23], s[26:27]
	s_cbranch_execz .LBB144_101
; %bb.97:
	s_and_b64 vcc, exec, s[0:1]
	s_cbranch_vccnz .LBB144_99
; %bb.98:
	v_lshl_add_u64 v[134:135], v[110:111], 3, v[132:133]
	flat_load_dwordx2 v[134:135], v[134:135]
	s_waitcnt vmcnt(0) lgkmcnt(0)
	v_mul_f64 v[134:135], s[70:71], v[134:135]
	s_branch .LBB144_100
.LBB144_99:
	v_mov_b64_e32 v[134:135], 0
.LBB144_100:
	v_add_f64 v[108:109], v[108:109], v[134:135]
	v_lshl_add_u64 v[134:135], v[110:111], 3, v[130:131]
	flat_store_dwordx2 v[134:135], v[108:109]
.LBB144_101:
	s_or_b64 exec, exec, s[22:23]
	v_add_u32_e32 v108, 40, v128
	v_cmp_gt_i32_e64 s[22:23], s72, v108
	s_and_b64 s[28:29], s[24:25], s[22:23]
	v_ashrrev_i32_e32 v109, 31, v108
	s_and_saveexec_b64 s[26:27], s[28:29]
	s_cbranch_execz .LBB144_106
; %bb.102:
	s_and_b64 vcc, exec, s[0:1]
	s_cbranch_vccnz .LBB144_104
; %bb.103:
	v_lshl_add_u64 v[134:135], v[108:109], 3, v[132:133]
	flat_load_dwordx2 v[134:135], v[134:135]
	s_waitcnt vmcnt(0) lgkmcnt(0)
	v_mul_f64 v[134:135], s[70:71], v[134:135]
	s_branch .LBB144_105
.LBB144_104:
	v_mov_b64_e32 v[134:135], 0
.LBB144_105:
	v_add_f64 v[106:107], v[106:107], v[134:135]
	v_lshl_add_u64 v[134:135], v[108:109], 3, v[130:131]
	flat_store_dwordx2 v[134:135], v[106:107]
.LBB144_106:
	s_or_b64 exec, exec, s[26:27]
	v_add_u32_e32 v106, 44, v128
	v_cmp_gt_i32_e64 s[26:27], s72, v106
	s_and_b64 s[30:31], s[24:25], s[26:27]
	v_ashrrev_i32_e32 v107, 31, v106
	s_and_saveexec_b64 s[28:29], s[30:31]
	s_cbranch_execz .LBB144_111
; %bb.107:
	s_and_b64 vcc, exec, s[0:1]
	s_cbranch_vccnz .LBB144_109
; %bb.108:
	v_lshl_add_u64 v[134:135], v[106:107], 3, v[132:133]
	flat_load_dwordx2 v[134:135], v[134:135]
	s_waitcnt vmcnt(0) lgkmcnt(0)
	v_mul_f64 v[134:135], s[70:71], v[134:135]
	s_branch .LBB144_110
.LBB144_109:
	v_mov_b64_e32 v[134:135], 0
.LBB144_110:
	v_add_f64 v[104:105], v[104:105], v[134:135]
	v_lshl_add_u64 v[134:135], v[106:107], 3, v[130:131]
	flat_store_dwordx2 v[134:135], v[104:105]
.LBB144_111:
	s_or_b64 exec, exec, s[28:29]
	v_add_u32_e32 v104, 48, v128
	v_cmp_gt_i32_e64 s[28:29], s72, v104
	s_and_b64 s[34:35], s[24:25], s[28:29]
	v_ashrrev_i32_e32 v105, 31, v104
	s_and_saveexec_b64 s[30:31], s[34:35]
	s_cbranch_execz .LBB144_116
; %bb.112:
	s_and_b64 vcc, exec, s[0:1]
	s_cbranch_vccnz .LBB144_114
; %bb.113:
	v_lshl_add_u64 v[134:135], v[104:105], 3, v[132:133]
	flat_load_dwordx2 v[134:135], v[134:135]
	s_waitcnt vmcnt(0) lgkmcnt(0)
	v_mul_f64 v[134:135], s[70:71], v[134:135]
	s_branch .LBB144_115
.LBB144_114:
	v_mov_b64_e32 v[134:135], 0
.LBB144_115:
	v_add_f64 v[102:103], v[102:103], v[134:135]
	v_lshl_add_u64 v[134:135], v[104:105], 3, v[130:131]
	flat_store_dwordx2 v[134:135], v[102:103]
.LBB144_116:
	s_or_b64 exec, exec, s[30:31]
	v_add_u32_e32 v102, 52, v128
	v_cmp_gt_i32_e64 s[30:31], s72, v102
	s_and_b64 s[36:37], s[24:25], s[30:31]
	v_ashrrev_i32_e32 v103, 31, v102
	s_and_saveexec_b64 s[34:35], s[36:37]
	s_cbranch_execz .LBB144_121
; %bb.117:
	s_and_b64 vcc, exec, s[0:1]
	s_cbranch_vccnz .LBB144_119
; %bb.118:
	v_lshl_add_u64 v[134:135], v[102:103], 3, v[132:133]
	flat_load_dwordx2 v[134:135], v[134:135]
	s_waitcnt vmcnt(0) lgkmcnt(0)
	v_mul_f64 v[134:135], s[70:71], v[134:135]
	s_branch .LBB144_120
.LBB144_119:
	v_mov_b64_e32 v[134:135], 0
.LBB144_120:
	v_add_f64 v[100:101], v[100:101], v[134:135]
	v_lshl_add_u64 v[134:135], v[102:103], 3, v[130:131]
	flat_store_dwordx2 v[134:135], v[100:101]
.LBB144_121:
	s_or_b64 exec, exec, s[34:35]
	v_add_u32_e32 v100, 56, v128
	v_cmp_gt_i32_e64 s[34:35], s72, v100
	s_and_b64 s[38:39], s[24:25], s[34:35]
	v_ashrrev_i32_e32 v101, 31, v100
	s_and_saveexec_b64 s[36:37], s[38:39]
	s_cbranch_execz .LBB144_126
; %bb.122:
	s_and_b64 vcc, exec, s[0:1]
	s_cbranch_vccnz .LBB144_124
; %bb.123:
	v_lshl_add_u64 v[134:135], v[100:101], 3, v[132:133]
	flat_load_dwordx2 v[134:135], v[134:135]
	s_waitcnt vmcnt(0) lgkmcnt(0)
	v_mul_f64 v[134:135], s[70:71], v[134:135]
	s_branch .LBB144_125
.LBB144_124:
	v_mov_b64_e32 v[134:135], 0
.LBB144_125:
	v_add_f64 v[98:99], v[98:99], v[134:135]
	v_lshl_add_u64 v[134:135], v[100:101], 3, v[130:131]
	flat_store_dwordx2 v[134:135], v[98:99]
.LBB144_126:
	s_or_b64 exec, exec, s[36:37]
	v_add_u32_e32 v98, 60, v128
	v_cmp_gt_i32_e64 s[36:37], s72, v98
	s_and_b64 s[40:41], s[24:25], s[36:37]
	v_ashrrev_i32_e32 v99, 31, v98
	s_and_saveexec_b64 s[38:39], s[40:41]
	s_cbranch_execz .LBB144_131
; %bb.127:
	s_and_b64 vcc, exec, s[0:1]
	s_cbranch_vccnz .LBB144_129
; %bb.128:
	v_lshl_add_u64 v[134:135], v[98:99], 3, v[132:133]
	flat_load_dwordx2 v[134:135], v[134:135]
	s_waitcnt vmcnt(0) lgkmcnt(0)
	v_mul_f64 v[134:135], s[70:71], v[134:135]
	s_branch .LBB144_130
.LBB144_129:
	v_mov_b64_e32 v[134:135], 0
.LBB144_130:
	v_add_f64 v[96:97], v[96:97], v[134:135]
	v_lshl_add_u64 v[134:135], v[98:99], 3, v[130:131]
	flat_store_dwordx2 v[134:135], v[96:97]
.LBB144_131:
	s_or_b64 exec, exec, s[38:39]
	v_add_u32_e32 v96, 64, v128
	v_cmp_gt_i32_e64 s[38:39], s72, v96
	s_and_b64 s[42:43], s[24:25], s[38:39]
	v_ashrrev_i32_e32 v97, 31, v96
	s_and_saveexec_b64 s[40:41], s[42:43]
	s_cbranch_execz .LBB144_136
; %bb.132:
	s_and_b64 vcc, exec, s[0:1]
	s_cbranch_vccnz .LBB144_134
; %bb.133:
	v_lshl_add_u64 v[134:135], v[96:97], 3, v[132:133]
	flat_load_dwordx2 v[134:135], v[134:135]
	s_waitcnt vmcnt(0) lgkmcnt(0)
	v_mul_f64 v[134:135], s[70:71], v[134:135]
	s_branch .LBB144_135
.LBB144_134:
	v_mov_b64_e32 v[134:135], 0
.LBB144_135:
	v_add_f64 v[94:95], v[94:95], v[134:135]
	v_lshl_add_u64 v[134:135], v[96:97], 3, v[130:131]
	flat_store_dwordx2 v[134:135], v[94:95]
.LBB144_136:
	s_or_b64 exec, exec, s[40:41]
	v_add_u32_e32 v94, 0x44, v128
	v_cmp_gt_i32_e64 s[40:41], s72, v94
	s_and_b64 s[44:45], s[24:25], s[40:41]
	v_ashrrev_i32_e32 v95, 31, v94
	s_and_saveexec_b64 s[42:43], s[44:45]
	s_cbranch_execz .LBB144_141
; %bb.137:
	s_and_b64 vcc, exec, s[0:1]
	s_cbranch_vccnz .LBB144_139
; %bb.138:
	v_lshl_add_u64 v[134:135], v[94:95], 3, v[132:133]
	flat_load_dwordx2 v[134:135], v[134:135]
	s_waitcnt vmcnt(0) lgkmcnt(0)
	v_mul_f64 v[134:135], s[70:71], v[134:135]
	s_branch .LBB144_140
.LBB144_139:
	v_mov_b64_e32 v[134:135], 0
.LBB144_140:
	v_add_f64 v[92:93], v[92:93], v[134:135]
	v_lshl_add_u64 v[134:135], v[94:95], 3, v[130:131]
	flat_store_dwordx2 v[134:135], v[92:93]
.LBB144_141:
	s_or_b64 exec, exec, s[42:43]
	v_add_u32_e32 v92, 0x48, v128
	v_cmp_gt_i32_e64 s[42:43], s72, v92
	s_and_b64 s[46:47], s[24:25], s[42:43]
	v_ashrrev_i32_e32 v93, 31, v92
	s_and_saveexec_b64 s[44:45], s[46:47]
	s_cbranch_execz .LBB144_146
; %bb.142:
	s_and_b64 vcc, exec, s[0:1]
	s_cbranch_vccnz .LBB144_144
; %bb.143:
	v_lshl_add_u64 v[134:135], v[92:93], 3, v[132:133]
	flat_load_dwordx2 v[134:135], v[134:135]
	s_waitcnt vmcnt(0) lgkmcnt(0)
	v_mul_f64 v[134:135], s[70:71], v[134:135]
	s_branch .LBB144_145
.LBB144_144:
	v_mov_b64_e32 v[134:135], 0
.LBB144_145:
	v_add_f64 v[90:91], v[90:91], v[134:135]
	v_lshl_add_u64 v[134:135], v[92:93], 3, v[130:131]
	flat_store_dwordx2 v[134:135], v[90:91]
.LBB144_146:
	s_or_b64 exec, exec, s[44:45]
	v_add_u32_e32 v90, 0x4c, v128
	v_cmp_gt_i32_e64 s[44:45], s72, v90
	s_and_b64 s[48:49], s[24:25], s[44:45]
	v_ashrrev_i32_e32 v91, 31, v90
	s_and_saveexec_b64 s[46:47], s[48:49]
	s_cbranch_execz .LBB144_151
; %bb.147:
	s_and_b64 vcc, exec, s[0:1]
	s_cbranch_vccnz .LBB144_149
; %bb.148:
	v_lshl_add_u64 v[134:135], v[90:91], 3, v[132:133]
	flat_load_dwordx2 v[134:135], v[134:135]
	s_waitcnt vmcnt(0) lgkmcnt(0)
	v_mul_f64 v[134:135], s[70:71], v[134:135]
	s_branch .LBB144_150
.LBB144_149:
	v_mov_b64_e32 v[134:135], 0
.LBB144_150:
	v_add_f64 v[88:89], v[88:89], v[134:135]
	v_lshl_add_u64 v[134:135], v[90:91], 3, v[130:131]
	flat_store_dwordx2 v[134:135], v[88:89]
.LBB144_151:
	s_or_b64 exec, exec, s[46:47]
	v_add_u32_e32 v88, 0x50, v128
	v_cmp_gt_i32_e64 s[46:47], s72, v88
	s_and_b64 s[50:51], s[24:25], s[46:47]
	v_ashrrev_i32_e32 v89, 31, v88
	s_and_saveexec_b64 s[48:49], s[50:51]
	s_cbranch_execz .LBB144_156
; %bb.152:
	s_and_b64 vcc, exec, s[0:1]
	s_cbranch_vccnz .LBB144_154
; %bb.153:
	v_lshl_add_u64 v[134:135], v[88:89], 3, v[132:133]
	flat_load_dwordx2 v[134:135], v[134:135]
	s_waitcnt vmcnt(0) lgkmcnt(0)
	v_mul_f64 v[134:135], s[70:71], v[134:135]
	s_branch .LBB144_155
.LBB144_154:
	v_mov_b64_e32 v[134:135], 0
.LBB144_155:
	v_add_f64 v[86:87], v[86:87], v[134:135]
	v_lshl_add_u64 v[134:135], v[88:89], 3, v[130:131]
	flat_store_dwordx2 v[134:135], v[86:87]
.LBB144_156:
	s_or_b64 exec, exec, s[48:49]
	v_add_u32_e32 v86, 0x54, v128
	v_cmp_gt_i32_e64 s[48:49], s72, v86
	s_and_b64 s[52:53], s[24:25], s[48:49]
	v_ashrrev_i32_e32 v87, 31, v86
	s_and_saveexec_b64 s[50:51], s[52:53]
	s_cbranch_execz .LBB144_161
; %bb.157:
	s_and_b64 vcc, exec, s[0:1]
	s_cbranch_vccnz .LBB144_159
; %bb.158:
	v_lshl_add_u64 v[134:135], v[86:87], 3, v[132:133]
	flat_load_dwordx2 v[134:135], v[134:135]
	s_waitcnt vmcnt(0) lgkmcnt(0)
	v_mul_f64 v[134:135], s[70:71], v[134:135]
	s_branch .LBB144_160
.LBB144_159:
	v_mov_b64_e32 v[134:135], 0
.LBB144_160:
	v_add_f64 v[84:85], v[84:85], v[134:135]
	v_lshl_add_u64 v[134:135], v[86:87], 3, v[130:131]
	flat_store_dwordx2 v[134:135], v[84:85]
.LBB144_161:
	s_or_b64 exec, exec, s[50:51]
	v_add_u32_e32 v84, 0x58, v128
	v_cmp_gt_i32_e64 s[50:51], s72, v84
	s_and_b64 s[54:55], s[24:25], s[50:51]
	v_ashrrev_i32_e32 v85, 31, v84
	s_and_saveexec_b64 s[52:53], s[54:55]
	s_cbranch_execz .LBB144_166
; %bb.162:
	s_and_b64 vcc, exec, s[0:1]
	s_cbranch_vccnz .LBB144_164
; %bb.163:
	v_lshl_add_u64 v[134:135], v[84:85], 3, v[132:133]
	flat_load_dwordx2 v[134:135], v[134:135]
	s_waitcnt vmcnt(0) lgkmcnt(0)
	v_mul_f64 v[134:135], s[70:71], v[134:135]
	s_branch .LBB144_165
.LBB144_164:
	v_mov_b64_e32 v[134:135], 0
.LBB144_165:
	v_add_f64 v[82:83], v[82:83], v[134:135]
	v_lshl_add_u64 v[134:135], v[84:85], 3, v[130:131]
	flat_store_dwordx2 v[134:135], v[82:83]
.LBB144_166:
	s_or_b64 exec, exec, s[52:53]
	v_add_u32_e32 v82, 0x5c, v128
	v_cmp_gt_i32_e64 s[52:53], s72, v82
	s_and_b64 s[56:57], s[24:25], s[52:53]
	v_ashrrev_i32_e32 v83, 31, v82
	s_and_saveexec_b64 s[54:55], s[56:57]
	s_cbranch_execz .LBB144_171
; %bb.167:
	s_and_b64 vcc, exec, s[0:1]
	s_cbranch_vccnz .LBB144_169
; %bb.168:
	v_lshl_add_u64 v[134:135], v[82:83], 3, v[132:133]
	flat_load_dwordx2 v[134:135], v[134:135]
	s_waitcnt vmcnt(0) lgkmcnt(0)
	v_mul_f64 v[134:135], s[70:71], v[134:135]
	s_branch .LBB144_170
.LBB144_169:
	v_mov_b64_e32 v[134:135], 0
.LBB144_170:
	v_add_f64 v[80:81], v[80:81], v[134:135]
	v_lshl_add_u64 v[134:135], v[82:83], 3, v[130:131]
	flat_store_dwordx2 v[134:135], v[80:81]
.LBB144_171:
	s_or_b64 exec, exec, s[54:55]
	v_add_u32_e32 v80, 0x60, v128
	v_cmp_gt_i32_e64 s[54:55], s72, v80
	s_and_b64 s[58:59], s[24:25], s[54:55]
	v_ashrrev_i32_e32 v81, 31, v80
	s_and_saveexec_b64 s[56:57], s[58:59]
	s_cbranch_execz .LBB144_176
; %bb.172:
	s_and_b64 vcc, exec, s[0:1]
	s_cbranch_vccnz .LBB144_174
; %bb.173:
	v_lshl_add_u64 v[134:135], v[80:81], 3, v[132:133]
	flat_load_dwordx2 v[134:135], v[134:135]
	s_waitcnt vmcnt(0) lgkmcnt(0)
	v_mul_f64 v[134:135], s[70:71], v[134:135]
	s_branch .LBB144_175
.LBB144_174:
	v_mov_b64_e32 v[134:135], 0
.LBB144_175:
	v_add_f64 v[78:79], v[78:79], v[134:135]
	v_lshl_add_u64 v[134:135], v[80:81], 3, v[130:131]
	flat_store_dwordx2 v[134:135], v[78:79]
.LBB144_176:
	s_or_b64 exec, exec, s[56:57]
	v_add_u32_e32 v78, 0x64, v128
	v_cmp_gt_i32_e64 s[56:57], s72, v78
	s_and_b64 s[60:61], s[24:25], s[56:57]
	v_ashrrev_i32_e32 v79, 31, v78
	s_and_saveexec_b64 s[58:59], s[60:61]
	s_cbranch_execz .LBB144_181
; %bb.177:
	s_and_b64 vcc, exec, s[0:1]
	s_cbranch_vccnz .LBB144_179
; %bb.178:
	v_lshl_add_u64 v[134:135], v[78:79], 3, v[132:133]
	flat_load_dwordx2 v[134:135], v[134:135]
	s_waitcnt vmcnt(0) lgkmcnt(0)
	v_mul_f64 v[134:135], s[70:71], v[134:135]
	s_branch .LBB144_180
.LBB144_179:
	v_mov_b64_e32 v[134:135], 0
.LBB144_180:
	v_add_f64 v[76:77], v[76:77], v[134:135]
	v_lshl_add_u64 v[134:135], v[78:79], 3, v[130:131]
	flat_store_dwordx2 v[134:135], v[76:77]
.LBB144_181:
	s_or_b64 exec, exec, s[58:59]
	v_add_u32_e32 v76, 0x68, v128
	v_cmp_gt_i32_e64 s[58:59], s72, v76
	s_and_b64 s[62:63], s[24:25], s[58:59]
	v_ashrrev_i32_e32 v77, 31, v76
	s_and_saveexec_b64 s[60:61], s[62:63]
	s_cbranch_execz .LBB144_186
; %bb.182:
	s_and_b64 vcc, exec, s[0:1]
	s_cbranch_vccnz .LBB144_184
; %bb.183:
	v_lshl_add_u64 v[134:135], v[76:77], 3, v[132:133]
	flat_load_dwordx2 v[134:135], v[134:135]
	s_waitcnt vmcnt(0) lgkmcnt(0)
	v_mul_f64 v[134:135], s[70:71], v[134:135]
	s_branch .LBB144_185
.LBB144_184:
	v_mov_b64_e32 v[134:135], 0
.LBB144_185:
	v_add_f64 v[74:75], v[74:75], v[134:135]
	v_lshl_add_u64 v[134:135], v[76:77], 3, v[130:131]
	flat_store_dwordx2 v[134:135], v[74:75]
.LBB144_186:
	s_or_b64 exec, exec, s[60:61]
	v_add_u32_e32 v74, 0x6c, v128
	v_cmp_gt_i32_e64 s[60:61], s72, v74
	s_and_b64 s[64:65], s[24:25], s[60:61]
	v_ashrrev_i32_e32 v75, 31, v74
	s_and_saveexec_b64 s[62:63], s[64:65]
	s_cbranch_execz .LBB144_191
; %bb.187:
	s_and_b64 vcc, exec, s[0:1]
	s_cbranch_vccnz .LBB144_189
; %bb.188:
	v_lshl_add_u64 v[134:135], v[74:75], 3, v[132:133]
	flat_load_dwordx2 v[134:135], v[134:135]
	s_waitcnt vmcnt(0) lgkmcnt(0)
	v_mul_f64 v[134:135], s[70:71], v[134:135]
	s_branch .LBB144_190
.LBB144_189:
	v_mov_b64_e32 v[134:135], 0
.LBB144_190:
	v_add_f64 v[72:73], v[72:73], v[134:135]
	v_lshl_add_u64 v[134:135], v[74:75], 3, v[130:131]
	flat_store_dwordx2 v[134:135], v[72:73]
.LBB144_191:
	s_or_b64 exec, exec, s[62:63]
	v_add_u32_e32 v72, 0x70, v128
	v_cmp_gt_i32_e64 s[62:63], s72, v72
	s_and_b64 s[66:67], s[24:25], s[62:63]
	v_ashrrev_i32_e32 v73, 31, v72
	s_and_saveexec_b64 s[64:65], s[66:67]
	s_cbranch_execz .LBB144_196
; %bb.192:
	s_and_b64 vcc, exec, s[0:1]
	s_cbranch_vccnz .LBB144_194
; %bb.193:
	v_lshl_add_u64 v[134:135], v[72:73], 3, v[132:133]
	flat_load_dwordx2 v[134:135], v[134:135]
	s_waitcnt vmcnt(0) lgkmcnt(0)
	v_mul_f64 v[134:135], s[70:71], v[134:135]
	s_branch .LBB144_195
.LBB144_194:
	v_mov_b64_e32 v[134:135], 0
.LBB144_195:
	v_add_f64 v[70:71], v[70:71], v[134:135]
	v_lshl_add_u64 v[134:135], v[72:73], 3, v[130:131]
	flat_store_dwordx2 v[134:135], v[70:71]
.LBB144_196:
	s_or_b64 exec, exec, s[64:65]
	v_add_u32_e32 v70, 0x74, v128
	v_cmp_gt_i32_e64 s[64:65], s72, v70
	s_and_b64 s[68:69], s[24:25], s[64:65]
	v_ashrrev_i32_e32 v71, 31, v70
	s_and_saveexec_b64 s[66:67], s[68:69]
	s_cbranch_execz .LBB144_201
; %bb.197:
	s_and_b64 vcc, exec, s[0:1]
	s_cbranch_vccnz .LBB144_199
; %bb.198:
	v_lshl_add_u64 v[134:135], v[70:71], 3, v[132:133]
	flat_load_dwordx2 v[134:135], v[134:135]
	s_waitcnt vmcnt(0) lgkmcnt(0)
	v_mul_f64 v[134:135], s[70:71], v[134:135]
	s_branch .LBB144_200
.LBB144_199:
	v_mov_b64_e32 v[134:135], 0
.LBB144_200:
	v_add_f64 v[68:69], v[68:69], v[134:135]
	v_lshl_add_u64 v[134:135], v[70:71], 3, v[130:131]
	flat_store_dwordx2 v[134:135], v[68:69]
.LBB144_201:
	s_or_b64 exec, exec, s[66:67]
	v_add_u32_e32 v68, 0x78, v128
	v_cmp_gt_i32_e64 s[66:67], s72, v68
	s_and_b64 s[80:81], s[24:25], s[66:67]
	v_ashrrev_i32_e32 v69, 31, v68
	s_and_saveexec_b64 s[68:69], s[80:81]
	s_cbranch_execz .LBB144_206
; %bb.202:
	s_and_b64 vcc, exec, s[0:1]
	s_cbranch_vccnz .LBB144_204
; %bb.203:
	v_lshl_add_u64 v[134:135], v[68:69], 3, v[132:133]
	flat_load_dwordx2 v[134:135], v[134:135]
	s_waitcnt vmcnt(0) lgkmcnt(0)
	v_mul_f64 v[134:135], s[70:71], v[134:135]
	s_branch .LBB144_205
.LBB144_204:
	v_mov_b64_e32 v[134:135], 0
.LBB144_205:
	v_add_f64 v[66:67], v[66:67], v[134:135]
	v_lshl_add_u64 v[134:135], v[68:69], 3, v[130:131]
	flat_store_dwordx2 v[134:135], v[66:67]
.LBB144_206:
	s_or_b64 exec, exec, s[68:69]
	v_add_u32_e32 v66, 0x7c, v128
	v_cmp_gt_i32_e64 s[68:69], s72, v66
	s_and_b64 s[80:81], s[24:25], s[68:69]
	v_ashrrev_i32_e32 v67, 31, v66
	s_and_saveexec_b64 s[24:25], s[80:81]
	s_cbranch_execz .LBB144_211
; %bb.207:
	s_and_b64 vcc, exec, s[0:1]
	s_cbranch_vccnz .LBB144_209
; %bb.208:
	v_lshl_add_u64 v[132:133], v[66:67], 3, v[132:133]
	flat_load_dwordx2 v[132:133], v[132:133]
	s_waitcnt vmcnt(0) lgkmcnt(0)
	v_mul_f64 v[132:133], s[70:71], v[132:133]
	s_branch .LBB144_210
.LBB144_209:
	v_mov_b64_e32 v[132:133], 0
.LBB144_210:
	v_add_f64 v[64:65], v[64:65], v[132:133]
	v_lshl_add_u64 v[130:131], v[66:67], 3, v[130:131]
	flat_store_dwordx2 v[130:131], v[64:65]
.LBB144_211:
	s_or_b64 exec, exec, s[24:25]
	v_add_u32_e32 v132, 64, v136
	v_cmp_gt_i32_e64 s[24:25], s73, v132
	v_mad_i64_i32 v[64:65], s[72:73], v132, s78, 0
	v_lshl_add_u64 v[130:131], v[64:65], 3, s[76:77]
	v_mad_i64_i32 v[64:65], s[72:73], v132, s33, 0
	v_lshl_add_u64 v[64:65], v[64:65], 3, s[74:75]
	s_and_b64 s[2:3], s[24:25], s[2:3]
	s_and_saveexec_b64 s[72:73], s[2:3]
	s_xor_b64 s[2:3], exec, s[72:73]
	s_cbranch_execnz .LBB144_244
; %bb.212:
	s_or_b64 exec, exec, s[2:3]
	s_and_b64 s[4:5], s[24:25], s[4:5]
	s_and_saveexec_b64 s[2:3], s[4:5]
	s_cbranch_execnz .LBB144_248
.LBB144_213:
	s_or_b64 exec, exec, s[2:3]
	s_and_b64 s[4:5], s[24:25], s[6:7]
	s_and_saveexec_b64 s[2:3], s[4:5]
	s_cbranch_execnz .LBB144_252
.LBB144_214:
	s_or_b64 exec, exec, s[2:3]
	s_and_b64 s[4:5], s[24:25], s[8:9]
	s_and_saveexec_b64 s[2:3], s[4:5]
	s_cbranch_execnz .LBB144_256
.LBB144_215:
	s_or_b64 exec, exec, s[2:3]
	s_and_b64 s[4:5], s[24:25], s[10:11]
	s_and_saveexec_b64 s[2:3], s[4:5]
	s_cbranch_execnz .LBB144_260
.LBB144_216:
	s_or_b64 exec, exec, s[2:3]
	s_and_b64 s[4:5], s[24:25], s[12:13]
	s_and_saveexec_b64 s[2:3], s[4:5]
	s_cbranch_execnz .LBB144_264
.LBB144_217:
	s_or_b64 exec, exec, s[2:3]
	s_and_b64 s[4:5], s[24:25], s[14:15]
	s_and_saveexec_b64 s[2:3], s[4:5]
	s_cbranch_execnz .LBB144_268
.LBB144_218:
	s_or_b64 exec, exec, s[2:3]
	s_and_b64 s[4:5], s[24:25], s[16:17]
	s_and_saveexec_b64 s[2:3], s[4:5]
	s_cbranch_execnz .LBB144_272
.LBB144_219:
	s_or_b64 exec, exec, s[2:3]
	s_and_b64 s[4:5], s[24:25], s[18:19]
	s_and_saveexec_b64 s[2:3], s[4:5]
	s_cbranch_execnz .LBB144_276
.LBB144_220:
	s_or_b64 exec, exec, s[2:3]
	s_and_b64 s[4:5], s[24:25], s[20:21]
	s_and_saveexec_b64 s[2:3], s[4:5]
	s_cbranch_execnz .LBB144_280
.LBB144_221:
	s_or_b64 exec, exec, s[2:3]
	s_and_b64 s[4:5], s[24:25], s[22:23]
	s_and_saveexec_b64 s[2:3], s[4:5]
	s_cbranch_execnz .LBB144_284
.LBB144_222:
	s_or_b64 exec, exec, s[2:3]
	s_and_b64 s[4:5], s[24:25], s[26:27]
	s_and_saveexec_b64 s[2:3], s[4:5]
	s_cbranch_execnz .LBB144_288
.LBB144_223:
	s_or_b64 exec, exec, s[2:3]
	s_and_b64 s[4:5], s[24:25], s[28:29]
	s_and_saveexec_b64 s[2:3], s[4:5]
	s_cbranch_execnz .LBB144_292
.LBB144_224:
	s_or_b64 exec, exec, s[2:3]
	s_and_b64 s[4:5], s[24:25], s[30:31]
	s_and_saveexec_b64 s[2:3], s[4:5]
	s_cbranch_execnz .LBB144_296
.LBB144_225:
	s_or_b64 exec, exec, s[2:3]
	s_and_b64 s[4:5], s[24:25], s[34:35]
	s_and_saveexec_b64 s[2:3], s[4:5]
	s_cbranch_execnz .LBB144_300
.LBB144_226:
	s_or_b64 exec, exec, s[2:3]
	s_and_b64 s[4:5], s[24:25], s[36:37]
	s_and_saveexec_b64 s[2:3], s[4:5]
	s_cbranch_execnz .LBB144_304
.LBB144_227:
	s_or_b64 exec, exec, s[2:3]
	s_and_b64 s[4:5], s[24:25], s[38:39]
	s_and_saveexec_b64 s[2:3], s[4:5]
	s_cbranch_execnz .LBB144_308
.LBB144_228:
	s_or_b64 exec, exec, s[2:3]
	s_and_b64 s[4:5], s[24:25], s[40:41]
	s_and_saveexec_b64 s[2:3], s[4:5]
	s_cbranch_execnz .LBB144_312
.LBB144_229:
	s_or_b64 exec, exec, s[2:3]
	s_and_b64 s[4:5], s[24:25], s[42:43]
	s_and_saveexec_b64 s[2:3], s[4:5]
	s_cbranch_execnz .LBB144_316
.LBB144_230:
	s_or_b64 exec, exec, s[2:3]
	s_and_b64 s[4:5], s[24:25], s[44:45]
	s_and_saveexec_b64 s[2:3], s[4:5]
	s_cbranch_execnz .LBB144_320
.LBB144_231:
	s_or_b64 exec, exec, s[2:3]
	s_and_b64 s[4:5], s[24:25], s[46:47]
	s_and_saveexec_b64 s[2:3], s[4:5]
	s_cbranch_execnz .LBB144_324
.LBB144_232:
	s_or_b64 exec, exec, s[2:3]
	s_and_b64 s[4:5], s[24:25], s[48:49]
	s_and_saveexec_b64 s[2:3], s[4:5]
	s_cbranch_execnz .LBB144_328
.LBB144_233:
	s_or_b64 exec, exec, s[2:3]
	s_and_b64 s[4:5], s[24:25], s[50:51]
	s_and_saveexec_b64 s[2:3], s[4:5]
	s_cbranch_execnz .LBB144_332
.LBB144_234:
	s_or_b64 exec, exec, s[2:3]
	s_and_b64 s[4:5], s[24:25], s[52:53]
	s_and_saveexec_b64 s[2:3], s[4:5]
	s_cbranch_execnz .LBB144_336
.LBB144_235:
	s_or_b64 exec, exec, s[2:3]
	s_and_b64 s[4:5], s[24:25], s[54:55]
	s_and_saveexec_b64 s[2:3], s[4:5]
	s_cbranch_execnz .LBB144_340
.LBB144_236:
	s_or_b64 exec, exec, s[2:3]
	s_and_b64 s[4:5], s[24:25], s[56:57]
	s_and_saveexec_b64 s[2:3], s[4:5]
	s_cbranch_execnz .LBB144_344
.LBB144_237:
	s_or_b64 exec, exec, s[2:3]
	s_and_b64 s[4:5], s[24:25], s[58:59]
	s_and_saveexec_b64 s[2:3], s[4:5]
	s_cbranch_execnz .LBB144_348
.LBB144_238:
	s_or_b64 exec, exec, s[2:3]
	s_and_b64 s[4:5], s[24:25], s[60:61]
	s_and_saveexec_b64 s[2:3], s[4:5]
	s_cbranch_execnz .LBB144_352
.LBB144_239:
	s_or_b64 exec, exec, s[2:3]
	s_and_b64 s[4:5], s[24:25], s[62:63]
	s_and_saveexec_b64 s[2:3], s[4:5]
	s_cbranch_execnz .LBB144_356
.LBB144_240:
	s_or_b64 exec, exec, s[2:3]
	s_and_b64 s[4:5], s[24:25], s[64:65]
	s_and_saveexec_b64 s[2:3], s[4:5]
	s_cbranch_execnz .LBB144_360
.LBB144_241:
	s_or_b64 exec, exec, s[2:3]
	s_and_b64 s[4:5], s[24:25], s[66:67]
	s_and_saveexec_b64 s[2:3], s[4:5]
	s_cbranch_execnz .LBB144_364
.LBB144_242:
	s_or_b64 exec, exec, s[2:3]
	s_and_b64 s[2:3], s[24:25], s[68:69]
	s_and_saveexec_b64 s[4:5], s[2:3]
	s_cbranch_execnz .LBB144_368
.LBB144_243:
	s_endpgm
.LBB144_244:
	s_and_b64 vcc, exec, s[0:1]
	s_cbranch_vccnz .LBB144_246
; %bb.245:
	v_lshl_add_u64 v[132:133], v[128:129], 3, v[130:131]
	flat_load_dwordx2 v[132:133], v[132:133]
	s_waitcnt vmcnt(0) lgkmcnt(0)
	v_mul_f64 v[132:133], s[70:71], v[132:133]
	s_branch .LBB144_247
.LBB144_246:
	v_mov_b64_e32 v[132:133], 0
.LBB144_247:
	v_add_f64 v[62:63], v[62:63], v[132:133]
	v_lshl_add_u64 v[128:129], v[128:129], 3, v[64:65]
	flat_store_dwordx2 v[128:129], v[62:63]
	s_or_b64 exec, exec, s[2:3]
	s_and_b64 s[4:5], s[24:25], s[4:5]
	s_and_saveexec_b64 s[2:3], s[4:5]
	s_cbranch_execz .LBB144_213
.LBB144_248:
	s_and_b64 vcc, exec, s[0:1]
	s_cbranch_vccnz .LBB144_250
; %bb.249:
	v_lshl_add_u64 v[62:63], v[126:127], 3, v[130:131]
	flat_load_dwordx2 v[62:63], v[62:63]
	s_waitcnt vmcnt(0) lgkmcnt(0)
	v_mul_f64 v[62:63], s[70:71], v[62:63]
	s_branch .LBB144_251
.LBB144_250:
	v_mov_b64_e32 v[62:63], 0
.LBB144_251:
	v_add_f64 v[60:61], v[60:61], v[62:63]
	v_lshl_add_u64 v[62:63], v[126:127], 3, v[64:65]
	flat_store_dwordx2 v[62:63], v[60:61]
	s_or_b64 exec, exec, s[2:3]
	s_and_b64 s[4:5], s[24:25], s[6:7]
	s_and_saveexec_b64 s[2:3], s[4:5]
	s_cbranch_execz .LBB144_214
.LBB144_252:
	s_and_b64 vcc, exec, s[0:1]
	s_cbranch_vccnz .LBB144_254
; %bb.253:
	v_lshl_add_u64 v[60:61], v[124:125], 3, v[130:131]
	flat_load_dwordx2 v[60:61], v[60:61]
	s_waitcnt vmcnt(0) lgkmcnt(0)
	v_mul_f64 v[60:61], s[70:71], v[60:61]
	s_branch .LBB144_255
.LBB144_254:
	v_mov_b64_e32 v[60:61], 0
.LBB144_255:
	v_add_f64 v[58:59], v[58:59], v[60:61]
	v_lshl_add_u64 v[60:61], v[124:125], 3, v[64:65]
	flat_store_dwordx2 v[60:61], v[58:59]
	s_or_b64 exec, exec, s[2:3]
	s_and_b64 s[4:5], s[24:25], s[8:9]
	s_and_saveexec_b64 s[2:3], s[4:5]
	s_cbranch_execz .LBB144_215
.LBB144_256:
	s_and_b64 vcc, exec, s[0:1]
	s_cbranch_vccnz .LBB144_258
; %bb.257:
	v_lshl_add_u64 v[58:59], v[122:123], 3, v[130:131]
	flat_load_dwordx2 v[58:59], v[58:59]
	s_waitcnt vmcnt(0) lgkmcnt(0)
	v_mul_f64 v[58:59], s[70:71], v[58:59]
	s_branch .LBB144_259
.LBB144_258:
	v_mov_b64_e32 v[58:59], 0
.LBB144_259:
	v_add_f64 v[56:57], v[56:57], v[58:59]
	v_lshl_add_u64 v[58:59], v[122:123], 3, v[64:65]
	flat_store_dwordx2 v[58:59], v[56:57]
	s_or_b64 exec, exec, s[2:3]
	s_and_b64 s[4:5], s[24:25], s[10:11]
	s_and_saveexec_b64 s[2:3], s[4:5]
	s_cbranch_execz .LBB144_216
.LBB144_260:
	s_and_b64 vcc, exec, s[0:1]
	s_cbranch_vccnz .LBB144_262
; %bb.261:
	v_lshl_add_u64 v[56:57], v[120:121], 3, v[130:131]
	flat_load_dwordx2 v[56:57], v[56:57]
	s_waitcnt vmcnt(0) lgkmcnt(0)
	v_mul_f64 v[56:57], s[70:71], v[56:57]
	s_branch .LBB144_263
.LBB144_262:
	v_mov_b64_e32 v[56:57], 0
.LBB144_263:
	v_add_f64 v[54:55], v[54:55], v[56:57]
	v_lshl_add_u64 v[56:57], v[120:121], 3, v[64:65]
	flat_store_dwordx2 v[56:57], v[54:55]
	s_or_b64 exec, exec, s[2:3]
	s_and_b64 s[4:5], s[24:25], s[12:13]
	s_and_saveexec_b64 s[2:3], s[4:5]
	s_cbranch_execz .LBB144_217
.LBB144_264:
	s_and_b64 vcc, exec, s[0:1]
	s_cbranch_vccnz .LBB144_266
; %bb.265:
	v_lshl_add_u64 v[54:55], v[118:119], 3, v[130:131]
	flat_load_dwordx2 v[54:55], v[54:55]
	s_waitcnt vmcnt(0) lgkmcnt(0)
	v_mul_f64 v[54:55], s[70:71], v[54:55]
	s_branch .LBB144_267
.LBB144_266:
	v_mov_b64_e32 v[54:55], 0
.LBB144_267:
	v_add_f64 v[52:53], v[52:53], v[54:55]
	v_lshl_add_u64 v[54:55], v[118:119], 3, v[64:65]
	flat_store_dwordx2 v[54:55], v[52:53]
	s_or_b64 exec, exec, s[2:3]
	s_and_b64 s[4:5], s[24:25], s[14:15]
	s_and_saveexec_b64 s[2:3], s[4:5]
	s_cbranch_execz .LBB144_218
.LBB144_268:
	s_and_b64 vcc, exec, s[0:1]
	s_cbranch_vccnz .LBB144_270
; %bb.269:
	v_lshl_add_u64 v[52:53], v[116:117], 3, v[130:131]
	flat_load_dwordx2 v[52:53], v[52:53]
	s_waitcnt vmcnt(0) lgkmcnt(0)
	v_mul_f64 v[52:53], s[70:71], v[52:53]
	s_branch .LBB144_271
.LBB144_270:
	v_mov_b64_e32 v[52:53], 0
.LBB144_271:
	v_add_f64 v[50:51], v[50:51], v[52:53]
	v_lshl_add_u64 v[52:53], v[116:117], 3, v[64:65]
	flat_store_dwordx2 v[52:53], v[50:51]
	s_or_b64 exec, exec, s[2:3]
	s_and_b64 s[4:5], s[24:25], s[16:17]
	s_and_saveexec_b64 s[2:3], s[4:5]
	s_cbranch_execz .LBB144_219
.LBB144_272:
	s_and_b64 vcc, exec, s[0:1]
	s_cbranch_vccnz .LBB144_274
; %bb.273:
	v_lshl_add_u64 v[50:51], v[114:115], 3, v[130:131]
	flat_load_dwordx2 v[50:51], v[50:51]
	s_waitcnt vmcnt(0) lgkmcnt(0)
	v_mul_f64 v[50:51], s[70:71], v[50:51]
	s_branch .LBB144_275
.LBB144_274:
	v_mov_b64_e32 v[50:51], 0
.LBB144_275:
	v_add_f64 v[48:49], v[48:49], v[50:51]
	v_lshl_add_u64 v[50:51], v[114:115], 3, v[64:65]
	flat_store_dwordx2 v[50:51], v[48:49]
	s_or_b64 exec, exec, s[2:3]
	s_and_b64 s[4:5], s[24:25], s[18:19]
	s_and_saveexec_b64 s[2:3], s[4:5]
	s_cbranch_execz .LBB144_220
.LBB144_276:
	s_and_b64 vcc, exec, s[0:1]
	s_cbranch_vccnz .LBB144_278
; %bb.277:
	v_lshl_add_u64 v[48:49], v[112:113], 3, v[130:131]
	flat_load_dwordx2 v[48:49], v[48:49]
	s_waitcnt vmcnt(0) lgkmcnt(0)
	v_mul_f64 v[48:49], s[70:71], v[48:49]
	s_branch .LBB144_279
.LBB144_278:
	v_mov_b64_e32 v[48:49], 0
.LBB144_279:
	v_add_f64 v[46:47], v[46:47], v[48:49]
	v_lshl_add_u64 v[48:49], v[112:113], 3, v[64:65]
	flat_store_dwordx2 v[48:49], v[46:47]
	s_or_b64 exec, exec, s[2:3]
	s_and_b64 s[4:5], s[24:25], s[20:21]
	s_and_saveexec_b64 s[2:3], s[4:5]
	s_cbranch_execz .LBB144_221
.LBB144_280:
	s_and_b64 vcc, exec, s[0:1]
	s_cbranch_vccnz .LBB144_282
; %bb.281:
	v_lshl_add_u64 v[46:47], v[110:111], 3, v[130:131]
	flat_load_dwordx2 v[46:47], v[46:47]
	s_waitcnt vmcnt(0) lgkmcnt(0)
	v_mul_f64 v[46:47], s[70:71], v[46:47]
	s_branch .LBB144_283
.LBB144_282:
	v_mov_b64_e32 v[46:47], 0
.LBB144_283:
	v_add_f64 v[44:45], v[44:45], v[46:47]
	v_lshl_add_u64 v[46:47], v[110:111], 3, v[64:65]
	flat_store_dwordx2 v[46:47], v[44:45]
	s_or_b64 exec, exec, s[2:3]
	s_and_b64 s[4:5], s[24:25], s[22:23]
	s_and_saveexec_b64 s[2:3], s[4:5]
	s_cbranch_execz .LBB144_222
.LBB144_284:
	s_and_b64 vcc, exec, s[0:1]
	s_cbranch_vccnz .LBB144_286
; %bb.285:
	v_lshl_add_u64 v[44:45], v[108:109], 3, v[130:131]
	flat_load_dwordx2 v[44:45], v[44:45]
	s_waitcnt vmcnt(0) lgkmcnt(0)
	v_mul_f64 v[44:45], s[70:71], v[44:45]
	s_branch .LBB144_287
.LBB144_286:
	v_mov_b64_e32 v[44:45], 0
.LBB144_287:
	v_add_f64 v[42:43], v[42:43], v[44:45]
	v_lshl_add_u64 v[44:45], v[108:109], 3, v[64:65]
	flat_store_dwordx2 v[44:45], v[42:43]
	s_or_b64 exec, exec, s[2:3]
	s_and_b64 s[4:5], s[24:25], s[26:27]
	s_and_saveexec_b64 s[2:3], s[4:5]
	s_cbranch_execz .LBB144_223
.LBB144_288:
	s_and_b64 vcc, exec, s[0:1]
	s_cbranch_vccnz .LBB144_290
; %bb.289:
	v_lshl_add_u64 v[42:43], v[106:107], 3, v[130:131]
	flat_load_dwordx2 v[42:43], v[42:43]
	s_waitcnt vmcnt(0) lgkmcnt(0)
	v_mul_f64 v[42:43], s[70:71], v[42:43]
	s_branch .LBB144_291
.LBB144_290:
	v_mov_b64_e32 v[42:43], 0
.LBB144_291:
	v_add_f64 v[40:41], v[40:41], v[42:43]
	v_lshl_add_u64 v[42:43], v[106:107], 3, v[64:65]
	flat_store_dwordx2 v[42:43], v[40:41]
	s_or_b64 exec, exec, s[2:3]
	s_and_b64 s[4:5], s[24:25], s[28:29]
	s_and_saveexec_b64 s[2:3], s[4:5]
	s_cbranch_execz .LBB144_224
.LBB144_292:
	s_and_b64 vcc, exec, s[0:1]
	s_cbranch_vccnz .LBB144_294
; %bb.293:
	v_lshl_add_u64 v[40:41], v[104:105], 3, v[130:131]
	flat_load_dwordx2 v[40:41], v[40:41]
	s_waitcnt vmcnt(0) lgkmcnt(0)
	v_mul_f64 v[40:41], s[70:71], v[40:41]
	s_branch .LBB144_295
.LBB144_294:
	v_mov_b64_e32 v[40:41], 0
.LBB144_295:
	v_add_f64 v[38:39], v[38:39], v[40:41]
	v_lshl_add_u64 v[40:41], v[104:105], 3, v[64:65]
	flat_store_dwordx2 v[40:41], v[38:39]
	s_or_b64 exec, exec, s[2:3]
	s_and_b64 s[4:5], s[24:25], s[30:31]
	s_and_saveexec_b64 s[2:3], s[4:5]
	s_cbranch_execz .LBB144_225
.LBB144_296:
	s_and_b64 vcc, exec, s[0:1]
	s_cbranch_vccnz .LBB144_298
; %bb.297:
	v_lshl_add_u64 v[38:39], v[102:103], 3, v[130:131]
	flat_load_dwordx2 v[38:39], v[38:39]
	s_waitcnt vmcnt(0) lgkmcnt(0)
	v_mul_f64 v[38:39], s[70:71], v[38:39]
	s_branch .LBB144_299
.LBB144_298:
	v_mov_b64_e32 v[38:39], 0
.LBB144_299:
	v_add_f64 v[36:37], v[36:37], v[38:39]
	v_lshl_add_u64 v[38:39], v[102:103], 3, v[64:65]
	flat_store_dwordx2 v[38:39], v[36:37]
	s_or_b64 exec, exec, s[2:3]
	s_and_b64 s[4:5], s[24:25], s[34:35]
	s_and_saveexec_b64 s[2:3], s[4:5]
	s_cbranch_execz .LBB144_226
.LBB144_300:
	s_and_b64 vcc, exec, s[0:1]
	s_cbranch_vccnz .LBB144_302
; %bb.301:
	v_lshl_add_u64 v[36:37], v[100:101], 3, v[130:131]
	flat_load_dwordx2 v[36:37], v[36:37]
	s_waitcnt vmcnt(0) lgkmcnt(0)
	v_mul_f64 v[36:37], s[70:71], v[36:37]
	s_branch .LBB144_303
.LBB144_302:
	v_mov_b64_e32 v[36:37], 0
.LBB144_303:
	v_add_f64 v[34:35], v[34:35], v[36:37]
	v_lshl_add_u64 v[36:37], v[100:101], 3, v[64:65]
	flat_store_dwordx2 v[36:37], v[34:35]
	s_or_b64 exec, exec, s[2:3]
	s_and_b64 s[4:5], s[24:25], s[36:37]
	s_and_saveexec_b64 s[2:3], s[4:5]
	s_cbranch_execz .LBB144_227
.LBB144_304:
	s_and_b64 vcc, exec, s[0:1]
	s_cbranch_vccnz .LBB144_306
; %bb.305:
	v_lshl_add_u64 v[34:35], v[98:99], 3, v[130:131]
	flat_load_dwordx2 v[34:35], v[34:35]
	s_waitcnt vmcnt(0) lgkmcnt(0)
	v_mul_f64 v[34:35], s[70:71], v[34:35]
	s_branch .LBB144_307
.LBB144_306:
	v_mov_b64_e32 v[34:35], 0
.LBB144_307:
	v_add_f64 v[32:33], v[32:33], v[34:35]
	v_lshl_add_u64 v[34:35], v[98:99], 3, v[64:65]
	flat_store_dwordx2 v[34:35], v[32:33]
	s_or_b64 exec, exec, s[2:3]
	s_and_b64 s[4:5], s[24:25], s[38:39]
	s_and_saveexec_b64 s[2:3], s[4:5]
	s_cbranch_execz .LBB144_228
.LBB144_308:
	s_and_b64 vcc, exec, s[0:1]
	s_cbranch_vccnz .LBB144_310
; %bb.309:
	v_lshl_add_u64 v[32:33], v[96:97], 3, v[130:131]
	flat_load_dwordx2 v[32:33], v[32:33]
	s_waitcnt vmcnt(0) lgkmcnt(0)
	v_mul_f64 v[32:33], s[70:71], v[32:33]
	s_branch .LBB144_311
.LBB144_310:
	v_mov_b64_e32 v[32:33], 0
.LBB144_311:
	v_add_f64 v[30:31], v[30:31], v[32:33]
	v_lshl_add_u64 v[32:33], v[96:97], 3, v[64:65]
	flat_store_dwordx2 v[32:33], v[30:31]
	s_or_b64 exec, exec, s[2:3]
	s_and_b64 s[4:5], s[24:25], s[40:41]
	s_and_saveexec_b64 s[2:3], s[4:5]
	s_cbranch_execz .LBB144_229
.LBB144_312:
	s_and_b64 vcc, exec, s[0:1]
	s_cbranch_vccnz .LBB144_314
; %bb.313:
	v_lshl_add_u64 v[30:31], v[94:95], 3, v[130:131]
	flat_load_dwordx2 v[30:31], v[30:31]
	s_waitcnt vmcnt(0) lgkmcnt(0)
	v_mul_f64 v[30:31], s[70:71], v[30:31]
	s_branch .LBB144_315
.LBB144_314:
	v_mov_b64_e32 v[30:31], 0
.LBB144_315:
	v_add_f64 v[28:29], v[28:29], v[30:31]
	v_lshl_add_u64 v[30:31], v[94:95], 3, v[64:65]
	flat_store_dwordx2 v[30:31], v[28:29]
	s_or_b64 exec, exec, s[2:3]
	s_and_b64 s[4:5], s[24:25], s[42:43]
	s_and_saveexec_b64 s[2:3], s[4:5]
	s_cbranch_execz .LBB144_230
.LBB144_316:
	s_and_b64 vcc, exec, s[0:1]
	s_cbranch_vccnz .LBB144_318
; %bb.317:
	v_lshl_add_u64 v[28:29], v[92:93], 3, v[130:131]
	flat_load_dwordx2 v[28:29], v[28:29]
	s_waitcnt vmcnt(0) lgkmcnt(0)
	v_mul_f64 v[28:29], s[70:71], v[28:29]
	s_branch .LBB144_319
.LBB144_318:
	v_mov_b64_e32 v[28:29], 0
.LBB144_319:
	v_add_f64 v[26:27], v[26:27], v[28:29]
	v_lshl_add_u64 v[28:29], v[92:93], 3, v[64:65]
	flat_store_dwordx2 v[28:29], v[26:27]
	s_or_b64 exec, exec, s[2:3]
	s_and_b64 s[4:5], s[24:25], s[44:45]
	s_and_saveexec_b64 s[2:3], s[4:5]
	s_cbranch_execz .LBB144_231
.LBB144_320:
	s_and_b64 vcc, exec, s[0:1]
	s_cbranch_vccnz .LBB144_322
; %bb.321:
	v_lshl_add_u64 v[26:27], v[90:91], 3, v[130:131]
	flat_load_dwordx2 v[26:27], v[26:27]
	s_waitcnt vmcnt(0) lgkmcnt(0)
	v_mul_f64 v[26:27], s[70:71], v[26:27]
	s_branch .LBB144_323
.LBB144_322:
	v_mov_b64_e32 v[26:27], 0
.LBB144_323:
	v_add_f64 v[24:25], v[24:25], v[26:27]
	v_lshl_add_u64 v[26:27], v[90:91], 3, v[64:65]
	flat_store_dwordx2 v[26:27], v[24:25]
	s_or_b64 exec, exec, s[2:3]
	s_and_b64 s[4:5], s[24:25], s[46:47]
	s_and_saveexec_b64 s[2:3], s[4:5]
	s_cbranch_execz .LBB144_232
.LBB144_324:
	s_and_b64 vcc, exec, s[0:1]
	s_cbranch_vccnz .LBB144_326
; %bb.325:
	v_lshl_add_u64 v[24:25], v[88:89], 3, v[130:131]
	flat_load_dwordx2 v[24:25], v[24:25]
	s_waitcnt vmcnt(0) lgkmcnt(0)
	v_mul_f64 v[24:25], s[70:71], v[24:25]
	s_branch .LBB144_327
.LBB144_326:
	v_mov_b64_e32 v[24:25], 0
.LBB144_327:
	v_add_f64 v[22:23], v[22:23], v[24:25]
	v_lshl_add_u64 v[24:25], v[88:89], 3, v[64:65]
	flat_store_dwordx2 v[24:25], v[22:23]
	s_or_b64 exec, exec, s[2:3]
	s_and_b64 s[4:5], s[24:25], s[48:49]
	s_and_saveexec_b64 s[2:3], s[4:5]
	s_cbranch_execz .LBB144_233
.LBB144_328:
	s_and_b64 vcc, exec, s[0:1]
	s_cbranch_vccnz .LBB144_330
; %bb.329:
	v_lshl_add_u64 v[22:23], v[86:87], 3, v[130:131]
	flat_load_dwordx2 v[22:23], v[22:23]
	s_waitcnt vmcnt(0) lgkmcnt(0)
	v_mul_f64 v[22:23], s[70:71], v[22:23]
	s_branch .LBB144_331
.LBB144_330:
	v_mov_b64_e32 v[22:23], 0
.LBB144_331:
	v_add_f64 v[20:21], v[20:21], v[22:23]
	v_lshl_add_u64 v[22:23], v[86:87], 3, v[64:65]
	flat_store_dwordx2 v[22:23], v[20:21]
	s_or_b64 exec, exec, s[2:3]
	s_and_b64 s[4:5], s[24:25], s[50:51]
	s_and_saveexec_b64 s[2:3], s[4:5]
	s_cbranch_execz .LBB144_234
.LBB144_332:
	s_and_b64 vcc, exec, s[0:1]
	s_cbranch_vccnz .LBB144_334
; %bb.333:
	v_lshl_add_u64 v[20:21], v[84:85], 3, v[130:131]
	flat_load_dwordx2 v[20:21], v[20:21]
	s_waitcnt vmcnt(0) lgkmcnt(0)
	v_mul_f64 v[20:21], s[70:71], v[20:21]
	s_branch .LBB144_335
.LBB144_334:
	v_mov_b64_e32 v[20:21], 0
.LBB144_335:
	v_add_f64 v[18:19], v[18:19], v[20:21]
	v_lshl_add_u64 v[20:21], v[84:85], 3, v[64:65]
	flat_store_dwordx2 v[20:21], v[18:19]
	s_or_b64 exec, exec, s[2:3]
	s_and_b64 s[4:5], s[24:25], s[52:53]
	s_and_saveexec_b64 s[2:3], s[4:5]
	s_cbranch_execz .LBB144_235
.LBB144_336:
	s_and_b64 vcc, exec, s[0:1]
	s_cbranch_vccnz .LBB144_338
; %bb.337:
	v_lshl_add_u64 v[18:19], v[82:83], 3, v[130:131]
	flat_load_dwordx2 v[18:19], v[18:19]
	s_waitcnt vmcnt(0) lgkmcnt(0)
	v_mul_f64 v[18:19], s[70:71], v[18:19]
	s_branch .LBB144_339
.LBB144_338:
	v_mov_b64_e32 v[18:19], 0
.LBB144_339:
	v_add_f64 v[16:17], v[16:17], v[18:19]
	v_lshl_add_u64 v[18:19], v[82:83], 3, v[64:65]
	flat_store_dwordx2 v[18:19], v[16:17]
	s_or_b64 exec, exec, s[2:3]
	s_and_b64 s[4:5], s[24:25], s[54:55]
	s_and_saveexec_b64 s[2:3], s[4:5]
	s_cbranch_execz .LBB144_236
.LBB144_340:
	s_and_b64 vcc, exec, s[0:1]
	s_cbranch_vccnz .LBB144_342
; %bb.341:
	v_lshl_add_u64 v[16:17], v[80:81], 3, v[130:131]
	flat_load_dwordx2 v[16:17], v[16:17]
	s_waitcnt vmcnt(0) lgkmcnt(0)
	v_mul_f64 v[16:17], s[70:71], v[16:17]
	s_branch .LBB144_343
.LBB144_342:
	v_mov_b64_e32 v[16:17], 0
.LBB144_343:
	v_add_f64 v[14:15], v[14:15], v[16:17]
	v_lshl_add_u64 v[16:17], v[80:81], 3, v[64:65]
	flat_store_dwordx2 v[16:17], v[14:15]
	s_or_b64 exec, exec, s[2:3]
	s_and_b64 s[4:5], s[24:25], s[56:57]
	s_and_saveexec_b64 s[2:3], s[4:5]
	s_cbranch_execz .LBB144_237
.LBB144_344:
	s_and_b64 vcc, exec, s[0:1]
	s_cbranch_vccnz .LBB144_346
; %bb.345:
	v_lshl_add_u64 v[14:15], v[78:79], 3, v[130:131]
	flat_load_dwordx2 v[14:15], v[14:15]
	s_waitcnt vmcnt(0) lgkmcnt(0)
	v_mul_f64 v[14:15], s[70:71], v[14:15]
	s_branch .LBB144_347
.LBB144_346:
	v_mov_b64_e32 v[14:15], 0
.LBB144_347:
	v_add_f64 v[12:13], v[12:13], v[14:15]
	v_lshl_add_u64 v[14:15], v[78:79], 3, v[64:65]
	flat_store_dwordx2 v[14:15], v[12:13]
	s_or_b64 exec, exec, s[2:3]
	s_and_b64 s[4:5], s[24:25], s[58:59]
	s_and_saveexec_b64 s[2:3], s[4:5]
	s_cbranch_execz .LBB144_238
.LBB144_348:
	s_and_b64 vcc, exec, s[0:1]
	s_cbranch_vccnz .LBB144_350
; %bb.349:
	v_lshl_add_u64 v[12:13], v[76:77], 3, v[130:131]
	flat_load_dwordx2 v[12:13], v[12:13]
	s_waitcnt vmcnt(0) lgkmcnt(0)
	v_mul_f64 v[12:13], s[70:71], v[12:13]
	s_branch .LBB144_351
.LBB144_350:
	v_mov_b64_e32 v[12:13], 0
.LBB144_351:
	v_add_f64 v[10:11], v[10:11], v[12:13]
	v_lshl_add_u64 v[12:13], v[76:77], 3, v[64:65]
	flat_store_dwordx2 v[12:13], v[10:11]
	s_or_b64 exec, exec, s[2:3]
	s_and_b64 s[4:5], s[24:25], s[60:61]
	s_and_saveexec_b64 s[2:3], s[4:5]
	s_cbranch_execz .LBB144_239
.LBB144_352:
	s_and_b64 vcc, exec, s[0:1]
	s_cbranch_vccnz .LBB144_354
; %bb.353:
	v_lshl_add_u64 v[10:11], v[74:75], 3, v[130:131]
	flat_load_dwordx2 v[10:11], v[10:11]
	s_waitcnt vmcnt(0) lgkmcnt(0)
	v_mul_f64 v[10:11], s[70:71], v[10:11]
	s_branch .LBB144_355
.LBB144_354:
	v_mov_b64_e32 v[10:11], 0
.LBB144_355:
	v_add_f64 v[8:9], v[8:9], v[10:11]
	v_lshl_add_u64 v[10:11], v[74:75], 3, v[64:65]
	flat_store_dwordx2 v[10:11], v[8:9]
	s_or_b64 exec, exec, s[2:3]
	s_and_b64 s[4:5], s[24:25], s[62:63]
	s_and_saveexec_b64 s[2:3], s[4:5]
	s_cbranch_execz .LBB144_240
.LBB144_356:
	s_and_b64 vcc, exec, s[0:1]
	s_cbranch_vccnz .LBB144_358
; %bb.357:
	v_lshl_add_u64 v[8:9], v[72:73], 3, v[130:131]
	flat_load_dwordx2 v[8:9], v[8:9]
	s_waitcnt vmcnt(0) lgkmcnt(0)
	v_mul_f64 v[8:9], s[70:71], v[8:9]
	s_branch .LBB144_359
.LBB144_358:
	v_mov_b64_e32 v[8:9], 0
.LBB144_359:
	v_add_f64 v[6:7], v[6:7], v[8:9]
	v_lshl_add_u64 v[8:9], v[72:73], 3, v[64:65]
	flat_store_dwordx2 v[8:9], v[6:7]
	s_or_b64 exec, exec, s[2:3]
	s_and_b64 s[4:5], s[24:25], s[64:65]
	s_and_saveexec_b64 s[2:3], s[4:5]
	s_cbranch_execz .LBB144_241
.LBB144_360:
	s_and_b64 vcc, exec, s[0:1]
	s_cbranch_vccnz .LBB144_362
; %bb.361:
	v_lshl_add_u64 v[6:7], v[70:71], 3, v[130:131]
	flat_load_dwordx2 v[6:7], v[6:7]
	s_waitcnt vmcnt(0) lgkmcnt(0)
	v_mul_f64 v[6:7], s[70:71], v[6:7]
	s_branch .LBB144_363
.LBB144_362:
	v_mov_b64_e32 v[6:7], 0
.LBB144_363:
	v_add_f64 v[4:5], v[4:5], v[6:7]
	v_lshl_add_u64 v[6:7], v[70:71], 3, v[64:65]
	flat_store_dwordx2 v[6:7], v[4:5]
	s_or_b64 exec, exec, s[2:3]
	s_and_b64 s[4:5], s[24:25], s[66:67]
	s_and_saveexec_b64 s[2:3], s[4:5]
	s_cbranch_execz .LBB144_242
.LBB144_364:
	s_and_b64 vcc, exec, s[0:1]
	s_cbranch_vccnz .LBB144_366
; %bb.365:
	v_lshl_add_u64 v[4:5], v[68:69], 3, v[130:131]
	flat_load_dwordx2 v[4:5], v[4:5]
	s_waitcnt vmcnt(0) lgkmcnt(0)
	v_mul_f64 v[4:5], s[70:71], v[4:5]
	s_branch .LBB144_367
.LBB144_366:
	v_mov_b64_e32 v[4:5], 0
.LBB144_367:
	v_add_f64 v[2:3], v[2:3], v[4:5]
	v_lshl_add_u64 v[4:5], v[68:69], 3, v[64:65]
	flat_store_dwordx2 v[4:5], v[2:3]
	s_or_b64 exec, exec, s[2:3]
	s_and_b64 s[2:3], s[24:25], s[68:69]
	s_and_saveexec_b64 s[4:5], s[2:3]
	s_cbranch_execz .LBB144_243
.LBB144_368:
	s_and_b64 vcc, exec, s[0:1]
	s_cbranch_vccnz .LBB144_370
; %bb.369:
	v_lshl_add_u64 v[2:3], v[66:67], 3, v[130:131]
	flat_load_dwordx2 v[2:3], v[2:3]
	s_waitcnt vmcnt(0) lgkmcnt(0)
	v_mul_f64 v[2:3], s[70:71], v[2:3]
	v_add_f64 v[0:1], v[0:1], v[2:3]
	v_lshl_add_u64 v[2:3], v[66:67], 3, v[64:65]
	flat_store_dwordx2 v[2:3], v[0:1]
	s_endpgm
.LBB144_370:
	v_mov_b64_e32 v[2:3], 0
	v_add_f64 v[0:1], v[0:1], v[2:3]
	v_lshl_add_u64 v[2:3], v[66:67], 3, v[64:65]
	flat_store_dwordx2 v[2:3], v[0:1]
	s_endpgm
	.section	.rodata,"a",@progbits
	.p2align	6, 0x0
	.amdhsa_kernel _ZN12_GLOBAL__N_120geam_min_plus_kernelIdddLi4ELi64ELi128ELi128ELi4ELi64ELi4ELi64ELi4ELc78ELc84ELb0ELb1ELb0EPKdKS2_KPdEEviiiT16_PT17_ilS8_ilS6_S8_ilPT18_ili26rocblas_geam_ex_operation_
		.amdhsa_group_segment_fixed_size 16384
		.amdhsa_private_segment_fixed_size 0
		.amdhsa_kernarg_size 136
		.amdhsa_user_sgpr_count 2
		.amdhsa_user_sgpr_dispatch_ptr 0
		.amdhsa_user_sgpr_queue_ptr 0
		.amdhsa_user_sgpr_kernarg_segment_ptr 1
		.amdhsa_user_sgpr_dispatch_id 0
		.amdhsa_user_sgpr_kernarg_preload_length 0
		.amdhsa_user_sgpr_kernarg_preload_offset 0
		.amdhsa_user_sgpr_private_segment_size 0
		.amdhsa_uses_dynamic_stack 0
		.amdhsa_enable_private_segment 0
		.amdhsa_system_sgpr_workgroup_id_x 1
		.amdhsa_system_sgpr_workgroup_id_y 0
		.amdhsa_system_sgpr_workgroup_id_z 1
		.amdhsa_system_sgpr_workgroup_info 0
		.amdhsa_system_vgpr_workitem_id 1
		.amdhsa_next_free_vgpr 252
		.amdhsa_next_free_sgpr 82
		.amdhsa_accum_offset 252
		.amdhsa_reserve_vcc 1
		.amdhsa_float_round_mode_32 0
		.amdhsa_float_round_mode_16_64 0
		.amdhsa_float_denorm_mode_32 3
		.amdhsa_float_denorm_mode_16_64 3
		.amdhsa_dx10_clamp 1
		.amdhsa_ieee_mode 1
		.amdhsa_fp16_overflow 0
		.amdhsa_tg_split 0
		.amdhsa_exception_fp_ieee_invalid_op 0
		.amdhsa_exception_fp_denorm_src 0
		.amdhsa_exception_fp_ieee_div_zero 0
		.amdhsa_exception_fp_ieee_overflow 0
		.amdhsa_exception_fp_ieee_underflow 0
		.amdhsa_exception_fp_ieee_inexact 0
		.amdhsa_exception_int_div_zero 0
	.end_amdhsa_kernel
	.section	.text._ZN12_GLOBAL__N_120geam_min_plus_kernelIdddLi4ELi64ELi128ELi128ELi4ELi64ELi4ELi64ELi4ELc78ELc84ELb0ELb1ELb0EPKdKS2_KPdEEviiiT16_PT17_ilS8_ilS6_S8_ilPT18_ili26rocblas_geam_ex_operation_,"axG",@progbits,_ZN12_GLOBAL__N_120geam_min_plus_kernelIdddLi4ELi64ELi128ELi128ELi4ELi64ELi4ELi64ELi4ELc78ELc84ELb0ELb1ELb0EPKdKS2_KPdEEviiiT16_PT17_ilS8_ilS6_S8_ilPT18_ili26rocblas_geam_ex_operation_,comdat
.Lfunc_end144:
	.size	_ZN12_GLOBAL__N_120geam_min_plus_kernelIdddLi4ELi64ELi128ELi128ELi4ELi64ELi4ELi64ELi4ELc78ELc84ELb0ELb1ELb0EPKdKS2_KPdEEviiiT16_PT17_ilS8_ilS6_S8_ilPT18_ili26rocblas_geam_ex_operation_, .Lfunc_end144-_ZN12_GLOBAL__N_120geam_min_plus_kernelIdddLi4ELi64ELi128ELi128ELi4ELi64ELi4ELi64ELi4ELc78ELc84ELb0ELb1ELb0EPKdKS2_KPdEEviiiT16_PT17_ilS8_ilS6_S8_ilPT18_ili26rocblas_geam_ex_operation_
                                        ; -- End function
	.set _ZN12_GLOBAL__N_120geam_min_plus_kernelIdddLi4ELi64ELi128ELi128ELi4ELi64ELi4ELi64ELi4ELc78ELc84ELb0ELb1ELb0EPKdKS2_KPdEEviiiT16_PT17_ilS8_ilS6_S8_ilPT18_ili26rocblas_geam_ex_operation_.num_vgpr, 252
	.set _ZN12_GLOBAL__N_120geam_min_plus_kernelIdddLi4ELi64ELi128ELi128ELi4ELi64ELi4ELi64ELi4ELc78ELc84ELb0ELb1ELb0EPKdKS2_KPdEEviiiT16_PT17_ilS8_ilS6_S8_ilPT18_ili26rocblas_geam_ex_operation_.num_agpr, 0
	.set _ZN12_GLOBAL__N_120geam_min_plus_kernelIdddLi4ELi64ELi128ELi128ELi4ELi64ELi4ELi64ELi4ELc78ELc84ELb0ELb1ELb0EPKdKS2_KPdEEviiiT16_PT17_ilS8_ilS6_S8_ilPT18_ili26rocblas_geam_ex_operation_.numbered_sgpr, 82
	.set _ZN12_GLOBAL__N_120geam_min_plus_kernelIdddLi4ELi64ELi128ELi128ELi4ELi64ELi4ELi64ELi4ELc78ELc84ELb0ELb1ELb0EPKdKS2_KPdEEviiiT16_PT17_ilS8_ilS6_S8_ilPT18_ili26rocblas_geam_ex_operation_.num_named_barrier, 0
	.set _ZN12_GLOBAL__N_120geam_min_plus_kernelIdddLi4ELi64ELi128ELi128ELi4ELi64ELi4ELi64ELi4ELc78ELc84ELb0ELb1ELb0EPKdKS2_KPdEEviiiT16_PT17_ilS8_ilS6_S8_ilPT18_ili26rocblas_geam_ex_operation_.private_seg_size, 0
	.set _ZN12_GLOBAL__N_120geam_min_plus_kernelIdddLi4ELi64ELi128ELi128ELi4ELi64ELi4ELi64ELi4ELc78ELc84ELb0ELb1ELb0EPKdKS2_KPdEEviiiT16_PT17_ilS8_ilS6_S8_ilPT18_ili26rocblas_geam_ex_operation_.uses_vcc, 1
	.set _ZN12_GLOBAL__N_120geam_min_plus_kernelIdddLi4ELi64ELi128ELi128ELi4ELi64ELi4ELi64ELi4ELc78ELc84ELb0ELb1ELb0EPKdKS2_KPdEEviiiT16_PT17_ilS8_ilS6_S8_ilPT18_ili26rocblas_geam_ex_operation_.uses_flat_scratch, 0
	.set _ZN12_GLOBAL__N_120geam_min_plus_kernelIdddLi4ELi64ELi128ELi128ELi4ELi64ELi4ELi64ELi4ELc78ELc84ELb0ELb1ELb0EPKdKS2_KPdEEviiiT16_PT17_ilS8_ilS6_S8_ilPT18_ili26rocblas_geam_ex_operation_.has_dyn_sized_stack, 0
	.set _ZN12_GLOBAL__N_120geam_min_plus_kernelIdddLi4ELi64ELi128ELi128ELi4ELi64ELi4ELi64ELi4ELc78ELc84ELb0ELb1ELb0EPKdKS2_KPdEEviiiT16_PT17_ilS8_ilS6_S8_ilPT18_ili26rocblas_geam_ex_operation_.has_recursion, 0
	.set _ZN12_GLOBAL__N_120geam_min_plus_kernelIdddLi4ELi64ELi128ELi128ELi4ELi64ELi4ELi64ELi4ELc78ELc84ELb0ELb1ELb0EPKdKS2_KPdEEviiiT16_PT17_ilS8_ilS6_S8_ilPT18_ili26rocblas_geam_ex_operation_.has_indirect_call, 0
	.section	.AMDGPU.csdata,"",@progbits
; Kernel info:
; codeLenInByte = 14672
; TotalNumSgprs: 88
; NumVgprs: 252
; NumAgprs: 0
; TotalNumVgprs: 252
; ScratchSize: 0
; MemoryBound: 0
; FloatMode: 240
; IeeeMode: 1
; LDSByteSize: 16384 bytes/workgroup (compile time only)
; SGPRBlocks: 10
; VGPRBlocks: 31
; NumSGPRsForWavesPerEU: 88
; NumVGPRsForWavesPerEU: 252
; AccumOffset: 252
; Occupancy: 2
; WaveLimiterHint : 1
; COMPUTE_PGM_RSRC2:SCRATCH_EN: 0
; COMPUTE_PGM_RSRC2:USER_SGPR: 2
; COMPUTE_PGM_RSRC2:TRAP_HANDLER: 0
; COMPUTE_PGM_RSRC2:TGID_X_EN: 1
; COMPUTE_PGM_RSRC2:TGID_Y_EN: 0
; COMPUTE_PGM_RSRC2:TGID_Z_EN: 1
; COMPUTE_PGM_RSRC2:TIDIG_COMP_CNT: 1
; COMPUTE_PGM_RSRC3_GFX90A:ACCUM_OFFSET: 62
; COMPUTE_PGM_RSRC3_GFX90A:TG_SPLIT: 0
	.section	.text._ZN12_GLOBAL__N_120geam_min_plus_kernelIdddLi4ELi64ELi128ELi128ELi4ELi64ELi4ELi64ELi4ELc78ELc84ELb1ELb1ELb0EdKPKdKPdEEviiiT16_PT17_ilS8_ilS6_S8_ilPT18_ili26rocblas_geam_ex_operation_,"axG",@progbits,_ZN12_GLOBAL__N_120geam_min_plus_kernelIdddLi4ELi64ELi128ELi128ELi4ELi64ELi4ELi64ELi4ELc78ELc84ELb1ELb1ELb0EdKPKdKPdEEviiiT16_PT17_ilS8_ilS6_S8_ilPT18_ili26rocblas_geam_ex_operation_,comdat
	.globl	_ZN12_GLOBAL__N_120geam_min_plus_kernelIdddLi4ELi64ELi128ELi128ELi4ELi64ELi4ELi64ELi4ELc78ELc84ELb1ELb1ELb0EdKPKdKPdEEviiiT16_PT17_ilS8_ilS6_S8_ilPT18_ili26rocblas_geam_ex_operation_ ; -- Begin function _ZN12_GLOBAL__N_120geam_min_plus_kernelIdddLi4ELi64ELi128ELi128ELi4ELi64ELi4ELi64ELi4ELc78ELc84ELb1ELb1ELb0EdKPKdKPdEEviiiT16_PT17_ilS8_ilS6_S8_ilPT18_ili26rocblas_geam_ex_operation_
	.p2align	8
	.type	_ZN12_GLOBAL__N_120geam_min_plus_kernelIdddLi4ELi64ELi128ELi128ELi4ELi64ELi4ELi64ELi4ELc78ELc84ELb1ELb1ELb0EdKPKdKPdEEviiiT16_PT17_ilS8_ilS6_S8_ilPT18_ili26rocblas_geam_ex_operation_,@function
_ZN12_GLOBAL__N_120geam_min_plus_kernelIdddLi4ELi64ELi128ELi128ELi4ELi64ELi4ELi64ELi4ELc78ELc84ELb1ELb1ELb0EdKPKdKPdEEviiiT16_PT17_ilS8_ilS6_S8_ilPT18_ili26rocblas_geam_ex_operation_: ; @_ZN12_GLOBAL__N_120geam_min_plus_kernelIdddLi4ELi64ELi128ELi128ELi4ELi64ELi4ELi64ELi4ELc78ELc84ELb1ELb1ELb0EdKPKdKPdEEviiiT16_PT17_ilS8_ilS6_S8_ilPT18_ili26rocblas_geam_ex_operation_
; %bb.0:
	s_load_dwordx4 s[8:11], s[0:1], 0x10
	s_load_dwordx4 s[4:7], s[0:1], 0x28
	s_mov_b32 s12, s3
	s_mov_b64 s[14:15], 0
	s_waitcnt lgkmcnt(0)
	v_cmp_eq_f64_e64 s[16:17], s[8:9], 0
	s_and_b64 vcc, exec, s[16:17]
	s_cbranch_vccnz .LBB145_2
; %bb.1:
	s_mov_b32 s13, 0
	s_lshl_b64 s[8:9], s[12:13], 3
	s_add_u32 s8, s10, s8
	s_addc_u32 s9, s11, s9
	s_load_dwordx2 s[8:9], s[8:9], 0x0
	s_lshl_b64 s[4:5], s[4:5], 3
	s_waitcnt lgkmcnt(0)
	s_add_u32 s14, s8, s4
	s_addc_u32 s15, s9, s5
.LBB145_2:
	s_load_dwordx4 s[68:71], s[0:1], 0x40
	s_load_dwordx2 s[8:9], s[0:1], 0x50
	s_andn2_b64 vcc, exec, s[16:17]
	s_mov_b32 s13, 0
	s_cbranch_vccnz .LBB145_4
; %bb.3:
	s_mov_b64 s[76:77], 0
	s_mov_b64 s[16:17], 0
	s_cbranch_execz .LBB145_5
	s_branch .LBB145_6
.LBB145_4:
	s_mov_b64 s[76:77], 0
	s_mov_b64 s[16:17], 0
.LBB145_5:
	s_lshl_b64 s[4:5], s[12:13], 3
	s_add_u32 s4, s6, s4
	s_addc_u32 s5, s7, s5
	s_load_dwordx2 s[4:5], s[4:5], 0x0
	s_waitcnt lgkmcnt(0)
	s_lshl_b64 s[6:7], s[68:69], 3
	s_add_u32 s16, s4, s6
	s_addc_u32 s17, s5, s7
.LBB145_6:
	s_load_dwordx4 s[4:7], s[0:1], 0x60
	s_waitcnt lgkmcnt(0)
	v_cmp_eq_f64_e64 s[18:19], s[70:71], 0
	v_cmp_neq_f64_e64 s[10:11], s[70:71], 0
	s_and_b64 vcc, exec, s[18:19]
	s_cbranch_vccnz .LBB145_8
; %bb.7:
	s_lshl_b64 s[18:19], s[12:13], 3
	s_add_u32 s8, s8, s18
	s_addc_u32 s9, s9, s19
	s_load_dwordx2 s[8:9], s[8:9], 0x0
	s_lshl_b64 s[4:5], s[4:5], 3
	s_waitcnt lgkmcnt(0)
	s_add_u32 s76, s8, s4
	s_addc_u32 s77, s9, s5
.LBB145_8:
	s_load_dwordx4 s[72:75], s[0:1], 0x0
	s_load_dword s22, s[0:1], 0x20
	s_lshl_b64 s[4:5], s[12:13], 3
	s_add_u32 s12, s6, s4
	s_addc_u32 s13, s7, s5
	s_waitcnt lgkmcnt(0)
	s_add_i32 s3, s72, -1
	s_ashr_i32 s4, s3, 31
	s_lshr_b32 s4, s4, 25
	s_add_i32 s3, s3, s4
	s_ashr_i32 s3, s3, 7
	s_add_i32 s4, s3, 1
	v_cvt_f32_u32_e32 v1, s4
	s_not_b32 s3, s3
	v_and_b32_e32 v129, 0x3ff, v0
	v_bfe_u32 v144, v0, 10, 10
	v_rcp_iflag_f32_e32 v1, v1
	v_lshl_add_u32 v0, v144, 2, v129
	v_and_b32_e32 v142, 63, v0
	v_lshrrev_b32_e32 v128, 6, v0
	v_mul_f32_e32 v1, 0x4f7ffffe, v1
	v_cvt_u32_f32_e32 v1, v1
	v_cmp_le_i32_e32 vcc, s74, v128
	v_mov_b64_e32 v[2:3], 0
	v_readfirstlane_b32 s5, v1
	s_mul_i32 s3, s3, s5
	s_mul_hi_u32 s3, s5, s3
	s_add_i32 s5, s5, s3
	s_mul_hi_u32 s3, s2, s5
	s_mul_i32 s5, s3, s4
	s_sub_i32 s5, s2, s5
	s_add_i32 s6, s3, 1
	s_sub_i32 s7, s5, s4
	s_cmp_ge_u32 s5, s4
	s_cselect_b32 s3, s6, s3
	s_cselect_b32 s5, s7, s5
	s_add_i32 s6, s3, 1
	s_cmp_ge_u32 s5, s4
	s_cselect_b32 s8, s6, s3
	s_mul_i32 s3, s8, s4
	s_sub_i32 s2, s2, s3
	s_lshl_b32 s20, s2, 7
	v_or_b32_e32 v130, s20, v142
	v_mad_i64_i32 v[0:1], s[2:3], s22, v128, 0
	v_cmp_le_i32_e64 s[2:3], s72, v130
	v_lshl_add_u64 v[4:5], v[0:1], 3, s[14:15]
	s_nor_b64 s[6:7], s[2:3], vcc
	v_mov_b64_e32 v[0:1], 0
	v_ashrrev_i32_e32 v131, 31, v130
	s_and_saveexec_b64 s[4:5], s[6:7]
	s_cbranch_execz .LBB145_10
; %bb.9:
	v_lshl_add_u64 v[2:3], v[130:131], 3, v[4:5]
	flat_load_dwordx2 v[2:3], v[2:3]
.LBB145_10:
	s_or_b64 exec, exec, s[4:5]
	v_or_b32_e32 v6, 64, v130
	v_cmp_le_i32_e64 s[4:5], s72, v6
	s_ashr_i32 s23, s22, 31
	s_nor_b64 s[18:19], s[4:5], vcc
	s_and_saveexec_b64 s[6:7], s[18:19]
	s_cbranch_execz .LBB145_12
; %bb.11:
	v_lshl_add_u64 v[0:1], v[130:131], 3, v[4:5]
	flat_load_dwordx2 v[0:1], v[0:1] offset:512
.LBB145_12:
	s_or_b64 exec, exec, s[6:7]
	s_load_dword s24, s[0:1], 0x38
	s_lshl_b32 s21, s8, 7
	v_or_b32_e32 v132, s21, v142
	v_cmp_le_i32_e64 s[6:7], s73, v132
	s_nor_b64 s[18:19], s[6:7], vcc
	s_waitcnt lgkmcnt(0)
	v_mad_i64_i32 v[4:5], s[8:9], s24, v128, 0
	v_lshl_add_u64 v[8:9], v[4:5], 3, s[16:17]
	v_mov_b64_e32 v[4:5], 0
	v_ashrrev_i32_e32 v133, 31, v132
	v_mov_b64_e32 v[6:7], 0
	s_and_saveexec_b64 s[8:9], s[18:19]
	s_cbranch_execz .LBB145_14
; %bb.13:
	v_lshl_add_u64 v[6:7], v[132:133], 3, v[8:9]
	flat_load_dwordx2 v[6:7], v[6:7]
.LBB145_14:
	s_or_b64 exec, exec, s[8:9]
	v_or_b32_e32 v10, 64, v132
	v_cmp_le_i32_e64 s[8:9], s73, v10
	s_ashr_i32 s25, s24, 31
	s_nor_b64 s[26:27], s[8:9], vcc
	s_and_saveexec_b64 s[18:19], s[26:27]
	s_cbranch_execz .LBB145_16
; %bb.15:
	v_lshl_add_u64 v[4:5], v[132:133], 3, v[8:9]
	flat_load_dwordx2 v[4:5], v[4:5] offset:512
.LBB145_16:
	s_or_b64 exec, exec, s[18:19]
	v_add_u32_e32 v10, 4, v128
	v_cmp_le_i32_e32 vcc, s74, v10
	v_mad_i64_i32 v[8:9], s[18:19], s22, v10, 0
	v_lshl_add_u64 v[8:9], v[8:9], 3, s[14:15]
	s_nor_b64 s[26:27], s[2:3], vcc
	v_mov_b64_e32 v[134:135], 0
	v_mov_b64_e32 v[136:137], 0
	s_and_saveexec_b64 s[18:19], s[26:27]
	s_cbranch_execz .LBB145_18
; %bb.17:
	v_lshl_add_u64 v[12:13], v[130:131], 3, v[8:9]
	flat_load_dwordx2 v[136:137], v[12:13]
.LBB145_18:
	s_or_b64 exec, exec, s[18:19]
	s_nor_b64 s[26:27], s[4:5], vcc
	s_and_saveexec_b64 s[18:19], s[26:27]
	s_cbranch_execz .LBB145_20
; %bb.19:
	v_lshl_add_u64 v[8:9], v[130:131], 3, v[8:9]
	flat_load_dwordx2 v[134:135], v[8:9] offset:512
.LBB145_20:
	s_or_b64 exec, exec, s[18:19]
	v_mad_u64_u32 v[8:9], s[18:19], s24, v10, 0
	v_mov_b32_e32 v12, v9
	v_mad_u64_u32 v[10:11], s[18:19], s25, v10, v[12:13]
	v_mov_b32_e32 v9, v10
	v_lshl_add_u64 v[8:9], v[8:9], 3, s[16:17]
	s_nor_b64 s[26:27], s[6:7], vcc
	v_mov_b64_e32 v[138:139], 0
	v_mov_b64_e32 v[140:141], 0
	s_and_saveexec_b64 s[18:19], s[26:27]
	s_cbranch_execz .LBB145_22
; %bb.21:
	v_lshl_add_u64 v[10:11], v[132:133], 3, v[8:9]
	flat_load_dwordx2 v[140:141], v[10:11]
.LBB145_22:
	s_or_b64 exec, exec, s[18:19]
	s_load_dwordx2 s[12:13], s[12:13], 0x0
	s_nor_b64 s[26:27], s[8:9], vcc
	s_and_saveexec_b64 s[18:19], s[26:27]
	s_cbranch_execz .LBB145_24
; %bb.23:
	v_lshl_add_u64 v[8:9], v[132:133], 3, v[8:9]
	flat_load_dwordx2 v[138:139], v[8:9] offset:512
.LBB145_24:
	s_or_b64 exec, exec, s[18:19]
	v_lshlrev_b32_e32 v8, 5, v142
	v_lshl_add_u32 v146, v128, 3, v8
	v_lshlrev_b32_e32 v143, 5, v144
	s_waitcnt vmcnt(0)
	ds_write2st64_b64 v146, v[2:3], v[0:1] offset1:4
	v_or_b32_e32 v147, 0x2000, v146
	s_waitcnt lgkmcnt(0)
	ds_write2st64_b64 v146, v[6:7], v[4:5] offset0:16 offset1:20
	v_lshlrev_b32_e32 v148, 5, v129
	v_add_u32_e32 v149, 0x2000, v143
	v_mov_b64_e32 v[126:127], 0
	s_mov_b32 s18, 0
	v_mov_b64_e32 v[124:125], 0
	v_mov_b64_e32 v[122:123], 0
	;; [unrolled: 1-line block ×63, first 2 shown]
	s_waitcnt lgkmcnt(0)
	s_barrier
.LBB145_25:                             ; =>This Inner Loop Header: Depth=1
	v_add_u32_e32 v145, s18, v148
	v_add_u32_e32 v182, s18, v149
	ds_read2_b64 v[150:153], v145 offset1:16
	ds_read2_b64 v[154:157], v145 offset0:32 offset1:48
	ds_read2_b64 v[158:161], v145 offset0:64 offset1:80
	;; [unrolled: 1-line block ×7, first 2 shown]
	ds_read2st64_b64 v[182:185], v182 offset1:4
	v_add_u32_e32 v145, 0x800, v145
	ds_read2_b64 v[186:189], v145 offset1:16
	ds_read2_b64 v[190:193], v145 offset0:32 offset1:48
	ds_read2_b64 v[194:197], v145 offset0:64 offset1:80
	;; [unrolled: 1-line block ×7, first 2 shown]
	s_waitcnt lgkmcnt(14)
	v_max_f64 v[150:151], v[150:151], v[150:151]
	v_max_f64 v[152:153], v[152:153], v[152:153]
	;; [unrolled: 1-line block ×6, first 2 shown]
	s_waitcnt lgkmcnt(13)
	v_max_f64 v[162:163], v[162:163], v[162:163]
	v_max_f64 v[164:165], v[164:165], v[164:165]
	s_waitcnt lgkmcnt(12)
	v_max_f64 v[166:167], v[166:167], v[166:167]
	v_max_f64 v[168:169], v[168:169], v[168:169]
	s_waitcnt lgkmcnt(11)
	v_max_f64 v[170:171], v[170:171], v[170:171]
	v_max_f64 v[172:173], v[172:173], v[172:173]
	s_waitcnt lgkmcnt(10)
	v_max_f64 v[174:175], v[174:175], v[174:175]
	v_max_f64 v[176:177], v[176:177], v[176:177]
	s_waitcnt lgkmcnt(9)
	v_max_f64 v[178:179], v[178:179], v[178:179]
	v_max_f64 v[180:181], v[180:181], v[180:181]
	s_waitcnt lgkmcnt(8)
	v_max_f64 v[182:183], v[182:183], v[182:183]
	v_max_f64 v[184:185], v[184:185], v[184:185]
	s_waitcnt lgkmcnt(7)
	v_max_f64 v[186:187], v[186:187], v[186:187]
	v_max_f64 v[188:189], v[188:189], v[188:189]
	s_waitcnt lgkmcnt(6)
	v_max_f64 v[190:191], v[190:191], v[190:191]
	v_max_f64 v[192:193], v[192:193], v[192:193]
	s_waitcnt lgkmcnt(5)
	v_max_f64 v[194:195], v[194:195], v[194:195]
	v_max_f64 v[196:197], v[196:197], v[196:197]
	s_waitcnt lgkmcnt(4)
	v_max_f64 v[198:199], v[198:199], v[198:199]
	v_max_f64 v[200:201], v[200:201], v[200:201]
	s_waitcnt lgkmcnt(3)
	v_max_f64 v[202:203], v[202:203], v[202:203]
	v_max_f64 v[204:205], v[204:205], v[204:205]
	s_waitcnt lgkmcnt(2)
	v_max_f64 v[206:207], v[206:207], v[206:207]
	v_max_f64 v[208:209], v[208:209], v[208:209]
	s_waitcnt lgkmcnt(1)
	v_max_f64 v[210:211], v[210:211], v[210:211]
	v_max_f64 v[212:213], v[212:213], v[212:213]
	s_waitcnt lgkmcnt(0)
	v_max_f64 v[214:215], v[214:215], v[214:215]
	v_max_f64 v[216:217], v[216:217], v[216:217]
	v_min_f64 v[218:219], v[150:151], v[182:183]
	v_min_f64 v[220:221], v[152:153], v[182:183]
	;; [unrolled: 1-line block ×32, first 2 shown]
	s_add_i32 s18, s18, 8
	v_add_f64 v[62:63], v[62:63], v[150:151]
	v_add_f64 v[60:61], v[60:61], v[152:153]
	;; [unrolled: 1-line block ×16, first 2 shown]
	v_min_f64 v[150:151], v[186:187], v[182:183]
	v_min_f64 v[152:153], v[188:189], v[182:183]
	;; [unrolled: 1-line block ×32, first 2 shown]
	s_cmp_eq_u32 s18, 32
	v_add_f64 v[126:127], v[126:127], v[218:219]
	v_add_f64 v[124:125], v[124:125], v[220:221]
	;; [unrolled: 1-line block ×48, first 2 shown]
	s_cbranch_scc0 .LBB145_25
; %bb.26:
	v_lshlrev_b32_e32 v145, 3, v128
	v_lshl_add_u32 v142, v142, 5, v145
	s_cmp_gt_i32 s74, 8
	ds_write2st64_b64 v142, v[136:137], v[134:135] offset0:8 offset1:12
	ds_write2st64_b64 v142, v[140:141], v[138:139] offset0:24 offset1:28
	s_waitcnt lgkmcnt(0)
	s_barrier
	s_cbranch_scc1 .LBB145_28
; %bb.27:
	v_add_u32_e32 v145, 0x3000, v143
	s_cbranch_execz .LBB145_29
	s_branch .LBB145_51
.LBB145_28:
                                        ; implicit-def: $vgpr145
.LBB145_29:
	v_mov_b32_e32 v134, 0x1000
	v_or_b32_e32 v150, 0x1000, v142
	v_or_b32_e32 v151, 0x3000, v142
	s_add_i32 s26, s74, -8
	v_lshl_add_u32 v152, v129, 5, v134
	v_add_u32_e32 v145, 0x3000, v143
	s_mov_b32 s27, 8
	s_mov_b32 s28, 0
.LBB145_30:                             ; =>This Loop Header: Depth=1
                                        ;     Child Loop BB145_39 Depth 2
                                        ;     Child Loop BB145_49 Depth 2
	v_add_u32_e32 v140, s27, v128
	v_mad_u64_u32 v[134:135], s[18:19], v140, s22, 0
	v_mov_b32_e32 v136, v135
	v_mad_u64_u32 v[136:137], s[18:19], v140, s23, v[136:137]
	v_mov_b32_e32 v135, v136
	v_cmp_le_i32_e32 vcc, s74, v140
	v_lshl_add_u64 v[136:137], v[134:135], 3, s[14:15]
	s_nor_b64 s[30:31], s[2:3], vcc
	v_mov_b64_e32 v[134:135], 0
	v_lshl_add_u64 v[138:139], v[130:131], 3, v[136:137]
	v_mov_b64_e32 v[136:137], 0
	s_and_saveexec_b64 s[18:19], s[30:31]
	s_cbranch_execz .LBB145_32
; %bb.31:                               ;   in Loop: Header=BB145_30 Depth=1
	flat_load_dwordx2 v[136:137], v[138:139]
.LBB145_32:                             ;   in Loop: Header=BB145_30 Depth=1
	s_or_b64 exec, exec, s[18:19]
	s_nor_b64 s[30:31], s[4:5], vcc
	s_and_saveexec_b64 s[18:19], s[30:31]
	s_cbranch_execz .LBB145_34
; %bb.33:                               ;   in Loop: Header=BB145_30 Depth=1
	flat_load_dwordx2 v[134:135], v[138:139] offset:512
.LBB145_34:                             ;   in Loop: Header=BB145_30 Depth=1
	s_or_b64 exec, exec, s[18:19]
	v_mad_u64_u32 v[138:139], s[18:19], v140, s24, 0
	v_mov_b32_e32 v142, v139
	v_mad_u64_u32 v[140:141], s[18:19], v140, s25, v[142:143]
	v_mov_b32_e32 v139, v140
	v_lshl_add_u64 v[140:141], v[138:139], 3, s[16:17]
	s_nor_b64 s[30:31], s[6:7], vcc
	v_mov_b64_e32 v[138:139], 0
	v_lshl_add_u64 v[142:143], v[132:133], 3, v[140:141]
	v_mov_b64_e32 v[140:141], 0
	s_and_saveexec_b64 s[18:19], s[30:31]
	s_cbranch_execz .LBB145_36
; %bb.35:                               ;   in Loop: Header=BB145_30 Depth=1
	flat_load_dwordx2 v[140:141], v[142:143]
.LBB145_36:                             ;   in Loop: Header=BB145_30 Depth=1
	s_or_b64 exec, exec, s[18:19]
	s_nor_b64 s[30:31], s[8:9], vcc
	s_and_saveexec_b64 s[18:19], s[30:31]
	s_cbranch_execz .LBB145_38
; %bb.37:                               ;   in Loop: Header=BB145_30 Depth=1
	flat_load_dwordx2 v[138:139], v[142:143] offset:512
.LBB145_38:                             ;   in Loop: Header=BB145_30 Depth=1
	s_or_b64 exec, exec, s[18:19]
	s_mov_b32 s18, 0
.LBB145_39:                             ;   Parent Loop BB145_30 Depth=1
                                        ; =>  This Inner Loop Header: Depth=2
	v_add_u32_e32 v142, s18, v152
	v_add_u32_e32 v143, s18, v145
	ds_read2_b64 v[154:157], v142 offset1:16
	ds_read2_b64 v[158:161], v142 offset0:32 offset1:48
	ds_read2_b64 v[162:165], v142 offset0:64 offset1:80
	;; [unrolled: 1-line block ×7, first 2 shown]
	v_add_u32_e32 v142, 0x800, v142
	ds_read2st64_b64 v[186:189], v143 offset1:4
	ds_read2_b64 v[190:193], v142 offset1:16
	ds_read2_b64 v[194:197], v142 offset0:32 offset1:48
	ds_read2_b64 v[198:201], v142 offset0:64 offset1:80
	;; [unrolled: 1-line block ×7, first 2 shown]
	s_waitcnt lgkmcnt(0)
	v_max_f64 v[154:155], v[154:155], v[154:155]
	v_max_f64 v[156:157], v[156:157], v[156:157]
	;; [unrolled: 1-line block ×18, first 2 shown]
	v_min_f64 v[188:189], v[154:155], v[142:143]
	v_min_f64 v[222:223], v[156:157], v[142:143]
	;; [unrolled: 1-line block ×16, first 2 shown]
	v_max_f64 v[190:191], v[190:191], v[190:191]
	v_max_f64 v[192:193], v[192:193], v[192:193]
	;; [unrolled: 1-line block ×16, first 2 shown]
	v_min_f64 v[154:155], v[154:155], v[186:187]
	v_min_f64 v[156:157], v[156:157], v[186:187]
	;; [unrolled: 1-line block ×16, first 2 shown]
	s_add_i32 s18, s18, 8
	v_add_f64 v[126:127], v[126:127], v[188:189]
	v_add_f64 v[124:125], v[124:125], v[222:223]
	;; [unrolled: 1-line block ×15, first 2 shown]
	v_min_f64 v[188:189], v[190:191], v[142:143]
	v_min_f64 v[222:223], v[192:193], v[142:143]
	;; [unrolled: 1-line block ×16, first 2 shown]
	v_add_f64 v[62:63], v[62:63], v[154:155]
	v_add_f64 v[60:61], v[60:61], v[156:157]
	;; [unrolled: 1-line block ×16, first 2 shown]
	v_min_f64 v[154:155], v[190:191], v[186:187]
	v_min_f64 v[156:157], v[192:193], v[186:187]
	;; [unrolled: 1-line block ×16, first 2 shown]
	s_cmp_eq_u32 s18, 32
	v_add_f64 v[96:97], v[96:97], v[250:251]
	v_add_f64 v[94:95], v[94:95], v[188:189]
	;; [unrolled: 1-line block ×33, first 2 shown]
	s_cbranch_scc0 .LBB145_39
; %bb.40:                               ;   in Loop: Header=BB145_30 Depth=1
	s_waitcnt vmcnt(0)
	ds_write2st64_b64 v146, v[136:137], v[134:135] offset1:4
	ds_write2st64_b64 v147, v[140:141], v[138:139] offset1:4
	v_add3_u32 v140, v128, s27, 4
	v_mad_u64_u32 v[134:135], s[18:19], v140, s22, 0
	v_mov_b32_e32 v136, v135
	v_mad_u64_u32 v[136:137], s[18:19], v140, s23, v[136:137]
	v_mov_b32_e32 v135, v136
	v_cmp_le_i32_e32 vcc, s74, v140
	v_lshl_add_u64 v[136:137], v[134:135], 3, s[14:15]
	s_nor_b64 s[30:31], s[2:3], vcc
	v_mov_b64_e32 v[134:135], 0
	v_lshl_add_u64 v[138:139], v[130:131], 3, v[136:137]
	v_mov_b64_e32 v[136:137], 0
	s_waitcnt lgkmcnt(0)
	s_barrier
	s_and_saveexec_b64 s[18:19], s[30:31]
	s_cbranch_execz .LBB145_42
; %bb.41:                               ;   in Loop: Header=BB145_30 Depth=1
	flat_load_dwordx2 v[136:137], v[138:139]
.LBB145_42:                             ;   in Loop: Header=BB145_30 Depth=1
	s_or_b64 exec, exec, s[18:19]
	s_nor_b64 s[30:31], s[4:5], vcc
	s_and_saveexec_b64 s[18:19], s[30:31]
	s_cbranch_execz .LBB145_44
; %bb.43:                               ;   in Loop: Header=BB145_30 Depth=1
	flat_load_dwordx2 v[134:135], v[138:139] offset:512
.LBB145_44:                             ;   in Loop: Header=BB145_30 Depth=1
	s_or_b64 exec, exec, s[18:19]
	v_mad_u64_u32 v[138:139], s[18:19], v140, s24, 0
	v_mov_b32_e32 v142, v139
	v_mad_u64_u32 v[140:141], s[18:19], v140, s25, v[142:143]
	v_mov_b32_e32 v139, v140
	v_lshl_add_u64 v[140:141], v[138:139], 3, s[16:17]
	s_nor_b64 s[30:31], s[6:7], vcc
	v_mov_b64_e32 v[138:139], 0
	v_lshl_add_u64 v[142:143], v[132:133], 3, v[140:141]
	v_mov_b64_e32 v[140:141], 0
	s_and_saveexec_b64 s[18:19], s[30:31]
	s_cbranch_execz .LBB145_46
; %bb.45:                               ;   in Loop: Header=BB145_30 Depth=1
	flat_load_dwordx2 v[140:141], v[142:143]
.LBB145_46:                             ;   in Loop: Header=BB145_30 Depth=1
	s_or_b64 exec, exec, s[18:19]
	s_nor_b64 s[30:31], s[8:9], vcc
	s_and_saveexec_b64 s[18:19], s[30:31]
	s_cbranch_execz .LBB145_48
; %bb.47:                               ;   in Loop: Header=BB145_30 Depth=1
	flat_load_dwordx2 v[138:139], v[142:143] offset:512
.LBB145_48:                             ;   in Loop: Header=BB145_30 Depth=1
	s_or_b64 exec, exec, s[18:19]
	s_mov_b32 s18, 0
.LBB145_49:                             ;   Parent Loop BB145_30 Depth=1
                                        ; =>  This Inner Loop Header: Depth=2
	v_add_u32_e32 v142, s18, v148
	v_add_u32_e32 v143, s18, v149
	ds_read2_b64 v[154:157], v142 offset1:16
	ds_read2_b64 v[158:161], v142 offset0:32 offset1:48
	ds_read2_b64 v[162:165], v142 offset0:64 offset1:80
	ds_read2_b64 v[166:169], v142 offset0:96 offset1:112
	ds_read2_b64 v[170:173], v142 offset0:128 offset1:144
	ds_read2_b64 v[174:177], v142 offset0:160 offset1:176
	ds_read2_b64 v[178:181], v142 offset0:192 offset1:208
	ds_read2_b64 v[182:185], v142 offset0:224 offset1:240
	v_add_u32_e32 v142, 0x800, v142
	ds_read2st64_b64 v[186:189], v143 offset1:4
	ds_read2_b64 v[190:193], v142 offset1:16
	ds_read2_b64 v[194:197], v142 offset0:32 offset1:48
	ds_read2_b64 v[198:201], v142 offset0:64 offset1:80
	;; [unrolled: 1-line block ×7, first 2 shown]
	s_waitcnt lgkmcnt(0)
	v_max_f64 v[154:155], v[154:155], v[154:155]
	v_max_f64 v[156:157], v[156:157], v[156:157]
	;; [unrolled: 1-line block ×18, first 2 shown]
	v_min_f64 v[188:189], v[154:155], v[142:143]
	v_min_f64 v[222:223], v[156:157], v[142:143]
	;; [unrolled: 1-line block ×16, first 2 shown]
	v_max_f64 v[190:191], v[190:191], v[190:191]
	v_max_f64 v[192:193], v[192:193], v[192:193]
	v_max_f64 v[194:195], v[194:195], v[194:195]
	v_max_f64 v[196:197], v[196:197], v[196:197]
	v_max_f64 v[198:199], v[198:199], v[198:199]
	v_max_f64 v[200:201], v[200:201], v[200:201]
	v_max_f64 v[202:203], v[202:203], v[202:203]
	v_max_f64 v[204:205], v[204:205], v[204:205]
	v_max_f64 v[206:207], v[206:207], v[206:207]
	v_max_f64 v[208:209], v[208:209], v[208:209]
	v_max_f64 v[210:211], v[210:211], v[210:211]
	v_max_f64 v[212:213], v[212:213], v[212:213]
	v_max_f64 v[214:215], v[214:215], v[214:215]
	v_max_f64 v[216:217], v[216:217], v[216:217]
	v_max_f64 v[218:219], v[218:219], v[218:219]
	v_max_f64 v[220:221], v[220:221], v[220:221]
	v_min_f64 v[154:155], v[154:155], v[186:187]
	v_min_f64 v[156:157], v[156:157], v[186:187]
	;; [unrolled: 1-line block ×16, first 2 shown]
	s_add_i32 s18, s18, 8
	v_add_f64 v[126:127], v[126:127], v[188:189]
	v_add_f64 v[124:125], v[124:125], v[222:223]
	;; [unrolled: 1-line block ×15, first 2 shown]
	v_min_f64 v[188:189], v[190:191], v[142:143]
	v_min_f64 v[222:223], v[192:193], v[142:143]
	;; [unrolled: 1-line block ×16, first 2 shown]
	v_add_f64 v[62:63], v[62:63], v[154:155]
	v_add_f64 v[60:61], v[60:61], v[156:157]
	;; [unrolled: 1-line block ×16, first 2 shown]
	v_min_f64 v[154:155], v[190:191], v[186:187]
	v_min_f64 v[156:157], v[192:193], v[186:187]
	v_min_f64 v[158:159], v[194:195], v[186:187]
	v_min_f64 v[160:161], v[196:197], v[186:187]
	v_min_f64 v[162:163], v[198:199], v[186:187]
	v_min_f64 v[164:165], v[200:201], v[186:187]
	v_min_f64 v[166:167], v[202:203], v[186:187]
	v_min_f64 v[168:169], v[204:205], v[186:187]
	v_min_f64 v[170:171], v[206:207], v[186:187]
	v_min_f64 v[172:173], v[208:209], v[186:187]
	v_min_f64 v[174:175], v[210:211], v[186:187]
	v_min_f64 v[176:177], v[212:213], v[186:187]
	v_min_f64 v[178:179], v[214:215], v[186:187]
	v_min_f64 v[180:181], v[216:217], v[186:187]
	v_min_f64 v[182:183], v[218:219], v[186:187]
	v_min_f64 v[184:185], v[220:221], v[186:187]
	s_cmp_eq_u32 s18, 32
	v_add_f64 v[96:97], v[96:97], v[250:251]
	v_add_f64 v[94:95], v[94:95], v[188:189]
	;; [unrolled: 1-line block ×33, first 2 shown]
	s_cbranch_scc0 .LBB145_49
; %bb.50:                               ;   in Loop: Header=BB145_30 Depth=1
	s_add_i32 s27, s27, 8
	s_add_i32 s28, s28, 8
	s_cmp_ge_i32 s28, s26
	s_waitcnt vmcnt(0)
	ds_write2st64_b64 v150, v[136:137], v[134:135] offset1:4
	ds_write2st64_b64 v151, v[140:141], v[138:139] offset1:4
	s_waitcnt lgkmcnt(0)
	s_barrier
	s_cbranch_scc0 .LBB145_30
.LBB145_51:
	v_mov_b32_e32 v128, 0x1000
	v_lshl_add_u32 v128, v129, 5, v128
	s_mov_b32 s2, 0
.LBB145_52:                             ; =>This Inner Loop Header: Depth=1
	v_add_u32_e32 v142, s2, v128
	v_add_u32_e32 v143, s2, v145
	ds_read2_b64 v[130:133], v142 offset1:16
	ds_read2_b64 v[134:137], v142 offset0:32 offset1:48
	ds_read2_b64 v[138:141], v142 offset0:64 offset1:80
	;; [unrolled: 1-line block ×7, first 2 shown]
	v_add_u32_e32 v142, 0x800, v142
	ds_read2st64_b64 v[166:169], v143 offset1:4
	ds_read2_b64 v[170:173], v142 offset1:16
	ds_read2_b64 v[174:177], v142 offset0:32 offset1:48
	ds_read2_b64 v[178:181], v142 offset0:64 offset1:80
	;; [unrolled: 1-line block ×7, first 2 shown]
	s_waitcnt lgkmcnt(14)
	v_max_f64 v[130:131], v[130:131], v[130:131]
	v_max_f64 v[132:133], v[132:133], v[132:133]
	v_max_f64 v[134:135], v[134:135], v[134:135]
	s_waitcnt lgkmcnt(8)
	v_max_f64 v[142:143], v[166:167], v[166:167]
	v_max_f64 v[136:137], v[136:137], v[136:137]
	;; [unrolled: 1-line block ×15, first 2 shown]
	v_min_f64 v[168:169], v[130:131], v[142:143]
	v_min_f64 v[202:203], v[132:133], v[142:143]
	;; [unrolled: 1-line block ×16, first 2 shown]
	s_waitcnt lgkmcnt(7)
	v_max_f64 v[170:171], v[170:171], v[170:171]
	v_max_f64 v[172:173], v[172:173], v[172:173]
	s_waitcnt lgkmcnt(6)
	v_max_f64 v[174:175], v[174:175], v[174:175]
	v_max_f64 v[176:177], v[176:177], v[176:177]
	;; [unrolled: 3-line block ×8, first 2 shown]
	v_min_f64 v[130:131], v[130:131], v[166:167]
	v_min_f64 v[132:133], v[132:133], v[166:167]
	;; [unrolled: 1-line block ×16, first 2 shown]
	s_add_i32 s2, s2, 8
	v_add_f64 v[126:127], v[126:127], v[168:169]
	v_add_f64 v[124:125], v[124:125], v[202:203]
	;; [unrolled: 1-line block ×15, first 2 shown]
	v_min_f64 v[168:169], v[170:171], v[142:143]
	v_min_f64 v[202:203], v[172:173], v[142:143]
	;; [unrolled: 1-line block ×16, first 2 shown]
	v_add_f64 v[62:63], v[62:63], v[130:131]
	v_add_f64 v[60:61], v[60:61], v[132:133]
	;; [unrolled: 1-line block ×16, first 2 shown]
	v_min_f64 v[130:131], v[170:171], v[166:167]
	v_min_f64 v[132:133], v[172:173], v[166:167]
	;; [unrolled: 1-line block ×16, first 2 shown]
	s_cmp_eq_u32 s2, 32
	v_add_f64 v[96:97], v[96:97], v[230:231]
	v_add_f64 v[94:95], v[94:95], v[168:169]
	;; [unrolled: 1-line block ×33, first 2 shown]
	s_cbranch_scc0 .LBB145_52
; %bb.53:
	s_load_dwordx2 s[2:3], s[0:1], 0x78
	s_load_dword s78, s[0:1], 0x58
	s_load_dword s33, s[0:1], 0x70
	v_add_u32_e32 v136, s21, v144
	v_add_u32_e32 v128, s20, v129
	s_waitcnt lgkmcnt(0)
	s_lshl_b64 s[0:1], s[2:3], 3
	s_add_u32 s74, s12, s0
	s_addc_u32 s75, s13, s1
	v_mad_i64_i32 v[130:131], s[0:1], v136, s78, 0
	v_cmp_gt_i32_e64 s[24:25], s73, v136
	v_lshl_add_u64 v[132:133], v[130:131], 3, s[76:77]
	v_mad_i64_i32 v[130:131], s[0:1], v136, s33, 0
	v_cmp_gt_i32_e64 s[2:3], s72, v128
	v_cndmask_b32_e64 v134, 0, 1, s[10:11]
	v_lshl_add_u64 v[130:131], v[130:131], 3, s[74:75]
	s_and_b64 s[6:7], s[24:25], s[2:3]
	v_ashrrev_i32_e32 v129, 31, v128
	v_cmp_ne_u32_e64 s[0:1], 1, v134
	s_and_saveexec_b64 s[4:5], s[6:7]
	s_cbranch_execz .LBB145_58
; %bb.54:
	s_and_b64 vcc, exec, s[0:1]
	s_cbranch_vccnz .LBB145_56
; %bb.55:
	v_lshl_add_u64 v[134:135], v[128:129], 3, v[132:133]
	flat_load_dwordx2 v[134:135], v[134:135]
	s_waitcnt vmcnt(0) lgkmcnt(0)
	v_mul_f64 v[134:135], s[70:71], v[134:135]
	s_branch .LBB145_57
.LBB145_56:
	v_mov_b64_e32 v[134:135], 0
.LBB145_57:
	v_add_f64 v[126:127], v[126:127], v[134:135]
	v_lshl_add_u64 v[134:135], v[128:129], 3, v[130:131]
	flat_store_dwordx2 v[134:135], v[126:127]
.LBB145_58:
	s_or_b64 exec, exec, s[4:5]
	v_add_u32_e32 v126, 4, v128
	v_cmp_gt_i32_e64 s[4:5], s72, v126
	s_and_b64 s[8:9], s[24:25], s[4:5]
	v_ashrrev_i32_e32 v127, 31, v126
	s_and_saveexec_b64 s[6:7], s[8:9]
	s_cbranch_execz .LBB145_63
; %bb.59:
	s_and_b64 vcc, exec, s[0:1]
	s_cbranch_vccnz .LBB145_61
; %bb.60:
	v_lshl_add_u64 v[134:135], v[126:127], 3, v[132:133]
	flat_load_dwordx2 v[134:135], v[134:135]
	s_waitcnt vmcnt(0) lgkmcnt(0)
	v_mul_f64 v[134:135], s[70:71], v[134:135]
	s_branch .LBB145_62
.LBB145_61:
	v_mov_b64_e32 v[134:135], 0
.LBB145_62:
	v_add_f64 v[124:125], v[124:125], v[134:135]
	v_lshl_add_u64 v[134:135], v[126:127], 3, v[130:131]
	flat_store_dwordx2 v[134:135], v[124:125]
.LBB145_63:
	s_or_b64 exec, exec, s[6:7]
	v_add_u32_e32 v124, 8, v128
	v_cmp_gt_i32_e64 s[6:7], s72, v124
	s_and_b64 s[10:11], s[24:25], s[6:7]
	v_ashrrev_i32_e32 v125, 31, v124
	;; [unrolled: 23-line block ×31, first 2 shown]
	s_and_saveexec_b64 s[24:25], s[80:81]
	s_cbranch_execz .LBB145_213
; %bb.209:
	s_and_b64 vcc, exec, s[0:1]
	s_cbranch_vccnz .LBB145_211
; %bb.210:
	v_lshl_add_u64 v[132:133], v[66:67], 3, v[132:133]
	flat_load_dwordx2 v[132:133], v[132:133]
	s_waitcnt vmcnt(0) lgkmcnt(0)
	v_mul_f64 v[132:133], s[70:71], v[132:133]
	s_branch .LBB145_212
.LBB145_211:
	v_mov_b64_e32 v[132:133], 0
.LBB145_212:
	v_add_f64 v[64:65], v[64:65], v[132:133]
	v_lshl_add_u64 v[130:131], v[66:67], 3, v[130:131]
	flat_store_dwordx2 v[130:131], v[64:65]
.LBB145_213:
	s_or_b64 exec, exec, s[24:25]
	v_add_u32_e32 v132, 64, v136
	v_cmp_gt_i32_e64 s[24:25], s73, v132
	v_mad_i64_i32 v[64:65], s[72:73], v132, s78, 0
	v_lshl_add_u64 v[130:131], v[64:65], 3, s[76:77]
	v_mad_i64_i32 v[64:65], s[72:73], v132, s33, 0
	v_lshl_add_u64 v[64:65], v[64:65], 3, s[74:75]
	s_and_b64 s[2:3], s[24:25], s[2:3]
	s_and_saveexec_b64 s[72:73], s[2:3]
	s_xor_b64 s[2:3], exec, s[72:73]
	s_cbranch_execnz .LBB145_246
; %bb.214:
	s_or_b64 exec, exec, s[2:3]
	s_and_b64 s[4:5], s[24:25], s[4:5]
	s_and_saveexec_b64 s[2:3], s[4:5]
	s_cbranch_execnz .LBB145_250
.LBB145_215:
	s_or_b64 exec, exec, s[2:3]
	s_and_b64 s[4:5], s[24:25], s[6:7]
	s_and_saveexec_b64 s[2:3], s[4:5]
	s_cbranch_execnz .LBB145_254
.LBB145_216:
	s_or_b64 exec, exec, s[2:3]
	s_and_b64 s[4:5], s[24:25], s[8:9]
	s_and_saveexec_b64 s[2:3], s[4:5]
	s_cbranch_execnz .LBB145_258
.LBB145_217:
	s_or_b64 exec, exec, s[2:3]
	s_and_b64 s[4:5], s[24:25], s[10:11]
	s_and_saveexec_b64 s[2:3], s[4:5]
	s_cbranch_execnz .LBB145_262
.LBB145_218:
	s_or_b64 exec, exec, s[2:3]
	s_and_b64 s[4:5], s[24:25], s[12:13]
	s_and_saveexec_b64 s[2:3], s[4:5]
	s_cbranch_execnz .LBB145_266
.LBB145_219:
	s_or_b64 exec, exec, s[2:3]
	s_and_b64 s[4:5], s[24:25], s[14:15]
	s_and_saveexec_b64 s[2:3], s[4:5]
	s_cbranch_execnz .LBB145_270
.LBB145_220:
	s_or_b64 exec, exec, s[2:3]
	s_and_b64 s[4:5], s[24:25], s[16:17]
	s_and_saveexec_b64 s[2:3], s[4:5]
	s_cbranch_execnz .LBB145_274
.LBB145_221:
	s_or_b64 exec, exec, s[2:3]
	s_and_b64 s[4:5], s[24:25], s[18:19]
	s_and_saveexec_b64 s[2:3], s[4:5]
	s_cbranch_execnz .LBB145_278
.LBB145_222:
	s_or_b64 exec, exec, s[2:3]
	s_and_b64 s[4:5], s[24:25], s[20:21]
	s_and_saveexec_b64 s[2:3], s[4:5]
	s_cbranch_execnz .LBB145_282
.LBB145_223:
	s_or_b64 exec, exec, s[2:3]
	s_and_b64 s[4:5], s[24:25], s[22:23]
	s_and_saveexec_b64 s[2:3], s[4:5]
	s_cbranch_execnz .LBB145_286
.LBB145_224:
	s_or_b64 exec, exec, s[2:3]
	s_and_b64 s[4:5], s[24:25], s[26:27]
	s_and_saveexec_b64 s[2:3], s[4:5]
	s_cbranch_execnz .LBB145_290
.LBB145_225:
	s_or_b64 exec, exec, s[2:3]
	s_and_b64 s[4:5], s[24:25], s[28:29]
	s_and_saveexec_b64 s[2:3], s[4:5]
	s_cbranch_execnz .LBB145_294
.LBB145_226:
	s_or_b64 exec, exec, s[2:3]
	s_and_b64 s[4:5], s[24:25], s[30:31]
	s_and_saveexec_b64 s[2:3], s[4:5]
	s_cbranch_execnz .LBB145_298
.LBB145_227:
	s_or_b64 exec, exec, s[2:3]
	s_and_b64 s[4:5], s[24:25], s[34:35]
	s_and_saveexec_b64 s[2:3], s[4:5]
	s_cbranch_execnz .LBB145_302
.LBB145_228:
	s_or_b64 exec, exec, s[2:3]
	s_and_b64 s[4:5], s[24:25], s[36:37]
	s_and_saveexec_b64 s[2:3], s[4:5]
	s_cbranch_execnz .LBB145_306
.LBB145_229:
	s_or_b64 exec, exec, s[2:3]
	s_and_b64 s[4:5], s[24:25], s[38:39]
	s_and_saveexec_b64 s[2:3], s[4:5]
	s_cbranch_execnz .LBB145_310
.LBB145_230:
	s_or_b64 exec, exec, s[2:3]
	s_and_b64 s[4:5], s[24:25], s[40:41]
	s_and_saveexec_b64 s[2:3], s[4:5]
	s_cbranch_execnz .LBB145_314
.LBB145_231:
	s_or_b64 exec, exec, s[2:3]
	s_and_b64 s[4:5], s[24:25], s[42:43]
	s_and_saveexec_b64 s[2:3], s[4:5]
	s_cbranch_execnz .LBB145_318
.LBB145_232:
	s_or_b64 exec, exec, s[2:3]
	s_and_b64 s[4:5], s[24:25], s[44:45]
	s_and_saveexec_b64 s[2:3], s[4:5]
	s_cbranch_execnz .LBB145_322
.LBB145_233:
	s_or_b64 exec, exec, s[2:3]
	s_and_b64 s[4:5], s[24:25], s[46:47]
	s_and_saveexec_b64 s[2:3], s[4:5]
	s_cbranch_execnz .LBB145_326
.LBB145_234:
	s_or_b64 exec, exec, s[2:3]
	s_and_b64 s[4:5], s[24:25], s[48:49]
	s_and_saveexec_b64 s[2:3], s[4:5]
	s_cbranch_execnz .LBB145_330
.LBB145_235:
	s_or_b64 exec, exec, s[2:3]
	s_and_b64 s[4:5], s[24:25], s[50:51]
	s_and_saveexec_b64 s[2:3], s[4:5]
	s_cbranch_execnz .LBB145_334
.LBB145_236:
	s_or_b64 exec, exec, s[2:3]
	s_and_b64 s[4:5], s[24:25], s[52:53]
	s_and_saveexec_b64 s[2:3], s[4:5]
	s_cbranch_execnz .LBB145_338
.LBB145_237:
	s_or_b64 exec, exec, s[2:3]
	s_and_b64 s[4:5], s[24:25], s[54:55]
	s_and_saveexec_b64 s[2:3], s[4:5]
	s_cbranch_execnz .LBB145_342
.LBB145_238:
	s_or_b64 exec, exec, s[2:3]
	s_and_b64 s[4:5], s[24:25], s[56:57]
	s_and_saveexec_b64 s[2:3], s[4:5]
	s_cbranch_execnz .LBB145_346
.LBB145_239:
	s_or_b64 exec, exec, s[2:3]
	s_and_b64 s[4:5], s[24:25], s[58:59]
	s_and_saveexec_b64 s[2:3], s[4:5]
	s_cbranch_execnz .LBB145_350
.LBB145_240:
	s_or_b64 exec, exec, s[2:3]
	s_and_b64 s[4:5], s[24:25], s[60:61]
	s_and_saveexec_b64 s[2:3], s[4:5]
	s_cbranch_execnz .LBB145_354
.LBB145_241:
	s_or_b64 exec, exec, s[2:3]
	s_and_b64 s[4:5], s[24:25], s[62:63]
	s_and_saveexec_b64 s[2:3], s[4:5]
	s_cbranch_execnz .LBB145_358
.LBB145_242:
	s_or_b64 exec, exec, s[2:3]
	s_and_b64 s[4:5], s[24:25], s[64:65]
	s_and_saveexec_b64 s[2:3], s[4:5]
	s_cbranch_execnz .LBB145_362
.LBB145_243:
	s_or_b64 exec, exec, s[2:3]
	s_and_b64 s[4:5], s[24:25], s[66:67]
	s_and_saveexec_b64 s[2:3], s[4:5]
	s_cbranch_execnz .LBB145_366
.LBB145_244:
	s_or_b64 exec, exec, s[2:3]
	s_and_b64 s[2:3], s[24:25], s[68:69]
	s_and_saveexec_b64 s[4:5], s[2:3]
	s_cbranch_execnz .LBB145_370
.LBB145_245:
	s_endpgm
.LBB145_246:
	s_and_b64 vcc, exec, s[0:1]
	s_cbranch_vccnz .LBB145_248
; %bb.247:
	v_lshl_add_u64 v[132:133], v[128:129], 3, v[130:131]
	flat_load_dwordx2 v[132:133], v[132:133]
	s_waitcnt vmcnt(0) lgkmcnt(0)
	v_mul_f64 v[132:133], s[70:71], v[132:133]
	s_branch .LBB145_249
.LBB145_248:
	v_mov_b64_e32 v[132:133], 0
.LBB145_249:
	v_add_f64 v[62:63], v[62:63], v[132:133]
	v_lshl_add_u64 v[128:129], v[128:129], 3, v[64:65]
	flat_store_dwordx2 v[128:129], v[62:63]
	s_or_b64 exec, exec, s[2:3]
	s_and_b64 s[4:5], s[24:25], s[4:5]
	s_and_saveexec_b64 s[2:3], s[4:5]
	s_cbranch_execz .LBB145_215
.LBB145_250:
	s_and_b64 vcc, exec, s[0:1]
	s_cbranch_vccnz .LBB145_252
; %bb.251:
	v_lshl_add_u64 v[62:63], v[126:127], 3, v[130:131]
	flat_load_dwordx2 v[62:63], v[62:63]
	s_waitcnt vmcnt(0) lgkmcnt(0)
	v_mul_f64 v[62:63], s[70:71], v[62:63]
	s_branch .LBB145_253
.LBB145_252:
	v_mov_b64_e32 v[62:63], 0
.LBB145_253:
	v_add_f64 v[60:61], v[60:61], v[62:63]
	v_lshl_add_u64 v[62:63], v[126:127], 3, v[64:65]
	flat_store_dwordx2 v[62:63], v[60:61]
	s_or_b64 exec, exec, s[2:3]
	s_and_b64 s[4:5], s[24:25], s[6:7]
	s_and_saveexec_b64 s[2:3], s[4:5]
	s_cbranch_execz .LBB145_216
.LBB145_254:
	s_and_b64 vcc, exec, s[0:1]
	s_cbranch_vccnz .LBB145_256
; %bb.255:
	v_lshl_add_u64 v[60:61], v[124:125], 3, v[130:131]
	flat_load_dwordx2 v[60:61], v[60:61]
	s_waitcnt vmcnt(0) lgkmcnt(0)
	v_mul_f64 v[60:61], s[70:71], v[60:61]
	s_branch .LBB145_257
.LBB145_256:
	v_mov_b64_e32 v[60:61], 0
.LBB145_257:
	v_add_f64 v[58:59], v[58:59], v[60:61]
	v_lshl_add_u64 v[60:61], v[124:125], 3, v[64:65]
	flat_store_dwordx2 v[60:61], v[58:59]
	s_or_b64 exec, exec, s[2:3]
	s_and_b64 s[4:5], s[24:25], s[8:9]
	s_and_saveexec_b64 s[2:3], s[4:5]
	s_cbranch_execz .LBB145_217
.LBB145_258:
	s_and_b64 vcc, exec, s[0:1]
	s_cbranch_vccnz .LBB145_260
; %bb.259:
	v_lshl_add_u64 v[58:59], v[122:123], 3, v[130:131]
	flat_load_dwordx2 v[58:59], v[58:59]
	s_waitcnt vmcnt(0) lgkmcnt(0)
	v_mul_f64 v[58:59], s[70:71], v[58:59]
	s_branch .LBB145_261
.LBB145_260:
	v_mov_b64_e32 v[58:59], 0
.LBB145_261:
	v_add_f64 v[56:57], v[56:57], v[58:59]
	v_lshl_add_u64 v[58:59], v[122:123], 3, v[64:65]
	flat_store_dwordx2 v[58:59], v[56:57]
	s_or_b64 exec, exec, s[2:3]
	s_and_b64 s[4:5], s[24:25], s[10:11]
	s_and_saveexec_b64 s[2:3], s[4:5]
	s_cbranch_execz .LBB145_218
.LBB145_262:
	s_and_b64 vcc, exec, s[0:1]
	s_cbranch_vccnz .LBB145_264
; %bb.263:
	v_lshl_add_u64 v[56:57], v[120:121], 3, v[130:131]
	flat_load_dwordx2 v[56:57], v[56:57]
	s_waitcnt vmcnt(0) lgkmcnt(0)
	v_mul_f64 v[56:57], s[70:71], v[56:57]
	s_branch .LBB145_265
.LBB145_264:
	v_mov_b64_e32 v[56:57], 0
.LBB145_265:
	v_add_f64 v[54:55], v[54:55], v[56:57]
	v_lshl_add_u64 v[56:57], v[120:121], 3, v[64:65]
	flat_store_dwordx2 v[56:57], v[54:55]
	s_or_b64 exec, exec, s[2:3]
	s_and_b64 s[4:5], s[24:25], s[12:13]
	s_and_saveexec_b64 s[2:3], s[4:5]
	s_cbranch_execz .LBB145_219
.LBB145_266:
	s_and_b64 vcc, exec, s[0:1]
	s_cbranch_vccnz .LBB145_268
; %bb.267:
	v_lshl_add_u64 v[54:55], v[118:119], 3, v[130:131]
	flat_load_dwordx2 v[54:55], v[54:55]
	s_waitcnt vmcnt(0) lgkmcnt(0)
	v_mul_f64 v[54:55], s[70:71], v[54:55]
	s_branch .LBB145_269
.LBB145_268:
	v_mov_b64_e32 v[54:55], 0
.LBB145_269:
	v_add_f64 v[52:53], v[52:53], v[54:55]
	v_lshl_add_u64 v[54:55], v[118:119], 3, v[64:65]
	flat_store_dwordx2 v[54:55], v[52:53]
	s_or_b64 exec, exec, s[2:3]
	s_and_b64 s[4:5], s[24:25], s[14:15]
	s_and_saveexec_b64 s[2:3], s[4:5]
	s_cbranch_execz .LBB145_220
.LBB145_270:
	s_and_b64 vcc, exec, s[0:1]
	s_cbranch_vccnz .LBB145_272
; %bb.271:
	v_lshl_add_u64 v[52:53], v[116:117], 3, v[130:131]
	flat_load_dwordx2 v[52:53], v[52:53]
	s_waitcnt vmcnt(0) lgkmcnt(0)
	v_mul_f64 v[52:53], s[70:71], v[52:53]
	s_branch .LBB145_273
.LBB145_272:
	v_mov_b64_e32 v[52:53], 0
.LBB145_273:
	v_add_f64 v[50:51], v[50:51], v[52:53]
	v_lshl_add_u64 v[52:53], v[116:117], 3, v[64:65]
	flat_store_dwordx2 v[52:53], v[50:51]
	s_or_b64 exec, exec, s[2:3]
	s_and_b64 s[4:5], s[24:25], s[16:17]
	s_and_saveexec_b64 s[2:3], s[4:5]
	s_cbranch_execz .LBB145_221
.LBB145_274:
	s_and_b64 vcc, exec, s[0:1]
	s_cbranch_vccnz .LBB145_276
; %bb.275:
	v_lshl_add_u64 v[50:51], v[114:115], 3, v[130:131]
	flat_load_dwordx2 v[50:51], v[50:51]
	s_waitcnt vmcnt(0) lgkmcnt(0)
	v_mul_f64 v[50:51], s[70:71], v[50:51]
	s_branch .LBB145_277
.LBB145_276:
	v_mov_b64_e32 v[50:51], 0
.LBB145_277:
	v_add_f64 v[48:49], v[48:49], v[50:51]
	v_lshl_add_u64 v[50:51], v[114:115], 3, v[64:65]
	flat_store_dwordx2 v[50:51], v[48:49]
	s_or_b64 exec, exec, s[2:3]
	s_and_b64 s[4:5], s[24:25], s[18:19]
	s_and_saveexec_b64 s[2:3], s[4:5]
	s_cbranch_execz .LBB145_222
.LBB145_278:
	s_and_b64 vcc, exec, s[0:1]
	s_cbranch_vccnz .LBB145_280
; %bb.279:
	v_lshl_add_u64 v[48:49], v[112:113], 3, v[130:131]
	flat_load_dwordx2 v[48:49], v[48:49]
	s_waitcnt vmcnt(0) lgkmcnt(0)
	v_mul_f64 v[48:49], s[70:71], v[48:49]
	s_branch .LBB145_281
.LBB145_280:
	v_mov_b64_e32 v[48:49], 0
.LBB145_281:
	v_add_f64 v[46:47], v[46:47], v[48:49]
	v_lshl_add_u64 v[48:49], v[112:113], 3, v[64:65]
	flat_store_dwordx2 v[48:49], v[46:47]
	s_or_b64 exec, exec, s[2:3]
	s_and_b64 s[4:5], s[24:25], s[20:21]
	s_and_saveexec_b64 s[2:3], s[4:5]
	s_cbranch_execz .LBB145_223
.LBB145_282:
	s_and_b64 vcc, exec, s[0:1]
	s_cbranch_vccnz .LBB145_284
; %bb.283:
	v_lshl_add_u64 v[46:47], v[110:111], 3, v[130:131]
	flat_load_dwordx2 v[46:47], v[46:47]
	s_waitcnt vmcnt(0) lgkmcnt(0)
	v_mul_f64 v[46:47], s[70:71], v[46:47]
	s_branch .LBB145_285
.LBB145_284:
	v_mov_b64_e32 v[46:47], 0
.LBB145_285:
	v_add_f64 v[44:45], v[44:45], v[46:47]
	v_lshl_add_u64 v[46:47], v[110:111], 3, v[64:65]
	flat_store_dwordx2 v[46:47], v[44:45]
	s_or_b64 exec, exec, s[2:3]
	s_and_b64 s[4:5], s[24:25], s[22:23]
	s_and_saveexec_b64 s[2:3], s[4:5]
	s_cbranch_execz .LBB145_224
.LBB145_286:
	s_and_b64 vcc, exec, s[0:1]
	s_cbranch_vccnz .LBB145_288
; %bb.287:
	v_lshl_add_u64 v[44:45], v[108:109], 3, v[130:131]
	flat_load_dwordx2 v[44:45], v[44:45]
	s_waitcnt vmcnt(0) lgkmcnt(0)
	v_mul_f64 v[44:45], s[70:71], v[44:45]
	s_branch .LBB145_289
.LBB145_288:
	v_mov_b64_e32 v[44:45], 0
.LBB145_289:
	v_add_f64 v[42:43], v[42:43], v[44:45]
	v_lshl_add_u64 v[44:45], v[108:109], 3, v[64:65]
	flat_store_dwordx2 v[44:45], v[42:43]
	s_or_b64 exec, exec, s[2:3]
	s_and_b64 s[4:5], s[24:25], s[26:27]
	s_and_saveexec_b64 s[2:3], s[4:5]
	s_cbranch_execz .LBB145_225
.LBB145_290:
	s_and_b64 vcc, exec, s[0:1]
	s_cbranch_vccnz .LBB145_292
; %bb.291:
	v_lshl_add_u64 v[42:43], v[106:107], 3, v[130:131]
	flat_load_dwordx2 v[42:43], v[42:43]
	s_waitcnt vmcnt(0) lgkmcnt(0)
	v_mul_f64 v[42:43], s[70:71], v[42:43]
	s_branch .LBB145_293
.LBB145_292:
	v_mov_b64_e32 v[42:43], 0
.LBB145_293:
	v_add_f64 v[40:41], v[40:41], v[42:43]
	v_lshl_add_u64 v[42:43], v[106:107], 3, v[64:65]
	flat_store_dwordx2 v[42:43], v[40:41]
	s_or_b64 exec, exec, s[2:3]
	s_and_b64 s[4:5], s[24:25], s[28:29]
	s_and_saveexec_b64 s[2:3], s[4:5]
	s_cbranch_execz .LBB145_226
.LBB145_294:
	s_and_b64 vcc, exec, s[0:1]
	s_cbranch_vccnz .LBB145_296
; %bb.295:
	v_lshl_add_u64 v[40:41], v[104:105], 3, v[130:131]
	flat_load_dwordx2 v[40:41], v[40:41]
	s_waitcnt vmcnt(0) lgkmcnt(0)
	v_mul_f64 v[40:41], s[70:71], v[40:41]
	s_branch .LBB145_297
.LBB145_296:
	v_mov_b64_e32 v[40:41], 0
.LBB145_297:
	v_add_f64 v[38:39], v[38:39], v[40:41]
	v_lshl_add_u64 v[40:41], v[104:105], 3, v[64:65]
	flat_store_dwordx2 v[40:41], v[38:39]
	s_or_b64 exec, exec, s[2:3]
	s_and_b64 s[4:5], s[24:25], s[30:31]
	s_and_saveexec_b64 s[2:3], s[4:5]
	s_cbranch_execz .LBB145_227
.LBB145_298:
	s_and_b64 vcc, exec, s[0:1]
	s_cbranch_vccnz .LBB145_300
; %bb.299:
	v_lshl_add_u64 v[38:39], v[102:103], 3, v[130:131]
	flat_load_dwordx2 v[38:39], v[38:39]
	s_waitcnt vmcnt(0) lgkmcnt(0)
	v_mul_f64 v[38:39], s[70:71], v[38:39]
	s_branch .LBB145_301
.LBB145_300:
	v_mov_b64_e32 v[38:39], 0
.LBB145_301:
	v_add_f64 v[36:37], v[36:37], v[38:39]
	v_lshl_add_u64 v[38:39], v[102:103], 3, v[64:65]
	flat_store_dwordx2 v[38:39], v[36:37]
	s_or_b64 exec, exec, s[2:3]
	s_and_b64 s[4:5], s[24:25], s[34:35]
	s_and_saveexec_b64 s[2:3], s[4:5]
	s_cbranch_execz .LBB145_228
.LBB145_302:
	s_and_b64 vcc, exec, s[0:1]
	s_cbranch_vccnz .LBB145_304
; %bb.303:
	v_lshl_add_u64 v[36:37], v[100:101], 3, v[130:131]
	flat_load_dwordx2 v[36:37], v[36:37]
	s_waitcnt vmcnt(0) lgkmcnt(0)
	v_mul_f64 v[36:37], s[70:71], v[36:37]
	s_branch .LBB145_305
.LBB145_304:
	v_mov_b64_e32 v[36:37], 0
.LBB145_305:
	v_add_f64 v[34:35], v[34:35], v[36:37]
	v_lshl_add_u64 v[36:37], v[100:101], 3, v[64:65]
	flat_store_dwordx2 v[36:37], v[34:35]
	s_or_b64 exec, exec, s[2:3]
	s_and_b64 s[4:5], s[24:25], s[36:37]
	s_and_saveexec_b64 s[2:3], s[4:5]
	s_cbranch_execz .LBB145_229
.LBB145_306:
	s_and_b64 vcc, exec, s[0:1]
	s_cbranch_vccnz .LBB145_308
; %bb.307:
	v_lshl_add_u64 v[34:35], v[98:99], 3, v[130:131]
	flat_load_dwordx2 v[34:35], v[34:35]
	s_waitcnt vmcnt(0) lgkmcnt(0)
	v_mul_f64 v[34:35], s[70:71], v[34:35]
	s_branch .LBB145_309
.LBB145_308:
	v_mov_b64_e32 v[34:35], 0
.LBB145_309:
	v_add_f64 v[32:33], v[32:33], v[34:35]
	v_lshl_add_u64 v[34:35], v[98:99], 3, v[64:65]
	flat_store_dwordx2 v[34:35], v[32:33]
	s_or_b64 exec, exec, s[2:3]
	s_and_b64 s[4:5], s[24:25], s[38:39]
	s_and_saveexec_b64 s[2:3], s[4:5]
	s_cbranch_execz .LBB145_230
.LBB145_310:
	s_and_b64 vcc, exec, s[0:1]
	s_cbranch_vccnz .LBB145_312
; %bb.311:
	v_lshl_add_u64 v[32:33], v[96:97], 3, v[130:131]
	flat_load_dwordx2 v[32:33], v[32:33]
	s_waitcnt vmcnt(0) lgkmcnt(0)
	v_mul_f64 v[32:33], s[70:71], v[32:33]
	s_branch .LBB145_313
.LBB145_312:
	v_mov_b64_e32 v[32:33], 0
.LBB145_313:
	v_add_f64 v[30:31], v[30:31], v[32:33]
	v_lshl_add_u64 v[32:33], v[96:97], 3, v[64:65]
	flat_store_dwordx2 v[32:33], v[30:31]
	s_or_b64 exec, exec, s[2:3]
	s_and_b64 s[4:5], s[24:25], s[40:41]
	s_and_saveexec_b64 s[2:3], s[4:5]
	s_cbranch_execz .LBB145_231
.LBB145_314:
	s_and_b64 vcc, exec, s[0:1]
	s_cbranch_vccnz .LBB145_316
; %bb.315:
	v_lshl_add_u64 v[30:31], v[94:95], 3, v[130:131]
	flat_load_dwordx2 v[30:31], v[30:31]
	s_waitcnt vmcnt(0) lgkmcnt(0)
	v_mul_f64 v[30:31], s[70:71], v[30:31]
	s_branch .LBB145_317
.LBB145_316:
	v_mov_b64_e32 v[30:31], 0
.LBB145_317:
	v_add_f64 v[28:29], v[28:29], v[30:31]
	v_lshl_add_u64 v[30:31], v[94:95], 3, v[64:65]
	flat_store_dwordx2 v[30:31], v[28:29]
	s_or_b64 exec, exec, s[2:3]
	s_and_b64 s[4:5], s[24:25], s[42:43]
	s_and_saveexec_b64 s[2:3], s[4:5]
	s_cbranch_execz .LBB145_232
.LBB145_318:
	s_and_b64 vcc, exec, s[0:1]
	s_cbranch_vccnz .LBB145_320
; %bb.319:
	v_lshl_add_u64 v[28:29], v[92:93], 3, v[130:131]
	flat_load_dwordx2 v[28:29], v[28:29]
	s_waitcnt vmcnt(0) lgkmcnt(0)
	v_mul_f64 v[28:29], s[70:71], v[28:29]
	s_branch .LBB145_321
.LBB145_320:
	v_mov_b64_e32 v[28:29], 0
.LBB145_321:
	v_add_f64 v[26:27], v[26:27], v[28:29]
	v_lshl_add_u64 v[28:29], v[92:93], 3, v[64:65]
	flat_store_dwordx2 v[28:29], v[26:27]
	s_or_b64 exec, exec, s[2:3]
	s_and_b64 s[4:5], s[24:25], s[44:45]
	s_and_saveexec_b64 s[2:3], s[4:5]
	s_cbranch_execz .LBB145_233
.LBB145_322:
	s_and_b64 vcc, exec, s[0:1]
	s_cbranch_vccnz .LBB145_324
; %bb.323:
	v_lshl_add_u64 v[26:27], v[90:91], 3, v[130:131]
	flat_load_dwordx2 v[26:27], v[26:27]
	s_waitcnt vmcnt(0) lgkmcnt(0)
	v_mul_f64 v[26:27], s[70:71], v[26:27]
	s_branch .LBB145_325
.LBB145_324:
	v_mov_b64_e32 v[26:27], 0
.LBB145_325:
	v_add_f64 v[24:25], v[24:25], v[26:27]
	v_lshl_add_u64 v[26:27], v[90:91], 3, v[64:65]
	flat_store_dwordx2 v[26:27], v[24:25]
	s_or_b64 exec, exec, s[2:3]
	s_and_b64 s[4:5], s[24:25], s[46:47]
	s_and_saveexec_b64 s[2:3], s[4:5]
	s_cbranch_execz .LBB145_234
.LBB145_326:
	s_and_b64 vcc, exec, s[0:1]
	s_cbranch_vccnz .LBB145_328
; %bb.327:
	v_lshl_add_u64 v[24:25], v[88:89], 3, v[130:131]
	flat_load_dwordx2 v[24:25], v[24:25]
	s_waitcnt vmcnt(0) lgkmcnt(0)
	v_mul_f64 v[24:25], s[70:71], v[24:25]
	s_branch .LBB145_329
.LBB145_328:
	v_mov_b64_e32 v[24:25], 0
.LBB145_329:
	v_add_f64 v[22:23], v[22:23], v[24:25]
	v_lshl_add_u64 v[24:25], v[88:89], 3, v[64:65]
	flat_store_dwordx2 v[24:25], v[22:23]
	s_or_b64 exec, exec, s[2:3]
	s_and_b64 s[4:5], s[24:25], s[48:49]
	s_and_saveexec_b64 s[2:3], s[4:5]
	s_cbranch_execz .LBB145_235
.LBB145_330:
	s_and_b64 vcc, exec, s[0:1]
	s_cbranch_vccnz .LBB145_332
; %bb.331:
	v_lshl_add_u64 v[22:23], v[86:87], 3, v[130:131]
	flat_load_dwordx2 v[22:23], v[22:23]
	s_waitcnt vmcnt(0) lgkmcnt(0)
	v_mul_f64 v[22:23], s[70:71], v[22:23]
	s_branch .LBB145_333
.LBB145_332:
	v_mov_b64_e32 v[22:23], 0
.LBB145_333:
	v_add_f64 v[20:21], v[20:21], v[22:23]
	v_lshl_add_u64 v[22:23], v[86:87], 3, v[64:65]
	flat_store_dwordx2 v[22:23], v[20:21]
	s_or_b64 exec, exec, s[2:3]
	s_and_b64 s[4:5], s[24:25], s[50:51]
	s_and_saveexec_b64 s[2:3], s[4:5]
	s_cbranch_execz .LBB145_236
.LBB145_334:
	s_and_b64 vcc, exec, s[0:1]
	s_cbranch_vccnz .LBB145_336
; %bb.335:
	v_lshl_add_u64 v[20:21], v[84:85], 3, v[130:131]
	flat_load_dwordx2 v[20:21], v[20:21]
	s_waitcnt vmcnt(0) lgkmcnt(0)
	v_mul_f64 v[20:21], s[70:71], v[20:21]
	s_branch .LBB145_337
.LBB145_336:
	v_mov_b64_e32 v[20:21], 0
.LBB145_337:
	v_add_f64 v[18:19], v[18:19], v[20:21]
	v_lshl_add_u64 v[20:21], v[84:85], 3, v[64:65]
	flat_store_dwordx2 v[20:21], v[18:19]
	s_or_b64 exec, exec, s[2:3]
	s_and_b64 s[4:5], s[24:25], s[52:53]
	s_and_saveexec_b64 s[2:3], s[4:5]
	s_cbranch_execz .LBB145_237
.LBB145_338:
	s_and_b64 vcc, exec, s[0:1]
	s_cbranch_vccnz .LBB145_340
; %bb.339:
	v_lshl_add_u64 v[18:19], v[82:83], 3, v[130:131]
	flat_load_dwordx2 v[18:19], v[18:19]
	s_waitcnt vmcnt(0) lgkmcnt(0)
	v_mul_f64 v[18:19], s[70:71], v[18:19]
	s_branch .LBB145_341
.LBB145_340:
	v_mov_b64_e32 v[18:19], 0
.LBB145_341:
	v_add_f64 v[16:17], v[16:17], v[18:19]
	v_lshl_add_u64 v[18:19], v[82:83], 3, v[64:65]
	flat_store_dwordx2 v[18:19], v[16:17]
	s_or_b64 exec, exec, s[2:3]
	s_and_b64 s[4:5], s[24:25], s[54:55]
	s_and_saveexec_b64 s[2:3], s[4:5]
	s_cbranch_execz .LBB145_238
.LBB145_342:
	s_and_b64 vcc, exec, s[0:1]
	s_cbranch_vccnz .LBB145_344
; %bb.343:
	v_lshl_add_u64 v[16:17], v[80:81], 3, v[130:131]
	flat_load_dwordx2 v[16:17], v[16:17]
	s_waitcnt vmcnt(0) lgkmcnt(0)
	v_mul_f64 v[16:17], s[70:71], v[16:17]
	s_branch .LBB145_345
.LBB145_344:
	v_mov_b64_e32 v[16:17], 0
.LBB145_345:
	v_add_f64 v[14:15], v[14:15], v[16:17]
	v_lshl_add_u64 v[16:17], v[80:81], 3, v[64:65]
	flat_store_dwordx2 v[16:17], v[14:15]
	s_or_b64 exec, exec, s[2:3]
	s_and_b64 s[4:5], s[24:25], s[56:57]
	s_and_saveexec_b64 s[2:3], s[4:5]
	s_cbranch_execz .LBB145_239
.LBB145_346:
	s_and_b64 vcc, exec, s[0:1]
	s_cbranch_vccnz .LBB145_348
; %bb.347:
	v_lshl_add_u64 v[14:15], v[78:79], 3, v[130:131]
	flat_load_dwordx2 v[14:15], v[14:15]
	s_waitcnt vmcnt(0) lgkmcnt(0)
	v_mul_f64 v[14:15], s[70:71], v[14:15]
	s_branch .LBB145_349
.LBB145_348:
	v_mov_b64_e32 v[14:15], 0
.LBB145_349:
	v_add_f64 v[12:13], v[12:13], v[14:15]
	v_lshl_add_u64 v[14:15], v[78:79], 3, v[64:65]
	flat_store_dwordx2 v[14:15], v[12:13]
	s_or_b64 exec, exec, s[2:3]
	s_and_b64 s[4:5], s[24:25], s[58:59]
	s_and_saveexec_b64 s[2:3], s[4:5]
	s_cbranch_execz .LBB145_240
.LBB145_350:
	s_and_b64 vcc, exec, s[0:1]
	s_cbranch_vccnz .LBB145_352
; %bb.351:
	v_lshl_add_u64 v[12:13], v[76:77], 3, v[130:131]
	flat_load_dwordx2 v[12:13], v[12:13]
	s_waitcnt vmcnt(0) lgkmcnt(0)
	v_mul_f64 v[12:13], s[70:71], v[12:13]
	s_branch .LBB145_353
.LBB145_352:
	v_mov_b64_e32 v[12:13], 0
.LBB145_353:
	v_add_f64 v[10:11], v[10:11], v[12:13]
	v_lshl_add_u64 v[12:13], v[76:77], 3, v[64:65]
	flat_store_dwordx2 v[12:13], v[10:11]
	s_or_b64 exec, exec, s[2:3]
	s_and_b64 s[4:5], s[24:25], s[60:61]
	s_and_saveexec_b64 s[2:3], s[4:5]
	s_cbranch_execz .LBB145_241
.LBB145_354:
	s_and_b64 vcc, exec, s[0:1]
	s_cbranch_vccnz .LBB145_356
; %bb.355:
	v_lshl_add_u64 v[10:11], v[74:75], 3, v[130:131]
	flat_load_dwordx2 v[10:11], v[10:11]
	s_waitcnt vmcnt(0) lgkmcnt(0)
	v_mul_f64 v[10:11], s[70:71], v[10:11]
	s_branch .LBB145_357
.LBB145_356:
	v_mov_b64_e32 v[10:11], 0
.LBB145_357:
	v_add_f64 v[8:9], v[8:9], v[10:11]
	v_lshl_add_u64 v[10:11], v[74:75], 3, v[64:65]
	flat_store_dwordx2 v[10:11], v[8:9]
	s_or_b64 exec, exec, s[2:3]
	s_and_b64 s[4:5], s[24:25], s[62:63]
	s_and_saveexec_b64 s[2:3], s[4:5]
	s_cbranch_execz .LBB145_242
.LBB145_358:
	s_and_b64 vcc, exec, s[0:1]
	s_cbranch_vccnz .LBB145_360
; %bb.359:
	v_lshl_add_u64 v[8:9], v[72:73], 3, v[130:131]
	flat_load_dwordx2 v[8:9], v[8:9]
	s_waitcnt vmcnt(0) lgkmcnt(0)
	v_mul_f64 v[8:9], s[70:71], v[8:9]
	s_branch .LBB145_361
.LBB145_360:
	v_mov_b64_e32 v[8:9], 0
.LBB145_361:
	v_add_f64 v[6:7], v[6:7], v[8:9]
	v_lshl_add_u64 v[8:9], v[72:73], 3, v[64:65]
	flat_store_dwordx2 v[8:9], v[6:7]
	s_or_b64 exec, exec, s[2:3]
	s_and_b64 s[4:5], s[24:25], s[64:65]
	s_and_saveexec_b64 s[2:3], s[4:5]
	s_cbranch_execz .LBB145_243
.LBB145_362:
	s_and_b64 vcc, exec, s[0:1]
	s_cbranch_vccnz .LBB145_364
; %bb.363:
	v_lshl_add_u64 v[6:7], v[70:71], 3, v[130:131]
	flat_load_dwordx2 v[6:7], v[6:7]
	s_waitcnt vmcnt(0) lgkmcnt(0)
	v_mul_f64 v[6:7], s[70:71], v[6:7]
	s_branch .LBB145_365
.LBB145_364:
	v_mov_b64_e32 v[6:7], 0
.LBB145_365:
	v_add_f64 v[4:5], v[4:5], v[6:7]
	v_lshl_add_u64 v[6:7], v[70:71], 3, v[64:65]
	flat_store_dwordx2 v[6:7], v[4:5]
	s_or_b64 exec, exec, s[2:3]
	s_and_b64 s[4:5], s[24:25], s[66:67]
	s_and_saveexec_b64 s[2:3], s[4:5]
	s_cbranch_execz .LBB145_244
.LBB145_366:
	s_and_b64 vcc, exec, s[0:1]
	s_cbranch_vccnz .LBB145_368
; %bb.367:
	v_lshl_add_u64 v[4:5], v[68:69], 3, v[130:131]
	flat_load_dwordx2 v[4:5], v[4:5]
	s_waitcnt vmcnt(0) lgkmcnt(0)
	v_mul_f64 v[4:5], s[70:71], v[4:5]
	s_branch .LBB145_369
.LBB145_368:
	v_mov_b64_e32 v[4:5], 0
.LBB145_369:
	v_add_f64 v[2:3], v[2:3], v[4:5]
	v_lshl_add_u64 v[4:5], v[68:69], 3, v[64:65]
	flat_store_dwordx2 v[4:5], v[2:3]
	s_or_b64 exec, exec, s[2:3]
	s_and_b64 s[2:3], s[24:25], s[68:69]
	s_and_saveexec_b64 s[4:5], s[2:3]
	s_cbranch_execz .LBB145_245
.LBB145_370:
	s_and_b64 vcc, exec, s[0:1]
	s_cbranch_vccnz .LBB145_372
; %bb.371:
	v_lshl_add_u64 v[2:3], v[66:67], 3, v[130:131]
	flat_load_dwordx2 v[2:3], v[2:3]
	s_waitcnt vmcnt(0) lgkmcnt(0)
	v_mul_f64 v[2:3], s[70:71], v[2:3]
	v_add_f64 v[0:1], v[0:1], v[2:3]
	v_lshl_add_u64 v[2:3], v[66:67], 3, v[64:65]
	flat_store_dwordx2 v[2:3], v[0:1]
	s_endpgm
.LBB145_372:
	v_mov_b64_e32 v[2:3], 0
	v_add_f64 v[0:1], v[0:1], v[2:3]
	v_lshl_add_u64 v[2:3], v[66:67], 3, v[64:65]
	flat_store_dwordx2 v[2:3], v[0:1]
	s_endpgm
	.section	.rodata,"a",@progbits
	.p2align	6, 0x0
	.amdhsa_kernel _ZN12_GLOBAL__N_120geam_min_plus_kernelIdddLi4ELi64ELi128ELi128ELi4ELi64ELi4ELi64ELi4ELc78ELc84ELb1ELb1ELb0EdKPKdKPdEEviiiT16_PT17_ilS8_ilS6_S8_ilPT18_ili26rocblas_geam_ex_operation_
		.amdhsa_group_segment_fixed_size 16384
		.amdhsa_private_segment_fixed_size 0
		.amdhsa_kernarg_size 136
		.amdhsa_user_sgpr_count 2
		.amdhsa_user_sgpr_dispatch_ptr 0
		.amdhsa_user_sgpr_queue_ptr 0
		.amdhsa_user_sgpr_kernarg_segment_ptr 1
		.amdhsa_user_sgpr_dispatch_id 0
		.amdhsa_user_sgpr_kernarg_preload_length 0
		.amdhsa_user_sgpr_kernarg_preload_offset 0
		.amdhsa_user_sgpr_private_segment_size 0
		.amdhsa_uses_dynamic_stack 0
		.amdhsa_enable_private_segment 0
		.amdhsa_system_sgpr_workgroup_id_x 1
		.amdhsa_system_sgpr_workgroup_id_y 0
		.amdhsa_system_sgpr_workgroup_id_z 1
		.amdhsa_system_sgpr_workgroup_info 0
		.amdhsa_system_vgpr_workitem_id 1
		.amdhsa_next_free_vgpr 252
		.amdhsa_next_free_sgpr 82
		.amdhsa_accum_offset 252
		.amdhsa_reserve_vcc 1
		.amdhsa_float_round_mode_32 0
		.amdhsa_float_round_mode_16_64 0
		.amdhsa_float_denorm_mode_32 3
		.amdhsa_float_denorm_mode_16_64 3
		.amdhsa_dx10_clamp 1
		.amdhsa_ieee_mode 1
		.amdhsa_fp16_overflow 0
		.amdhsa_tg_split 0
		.amdhsa_exception_fp_ieee_invalid_op 0
		.amdhsa_exception_fp_denorm_src 0
		.amdhsa_exception_fp_ieee_div_zero 0
		.amdhsa_exception_fp_ieee_overflow 0
		.amdhsa_exception_fp_ieee_underflow 0
		.amdhsa_exception_fp_ieee_inexact 0
		.amdhsa_exception_int_div_zero 0
	.end_amdhsa_kernel
	.section	.text._ZN12_GLOBAL__N_120geam_min_plus_kernelIdddLi4ELi64ELi128ELi128ELi4ELi64ELi4ELi64ELi4ELc78ELc84ELb1ELb1ELb0EdKPKdKPdEEviiiT16_PT17_ilS8_ilS6_S8_ilPT18_ili26rocblas_geam_ex_operation_,"axG",@progbits,_ZN12_GLOBAL__N_120geam_min_plus_kernelIdddLi4ELi64ELi128ELi128ELi4ELi64ELi4ELi64ELi4ELc78ELc84ELb1ELb1ELb0EdKPKdKPdEEviiiT16_PT17_ilS8_ilS6_S8_ilPT18_ili26rocblas_geam_ex_operation_,comdat
.Lfunc_end145:
	.size	_ZN12_GLOBAL__N_120geam_min_plus_kernelIdddLi4ELi64ELi128ELi128ELi4ELi64ELi4ELi64ELi4ELc78ELc84ELb1ELb1ELb0EdKPKdKPdEEviiiT16_PT17_ilS8_ilS6_S8_ilPT18_ili26rocblas_geam_ex_operation_, .Lfunc_end145-_ZN12_GLOBAL__N_120geam_min_plus_kernelIdddLi4ELi64ELi128ELi128ELi4ELi64ELi4ELi64ELi4ELc78ELc84ELb1ELb1ELb0EdKPKdKPdEEviiiT16_PT17_ilS8_ilS6_S8_ilPT18_ili26rocblas_geam_ex_operation_
                                        ; -- End function
	.set _ZN12_GLOBAL__N_120geam_min_plus_kernelIdddLi4ELi64ELi128ELi128ELi4ELi64ELi4ELi64ELi4ELc78ELc84ELb1ELb1ELb0EdKPKdKPdEEviiiT16_PT17_ilS8_ilS6_S8_ilPT18_ili26rocblas_geam_ex_operation_.num_vgpr, 252
	.set _ZN12_GLOBAL__N_120geam_min_plus_kernelIdddLi4ELi64ELi128ELi128ELi4ELi64ELi4ELi64ELi4ELc78ELc84ELb1ELb1ELb0EdKPKdKPdEEviiiT16_PT17_ilS8_ilS6_S8_ilPT18_ili26rocblas_geam_ex_operation_.num_agpr, 0
	.set _ZN12_GLOBAL__N_120geam_min_plus_kernelIdddLi4ELi64ELi128ELi128ELi4ELi64ELi4ELi64ELi4ELc78ELc84ELb1ELb1ELb0EdKPKdKPdEEviiiT16_PT17_ilS8_ilS6_S8_ilPT18_ili26rocblas_geam_ex_operation_.numbered_sgpr, 82
	.set _ZN12_GLOBAL__N_120geam_min_plus_kernelIdddLi4ELi64ELi128ELi128ELi4ELi64ELi4ELi64ELi4ELc78ELc84ELb1ELb1ELb0EdKPKdKPdEEviiiT16_PT17_ilS8_ilS6_S8_ilPT18_ili26rocblas_geam_ex_operation_.num_named_barrier, 0
	.set _ZN12_GLOBAL__N_120geam_min_plus_kernelIdddLi4ELi64ELi128ELi128ELi4ELi64ELi4ELi64ELi4ELc78ELc84ELb1ELb1ELb0EdKPKdKPdEEviiiT16_PT17_ilS8_ilS6_S8_ilPT18_ili26rocblas_geam_ex_operation_.private_seg_size, 0
	.set _ZN12_GLOBAL__N_120geam_min_plus_kernelIdddLi4ELi64ELi128ELi128ELi4ELi64ELi4ELi64ELi4ELc78ELc84ELb1ELb1ELb0EdKPKdKPdEEviiiT16_PT17_ilS8_ilS6_S8_ilPT18_ili26rocblas_geam_ex_operation_.uses_vcc, 1
	.set _ZN12_GLOBAL__N_120geam_min_plus_kernelIdddLi4ELi64ELi128ELi128ELi4ELi64ELi4ELi64ELi4ELc78ELc84ELb1ELb1ELb0EdKPKdKPdEEviiiT16_PT17_ilS8_ilS6_S8_ilPT18_ili26rocblas_geam_ex_operation_.uses_flat_scratch, 0
	.set _ZN12_GLOBAL__N_120geam_min_plus_kernelIdddLi4ELi64ELi128ELi128ELi4ELi64ELi4ELi64ELi4ELc78ELc84ELb1ELb1ELb0EdKPKdKPdEEviiiT16_PT17_ilS8_ilS6_S8_ilPT18_ili26rocblas_geam_ex_operation_.has_dyn_sized_stack, 0
	.set _ZN12_GLOBAL__N_120geam_min_plus_kernelIdddLi4ELi64ELi128ELi128ELi4ELi64ELi4ELi64ELi4ELc78ELc84ELb1ELb1ELb0EdKPKdKPdEEviiiT16_PT17_ilS8_ilS6_S8_ilPT18_ili26rocblas_geam_ex_operation_.has_recursion, 0
	.set _ZN12_GLOBAL__N_120geam_min_plus_kernelIdddLi4ELi64ELi128ELi128ELi4ELi64ELi4ELi64ELi4ELc78ELc84ELb1ELb1ELb0EdKPKdKPdEEviiiT16_PT17_ilS8_ilS6_S8_ilPT18_ili26rocblas_geam_ex_operation_.has_indirect_call, 0
	.section	.AMDGPU.csdata,"",@progbits
; Kernel info:
; codeLenInByte = 14408
; TotalNumSgprs: 88
; NumVgprs: 252
; NumAgprs: 0
; TotalNumVgprs: 252
; ScratchSize: 0
; MemoryBound: 0
; FloatMode: 240
; IeeeMode: 1
; LDSByteSize: 16384 bytes/workgroup (compile time only)
; SGPRBlocks: 10
; VGPRBlocks: 31
; NumSGPRsForWavesPerEU: 88
; NumVGPRsForWavesPerEU: 252
; AccumOffset: 252
; Occupancy: 2
; WaveLimiterHint : 1
; COMPUTE_PGM_RSRC2:SCRATCH_EN: 0
; COMPUTE_PGM_RSRC2:USER_SGPR: 2
; COMPUTE_PGM_RSRC2:TRAP_HANDLER: 0
; COMPUTE_PGM_RSRC2:TGID_X_EN: 1
; COMPUTE_PGM_RSRC2:TGID_Y_EN: 0
; COMPUTE_PGM_RSRC2:TGID_Z_EN: 1
; COMPUTE_PGM_RSRC2:TIDIG_COMP_CNT: 1
; COMPUTE_PGM_RSRC3_GFX90A:ACCUM_OFFSET: 62
; COMPUTE_PGM_RSRC3_GFX90A:TG_SPLIT: 0
	.section	.text._ZN12_GLOBAL__N_120geam_min_plus_kernelIdddLi4ELi64ELi128ELi128ELi4ELi64ELi4ELi64ELi4ELc78ELc84ELb0ELb1ELb0EdKPKdKPdEEviiiT16_PT17_ilS8_ilS6_S8_ilPT18_ili26rocblas_geam_ex_operation_,"axG",@progbits,_ZN12_GLOBAL__N_120geam_min_plus_kernelIdddLi4ELi64ELi128ELi128ELi4ELi64ELi4ELi64ELi4ELc78ELc84ELb0ELb1ELb0EdKPKdKPdEEviiiT16_PT17_ilS8_ilS6_S8_ilPT18_ili26rocblas_geam_ex_operation_,comdat
	.globl	_ZN12_GLOBAL__N_120geam_min_plus_kernelIdddLi4ELi64ELi128ELi128ELi4ELi64ELi4ELi64ELi4ELc78ELc84ELb0ELb1ELb0EdKPKdKPdEEviiiT16_PT17_ilS8_ilS6_S8_ilPT18_ili26rocblas_geam_ex_operation_ ; -- Begin function _ZN12_GLOBAL__N_120geam_min_plus_kernelIdddLi4ELi64ELi128ELi128ELi4ELi64ELi4ELi64ELi4ELc78ELc84ELb0ELb1ELb0EdKPKdKPdEEviiiT16_PT17_ilS8_ilS6_S8_ilPT18_ili26rocblas_geam_ex_operation_
	.p2align	8
	.type	_ZN12_GLOBAL__N_120geam_min_plus_kernelIdddLi4ELi64ELi128ELi128ELi4ELi64ELi4ELi64ELi4ELc78ELc84ELb0ELb1ELb0EdKPKdKPdEEviiiT16_PT17_ilS8_ilS6_S8_ilPT18_ili26rocblas_geam_ex_operation_,@function
_ZN12_GLOBAL__N_120geam_min_plus_kernelIdddLi4ELi64ELi128ELi128ELi4ELi64ELi4ELi64ELi4ELc78ELc84ELb0ELb1ELb0EdKPKdKPdEEviiiT16_PT17_ilS8_ilS6_S8_ilPT18_ili26rocblas_geam_ex_operation_: ; @_ZN12_GLOBAL__N_120geam_min_plus_kernelIdddLi4ELi64ELi128ELi128ELi4ELi64ELi4ELi64ELi4ELc78ELc84ELb0ELb1ELb0EdKPKdKPdEEviiiT16_PT17_ilS8_ilS6_S8_ilPT18_ili26rocblas_geam_ex_operation_
; %bb.0:
	s_load_dwordx4 s[12:15], s[0:1], 0x10
	s_load_dwordx4 s[4:7], s[0:1], 0x28
	s_mov_b32 s8, s3
	s_mov_b64 s[16:17], 0
	s_waitcnt lgkmcnt(0)
	v_cmp_eq_f64_e64 s[10:11], s[12:13], 0
	s_and_b64 vcc, exec, s[10:11]
	s_cbranch_vccnz .LBB146_2
; %bb.1:
	s_mov_b32 s9, 0
	s_lshl_b64 s[16:17], s[8:9], 3
	s_add_u32 s14, s14, s16
	s_addc_u32 s15, s15, s17
	s_load_dwordx2 s[14:15], s[14:15], 0x0
	s_lshl_b64 s[4:5], s[4:5], 3
	s_waitcnt lgkmcnt(0)
	s_add_u32 s16, s14, s4
	s_addc_u32 s17, s15, s5
.LBB146_2:
	s_load_dwordx4 s[68:71], s[0:1], 0x40
	s_load_dwordx2 s[14:15], s[0:1], 0x50
	s_andn2_b64 vcc, exec, s[10:11]
	s_mov_b32 s9, 0
	s_cbranch_vccnz .LBB146_4
; %bb.3:
	s_mov_b64 s[76:77], 0
	s_mov_b64 s[18:19], 0
	s_cbranch_execz .LBB146_5
	s_branch .LBB146_6
.LBB146_4:
	s_mov_b64 s[76:77], 0
	s_mov_b64 s[18:19], 0
.LBB146_5:
	s_lshl_b64 s[4:5], s[8:9], 3
	s_add_u32 s4, s6, s4
	s_addc_u32 s5, s7, s5
	s_load_dwordx2 s[4:5], s[4:5], 0x0
	s_waitcnt lgkmcnt(0)
	s_lshl_b64 s[6:7], s[68:69], 3
	s_add_u32 s18, s4, s6
	s_addc_u32 s19, s5, s7
.LBB146_6:
	s_load_dwordx4 s[4:7], s[0:1], 0x60
	s_waitcnt lgkmcnt(0)
	v_cmp_eq_f64_e64 s[20:21], s[70:71], 0
	v_cmp_neq_f64_e64 s[10:11], s[70:71], 0
	s_and_b64 vcc, exec, s[20:21]
	s_cbranch_vccnz .LBB146_8
; %bb.7:
	s_lshl_b64 s[20:21], s[8:9], 3
	s_add_u32 s14, s14, s20
	s_addc_u32 s15, s15, s21
	s_load_dwordx2 s[14:15], s[14:15], 0x0
	s_lshl_b64 s[4:5], s[4:5], 3
	s_waitcnt lgkmcnt(0)
	s_add_u32 s76, s14, s4
	s_addc_u32 s77, s15, s5
.LBB146_8:
	s_load_dwordx4 s[72:75], s[0:1], 0x0
	s_load_dword s26, s[0:1], 0x20
	s_lshl_b64 s[4:5], s[8:9], 3
	s_add_u32 s14, s6, s4
	s_addc_u32 s15, s7, s5
	s_waitcnt lgkmcnt(0)
	s_add_i32 s3, s72, -1
	s_ashr_i32 s4, s3, 31
	s_lshr_b32 s4, s4, 25
	s_add_i32 s3, s3, s4
	s_ashr_i32 s3, s3, 7
	s_add_i32 s4, s3, 1
	v_cvt_f32_u32_e32 v1, s4
	s_not_b32 s3, s3
	v_and_b32_e32 v142, 0x3ff, v0
	v_bfe_u32 v143, v0, 10, 10
	v_rcp_iflag_f32_e32 v1, v1
	v_lshl_add_u32 v0, v143, 2, v142
	v_lshrrev_b32_e32 v144, 6, v0
	v_and_b32_e32 v140, 63, v0
	v_mul_f32_e32 v1, 0x4f7ffffe, v1
	v_cvt_u32_f32_e32 v1, v1
	v_cmp_le_i32_e32 vcc, s74, v144
	v_cmp_eq_f64_e64 s[20:21], s[12:13], 0
	v_readfirstlane_b32 s5, v1
	s_mul_i32 s3, s3, s5
	s_mul_hi_u32 s3, s5, s3
	s_add_i32 s5, s5, s3
	s_mul_hi_u32 s3, s2, s5
	s_mul_i32 s5, s3, s4
	s_sub_i32 s5, s2, s5
	s_add_i32 s6, s3, 1
	s_sub_i32 s7, s5, s4
	s_cmp_ge_u32 s5, s4
	s_cselect_b32 s3, s6, s3
	s_cselect_b32 s5, s7, s5
	s_add_i32 s6, s3, 1
	s_cmp_ge_u32 s5, s4
	s_cselect_b32 s8, s6, s3
	s_mul_i32 s3, s8, s4
	s_sub_i32 s2, s2, s3
	s_add_i32 s27, s74, -1
	s_lshl_b32 s24, s2, 7
	v_min_i32_e32 v6, s27, v144
	v_or_b32_e32 v128, s24, v140
	v_mad_i64_i32 v[2:3], s[2:3], s26, v6, 0
	v_cmp_le_i32_e64 s[2:3], s72, v128
	s_or_b64 s[4:5], s[2:3], vcc
	v_mov_b64_e32 v[0:1], 0
	v_lshl_add_u64 v[4:5], v[2:3], 3, s[16:17]
	s_nor_b64 s[6:7], s[20:21], s[4:5]
	v_ashrrev_i32_e32 v129, 31, v128
	v_mov_b64_e32 v[2:3], 0
	s_and_saveexec_b64 s[4:5], s[6:7]
	s_cbranch_execz .LBB146_10
; %bb.9:
	v_lshl_add_u64 v[2:3], v[128:129], 3, v[4:5]
	flat_load_dwordx2 v[2:3], v[2:3]
	s_waitcnt vmcnt(0) lgkmcnt(0)
	v_mul_f64 v[2:3], s[12:13], v[2:3]
.LBB146_10:
	s_or_b64 exec, exec, s[4:5]
	v_or_b32_e32 v7, 64, v128
	v_cmp_le_i32_e64 s[4:5], s72, v7
	s_or_b64 s[6:7], s[4:5], vcc
	s_nor_b64 s[22:23], s[20:21], s[6:7]
	s_and_saveexec_b64 s[6:7], s[22:23]
	s_cbranch_execz .LBB146_12
; %bb.11:
	v_lshl_add_u64 v[0:1], v[128:129], 3, v[4:5]
	flat_load_dwordx2 v[0:1], v[0:1] offset:512
	s_waitcnt vmcnt(0) lgkmcnt(0)
	v_mul_f64 v[0:1], s[12:13], v[0:1]
.LBB146_12:
	s_or_b64 exec, exec, s[6:7]
	s_load_dword s28, s[0:1], 0x38
	s_lshl_b32 s25, s8, 7
	v_or_b32_e32 v130, s25, v140
	v_cmp_le_i32_e64 s[6:7], s73, v130
	v_ashrrev_i32_e32 v131, 31, v130
	s_waitcnt lgkmcnt(0)
	v_mad_i64_i32 v[4:5], s[8:9], s28, v6, 0
	s_or_b64 s[8:9], s[6:7], vcc
	v_lshl_add_u64 v[8:9], v[4:5], 3, s[18:19]
	s_nor_b64 s[22:23], s[20:21], s[8:9]
	v_mov_b64_e32 v[4:5], 0
	v_mov_b64_e32 v[6:7], 0
	s_and_saveexec_b64 s[8:9], s[22:23]
	s_cbranch_execz .LBB146_14
; %bb.13:
	v_lshl_add_u64 v[6:7], v[130:131], 3, v[8:9]
	flat_load_dwordx2 v[6:7], v[6:7]
	s_waitcnt vmcnt(0) lgkmcnt(0)
	v_mul_f64 v[6:7], s[12:13], v[6:7]
.LBB146_14:
	s_or_b64 exec, exec, s[8:9]
	v_or_b32_e32 v10, 64, v130
	v_cmp_le_i32_e64 s[8:9], s73, v10
	s_or_b64 s[22:23], s[8:9], vcc
	s_nor_b64 s[30:31], s[20:21], s[22:23]
	s_and_saveexec_b64 s[22:23], s[30:31]
	s_cbranch_execz .LBB146_16
; %bb.15:
	v_lshl_add_u64 v[4:5], v[130:131], 3, v[8:9]
	flat_load_dwordx2 v[4:5], v[4:5] offset:512
	s_waitcnt vmcnt(0) lgkmcnt(0)
	v_mul_f64 v[4:5], s[12:13], v[4:5]
.LBB146_16:
	s_or_b64 exec, exec, s[22:23]
	v_add_u32_e32 v8, 4, v144
	v_min_i32_e32 v10, s27, v8
	v_cmp_le_i32_e32 vcc, s74, v8
	v_mad_i64_i32 v[8:9], s[22:23], s26, v10, 0
	s_or_b64 s[22:23], s[2:3], vcc
	v_lshl_add_u64 v[8:9], v[8:9], 3, s[16:17]
	s_nor_b64 s[30:31], s[20:21], s[22:23]
	v_mov_b64_e32 v[132:133], 0
	v_mov_b64_e32 v[134:135], 0
	s_and_saveexec_b64 s[22:23], s[30:31]
	s_cbranch_execz .LBB146_18
; %bb.17:
	v_lshl_add_u64 v[12:13], v[128:129], 3, v[8:9]
	flat_load_dwordx2 v[12:13], v[12:13]
	s_waitcnt vmcnt(0) lgkmcnt(0)
	v_mul_f64 v[134:135], s[12:13], v[12:13]
.LBB146_18:
	s_or_b64 exec, exec, s[22:23]
	s_or_b64 s[22:23], s[4:5], vcc
	s_nor_b64 s[30:31], s[20:21], s[22:23]
	s_and_saveexec_b64 s[22:23], s[30:31]
	s_cbranch_execz .LBB146_20
; %bb.19:
	v_lshl_add_u64 v[8:9], v[128:129], 3, v[8:9]
	flat_load_dwordx2 v[8:9], v[8:9] offset:512
	s_waitcnt vmcnt(0) lgkmcnt(0)
	v_mul_f64 v[132:133], s[12:13], v[8:9]
.LBB146_20:
	s_or_b64 exec, exec, s[22:23]
	v_mad_i64_i32 v[8:9], s[22:23], s28, v10, 0
	s_or_b64 s[22:23], s[6:7], vcc
	v_lshl_add_u64 v[8:9], v[8:9], 3, s[18:19]
	s_nor_b64 s[30:31], s[20:21], s[22:23]
	v_mov_b64_e32 v[136:137], 0
	v_mov_b64_e32 v[138:139], 0
	s_and_saveexec_b64 s[22:23], s[30:31]
	s_cbranch_execz .LBB146_22
; %bb.21:
	v_lshl_add_u64 v[10:11], v[130:131], 3, v[8:9]
	flat_load_dwordx2 v[10:11], v[10:11]
	s_waitcnt vmcnt(0) lgkmcnt(0)
	v_mul_f64 v[138:139], s[12:13], v[10:11]
.LBB146_22:
	s_or_b64 exec, exec, s[22:23]
	s_load_dwordx2 s[14:15], s[14:15], 0x0
	s_or_b64 s[22:23], s[8:9], vcc
	s_nor_b64 s[30:31], s[20:21], s[22:23]
	s_and_saveexec_b64 s[22:23], s[30:31]
	s_cbranch_execz .LBB146_24
; %bb.23:
	v_lshl_add_u64 v[8:9], v[130:131], 3, v[8:9]
	flat_load_dwordx2 v[8:9], v[8:9] offset:512
	s_waitcnt vmcnt(0) lgkmcnt(0)
	v_mul_f64 v[136:137], s[12:13], v[8:9]
.LBB146_24:
	s_or_b64 exec, exec, s[22:23]
	v_lshlrev_b32_e32 v8, 5, v140
	v_lshl_add_u32 v146, v144, 3, v8
	v_lshlrev_b32_e32 v141, 5, v143
	ds_write2st64_b64 v146, v[2:3], v[0:1] offset1:4
	v_or_b32_e32 v147, 0x2000, v146
	ds_write2st64_b64 v146, v[6:7], v[4:5] offset0:16 offset1:20
	v_lshlrev_b32_e32 v148, 5, v142
	v_add_u32_e32 v149, 0x2000, v141
	v_mov_b64_e32 v[126:127], 0
	s_mov_b32 s22, 0
	v_mov_b64_e32 v[124:125], 0
	v_mov_b64_e32 v[122:123], 0
	;; [unrolled: 1-line block ×63, first 2 shown]
	s_waitcnt lgkmcnt(0)
	s_barrier
.LBB146_25:                             ; =>This Inner Loop Header: Depth=1
	v_add_u32_e32 v145, s22, v148
	v_add_u32_e32 v182, s22, v149
	ds_read2_b64 v[150:153], v145 offset1:16
	ds_read2_b64 v[154:157], v145 offset0:32 offset1:48
	ds_read2_b64 v[158:161], v145 offset0:64 offset1:80
	;; [unrolled: 1-line block ×7, first 2 shown]
	ds_read2st64_b64 v[182:185], v182 offset1:4
	v_add_u32_e32 v145, 0x800, v145
	ds_read2_b64 v[186:189], v145 offset1:16
	ds_read2_b64 v[190:193], v145 offset0:32 offset1:48
	ds_read2_b64 v[194:197], v145 offset0:64 offset1:80
	;; [unrolled: 1-line block ×7, first 2 shown]
	s_waitcnt lgkmcnt(14)
	v_max_f64 v[150:151], v[150:151], v[150:151]
	v_max_f64 v[152:153], v[152:153], v[152:153]
	;; [unrolled: 1-line block ×6, first 2 shown]
	s_waitcnt lgkmcnt(13)
	v_max_f64 v[162:163], v[162:163], v[162:163]
	v_max_f64 v[164:165], v[164:165], v[164:165]
	s_waitcnt lgkmcnt(12)
	v_max_f64 v[166:167], v[166:167], v[166:167]
	v_max_f64 v[168:169], v[168:169], v[168:169]
	;; [unrolled: 3-line block ×14, first 2 shown]
	v_min_f64 v[218:219], v[150:151], v[182:183]
	v_min_f64 v[220:221], v[152:153], v[182:183]
	;; [unrolled: 1-line block ×32, first 2 shown]
	s_add_i32 s22, s22, 8
	v_add_f64 v[62:63], v[62:63], v[150:151]
	v_add_f64 v[60:61], v[60:61], v[152:153]
	;; [unrolled: 1-line block ×16, first 2 shown]
	v_min_f64 v[150:151], v[186:187], v[182:183]
	v_min_f64 v[152:153], v[188:189], v[182:183]
	;; [unrolled: 1-line block ×32, first 2 shown]
	s_cmp_eq_u32 s22, 32
	v_add_f64 v[126:127], v[126:127], v[218:219]
	v_add_f64 v[124:125], v[124:125], v[220:221]
	;; [unrolled: 1-line block ×48, first 2 shown]
	s_cbranch_scc0 .LBB146_25
; %bb.26:
	v_lshlrev_b32_e32 v145, 3, v144
	v_lshl_add_u32 v140, v140, 5, v145
	s_cmp_gt_i32 s74, 8
	ds_write2st64_b64 v140, v[134:135], v[132:133] offset0:8 offset1:12
	ds_write2st64_b64 v140, v[138:139], v[136:137] offset0:24 offset1:28
	s_waitcnt lgkmcnt(0)
	s_barrier
	s_cbranch_scc1 .LBB146_28
; %bb.27:
	v_add_u32_e32 v145, 0x3000, v141
	s_cbranch_execz .LBB146_29
	s_branch .LBB146_51
.LBB146_28:
                                        ; implicit-def: $vgpr145
.LBB146_29:
	v_mov_b32_e32 v132, 0x1000
	v_or_b32_e32 v150, 0x1000, v140
	v_or_b32_e32 v151, 0x3000, v140
	s_add_i32 s29, s74, -8
	v_lshl_add_u32 v152, v142, 5, v132
	v_add_u32_e32 v145, 0x3000, v141
	s_mov_b32 s30, 8
	s_mov_b32 s31, 0
.LBB146_30:                             ; =>This Loop Header: Depth=1
                                        ;     Child Loop BB146_39 Depth 2
                                        ;     Child Loop BB146_49 Depth 2
	v_add_u32_e32 v132, s30, v144
	v_min_i32_e32 v138, s27, v132
	v_cmp_le_i32_e32 vcc, s74, v132
	v_mad_i64_i32 v[132:133], s[22:23], v138, s26, 0
	v_lshl_add_u64 v[134:135], v[132:133], 3, s[16:17]
	s_or_b64 s[22:23], s[2:3], vcc
	s_nor_b64 s[34:35], s[20:21], s[22:23]
	v_mov_b64_e32 v[132:133], 0
	v_lshl_add_u64 v[136:137], v[128:129], 3, v[134:135]
	v_mov_b64_e32 v[134:135], 0
	s_and_saveexec_b64 s[22:23], s[34:35]
	s_cbranch_execz .LBB146_32
; %bb.31:                               ;   in Loop: Header=BB146_30 Depth=1
	flat_load_dwordx2 v[134:135], v[136:137]
	s_waitcnt vmcnt(0) lgkmcnt(0)
	v_mul_f64 v[134:135], s[12:13], v[134:135]
.LBB146_32:                             ;   in Loop: Header=BB146_30 Depth=1
	s_or_b64 exec, exec, s[22:23]
	s_or_b64 s[22:23], s[4:5], vcc
	s_nor_b64 s[34:35], s[20:21], s[22:23]
	s_and_saveexec_b64 s[22:23], s[34:35]
	s_cbranch_execz .LBB146_34
; %bb.33:                               ;   in Loop: Header=BB146_30 Depth=1
	flat_load_dwordx2 v[132:133], v[136:137] offset:512
	s_waitcnt vmcnt(0) lgkmcnt(0)
	v_mul_f64 v[132:133], s[12:13], v[132:133]
.LBB146_34:                             ;   in Loop: Header=BB146_30 Depth=1
	s_or_b64 exec, exec, s[22:23]
	v_mad_i64_i32 v[136:137], s[22:23], v138, s28, 0
	v_lshl_add_u64 v[138:139], v[136:137], 3, s[18:19]
	s_or_b64 s[22:23], s[6:7], vcc
	s_nor_b64 s[34:35], s[20:21], s[22:23]
	v_mov_b64_e32 v[136:137], 0
	v_lshl_add_u64 v[140:141], v[130:131], 3, v[138:139]
	v_mov_b64_e32 v[138:139], 0
	s_and_saveexec_b64 s[22:23], s[34:35]
	s_cbranch_execz .LBB146_36
; %bb.35:                               ;   in Loop: Header=BB146_30 Depth=1
	flat_load_dwordx2 v[138:139], v[140:141]
	s_waitcnt vmcnt(0) lgkmcnt(0)
	v_mul_f64 v[138:139], s[12:13], v[138:139]
.LBB146_36:                             ;   in Loop: Header=BB146_30 Depth=1
	s_or_b64 exec, exec, s[22:23]
	s_or_b64 s[22:23], s[8:9], vcc
	s_nor_b64 s[34:35], s[20:21], s[22:23]
	s_and_saveexec_b64 s[22:23], s[34:35]
	s_cbranch_execz .LBB146_38
; %bb.37:                               ;   in Loop: Header=BB146_30 Depth=1
	flat_load_dwordx2 v[136:137], v[140:141] offset:512
	s_waitcnt vmcnt(0) lgkmcnt(0)
	v_mul_f64 v[136:137], s[12:13], v[136:137]
.LBB146_38:                             ;   in Loop: Header=BB146_30 Depth=1
	s_or_b64 exec, exec, s[22:23]
	s_mov_b32 s22, 0
.LBB146_39:                             ;   Parent Loop BB146_30 Depth=1
                                        ; =>  This Inner Loop Header: Depth=2
	v_add_u32_e32 v140, s22, v152
	v_add_u32_e32 v141, s22, v145
	ds_read2_b64 v[154:157], v140 offset1:16
	ds_read2_b64 v[158:161], v140 offset0:32 offset1:48
	ds_read2_b64 v[162:165], v140 offset0:64 offset1:80
	;; [unrolled: 1-line block ×7, first 2 shown]
	v_add_u32_e32 v140, 0x800, v140
	ds_read2st64_b64 v[186:189], v141 offset1:4
	ds_read2_b64 v[190:193], v140 offset1:16
	ds_read2_b64 v[194:197], v140 offset0:32 offset1:48
	ds_read2_b64 v[198:201], v140 offset0:64 offset1:80
	;; [unrolled: 1-line block ×7, first 2 shown]
	s_waitcnt lgkmcnt(14)
	v_max_f64 v[154:155], v[154:155], v[154:155]
	v_max_f64 v[156:157], v[156:157], v[156:157]
	;; [unrolled: 1-line block ×3, first 2 shown]
	s_waitcnt lgkmcnt(8)
	v_max_f64 v[140:141], v[186:187], v[186:187]
	v_max_f64 v[160:161], v[160:161], v[160:161]
	;; [unrolled: 1-line block ×15, first 2 shown]
	v_min_f64 v[188:189], v[154:155], v[140:141]
	v_min_f64 v[222:223], v[156:157], v[140:141]
	;; [unrolled: 1-line block ×16, first 2 shown]
	s_waitcnt lgkmcnt(7)
	v_max_f64 v[190:191], v[190:191], v[190:191]
	v_max_f64 v[192:193], v[192:193], v[192:193]
	s_waitcnt lgkmcnt(6)
	v_max_f64 v[194:195], v[194:195], v[194:195]
	v_max_f64 v[196:197], v[196:197], v[196:197]
	s_waitcnt lgkmcnt(5)
	v_max_f64 v[198:199], v[198:199], v[198:199]
	v_max_f64 v[200:201], v[200:201], v[200:201]
	s_waitcnt lgkmcnt(4)
	v_max_f64 v[202:203], v[202:203], v[202:203]
	v_max_f64 v[204:205], v[204:205], v[204:205]
	s_waitcnt lgkmcnt(3)
	v_max_f64 v[206:207], v[206:207], v[206:207]
	v_max_f64 v[208:209], v[208:209], v[208:209]
	s_waitcnt lgkmcnt(2)
	v_max_f64 v[210:211], v[210:211], v[210:211]
	v_max_f64 v[212:213], v[212:213], v[212:213]
	s_waitcnt lgkmcnt(1)
	v_max_f64 v[214:215], v[214:215], v[214:215]
	v_max_f64 v[216:217], v[216:217], v[216:217]
	s_waitcnt lgkmcnt(0)
	v_max_f64 v[218:219], v[218:219], v[218:219]
	v_max_f64 v[220:221], v[220:221], v[220:221]
	v_min_f64 v[154:155], v[154:155], v[186:187]
	v_min_f64 v[156:157], v[156:157], v[186:187]
	;; [unrolled: 1-line block ×16, first 2 shown]
	s_add_i32 s22, s22, 8
	v_add_f64 v[126:127], v[126:127], v[188:189]
	v_add_f64 v[124:125], v[124:125], v[222:223]
	v_add_f64 v[122:123], v[122:123], v[224:225]
	v_add_f64 v[120:121], v[120:121], v[226:227]
	v_add_f64 v[118:119], v[118:119], v[228:229]
	v_add_f64 v[116:117], v[116:117], v[230:231]
	v_add_f64 v[114:115], v[114:115], v[232:233]
	v_add_f64 v[112:113], v[112:113], v[234:235]
	v_add_f64 v[110:111], v[110:111], v[236:237]
	v_add_f64 v[108:109], v[108:109], v[238:239]
	v_add_f64 v[106:107], v[106:107], v[240:241]
	v_add_f64 v[104:105], v[104:105], v[242:243]
	v_add_f64 v[102:103], v[102:103], v[244:245]
	v_add_f64 v[100:101], v[100:101], v[246:247]
	v_add_f64 v[98:99], v[98:99], v[248:249]
	v_min_f64 v[188:189], v[190:191], v[140:141]
	v_min_f64 v[222:223], v[192:193], v[140:141]
	;; [unrolled: 1-line block ×16, first 2 shown]
	v_add_f64 v[62:63], v[62:63], v[154:155]
	v_add_f64 v[60:61], v[60:61], v[156:157]
	;; [unrolled: 1-line block ×16, first 2 shown]
	v_min_f64 v[154:155], v[190:191], v[186:187]
	v_min_f64 v[156:157], v[192:193], v[186:187]
	;; [unrolled: 1-line block ×16, first 2 shown]
	s_cmp_eq_u32 s22, 32
	v_add_f64 v[96:97], v[96:97], v[250:251]
	v_add_f64 v[94:95], v[94:95], v[188:189]
	;; [unrolled: 1-line block ×33, first 2 shown]
	s_cbranch_scc0 .LBB146_39
; %bb.40:                               ;   in Loop: Header=BB146_30 Depth=1
	ds_write2st64_b64 v146, v[134:135], v[132:133] offset1:4
	ds_write2st64_b64 v147, v[138:139], v[136:137] offset1:4
	v_add3_u32 v132, v144, s30, 4
	v_min_i32_e32 v138, s27, v132
	v_cmp_le_i32_e32 vcc, s74, v132
	v_mad_i64_i32 v[132:133], s[22:23], v138, s26, 0
	v_lshl_add_u64 v[134:135], v[132:133], 3, s[16:17]
	s_or_b64 s[22:23], s[2:3], vcc
	s_nor_b64 s[34:35], s[20:21], s[22:23]
	v_mov_b64_e32 v[132:133], 0
	v_lshl_add_u64 v[136:137], v[128:129], 3, v[134:135]
	v_mov_b64_e32 v[134:135], 0
	s_waitcnt lgkmcnt(0)
	s_barrier
	s_and_saveexec_b64 s[22:23], s[34:35]
	s_cbranch_execz .LBB146_42
; %bb.41:                               ;   in Loop: Header=BB146_30 Depth=1
	flat_load_dwordx2 v[134:135], v[136:137]
	s_waitcnt vmcnt(0) lgkmcnt(0)
	v_mul_f64 v[134:135], s[12:13], v[134:135]
.LBB146_42:                             ;   in Loop: Header=BB146_30 Depth=1
	s_or_b64 exec, exec, s[22:23]
	s_or_b64 s[22:23], s[4:5], vcc
	s_nor_b64 s[34:35], s[20:21], s[22:23]
	s_and_saveexec_b64 s[22:23], s[34:35]
	s_cbranch_execz .LBB146_44
; %bb.43:                               ;   in Loop: Header=BB146_30 Depth=1
	flat_load_dwordx2 v[132:133], v[136:137] offset:512
	s_waitcnt vmcnt(0) lgkmcnt(0)
	v_mul_f64 v[132:133], s[12:13], v[132:133]
.LBB146_44:                             ;   in Loop: Header=BB146_30 Depth=1
	s_or_b64 exec, exec, s[22:23]
	v_mad_i64_i32 v[136:137], s[22:23], v138, s28, 0
	v_lshl_add_u64 v[138:139], v[136:137], 3, s[18:19]
	s_or_b64 s[22:23], s[6:7], vcc
	s_nor_b64 s[34:35], s[20:21], s[22:23]
	v_mov_b64_e32 v[136:137], 0
	v_lshl_add_u64 v[140:141], v[130:131], 3, v[138:139]
	v_mov_b64_e32 v[138:139], 0
	s_and_saveexec_b64 s[22:23], s[34:35]
	s_cbranch_execz .LBB146_46
; %bb.45:                               ;   in Loop: Header=BB146_30 Depth=1
	flat_load_dwordx2 v[138:139], v[140:141]
	s_waitcnt vmcnt(0) lgkmcnt(0)
	v_mul_f64 v[138:139], s[12:13], v[138:139]
.LBB146_46:                             ;   in Loop: Header=BB146_30 Depth=1
	s_or_b64 exec, exec, s[22:23]
	s_or_b64 s[22:23], s[8:9], vcc
	s_nor_b64 s[34:35], s[20:21], s[22:23]
	s_and_saveexec_b64 s[22:23], s[34:35]
	s_cbranch_execz .LBB146_48
; %bb.47:                               ;   in Loop: Header=BB146_30 Depth=1
	flat_load_dwordx2 v[136:137], v[140:141] offset:512
	s_waitcnt vmcnt(0) lgkmcnt(0)
	v_mul_f64 v[136:137], s[12:13], v[136:137]
.LBB146_48:                             ;   in Loop: Header=BB146_30 Depth=1
	s_or_b64 exec, exec, s[22:23]
	s_mov_b32 s22, 0
.LBB146_49:                             ;   Parent Loop BB146_30 Depth=1
                                        ; =>  This Inner Loop Header: Depth=2
	v_add_u32_e32 v140, s22, v148
	v_add_u32_e32 v141, s22, v149
	ds_read2_b64 v[154:157], v140 offset1:16
	ds_read2_b64 v[158:161], v140 offset0:32 offset1:48
	ds_read2_b64 v[162:165], v140 offset0:64 offset1:80
	;; [unrolled: 1-line block ×7, first 2 shown]
	v_add_u32_e32 v140, 0x800, v140
	ds_read2st64_b64 v[186:189], v141 offset1:4
	ds_read2_b64 v[190:193], v140 offset1:16
	ds_read2_b64 v[194:197], v140 offset0:32 offset1:48
	ds_read2_b64 v[198:201], v140 offset0:64 offset1:80
	;; [unrolled: 1-line block ×7, first 2 shown]
	s_waitcnt lgkmcnt(14)
	v_max_f64 v[154:155], v[154:155], v[154:155]
	v_max_f64 v[156:157], v[156:157], v[156:157]
	;; [unrolled: 1-line block ×3, first 2 shown]
	s_waitcnt lgkmcnt(8)
	v_max_f64 v[140:141], v[186:187], v[186:187]
	v_max_f64 v[160:161], v[160:161], v[160:161]
	;; [unrolled: 1-line block ×15, first 2 shown]
	v_min_f64 v[188:189], v[154:155], v[140:141]
	v_min_f64 v[222:223], v[156:157], v[140:141]
	;; [unrolled: 1-line block ×16, first 2 shown]
	s_waitcnt lgkmcnt(7)
	v_max_f64 v[190:191], v[190:191], v[190:191]
	v_max_f64 v[192:193], v[192:193], v[192:193]
	s_waitcnt lgkmcnt(6)
	v_max_f64 v[194:195], v[194:195], v[194:195]
	v_max_f64 v[196:197], v[196:197], v[196:197]
	;; [unrolled: 3-line block ×8, first 2 shown]
	v_min_f64 v[154:155], v[154:155], v[186:187]
	v_min_f64 v[156:157], v[156:157], v[186:187]
	;; [unrolled: 1-line block ×16, first 2 shown]
	s_add_i32 s22, s22, 8
	v_add_f64 v[126:127], v[126:127], v[188:189]
	v_add_f64 v[124:125], v[124:125], v[222:223]
	;; [unrolled: 1-line block ×15, first 2 shown]
	v_min_f64 v[188:189], v[190:191], v[140:141]
	v_min_f64 v[222:223], v[192:193], v[140:141]
	;; [unrolled: 1-line block ×16, first 2 shown]
	v_add_f64 v[62:63], v[62:63], v[154:155]
	v_add_f64 v[60:61], v[60:61], v[156:157]
	;; [unrolled: 1-line block ×16, first 2 shown]
	v_min_f64 v[154:155], v[190:191], v[186:187]
	v_min_f64 v[156:157], v[192:193], v[186:187]
	;; [unrolled: 1-line block ×16, first 2 shown]
	s_cmp_eq_u32 s22, 32
	v_add_f64 v[96:97], v[96:97], v[250:251]
	v_add_f64 v[94:95], v[94:95], v[188:189]
	;; [unrolled: 1-line block ×33, first 2 shown]
	s_cbranch_scc0 .LBB146_49
; %bb.50:                               ;   in Loop: Header=BB146_30 Depth=1
	s_add_i32 s30, s30, 8
	s_add_i32 s31, s31, 8
	s_cmp_ge_i32 s31, s29
	ds_write2st64_b64 v150, v[134:135], v[132:133] offset1:4
	ds_write2st64_b64 v151, v[138:139], v[136:137] offset1:4
	s_waitcnt lgkmcnt(0)
	s_barrier
	s_cbranch_scc0 .LBB146_30
.LBB146_51:
	v_mov_b32_e32 v128, 0x1000
	v_lshl_add_u32 v128, v142, 5, v128
	s_mov_b32 s2, 0
.LBB146_52:                             ; =>This Inner Loop Header: Depth=1
	v_add_u32_e32 v129, s2, v128
	v_add_u32_e32 v144, s2, v145
	ds_read2_b64 v[130:133], v129 offset1:16
	ds_read2_b64 v[134:137], v129 offset0:32 offset1:48
	ds_read2_b64 v[138:141], v129 offset0:64 offset1:80
	;; [unrolled: 1-line block ×7, first 2 shown]
	v_add_u32_e32 v129, 0x800, v129
	ds_read2st64_b64 v[166:169], v144 offset1:4
	ds_read2_b64 v[170:173], v129 offset1:16
	ds_read2_b64 v[174:177], v129 offset0:32 offset1:48
	ds_read2_b64 v[178:181], v129 offset0:64 offset1:80
	;; [unrolled: 1-line block ×7, first 2 shown]
	s_waitcnt lgkmcnt(14)
	v_max_f64 v[130:131], v[130:131], v[130:131]
	v_max_f64 v[132:133], v[132:133], v[132:133]
	;; [unrolled: 1-line block ×3, first 2 shown]
	s_waitcnt lgkmcnt(8)
	v_max_f64 v[166:167], v[166:167], v[166:167]
	v_max_f64 v[136:137], v[136:137], v[136:137]
	;; [unrolled: 1-line block ×15, first 2 shown]
	v_min_f64 v[202:203], v[130:131], v[166:167]
	v_min_f64 v[204:205], v[132:133], v[166:167]
	;; [unrolled: 1-line block ×16, first 2 shown]
	s_waitcnt lgkmcnt(7)
	v_max_f64 v[170:171], v[170:171], v[170:171]
	v_max_f64 v[172:173], v[172:173], v[172:173]
	s_waitcnt lgkmcnt(6)
	v_max_f64 v[174:175], v[174:175], v[174:175]
	v_max_f64 v[176:177], v[176:177], v[176:177]
	;; [unrolled: 3-line block ×8, first 2 shown]
	v_min_f64 v[130:131], v[130:131], v[168:169]
	v_min_f64 v[132:133], v[132:133], v[168:169]
	;; [unrolled: 1-line block ×16, first 2 shown]
	s_add_i32 s2, s2, 8
	v_add_f64 v[126:127], v[126:127], v[202:203]
	v_add_f64 v[124:125], v[124:125], v[204:205]
	v_add_f64 v[122:123], v[122:123], v[206:207]
	v_add_f64 v[120:121], v[120:121], v[208:209]
	v_add_f64 v[118:119], v[118:119], v[210:211]
	v_add_f64 v[116:117], v[116:117], v[212:213]
	v_add_f64 v[114:115], v[114:115], v[214:215]
	v_add_f64 v[112:113], v[112:113], v[216:217]
	v_add_f64 v[110:111], v[110:111], v[218:219]
	v_add_f64 v[108:109], v[108:109], v[220:221]
	v_add_f64 v[106:107], v[106:107], v[222:223]
	v_add_f64 v[104:105], v[104:105], v[224:225]
	v_add_f64 v[102:103], v[102:103], v[226:227]
	v_add_f64 v[100:101], v[100:101], v[228:229]
	v_add_f64 v[98:99], v[98:99], v[230:231]
	v_min_f64 v[202:203], v[170:171], v[166:167]
	v_min_f64 v[204:205], v[172:173], v[166:167]
	;; [unrolled: 1-line block ×16, first 2 shown]
	v_add_f64 v[62:63], v[62:63], v[130:131]
	v_add_f64 v[60:61], v[60:61], v[132:133]
	;; [unrolled: 1-line block ×16, first 2 shown]
	v_min_f64 v[130:131], v[170:171], v[168:169]
	v_min_f64 v[132:133], v[172:173], v[168:169]
	;; [unrolled: 1-line block ×16, first 2 shown]
	s_cmp_eq_u32 s2, 32
	v_add_f64 v[96:97], v[96:97], v[232:233]
	v_add_f64 v[94:95], v[94:95], v[202:203]
	v_add_f64 v[92:93], v[92:93], v[204:205]
	v_add_f64 v[90:91], v[90:91], v[206:207]
	v_add_f64 v[88:89], v[88:89], v[208:209]
	v_add_f64 v[86:87], v[86:87], v[210:211]
	v_add_f64 v[84:85], v[84:85], v[212:213]
	v_add_f64 v[82:83], v[82:83], v[214:215]
	v_add_f64 v[80:81], v[80:81], v[216:217]
	v_add_f64 v[78:79], v[78:79], v[218:219]
	v_add_f64 v[76:77], v[76:77], v[220:221]
	v_add_f64 v[74:75], v[74:75], v[222:223]
	v_add_f64 v[72:73], v[72:73], v[224:225]
	v_add_f64 v[70:71], v[70:71], v[226:227]
	v_add_f64 v[68:69], v[68:69], v[228:229]
	v_add_f64 v[66:67], v[66:67], v[230:231]
	v_add_f64 v[64:65], v[64:65], v[166:167]
	v_add_f64 v[30:31], v[30:31], v[130:131]
	v_add_f64 v[28:29], v[28:29], v[132:133]
	v_add_f64 v[26:27], v[26:27], v[134:135]
	v_add_f64 v[24:25], v[24:25], v[136:137]
	v_add_f64 v[22:23], v[22:23], v[138:139]
	v_add_f64 v[20:21], v[20:21], v[140:141]
	v_add_f64 v[18:19], v[18:19], v[146:147]
	v_add_f64 v[16:17], v[16:17], v[148:149]
	v_add_f64 v[14:15], v[14:15], v[150:151]
	v_add_f64 v[12:13], v[12:13], v[152:153]
	v_add_f64 v[10:11], v[10:11], v[154:155]
	v_add_f64 v[8:9], v[8:9], v[156:157]
	v_add_f64 v[6:7], v[6:7], v[158:159]
	v_add_f64 v[4:5], v[4:5], v[160:161]
	v_add_f64 v[2:3], v[2:3], v[162:163]
	v_add_f64 v[0:1], v[0:1], v[164:165]
	s_cbranch_scc0 .LBB146_52
; %bb.53:
	s_load_dwordx2 s[2:3], s[0:1], 0x78
	s_load_dword s78, s[0:1], 0x58
	s_load_dword s33, s[0:1], 0x70
	v_add_u32_e32 v136, s25, v143
	v_add_u32_e32 v128, s24, v142
	s_waitcnt lgkmcnt(0)
	s_lshl_b64 s[0:1], s[2:3], 3
	s_add_u32 s74, s14, s0
	s_addc_u32 s75, s15, s1
	v_mad_i64_i32 v[130:131], s[0:1], v136, s78, 0
	v_cmp_gt_i32_e64 s[24:25], s73, v136
	v_lshl_add_u64 v[132:133], v[130:131], 3, s[76:77]
	v_mad_i64_i32 v[130:131], s[0:1], v136, s33, 0
	v_cmp_gt_i32_e64 s[2:3], s72, v128
	v_cndmask_b32_e64 v134, 0, 1, s[10:11]
	v_lshl_add_u64 v[130:131], v[130:131], 3, s[74:75]
	s_and_b64 s[6:7], s[24:25], s[2:3]
	v_ashrrev_i32_e32 v129, 31, v128
	v_cmp_ne_u32_e64 s[0:1], 1, v134
	s_and_saveexec_b64 s[4:5], s[6:7]
	s_cbranch_execz .LBB146_58
; %bb.54:
	s_and_b64 vcc, exec, s[0:1]
	s_cbranch_vccnz .LBB146_56
; %bb.55:
	v_lshl_add_u64 v[134:135], v[128:129], 3, v[132:133]
	flat_load_dwordx2 v[134:135], v[134:135]
	s_waitcnt vmcnt(0) lgkmcnt(0)
	v_mul_f64 v[134:135], s[70:71], v[134:135]
	s_branch .LBB146_57
.LBB146_56:
	v_mov_b64_e32 v[134:135], 0
.LBB146_57:
	v_add_f64 v[126:127], v[126:127], v[134:135]
	v_lshl_add_u64 v[134:135], v[128:129], 3, v[130:131]
	flat_store_dwordx2 v[134:135], v[126:127]
.LBB146_58:
	s_or_b64 exec, exec, s[4:5]
	v_add_u32_e32 v126, 4, v128
	v_cmp_gt_i32_e64 s[4:5], s72, v126
	s_and_b64 s[8:9], s[24:25], s[4:5]
	v_ashrrev_i32_e32 v127, 31, v126
	s_and_saveexec_b64 s[6:7], s[8:9]
	s_cbranch_execz .LBB146_63
; %bb.59:
	s_and_b64 vcc, exec, s[0:1]
	s_cbranch_vccnz .LBB146_61
; %bb.60:
	v_lshl_add_u64 v[134:135], v[126:127], 3, v[132:133]
	flat_load_dwordx2 v[134:135], v[134:135]
	s_waitcnt vmcnt(0) lgkmcnt(0)
	v_mul_f64 v[134:135], s[70:71], v[134:135]
	s_branch .LBB146_62
.LBB146_61:
	v_mov_b64_e32 v[134:135], 0
.LBB146_62:
	v_add_f64 v[124:125], v[124:125], v[134:135]
	v_lshl_add_u64 v[134:135], v[126:127], 3, v[130:131]
	flat_store_dwordx2 v[134:135], v[124:125]
.LBB146_63:
	s_or_b64 exec, exec, s[6:7]
	v_add_u32_e32 v124, 8, v128
	v_cmp_gt_i32_e64 s[6:7], s72, v124
	s_and_b64 s[10:11], s[24:25], s[6:7]
	v_ashrrev_i32_e32 v125, 31, v124
	;; [unrolled: 23-line block ×31, first 2 shown]
	s_and_saveexec_b64 s[24:25], s[80:81]
	s_cbranch_execz .LBB146_213
; %bb.209:
	s_and_b64 vcc, exec, s[0:1]
	s_cbranch_vccnz .LBB146_211
; %bb.210:
	v_lshl_add_u64 v[132:133], v[66:67], 3, v[132:133]
	flat_load_dwordx2 v[132:133], v[132:133]
	s_waitcnt vmcnt(0) lgkmcnt(0)
	v_mul_f64 v[132:133], s[70:71], v[132:133]
	s_branch .LBB146_212
.LBB146_211:
	v_mov_b64_e32 v[132:133], 0
.LBB146_212:
	v_add_f64 v[64:65], v[64:65], v[132:133]
	v_lshl_add_u64 v[130:131], v[66:67], 3, v[130:131]
	flat_store_dwordx2 v[130:131], v[64:65]
.LBB146_213:
	s_or_b64 exec, exec, s[24:25]
	v_add_u32_e32 v132, 64, v136
	v_cmp_gt_i32_e64 s[24:25], s73, v132
	v_mad_i64_i32 v[64:65], s[72:73], v132, s78, 0
	v_lshl_add_u64 v[130:131], v[64:65], 3, s[76:77]
	v_mad_i64_i32 v[64:65], s[72:73], v132, s33, 0
	v_lshl_add_u64 v[64:65], v[64:65], 3, s[74:75]
	s_and_b64 s[2:3], s[24:25], s[2:3]
	s_and_saveexec_b64 s[72:73], s[2:3]
	s_xor_b64 s[2:3], exec, s[72:73]
	s_cbranch_execnz .LBB146_246
; %bb.214:
	s_or_b64 exec, exec, s[2:3]
	s_and_b64 s[4:5], s[24:25], s[4:5]
	s_and_saveexec_b64 s[2:3], s[4:5]
	s_cbranch_execnz .LBB146_250
.LBB146_215:
	s_or_b64 exec, exec, s[2:3]
	s_and_b64 s[4:5], s[24:25], s[6:7]
	s_and_saveexec_b64 s[2:3], s[4:5]
	s_cbranch_execnz .LBB146_254
.LBB146_216:
	s_or_b64 exec, exec, s[2:3]
	s_and_b64 s[4:5], s[24:25], s[8:9]
	s_and_saveexec_b64 s[2:3], s[4:5]
	s_cbranch_execnz .LBB146_258
.LBB146_217:
	s_or_b64 exec, exec, s[2:3]
	s_and_b64 s[4:5], s[24:25], s[10:11]
	s_and_saveexec_b64 s[2:3], s[4:5]
	s_cbranch_execnz .LBB146_262
.LBB146_218:
	s_or_b64 exec, exec, s[2:3]
	s_and_b64 s[4:5], s[24:25], s[12:13]
	s_and_saveexec_b64 s[2:3], s[4:5]
	s_cbranch_execnz .LBB146_266
.LBB146_219:
	s_or_b64 exec, exec, s[2:3]
	s_and_b64 s[4:5], s[24:25], s[14:15]
	s_and_saveexec_b64 s[2:3], s[4:5]
	s_cbranch_execnz .LBB146_270
.LBB146_220:
	s_or_b64 exec, exec, s[2:3]
	s_and_b64 s[4:5], s[24:25], s[16:17]
	s_and_saveexec_b64 s[2:3], s[4:5]
	s_cbranch_execnz .LBB146_274
.LBB146_221:
	s_or_b64 exec, exec, s[2:3]
	s_and_b64 s[4:5], s[24:25], s[18:19]
	s_and_saveexec_b64 s[2:3], s[4:5]
	s_cbranch_execnz .LBB146_278
.LBB146_222:
	s_or_b64 exec, exec, s[2:3]
	s_and_b64 s[4:5], s[24:25], s[20:21]
	s_and_saveexec_b64 s[2:3], s[4:5]
	s_cbranch_execnz .LBB146_282
.LBB146_223:
	s_or_b64 exec, exec, s[2:3]
	s_and_b64 s[4:5], s[24:25], s[22:23]
	s_and_saveexec_b64 s[2:3], s[4:5]
	s_cbranch_execnz .LBB146_286
.LBB146_224:
	s_or_b64 exec, exec, s[2:3]
	s_and_b64 s[4:5], s[24:25], s[26:27]
	s_and_saveexec_b64 s[2:3], s[4:5]
	s_cbranch_execnz .LBB146_290
.LBB146_225:
	s_or_b64 exec, exec, s[2:3]
	s_and_b64 s[4:5], s[24:25], s[28:29]
	s_and_saveexec_b64 s[2:3], s[4:5]
	s_cbranch_execnz .LBB146_294
.LBB146_226:
	s_or_b64 exec, exec, s[2:3]
	s_and_b64 s[4:5], s[24:25], s[30:31]
	s_and_saveexec_b64 s[2:3], s[4:5]
	s_cbranch_execnz .LBB146_298
.LBB146_227:
	s_or_b64 exec, exec, s[2:3]
	s_and_b64 s[4:5], s[24:25], s[34:35]
	s_and_saveexec_b64 s[2:3], s[4:5]
	s_cbranch_execnz .LBB146_302
.LBB146_228:
	s_or_b64 exec, exec, s[2:3]
	s_and_b64 s[4:5], s[24:25], s[36:37]
	s_and_saveexec_b64 s[2:3], s[4:5]
	s_cbranch_execnz .LBB146_306
.LBB146_229:
	s_or_b64 exec, exec, s[2:3]
	s_and_b64 s[4:5], s[24:25], s[38:39]
	s_and_saveexec_b64 s[2:3], s[4:5]
	s_cbranch_execnz .LBB146_310
.LBB146_230:
	s_or_b64 exec, exec, s[2:3]
	s_and_b64 s[4:5], s[24:25], s[40:41]
	s_and_saveexec_b64 s[2:3], s[4:5]
	s_cbranch_execnz .LBB146_314
.LBB146_231:
	s_or_b64 exec, exec, s[2:3]
	s_and_b64 s[4:5], s[24:25], s[42:43]
	s_and_saveexec_b64 s[2:3], s[4:5]
	s_cbranch_execnz .LBB146_318
.LBB146_232:
	s_or_b64 exec, exec, s[2:3]
	s_and_b64 s[4:5], s[24:25], s[44:45]
	s_and_saveexec_b64 s[2:3], s[4:5]
	s_cbranch_execnz .LBB146_322
.LBB146_233:
	s_or_b64 exec, exec, s[2:3]
	s_and_b64 s[4:5], s[24:25], s[46:47]
	s_and_saveexec_b64 s[2:3], s[4:5]
	s_cbranch_execnz .LBB146_326
.LBB146_234:
	s_or_b64 exec, exec, s[2:3]
	s_and_b64 s[4:5], s[24:25], s[48:49]
	s_and_saveexec_b64 s[2:3], s[4:5]
	s_cbranch_execnz .LBB146_330
.LBB146_235:
	s_or_b64 exec, exec, s[2:3]
	s_and_b64 s[4:5], s[24:25], s[50:51]
	s_and_saveexec_b64 s[2:3], s[4:5]
	s_cbranch_execnz .LBB146_334
.LBB146_236:
	s_or_b64 exec, exec, s[2:3]
	s_and_b64 s[4:5], s[24:25], s[52:53]
	s_and_saveexec_b64 s[2:3], s[4:5]
	s_cbranch_execnz .LBB146_338
.LBB146_237:
	s_or_b64 exec, exec, s[2:3]
	s_and_b64 s[4:5], s[24:25], s[54:55]
	s_and_saveexec_b64 s[2:3], s[4:5]
	s_cbranch_execnz .LBB146_342
.LBB146_238:
	s_or_b64 exec, exec, s[2:3]
	s_and_b64 s[4:5], s[24:25], s[56:57]
	s_and_saveexec_b64 s[2:3], s[4:5]
	s_cbranch_execnz .LBB146_346
.LBB146_239:
	s_or_b64 exec, exec, s[2:3]
	s_and_b64 s[4:5], s[24:25], s[58:59]
	s_and_saveexec_b64 s[2:3], s[4:5]
	s_cbranch_execnz .LBB146_350
.LBB146_240:
	s_or_b64 exec, exec, s[2:3]
	s_and_b64 s[4:5], s[24:25], s[60:61]
	s_and_saveexec_b64 s[2:3], s[4:5]
	s_cbranch_execnz .LBB146_354
.LBB146_241:
	s_or_b64 exec, exec, s[2:3]
	s_and_b64 s[4:5], s[24:25], s[62:63]
	s_and_saveexec_b64 s[2:3], s[4:5]
	s_cbranch_execnz .LBB146_358
.LBB146_242:
	s_or_b64 exec, exec, s[2:3]
	s_and_b64 s[4:5], s[24:25], s[64:65]
	s_and_saveexec_b64 s[2:3], s[4:5]
	s_cbranch_execnz .LBB146_362
.LBB146_243:
	s_or_b64 exec, exec, s[2:3]
	s_and_b64 s[4:5], s[24:25], s[66:67]
	s_and_saveexec_b64 s[2:3], s[4:5]
	s_cbranch_execnz .LBB146_366
.LBB146_244:
	s_or_b64 exec, exec, s[2:3]
	s_and_b64 s[2:3], s[24:25], s[68:69]
	s_and_saveexec_b64 s[4:5], s[2:3]
	s_cbranch_execnz .LBB146_370
.LBB146_245:
	s_endpgm
.LBB146_246:
	s_and_b64 vcc, exec, s[0:1]
	s_cbranch_vccnz .LBB146_248
; %bb.247:
	v_lshl_add_u64 v[132:133], v[128:129], 3, v[130:131]
	flat_load_dwordx2 v[132:133], v[132:133]
	s_waitcnt vmcnt(0) lgkmcnt(0)
	v_mul_f64 v[132:133], s[70:71], v[132:133]
	s_branch .LBB146_249
.LBB146_248:
	v_mov_b64_e32 v[132:133], 0
.LBB146_249:
	v_add_f64 v[62:63], v[62:63], v[132:133]
	v_lshl_add_u64 v[128:129], v[128:129], 3, v[64:65]
	flat_store_dwordx2 v[128:129], v[62:63]
	s_or_b64 exec, exec, s[2:3]
	s_and_b64 s[4:5], s[24:25], s[4:5]
	s_and_saveexec_b64 s[2:3], s[4:5]
	s_cbranch_execz .LBB146_215
.LBB146_250:
	s_and_b64 vcc, exec, s[0:1]
	s_cbranch_vccnz .LBB146_252
; %bb.251:
	v_lshl_add_u64 v[62:63], v[126:127], 3, v[130:131]
	flat_load_dwordx2 v[62:63], v[62:63]
	s_waitcnt vmcnt(0) lgkmcnt(0)
	v_mul_f64 v[62:63], s[70:71], v[62:63]
	s_branch .LBB146_253
.LBB146_252:
	v_mov_b64_e32 v[62:63], 0
.LBB146_253:
	v_add_f64 v[60:61], v[60:61], v[62:63]
	v_lshl_add_u64 v[62:63], v[126:127], 3, v[64:65]
	flat_store_dwordx2 v[62:63], v[60:61]
	s_or_b64 exec, exec, s[2:3]
	s_and_b64 s[4:5], s[24:25], s[6:7]
	s_and_saveexec_b64 s[2:3], s[4:5]
	s_cbranch_execz .LBB146_216
.LBB146_254:
	s_and_b64 vcc, exec, s[0:1]
	s_cbranch_vccnz .LBB146_256
; %bb.255:
	v_lshl_add_u64 v[60:61], v[124:125], 3, v[130:131]
	flat_load_dwordx2 v[60:61], v[60:61]
	s_waitcnt vmcnt(0) lgkmcnt(0)
	v_mul_f64 v[60:61], s[70:71], v[60:61]
	s_branch .LBB146_257
.LBB146_256:
	v_mov_b64_e32 v[60:61], 0
.LBB146_257:
	v_add_f64 v[58:59], v[58:59], v[60:61]
	v_lshl_add_u64 v[60:61], v[124:125], 3, v[64:65]
	flat_store_dwordx2 v[60:61], v[58:59]
	s_or_b64 exec, exec, s[2:3]
	s_and_b64 s[4:5], s[24:25], s[8:9]
	s_and_saveexec_b64 s[2:3], s[4:5]
	s_cbranch_execz .LBB146_217
.LBB146_258:
	s_and_b64 vcc, exec, s[0:1]
	s_cbranch_vccnz .LBB146_260
; %bb.259:
	v_lshl_add_u64 v[58:59], v[122:123], 3, v[130:131]
	flat_load_dwordx2 v[58:59], v[58:59]
	s_waitcnt vmcnt(0) lgkmcnt(0)
	v_mul_f64 v[58:59], s[70:71], v[58:59]
	s_branch .LBB146_261
.LBB146_260:
	v_mov_b64_e32 v[58:59], 0
.LBB146_261:
	v_add_f64 v[56:57], v[56:57], v[58:59]
	v_lshl_add_u64 v[58:59], v[122:123], 3, v[64:65]
	flat_store_dwordx2 v[58:59], v[56:57]
	s_or_b64 exec, exec, s[2:3]
	s_and_b64 s[4:5], s[24:25], s[10:11]
	s_and_saveexec_b64 s[2:3], s[4:5]
	s_cbranch_execz .LBB146_218
.LBB146_262:
	s_and_b64 vcc, exec, s[0:1]
	s_cbranch_vccnz .LBB146_264
; %bb.263:
	v_lshl_add_u64 v[56:57], v[120:121], 3, v[130:131]
	flat_load_dwordx2 v[56:57], v[56:57]
	s_waitcnt vmcnt(0) lgkmcnt(0)
	v_mul_f64 v[56:57], s[70:71], v[56:57]
	s_branch .LBB146_265
.LBB146_264:
	v_mov_b64_e32 v[56:57], 0
.LBB146_265:
	v_add_f64 v[54:55], v[54:55], v[56:57]
	v_lshl_add_u64 v[56:57], v[120:121], 3, v[64:65]
	flat_store_dwordx2 v[56:57], v[54:55]
	s_or_b64 exec, exec, s[2:3]
	s_and_b64 s[4:5], s[24:25], s[12:13]
	s_and_saveexec_b64 s[2:3], s[4:5]
	s_cbranch_execz .LBB146_219
.LBB146_266:
	s_and_b64 vcc, exec, s[0:1]
	s_cbranch_vccnz .LBB146_268
; %bb.267:
	v_lshl_add_u64 v[54:55], v[118:119], 3, v[130:131]
	flat_load_dwordx2 v[54:55], v[54:55]
	s_waitcnt vmcnt(0) lgkmcnt(0)
	v_mul_f64 v[54:55], s[70:71], v[54:55]
	s_branch .LBB146_269
.LBB146_268:
	v_mov_b64_e32 v[54:55], 0
.LBB146_269:
	v_add_f64 v[52:53], v[52:53], v[54:55]
	v_lshl_add_u64 v[54:55], v[118:119], 3, v[64:65]
	flat_store_dwordx2 v[54:55], v[52:53]
	s_or_b64 exec, exec, s[2:3]
	s_and_b64 s[4:5], s[24:25], s[14:15]
	s_and_saveexec_b64 s[2:3], s[4:5]
	s_cbranch_execz .LBB146_220
.LBB146_270:
	s_and_b64 vcc, exec, s[0:1]
	s_cbranch_vccnz .LBB146_272
; %bb.271:
	v_lshl_add_u64 v[52:53], v[116:117], 3, v[130:131]
	flat_load_dwordx2 v[52:53], v[52:53]
	s_waitcnt vmcnt(0) lgkmcnt(0)
	v_mul_f64 v[52:53], s[70:71], v[52:53]
	s_branch .LBB146_273
.LBB146_272:
	v_mov_b64_e32 v[52:53], 0
.LBB146_273:
	v_add_f64 v[50:51], v[50:51], v[52:53]
	v_lshl_add_u64 v[52:53], v[116:117], 3, v[64:65]
	flat_store_dwordx2 v[52:53], v[50:51]
	s_or_b64 exec, exec, s[2:3]
	s_and_b64 s[4:5], s[24:25], s[16:17]
	s_and_saveexec_b64 s[2:3], s[4:5]
	s_cbranch_execz .LBB146_221
.LBB146_274:
	s_and_b64 vcc, exec, s[0:1]
	s_cbranch_vccnz .LBB146_276
; %bb.275:
	v_lshl_add_u64 v[50:51], v[114:115], 3, v[130:131]
	flat_load_dwordx2 v[50:51], v[50:51]
	s_waitcnt vmcnt(0) lgkmcnt(0)
	v_mul_f64 v[50:51], s[70:71], v[50:51]
	s_branch .LBB146_277
.LBB146_276:
	v_mov_b64_e32 v[50:51], 0
.LBB146_277:
	v_add_f64 v[48:49], v[48:49], v[50:51]
	v_lshl_add_u64 v[50:51], v[114:115], 3, v[64:65]
	flat_store_dwordx2 v[50:51], v[48:49]
	s_or_b64 exec, exec, s[2:3]
	s_and_b64 s[4:5], s[24:25], s[18:19]
	s_and_saveexec_b64 s[2:3], s[4:5]
	s_cbranch_execz .LBB146_222
.LBB146_278:
	s_and_b64 vcc, exec, s[0:1]
	s_cbranch_vccnz .LBB146_280
; %bb.279:
	v_lshl_add_u64 v[48:49], v[112:113], 3, v[130:131]
	flat_load_dwordx2 v[48:49], v[48:49]
	s_waitcnt vmcnt(0) lgkmcnt(0)
	v_mul_f64 v[48:49], s[70:71], v[48:49]
	s_branch .LBB146_281
.LBB146_280:
	v_mov_b64_e32 v[48:49], 0
.LBB146_281:
	v_add_f64 v[46:47], v[46:47], v[48:49]
	v_lshl_add_u64 v[48:49], v[112:113], 3, v[64:65]
	flat_store_dwordx2 v[48:49], v[46:47]
	s_or_b64 exec, exec, s[2:3]
	s_and_b64 s[4:5], s[24:25], s[20:21]
	s_and_saveexec_b64 s[2:3], s[4:5]
	s_cbranch_execz .LBB146_223
.LBB146_282:
	s_and_b64 vcc, exec, s[0:1]
	s_cbranch_vccnz .LBB146_284
; %bb.283:
	v_lshl_add_u64 v[46:47], v[110:111], 3, v[130:131]
	flat_load_dwordx2 v[46:47], v[46:47]
	s_waitcnt vmcnt(0) lgkmcnt(0)
	v_mul_f64 v[46:47], s[70:71], v[46:47]
	s_branch .LBB146_285
.LBB146_284:
	v_mov_b64_e32 v[46:47], 0
.LBB146_285:
	v_add_f64 v[44:45], v[44:45], v[46:47]
	v_lshl_add_u64 v[46:47], v[110:111], 3, v[64:65]
	flat_store_dwordx2 v[46:47], v[44:45]
	s_or_b64 exec, exec, s[2:3]
	s_and_b64 s[4:5], s[24:25], s[22:23]
	s_and_saveexec_b64 s[2:3], s[4:5]
	s_cbranch_execz .LBB146_224
.LBB146_286:
	s_and_b64 vcc, exec, s[0:1]
	s_cbranch_vccnz .LBB146_288
; %bb.287:
	v_lshl_add_u64 v[44:45], v[108:109], 3, v[130:131]
	flat_load_dwordx2 v[44:45], v[44:45]
	s_waitcnt vmcnt(0) lgkmcnt(0)
	v_mul_f64 v[44:45], s[70:71], v[44:45]
	s_branch .LBB146_289
.LBB146_288:
	v_mov_b64_e32 v[44:45], 0
.LBB146_289:
	v_add_f64 v[42:43], v[42:43], v[44:45]
	v_lshl_add_u64 v[44:45], v[108:109], 3, v[64:65]
	flat_store_dwordx2 v[44:45], v[42:43]
	s_or_b64 exec, exec, s[2:3]
	s_and_b64 s[4:5], s[24:25], s[26:27]
	s_and_saveexec_b64 s[2:3], s[4:5]
	s_cbranch_execz .LBB146_225
.LBB146_290:
	s_and_b64 vcc, exec, s[0:1]
	s_cbranch_vccnz .LBB146_292
; %bb.291:
	v_lshl_add_u64 v[42:43], v[106:107], 3, v[130:131]
	flat_load_dwordx2 v[42:43], v[42:43]
	s_waitcnt vmcnt(0) lgkmcnt(0)
	v_mul_f64 v[42:43], s[70:71], v[42:43]
	s_branch .LBB146_293
.LBB146_292:
	v_mov_b64_e32 v[42:43], 0
.LBB146_293:
	v_add_f64 v[40:41], v[40:41], v[42:43]
	v_lshl_add_u64 v[42:43], v[106:107], 3, v[64:65]
	flat_store_dwordx2 v[42:43], v[40:41]
	s_or_b64 exec, exec, s[2:3]
	s_and_b64 s[4:5], s[24:25], s[28:29]
	s_and_saveexec_b64 s[2:3], s[4:5]
	s_cbranch_execz .LBB146_226
.LBB146_294:
	s_and_b64 vcc, exec, s[0:1]
	s_cbranch_vccnz .LBB146_296
; %bb.295:
	v_lshl_add_u64 v[40:41], v[104:105], 3, v[130:131]
	flat_load_dwordx2 v[40:41], v[40:41]
	s_waitcnt vmcnt(0) lgkmcnt(0)
	v_mul_f64 v[40:41], s[70:71], v[40:41]
	s_branch .LBB146_297
.LBB146_296:
	v_mov_b64_e32 v[40:41], 0
.LBB146_297:
	v_add_f64 v[38:39], v[38:39], v[40:41]
	v_lshl_add_u64 v[40:41], v[104:105], 3, v[64:65]
	flat_store_dwordx2 v[40:41], v[38:39]
	s_or_b64 exec, exec, s[2:3]
	s_and_b64 s[4:5], s[24:25], s[30:31]
	s_and_saveexec_b64 s[2:3], s[4:5]
	s_cbranch_execz .LBB146_227
.LBB146_298:
	s_and_b64 vcc, exec, s[0:1]
	s_cbranch_vccnz .LBB146_300
; %bb.299:
	v_lshl_add_u64 v[38:39], v[102:103], 3, v[130:131]
	flat_load_dwordx2 v[38:39], v[38:39]
	s_waitcnt vmcnt(0) lgkmcnt(0)
	v_mul_f64 v[38:39], s[70:71], v[38:39]
	s_branch .LBB146_301
.LBB146_300:
	v_mov_b64_e32 v[38:39], 0
.LBB146_301:
	v_add_f64 v[36:37], v[36:37], v[38:39]
	v_lshl_add_u64 v[38:39], v[102:103], 3, v[64:65]
	flat_store_dwordx2 v[38:39], v[36:37]
	s_or_b64 exec, exec, s[2:3]
	s_and_b64 s[4:5], s[24:25], s[34:35]
	s_and_saveexec_b64 s[2:3], s[4:5]
	s_cbranch_execz .LBB146_228
.LBB146_302:
	s_and_b64 vcc, exec, s[0:1]
	s_cbranch_vccnz .LBB146_304
; %bb.303:
	v_lshl_add_u64 v[36:37], v[100:101], 3, v[130:131]
	flat_load_dwordx2 v[36:37], v[36:37]
	s_waitcnt vmcnt(0) lgkmcnt(0)
	v_mul_f64 v[36:37], s[70:71], v[36:37]
	s_branch .LBB146_305
.LBB146_304:
	v_mov_b64_e32 v[36:37], 0
.LBB146_305:
	v_add_f64 v[34:35], v[34:35], v[36:37]
	v_lshl_add_u64 v[36:37], v[100:101], 3, v[64:65]
	flat_store_dwordx2 v[36:37], v[34:35]
	s_or_b64 exec, exec, s[2:3]
	s_and_b64 s[4:5], s[24:25], s[36:37]
	s_and_saveexec_b64 s[2:3], s[4:5]
	s_cbranch_execz .LBB146_229
.LBB146_306:
	s_and_b64 vcc, exec, s[0:1]
	s_cbranch_vccnz .LBB146_308
; %bb.307:
	v_lshl_add_u64 v[34:35], v[98:99], 3, v[130:131]
	flat_load_dwordx2 v[34:35], v[34:35]
	s_waitcnt vmcnt(0) lgkmcnt(0)
	v_mul_f64 v[34:35], s[70:71], v[34:35]
	s_branch .LBB146_309
.LBB146_308:
	v_mov_b64_e32 v[34:35], 0
.LBB146_309:
	v_add_f64 v[32:33], v[32:33], v[34:35]
	v_lshl_add_u64 v[34:35], v[98:99], 3, v[64:65]
	flat_store_dwordx2 v[34:35], v[32:33]
	s_or_b64 exec, exec, s[2:3]
	s_and_b64 s[4:5], s[24:25], s[38:39]
	s_and_saveexec_b64 s[2:3], s[4:5]
	s_cbranch_execz .LBB146_230
.LBB146_310:
	s_and_b64 vcc, exec, s[0:1]
	s_cbranch_vccnz .LBB146_312
; %bb.311:
	v_lshl_add_u64 v[32:33], v[96:97], 3, v[130:131]
	flat_load_dwordx2 v[32:33], v[32:33]
	s_waitcnt vmcnt(0) lgkmcnt(0)
	v_mul_f64 v[32:33], s[70:71], v[32:33]
	s_branch .LBB146_313
.LBB146_312:
	v_mov_b64_e32 v[32:33], 0
.LBB146_313:
	v_add_f64 v[30:31], v[30:31], v[32:33]
	v_lshl_add_u64 v[32:33], v[96:97], 3, v[64:65]
	flat_store_dwordx2 v[32:33], v[30:31]
	s_or_b64 exec, exec, s[2:3]
	s_and_b64 s[4:5], s[24:25], s[40:41]
	s_and_saveexec_b64 s[2:3], s[4:5]
	s_cbranch_execz .LBB146_231
.LBB146_314:
	s_and_b64 vcc, exec, s[0:1]
	s_cbranch_vccnz .LBB146_316
; %bb.315:
	v_lshl_add_u64 v[30:31], v[94:95], 3, v[130:131]
	flat_load_dwordx2 v[30:31], v[30:31]
	s_waitcnt vmcnt(0) lgkmcnt(0)
	v_mul_f64 v[30:31], s[70:71], v[30:31]
	s_branch .LBB146_317
.LBB146_316:
	v_mov_b64_e32 v[30:31], 0
.LBB146_317:
	v_add_f64 v[28:29], v[28:29], v[30:31]
	v_lshl_add_u64 v[30:31], v[94:95], 3, v[64:65]
	flat_store_dwordx2 v[30:31], v[28:29]
	s_or_b64 exec, exec, s[2:3]
	s_and_b64 s[4:5], s[24:25], s[42:43]
	s_and_saveexec_b64 s[2:3], s[4:5]
	s_cbranch_execz .LBB146_232
.LBB146_318:
	s_and_b64 vcc, exec, s[0:1]
	s_cbranch_vccnz .LBB146_320
; %bb.319:
	v_lshl_add_u64 v[28:29], v[92:93], 3, v[130:131]
	flat_load_dwordx2 v[28:29], v[28:29]
	s_waitcnt vmcnt(0) lgkmcnt(0)
	v_mul_f64 v[28:29], s[70:71], v[28:29]
	s_branch .LBB146_321
.LBB146_320:
	v_mov_b64_e32 v[28:29], 0
.LBB146_321:
	v_add_f64 v[26:27], v[26:27], v[28:29]
	v_lshl_add_u64 v[28:29], v[92:93], 3, v[64:65]
	flat_store_dwordx2 v[28:29], v[26:27]
	s_or_b64 exec, exec, s[2:3]
	s_and_b64 s[4:5], s[24:25], s[44:45]
	s_and_saveexec_b64 s[2:3], s[4:5]
	s_cbranch_execz .LBB146_233
.LBB146_322:
	s_and_b64 vcc, exec, s[0:1]
	s_cbranch_vccnz .LBB146_324
; %bb.323:
	v_lshl_add_u64 v[26:27], v[90:91], 3, v[130:131]
	flat_load_dwordx2 v[26:27], v[26:27]
	s_waitcnt vmcnt(0) lgkmcnt(0)
	v_mul_f64 v[26:27], s[70:71], v[26:27]
	s_branch .LBB146_325
.LBB146_324:
	v_mov_b64_e32 v[26:27], 0
.LBB146_325:
	v_add_f64 v[24:25], v[24:25], v[26:27]
	v_lshl_add_u64 v[26:27], v[90:91], 3, v[64:65]
	flat_store_dwordx2 v[26:27], v[24:25]
	s_or_b64 exec, exec, s[2:3]
	s_and_b64 s[4:5], s[24:25], s[46:47]
	s_and_saveexec_b64 s[2:3], s[4:5]
	s_cbranch_execz .LBB146_234
.LBB146_326:
	s_and_b64 vcc, exec, s[0:1]
	s_cbranch_vccnz .LBB146_328
; %bb.327:
	v_lshl_add_u64 v[24:25], v[88:89], 3, v[130:131]
	flat_load_dwordx2 v[24:25], v[24:25]
	s_waitcnt vmcnt(0) lgkmcnt(0)
	v_mul_f64 v[24:25], s[70:71], v[24:25]
	s_branch .LBB146_329
.LBB146_328:
	v_mov_b64_e32 v[24:25], 0
.LBB146_329:
	v_add_f64 v[22:23], v[22:23], v[24:25]
	v_lshl_add_u64 v[24:25], v[88:89], 3, v[64:65]
	flat_store_dwordx2 v[24:25], v[22:23]
	s_or_b64 exec, exec, s[2:3]
	s_and_b64 s[4:5], s[24:25], s[48:49]
	s_and_saveexec_b64 s[2:3], s[4:5]
	s_cbranch_execz .LBB146_235
.LBB146_330:
	s_and_b64 vcc, exec, s[0:1]
	s_cbranch_vccnz .LBB146_332
; %bb.331:
	v_lshl_add_u64 v[22:23], v[86:87], 3, v[130:131]
	flat_load_dwordx2 v[22:23], v[22:23]
	s_waitcnt vmcnt(0) lgkmcnt(0)
	v_mul_f64 v[22:23], s[70:71], v[22:23]
	s_branch .LBB146_333
.LBB146_332:
	v_mov_b64_e32 v[22:23], 0
.LBB146_333:
	v_add_f64 v[20:21], v[20:21], v[22:23]
	v_lshl_add_u64 v[22:23], v[86:87], 3, v[64:65]
	flat_store_dwordx2 v[22:23], v[20:21]
	s_or_b64 exec, exec, s[2:3]
	s_and_b64 s[4:5], s[24:25], s[50:51]
	s_and_saveexec_b64 s[2:3], s[4:5]
	s_cbranch_execz .LBB146_236
.LBB146_334:
	s_and_b64 vcc, exec, s[0:1]
	s_cbranch_vccnz .LBB146_336
; %bb.335:
	v_lshl_add_u64 v[20:21], v[84:85], 3, v[130:131]
	flat_load_dwordx2 v[20:21], v[20:21]
	s_waitcnt vmcnt(0) lgkmcnt(0)
	v_mul_f64 v[20:21], s[70:71], v[20:21]
	s_branch .LBB146_337
.LBB146_336:
	v_mov_b64_e32 v[20:21], 0
.LBB146_337:
	v_add_f64 v[18:19], v[18:19], v[20:21]
	v_lshl_add_u64 v[20:21], v[84:85], 3, v[64:65]
	flat_store_dwordx2 v[20:21], v[18:19]
	s_or_b64 exec, exec, s[2:3]
	s_and_b64 s[4:5], s[24:25], s[52:53]
	s_and_saveexec_b64 s[2:3], s[4:5]
	s_cbranch_execz .LBB146_237
.LBB146_338:
	s_and_b64 vcc, exec, s[0:1]
	s_cbranch_vccnz .LBB146_340
; %bb.339:
	v_lshl_add_u64 v[18:19], v[82:83], 3, v[130:131]
	flat_load_dwordx2 v[18:19], v[18:19]
	s_waitcnt vmcnt(0) lgkmcnt(0)
	v_mul_f64 v[18:19], s[70:71], v[18:19]
	s_branch .LBB146_341
.LBB146_340:
	v_mov_b64_e32 v[18:19], 0
.LBB146_341:
	v_add_f64 v[16:17], v[16:17], v[18:19]
	v_lshl_add_u64 v[18:19], v[82:83], 3, v[64:65]
	flat_store_dwordx2 v[18:19], v[16:17]
	s_or_b64 exec, exec, s[2:3]
	s_and_b64 s[4:5], s[24:25], s[54:55]
	s_and_saveexec_b64 s[2:3], s[4:5]
	s_cbranch_execz .LBB146_238
.LBB146_342:
	s_and_b64 vcc, exec, s[0:1]
	s_cbranch_vccnz .LBB146_344
; %bb.343:
	v_lshl_add_u64 v[16:17], v[80:81], 3, v[130:131]
	flat_load_dwordx2 v[16:17], v[16:17]
	s_waitcnt vmcnt(0) lgkmcnt(0)
	v_mul_f64 v[16:17], s[70:71], v[16:17]
	s_branch .LBB146_345
.LBB146_344:
	v_mov_b64_e32 v[16:17], 0
.LBB146_345:
	v_add_f64 v[14:15], v[14:15], v[16:17]
	v_lshl_add_u64 v[16:17], v[80:81], 3, v[64:65]
	flat_store_dwordx2 v[16:17], v[14:15]
	s_or_b64 exec, exec, s[2:3]
	s_and_b64 s[4:5], s[24:25], s[56:57]
	s_and_saveexec_b64 s[2:3], s[4:5]
	s_cbranch_execz .LBB146_239
.LBB146_346:
	s_and_b64 vcc, exec, s[0:1]
	s_cbranch_vccnz .LBB146_348
; %bb.347:
	v_lshl_add_u64 v[14:15], v[78:79], 3, v[130:131]
	flat_load_dwordx2 v[14:15], v[14:15]
	s_waitcnt vmcnt(0) lgkmcnt(0)
	v_mul_f64 v[14:15], s[70:71], v[14:15]
	s_branch .LBB146_349
.LBB146_348:
	v_mov_b64_e32 v[14:15], 0
.LBB146_349:
	v_add_f64 v[12:13], v[12:13], v[14:15]
	v_lshl_add_u64 v[14:15], v[78:79], 3, v[64:65]
	flat_store_dwordx2 v[14:15], v[12:13]
	s_or_b64 exec, exec, s[2:3]
	s_and_b64 s[4:5], s[24:25], s[58:59]
	s_and_saveexec_b64 s[2:3], s[4:5]
	s_cbranch_execz .LBB146_240
.LBB146_350:
	s_and_b64 vcc, exec, s[0:1]
	s_cbranch_vccnz .LBB146_352
; %bb.351:
	v_lshl_add_u64 v[12:13], v[76:77], 3, v[130:131]
	flat_load_dwordx2 v[12:13], v[12:13]
	s_waitcnt vmcnt(0) lgkmcnt(0)
	v_mul_f64 v[12:13], s[70:71], v[12:13]
	s_branch .LBB146_353
.LBB146_352:
	v_mov_b64_e32 v[12:13], 0
.LBB146_353:
	v_add_f64 v[10:11], v[10:11], v[12:13]
	v_lshl_add_u64 v[12:13], v[76:77], 3, v[64:65]
	flat_store_dwordx2 v[12:13], v[10:11]
	s_or_b64 exec, exec, s[2:3]
	s_and_b64 s[4:5], s[24:25], s[60:61]
	s_and_saveexec_b64 s[2:3], s[4:5]
	s_cbranch_execz .LBB146_241
.LBB146_354:
	s_and_b64 vcc, exec, s[0:1]
	s_cbranch_vccnz .LBB146_356
; %bb.355:
	v_lshl_add_u64 v[10:11], v[74:75], 3, v[130:131]
	flat_load_dwordx2 v[10:11], v[10:11]
	s_waitcnt vmcnt(0) lgkmcnt(0)
	v_mul_f64 v[10:11], s[70:71], v[10:11]
	s_branch .LBB146_357
.LBB146_356:
	v_mov_b64_e32 v[10:11], 0
.LBB146_357:
	v_add_f64 v[8:9], v[8:9], v[10:11]
	v_lshl_add_u64 v[10:11], v[74:75], 3, v[64:65]
	flat_store_dwordx2 v[10:11], v[8:9]
	s_or_b64 exec, exec, s[2:3]
	s_and_b64 s[4:5], s[24:25], s[62:63]
	s_and_saveexec_b64 s[2:3], s[4:5]
	s_cbranch_execz .LBB146_242
.LBB146_358:
	s_and_b64 vcc, exec, s[0:1]
	s_cbranch_vccnz .LBB146_360
; %bb.359:
	v_lshl_add_u64 v[8:9], v[72:73], 3, v[130:131]
	flat_load_dwordx2 v[8:9], v[8:9]
	s_waitcnt vmcnt(0) lgkmcnt(0)
	v_mul_f64 v[8:9], s[70:71], v[8:9]
	s_branch .LBB146_361
.LBB146_360:
	v_mov_b64_e32 v[8:9], 0
.LBB146_361:
	v_add_f64 v[6:7], v[6:7], v[8:9]
	v_lshl_add_u64 v[8:9], v[72:73], 3, v[64:65]
	flat_store_dwordx2 v[8:9], v[6:7]
	s_or_b64 exec, exec, s[2:3]
	s_and_b64 s[4:5], s[24:25], s[64:65]
	s_and_saveexec_b64 s[2:3], s[4:5]
	s_cbranch_execz .LBB146_243
.LBB146_362:
	s_and_b64 vcc, exec, s[0:1]
	s_cbranch_vccnz .LBB146_364
; %bb.363:
	v_lshl_add_u64 v[6:7], v[70:71], 3, v[130:131]
	flat_load_dwordx2 v[6:7], v[6:7]
	s_waitcnt vmcnt(0) lgkmcnt(0)
	v_mul_f64 v[6:7], s[70:71], v[6:7]
	s_branch .LBB146_365
.LBB146_364:
	v_mov_b64_e32 v[6:7], 0
.LBB146_365:
	v_add_f64 v[4:5], v[4:5], v[6:7]
	v_lshl_add_u64 v[6:7], v[70:71], 3, v[64:65]
	flat_store_dwordx2 v[6:7], v[4:5]
	s_or_b64 exec, exec, s[2:3]
	s_and_b64 s[4:5], s[24:25], s[66:67]
	s_and_saveexec_b64 s[2:3], s[4:5]
	s_cbranch_execz .LBB146_244
.LBB146_366:
	s_and_b64 vcc, exec, s[0:1]
	s_cbranch_vccnz .LBB146_368
; %bb.367:
	v_lshl_add_u64 v[4:5], v[68:69], 3, v[130:131]
	flat_load_dwordx2 v[4:5], v[4:5]
	s_waitcnt vmcnt(0) lgkmcnt(0)
	v_mul_f64 v[4:5], s[70:71], v[4:5]
	s_branch .LBB146_369
.LBB146_368:
	v_mov_b64_e32 v[4:5], 0
.LBB146_369:
	v_add_f64 v[2:3], v[2:3], v[4:5]
	v_lshl_add_u64 v[4:5], v[68:69], 3, v[64:65]
	flat_store_dwordx2 v[4:5], v[2:3]
	s_or_b64 exec, exec, s[2:3]
	s_and_b64 s[2:3], s[24:25], s[68:69]
	s_and_saveexec_b64 s[4:5], s[2:3]
	s_cbranch_execz .LBB146_245
.LBB146_370:
	s_and_b64 vcc, exec, s[0:1]
	s_cbranch_vccnz .LBB146_372
; %bb.371:
	v_lshl_add_u64 v[2:3], v[66:67], 3, v[130:131]
	flat_load_dwordx2 v[2:3], v[2:3]
	s_waitcnt vmcnt(0) lgkmcnt(0)
	v_mul_f64 v[2:3], s[70:71], v[2:3]
	v_add_f64 v[0:1], v[0:1], v[2:3]
	v_lshl_add_u64 v[2:3], v[66:67], 3, v[64:65]
	flat_store_dwordx2 v[2:3], v[0:1]
	s_endpgm
.LBB146_372:
	v_mov_b64_e32 v[2:3], 0
	v_add_f64 v[0:1], v[0:1], v[2:3]
	v_lshl_add_u64 v[2:3], v[66:67], 3, v[64:65]
	flat_store_dwordx2 v[2:3], v[0:1]
	s_endpgm
	.section	.rodata,"a",@progbits
	.p2align	6, 0x0
	.amdhsa_kernel _ZN12_GLOBAL__N_120geam_min_plus_kernelIdddLi4ELi64ELi128ELi128ELi4ELi64ELi4ELi64ELi4ELc78ELc84ELb0ELb1ELb0EdKPKdKPdEEviiiT16_PT17_ilS8_ilS6_S8_ilPT18_ili26rocblas_geam_ex_operation_
		.amdhsa_group_segment_fixed_size 16384
		.amdhsa_private_segment_fixed_size 0
		.amdhsa_kernarg_size 136
		.amdhsa_user_sgpr_count 2
		.amdhsa_user_sgpr_dispatch_ptr 0
		.amdhsa_user_sgpr_queue_ptr 0
		.amdhsa_user_sgpr_kernarg_segment_ptr 1
		.amdhsa_user_sgpr_dispatch_id 0
		.amdhsa_user_sgpr_kernarg_preload_length 0
		.amdhsa_user_sgpr_kernarg_preload_offset 0
		.amdhsa_user_sgpr_private_segment_size 0
		.amdhsa_uses_dynamic_stack 0
		.amdhsa_enable_private_segment 0
		.amdhsa_system_sgpr_workgroup_id_x 1
		.amdhsa_system_sgpr_workgroup_id_y 0
		.amdhsa_system_sgpr_workgroup_id_z 1
		.amdhsa_system_sgpr_workgroup_info 0
		.amdhsa_system_vgpr_workitem_id 1
		.amdhsa_next_free_vgpr 252
		.amdhsa_next_free_sgpr 82
		.amdhsa_accum_offset 252
		.amdhsa_reserve_vcc 1
		.amdhsa_float_round_mode_32 0
		.amdhsa_float_round_mode_16_64 0
		.amdhsa_float_denorm_mode_32 3
		.amdhsa_float_denorm_mode_16_64 3
		.amdhsa_dx10_clamp 1
		.amdhsa_ieee_mode 1
		.amdhsa_fp16_overflow 0
		.amdhsa_tg_split 0
		.amdhsa_exception_fp_ieee_invalid_op 0
		.amdhsa_exception_fp_denorm_src 0
		.amdhsa_exception_fp_ieee_div_zero 0
		.amdhsa_exception_fp_ieee_overflow 0
		.amdhsa_exception_fp_ieee_underflow 0
		.amdhsa_exception_fp_ieee_inexact 0
		.amdhsa_exception_int_div_zero 0
	.end_amdhsa_kernel
	.section	.text._ZN12_GLOBAL__N_120geam_min_plus_kernelIdddLi4ELi64ELi128ELi128ELi4ELi64ELi4ELi64ELi4ELc78ELc84ELb0ELb1ELb0EdKPKdKPdEEviiiT16_PT17_ilS8_ilS6_S8_ilPT18_ili26rocblas_geam_ex_operation_,"axG",@progbits,_ZN12_GLOBAL__N_120geam_min_plus_kernelIdddLi4ELi64ELi128ELi128ELi4ELi64ELi4ELi64ELi4ELc78ELc84ELb0ELb1ELb0EdKPKdKPdEEviiiT16_PT17_ilS8_ilS6_S8_ilPT18_ili26rocblas_geam_ex_operation_,comdat
.Lfunc_end146:
	.size	_ZN12_GLOBAL__N_120geam_min_plus_kernelIdddLi4ELi64ELi128ELi128ELi4ELi64ELi4ELi64ELi4ELc78ELc84ELb0ELb1ELb0EdKPKdKPdEEviiiT16_PT17_ilS8_ilS6_S8_ilPT18_ili26rocblas_geam_ex_operation_, .Lfunc_end146-_ZN12_GLOBAL__N_120geam_min_plus_kernelIdddLi4ELi64ELi128ELi128ELi4ELi64ELi4ELi64ELi4ELc78ELc84ELb0ELb1ELb0EdKPKdKPdEEviiiT16_PT17_ilS8_ilS6_S8_ilPT18_ili26rocblas_geam_ex_operation_
                                        ; -- End function
	.set _ZN12_GLOBAL__N_120geam_min_plus_kernelIdddLi4ELi64ELi128ELi128ELi4ELi64ELi4ELi64ELi4ELc78ELc84ELb0ELb1ELb0EdKPKdKPdEEviiiT16_PT17_ilS8_ilS6_S8_ilPT18_ili26rocblas_geam_ex_operation_.num_vgpr, 252
	.set _ZN12_GLOBAL__N_120geam_min_plus_kernelIdddLi4ELi64ELi128ELi128ELi4ELi64ELi4ELi64ELi4ELc78ELc84ELb0ELb1ELb0EdKPKdKPdEEviiiT16_PT17_ilS8_ilS6_S8_ilPT18_ili26rocblas_geam_ex_operation_.num_agpr, 0
	.set _ZN12_GLOBAL__N_120geam_min_plus_kernelIdddLi4ELi64ELi128ELi128ELi4ELi64ELi4ELi64ELi4ELc78ELc84ELb0ELb1ELb0EdKPKdKPdEEviiiT16_PT17_ilS8_ilS6_S8_ilPT18_ili26rocblas_geam_ex_operation_.numbered_sgpr, 82
	.set _ZN12_GLOBAL__N_120geam_min_plus_kernelIdddLi4ELi64ELi128ELi128ELi4ELi64ELi4ELi64ELi4ELc78ELc84ELb0ELb1ELb0EdKPKdKPdEEviiiT16_PT17_ilS8_ilS6_S8_ilPT18_ili26rocblas_geam_ex_operation_.num_named_barrier, 0
	.set _ZN12_GLOBAL__N_120geam_min_plus_kernelIdddLi4ELi64ELi128ELi128ELi4ELi64ELi4ELi64ELi4ELc78ELc84ELb0ELb1ELb0EdKPKdKPdEEviiiT16_PT17_ilS8_ilS6_S8_ilPT18_ili26rocblas_geam_ex_operation_.private_seg_size, 0
	.set _ZN12_GLOBAL__N_120geam_min_plus_kernelIdddLi4ELi64ELi128ELi128ELi4ELi64ELi4ELi64ELi4ELc78ELc84ELb0ELb1ELb0EdKPKdKPdEEviiiT16_PT17_ilS8_ilS6_S8_ilPT18_ili26rocblas_geam_ex_operation_.uses_vcc, 1
	.set _ZN12_GLOBAL__N_120geam_min_plus_kernelIdddLi4ELi64ELi128ELi128ELi4ELi64ELi4ELi64ELi4ELc78ELc84ELb0ELb1ELb0EdKPKdKPdEEviiiT16_PT17_ilS8_ilS6_S8_ilPT18_ili26rocblas_geam_ex_operation_.uses_flat_scratch, 0
	.set _ZN12_GLOBAL__N_120geam_min_plus_kernelIdddLi4ELi64ELi128ELi128ELi4ELi64ELi4ELi64ELi4ELc78ELc84ELb0ELb1ELb0EdKPKdKPdEEviiiT16_PT17_ilS8_ilS6_S8_ilPT18_ili26rocblas_geam_ex_operation_.has_dyn_sized_stack, 0
	.set _ZN12_GLOBAL__N_120geam_min_plus_kernelIdddLi4ELi64ELi128ELi128ELi4ELi64ELi4ELi64ELi4ELc78ELc84ELb0ELb1ELb0EdKPKdKPdEEviiiT16_PT17_ilS8_ilS6_S8_ilPT18_ili26rocblas_geam_ex_operation_.has_recursion, 0
	.set _ZN12_GLOBAL__N_120geam_min_plus_kernelIdddLi4ELi64ELi128ELi128ELi4ELi64ELi4ELi64ELi4ELc78ELc84ELb0ELb1ELb0EdKPKdKPdEEviiiT16_PT17_ilS8_ilS6_S8_ilPT18_ili26rocblas_geam_ex_operation_.has_indirect_call, 0
	.section	.AMDGPU.csdata,"",@progbits
; Kernel info:
; codeLenInByte = 14660
; TotalNumSgprs: 88
; NumVgprs: 252
; NumAgprs: 0
; TotalNumVgprs: 252
; ScratchSize: 0
; MemoryBound: 0
; FloatMode: 240
; IeeeMode: 1
; LDSByteSize: 16384 bytes/workgroup (compile time only)
; SGPRBlocks: 10
; VGPRBlocks: 31
; NumSGPRsForWavesPerEU: 88
; NumVGPRsForWavesPerEU: 252
; AccumOffset: 252
; Occupancy: 2
; WaveLimiterHint : 1
; COMPUTE_PGM_RSRC2:SCRATCH_EN: 0
; COMPUTE_PGM_RSRC2:USER_SGPR: 2
; COMPUTE_PGM_RSRC2:TRAP_HANDLER: 0
; COMPUTE_PGM_RSRC2:TGID_X_EN: 1
; COMPUTE_PGM_RSRC2:TGID_Y_EN: 0
; COMPUTE_PGM_RSRC2:TGID_Z_EN: 1
; COMPUTE_PGM_RSRC2:TIDIG_COMP_CNT: 1
; COMPUTE_PGM_RSRC3_GFX90A:ACCUM_OFFSET: 62
; COMPUTE_PGM_RSRC3_GFX90A:TG_SPLIT: 0
	.section	.text._ZN12_GLOBAL__N_120geam_min_plus_kernelIdddLi4ELi64ELi128ELi128ELi4ELi4ELi64ELi64ELi4ELc84ELc84ELb0ELb0ELb0EPKdKS2_KPdEEviiiT16_PT17_ilS8_ilS6_S8_ilPT18_ili26rocblas_geam_ex_operation_,"axG",@progbits,_ZN12_GLOBAL__N_120geam_min_plus_kernelIdddLi4ELi64ELi128ELi128ELi4ELi4ELi64ELi64ELi4ELc84ELc84ELb0ELb0ELb0EPKdKS2_KPdEEviiiT16_PT17_ilS8_ilS6_S8_ilPT18_ili26rocblas_geam_ex_operation_,comdat
	.globl	_ZN12_GLOBAL__N_120geam_min_plus_kernelIdddLi4ELi64ELi128ELi128ELi4ELi4ELi64ELi64ELi4ELc84ELc84ELb0ELb0ELb0EPKdKS2_KPdEEviiiT16_PT17_ilS8_ilS6_S8_ilPT18_ili26rocblas_geam_ex_operation_ ; -- Begin function _ZN12_GLOBAL__N_120geam_min_plus_kernelIdddLi4ELi64ELi128ELi128ELi4ELi4ELi64ELi64ELi4ELc84ELc84ELb0ELb0ELb0EPKdKS2_KPdEEviiiT16_PT17_ilS8_ilS6_S8_ilPT18_ili26rocblas_geam_ex_operation_
	.p2align	8
	.type	_ZN12_GLOBAL__N_120geam_min_plus_kernelIdddLi4ELi64ELi128ELi128ELi4ELi4ELi64ELi64ELi4ELc84ELc84ELb0ELb0ELb0EPKdKS2_KPdEEviiiT16_PT17_ilS8_ilS6_S8_ilPT18_ili26rocblas_geam_ex_operation_,@function
_ZN12_GLOBAL__N_120geam_min_plus_kernelIdddLi4ELi64ELi128ELi128ELi4ELi4ELi64ELi64ELi4ELc84ELc84ELb0ELb0ELb0EPKdKS2_KPdEEviiiT16_PT17_ilS8_ilS6_S8_ilPT18_ili26rocblas_geam_ex_operation_: ; @_ZN12_GLOBAL__N_120geam_min_plus_kernelIdddLi4ELi64ELi128ELi128ELi4ELi4ELi64ELi64ELi4ELc84ELc84ELb0ELb0ELb0EPKdKS2_KPdEEviiiT16_PT17_ilS8_ilS6_S8_ilPT18_ili26rocblas_geam_ex_operation_
; %bb.0:
	s_load_dwordx4 s[4:7], s[0:1], 0x10
	s_load_dwordx4 s[12:15], s[0:1], 0x28
	;; [unrolled: 1-line block ×3, first 2 shown]
	s_mov_b32 s16, s3
	s_mov_b32 s17, 0
	s_lshl_b64 s[24:25], s[16:17], 3
	s_waitcnt lgkmcnt(0)
	s_add_u32 s4, s4, s24
	s_addc_u32 s5, s5, s25
	s_load_dwordx2 s[18:19], s[4:5], 0x0
	s_load_dwordx2 s[26:27], s[0:1], 0x50
	s_add_u32 s10, s10, s24
	s_addc_u32 s11, s11, s25
	s_mov_b64 s[22:23], 0
	s_waitcnt lgkmcnt(0)
	v_cmp_eq_f64_e64 s[4:5], s[18:19], 0
	s_and_b64 s[4:5], exec, s[4:5]
	v_cmp_neq_f64_e64 s[16:17], s[18:19], 0
	s_mov_b64 s[20:21], 0
	s_mov_b64 vcc, s[4:5]
	s_cbranch_vccnz .LBB147_2
; %bb.1:
	s_add_u32 s6, s6, s24
	s_addc_u32 s7, s7, s25
	s_load_dwordx2 s[6:7], s[6:7], 0x0
	s_lshl_b64 s[12:13], s[12:13], 3
	s_waitcnt lgkmcnt(0)
	s_add_u32 s20, s6, s12
	s_addc_u32 s21, s7, s13
.LBB147_2:
	s_load_dwordx2 s[10:11], s[10:11], 0x0
	v_cndmask_b32_e64 v1, 0, 1, s[16:17]
	v_cmp_ne_u32_e64 s[6:7], 1, v1
	s_andn2_b64 vcc, exec, s[16:17]
	s_cbranch_vccnz .LBB147_4
; %bb.3:
	s_add_u32 s12, s14, s24
	s_addc_u32 s13, s15, s25
	s_load_dwordx2 s[12:13], s[12:13], 0x0
	s_lshl_b64 s[8:9], s[8:9], 3
	s_waitcnt lgkmcnt(0)
	s_add_u32 s22, s12, s8
	s_addc_u32 s23, s13, s9
.LBB147_4:
	s_load_dwordx4 s[12:15], s[0:1], 0x60
	s_waitcnt lgkmcnt(0)
	v_cmp_eq_f64_e64 s[8:9], s[10:11], 0
	s_and_b64 s[8:9], exec, s[8:9]
	s_mov_b64 s[16:17], 0
	s_mov_b64 vcc, s[8:9]
	s_cbranch_vccnz .LBB147_6
; %bb.5:
	s_add_u32 s16, s26, s24
	s_addc_u32 s17, s27, s25
	s_load_dwordx2 s[16:17], s[16:17], 0x0
	s_lshl_b64 s[12:13], s[12:13], 3
	s_waitcnt lgkmcnt(0)
	s_add_u32 s16, s16, s12
	s_addc_u32 s17, s17, s13
.LBB147_6:
	s_load_dword s3, s[0:1], 0x0
	s_load_dword s28, s[0:1], 0x20
	s_add_u32 s12, s14, s24
	s_addc_u32 s13, s15, s25
	v_and_b32_e32 v148, 0x3ff, v0
	s_waitcnt lgkmcnt(0)
	s_add_i32 s3, s3, -1
	s_ashr_i32 s14, s3, 31
	s_lshr_b32 s14, s14, 25
	s_add_i32 s3, s3, s14
	s_ashr_i32 s3, s3, 7
	s_add_i32 s14, s3, 1
	v_cvt_f32_u32_e32 v1, s14
	v_bfe_u32 v149, v0, 10, 10
	v_and_b32_e32 v150, 3, v0
	s_not_b32 s3, s3
	v_rcp_iflag_f32_e32 v3, v1
	v_lshl_add_u32 v2, v149, 2, v148
	v_mov_b32_e32 v1, 0
	v_lshrrev_b32_e32 v141, 2, v2
	v_mul_f32_e32 v0, 0x4f7ffffe, v3
	v_cvt_u32_f32_e32 v3, v0
	v_lshlrev_b32_e32 v0, 3, v150
	v_lshl_add_u64 v[6:7], s[20:21], 0, v[0:1]
	v_readfirstlane_b32 s15, v3
	s_mul_i32 s3, s3, s15
	s_mul_hi_u32 s3, s15, s3
	s_add_i32 s15, s15, s3
	s_mul_hi_u32 s3, s2, s15
	s_mul_i32 s15, s3, s14
	s_sub_i32 s15, s2, s15
	s_add_i32 s24, s3, 1
	s_sub_i32 s25, s15, s14
	s_cmp_ge_u32 s15, s14
	s_cselect_b32 s3, s24, s3
	s_cselect_b32 s15, s25, s15
	s_add_i32 s24, s3, 1
	s_cmp_ge_u32 s15, s14
	s_cselect_b32 s3, s24, s3
	s_mul_i32 s14, s3, s14
	s_sub_i32 s2, s2, s14
	s_lshl_b32 s24, s2, 7
	v_add_u32_e32 v140, s24, v141
	s_and_b64 vcc, exec, s[6:7]
	s_cbranch_vccnz .LBB147_8
; %bb.7:
	v_mad_i64_i32 v[4:5], s[14:15], v140, s28, 0
	v_lshl_add_u64 v[4:5], v[4:5], 3, v[6:7]
	flat_load_dwordx2 v[4:5], v[4:5]
	s_waitcnt vmcnt(0) lgkmcnt(0)
	v_mul_f64 v[4:5], s[18:19], v[4:5]
	s_branch .LBB147_9
.LBB147_8:
	v_mov_b64_e32 v[4:5], 0
.LBB147_9:
	s_load_dword s26, s[0:1], 0x38
	v_and_b32_e32 v14, 63, v2
	s_lshl_b32 s25, s3, 7
	s_mov_b64 vcc, s[4:5]
	s_waitcnt lgkmcnt(0)
	s_ashr_i32 s27, s26, 31
	s_cbranch_vccz .LBB147_11
; %bb.10:
	s_mov_b32 s2, 0
	v_mov_b32_e32 v8, s2
	v_mov_b32_e32 v9, s2
	s_mov_b64 s[2:3], 0
	s_branch .LBB147_12
.LBB147_11:
	s_mov_b64 s[2:3], -1
                                        ; implicit-def: $vgpr8_vgpr9
.LBB147_12:
	v_lshrrev_b32_e32 v151, 6, v2
	v_or_b32_e32 v2, s25, v14
	v_mov_b64_e32 v[132:133], 0
	s_andn2_b64 vcc, exec, s[2:3]
	v_add_u32_e32 v1, 64, v140
	v_ashrrev_i32_e32 v3, 31, v2
	v_mov_b64_e32 v[10:11], 0
	v_mov_b64_e32 v[12:13], 0
	s_cbranch_vccnz .LBB147_14
; %bb.13:
	v_mad_i64_i32 v[10:11], s[2:3], s26, v151, 0
	v_mad_i64_i32 v[8:9], s[2:3], v1, s28, 0
	v_lshl_add_u64 v[10:11], v[10:11], 3, s[22:23]
	v_lshl_add_u64 v[8:9], v[8:9], 3, v[6:7]
	;; [unrolled: 1-line block ×3, first 2 shown]
	flat_load_dwordx2 v[8:9], v[8:9]
	s_nop 0
	flat_load_dwordx2 v[12:13], v[10:11]
	flat_load_dwordx2 v[16:17], v[10:11] offset:512
	s_waitcnt vmcnt(0) lgkmcnt(0)
	v_mul_f64 v[8:9], s[18:19], v[8:9]
	v_mul_f64 v[12:13], s[18:19], v[12:13]
	;; [unrolled: 1-line block ×3, first 2 shown]
.LBB147_14:
	s_and_b64 vcc, exec, s[6:7]
	s_cbranch_vccnz .LBB147_16
; %bb.15:
	v_mad_i64_i32 v[16:17], s[2:3], v140, s28, 0
	v_lshl_add_u64 v[16:17], v[16:17], 3, v[6:7]
	flat_load_dwordx2 v[16:17], v[16:17] offset:32
	s_waitcnt vmcnt(0) lgkmcnt(0)
	v_mul_f64 v[132:133], s[18:19], v[16:17]
.LBB147_16:
	s_mov_b64 vcc, s[4:5]
	s_cbranch_vccz .LBB147_18
; %bb.17:
	s_mov_b32 s2, 0
	v_mov_b32_e32 v134, s2
	v_mov_b32_e32 v135, s2
	s_mov_b64 s[14:15], 0
	s_branch .LBB147_19
.LBB147_18:
	s_mov_b64 s[14:15], -1
                                        ; implicit-def: $vgpr134_vgpr135
.LBB147_19:
	s_load_dwordx2 s[2:3], s[12:13], 0x0
	v_mov_b64_e32 v[124:125], 0
	s_andn2_b64 vcc, exec, s[14:15]
	v_add_u32_e32 v153, 4, v151
	v_mov_b64_e32 v[136:137], 0
	v_mov_b64_e32 v[138:139], 0
	s_cbranch_vccnz .LBB147_21
; %bb.20:
	v_mad_i64_i32 v[16:17], s[12:13], v1, s28, 0
	v_lshl_add_u64 v[6:7], v[16:17], 3, v[6:7]
	v_mad_i64_i32 v[16:17], s[12:13], s26, v153, 0
	v_lshl_add_u64 v[16:17], v[16:17], 3, s[22:23]
	v_lshl_add_u64 v[16:17], v[2:3], 3, v[16:17]
	flat_load_dwordx2 v[6:7], v[6:7] offset:32
	s_nop 0
	flat_load_dwordx2 v[18:19], v[16:17]
	flat_load_dwordx2 v[20:21], v[16:17] offset:512
	s_waitcnt vmcnt(0) lgkmcnt(0)
	v_mul_f64 v[134:135], s[18:19], v[6:7]
	v_mul_f64 v[138:139], s[18:19], v[18:19]
	;; [unrolled: 1-line block ×3, first 2 shown]
.LBB147_21:
	v_lshlrev_b32_e32 v6, 5, v141
	v_lshl_or_b32 v154, v150, 3, v6
	ds_write2st64_b64 v154, v[4:5], v[8:9] offset1:4
	v_lshlrev_b32_e32 v4, 3, v151
	v_lshl_add_u32 v143, v14, 5, v4
	v_lshlrev_b32_e32 v142, 5, v149
	v_or_b32_e32 v155, 0x2000, v143
	ds_write2st64_b64 v143, v[12:13], v[10:11] offset0:16 offset1:20
	v_lshlrev_b32_e32 v156, 5, v148
	v_add_u32_e32 v157, 0x2000, v142
	s_mov_b32 s12, 0
	v_mov_b64_e32 v[130:131], 0
	v_mov_b64_e32 v[128:129], 0
	;; [unrolled: 1-line block ×63, first 2 shown]
	s_waitcnt lgkmcnt(0)
	s_barrier
.LBB147_22:                             ; =>This Inner Loop Header: Depth=1
	v_add_u32_e32 v152, s12, v156
	v_add_u32_e32 v186, s12, v157
	ds_read2_b64 v[144:147], v152 offset1:16
	ds_read2_b64 v[158:161], v152 offset0:32 offset1:48
	ds_read2_b64 v[162:165], v152 offset0:64 offset1:80
	;; [unrolled: 1-line block ×7, first 2 shown]
	ds_read2st64_b64 v[186:189], v186 offset1:4
	v_add_u32_e32 v152, 0x800, v152
	ds_read2_b64 v[190:193], v152 offset1:16
	ds_read2_b64 v[194:197], v152 offset0:32 offset1:48
	ds_read2_b64 v[198:201], v152 offset0:64 offset1:80
	;; [unrolled: 1-line block ×7, first 2 shown]
	s_waitcnt lgkmcnt(14)
	v_max_f64 v[144:145], v[144:145], v[144:145]
	v_max_f64 v[146:147], v[146:147], v[146:147]
	;; [unrolled: 1-line block ×6, first 2 shown]
	s_waitcnt lgkmcnt(13)
	v_max_f64 v[166:167], v[166:167], v[166:167]
	v_max_f64 v[168:169], v[168:169], v[168:169]
	s_waitcnt lgkmcnt(12)
	v_max_f64 v[170:171], v[170:171], v[170:171]
	v_max_f64 v[172:173], v[172:173], v[172:173]
	;; [unrolled: 3-line block ×14, first 2 shown]
	v_min_f64 v[222:223], v[144:145], v[186:187]
	v_min_f64 v[224:225], v[146:147], v[186:187]
	v_min_f64 v[226:227], v[158:159], v[186:187]
	v_min_f64 v[228:229], v[160:161], v[186:187]
	v_min_f64 v[230:231], v[162:163], v[186:187]
	v_min_f64 v[232:233], v[164:165], v[186:187]
	v_min_f64 v[234:235], v[166:167], v[186:187]
	v_min_f64 v[236:237], v[168:169], v[186:187]
	v_min_f64 v[238:239], v[170:171], v[186:187]
	v_min_f64 v[240:241], v[172:173], v[186:187]
	v_min_f64 v[242:243], v[174:175], v[186:187]
	v_min_f64 v[244:245], v[176:177], v[186:187]
	v_min_f64 v[246:247], v[178:179], v[186:187]
	v_min_f64 v[248:249], v[180:181], v[186:187]
	v_min_f64 v[250:251], v[182:183], v[186:187]
	v_min_f64 v[252:253], v[184:185], v[186:187]
	v_min_f64 v[144:145], v[144:145], v[188:189]
	v_min_f64 v[146:147], v[146:147], v[188:189]
	v_min_f64 v[158:159], v[158:159], v[188:189]
	v_min_f64 v[160:161], v[160:161], v[188:189]
	v_min_f64 v[162:163], v[162:163], v[188:189]
	v_min_f64 v[164:165], v[164:165], v[188:189]
	v_min_f64 v[166:167], v[166:167], v[188:189]
	v_min_f64 v[168:169], v[168:169], v[188:189]
	v_min_f64 v[170:171], v[170:171], v[188:189]
	v_min_f64 v[172:173], v[172:173], v[188:189]
	v_min_f64 v[174:175], v[174:175], v[188:189]
	v_min_f64 v[176:177], v[176:177], v[188:189]
	v_min_f64 v[178:179], v[178:179], v[188:189]
	v_min_f64 v[180:181], v[180:181], v[188:189]
	v_min_f64 v[182:183], v[182:183], v[188:189]
	v_min_f64 v[184:185], v[184:185], v[188:189]
	s_add_i32 s12, s12, 8
	v_add_f64 v[66:67], v[66:67], v[144:145]
	v_add_f64 v[64:65], v[64:65], v[146:147]
	;; [unrolled: 1-line block ×16, first 2 shown]
	v_min_f64 v[144:145], v[190:191], v[186:187]
	v_min_f64 v[146:147], v[192:193], v[186:187]
	;; [unrolled: 1-line block ×32, first 2 shown]
	s_cmp_eq_u32 s12, 32
	v_add_f64 v[124:125], v[124:125], v[222:223]
	v_add_f64 v[130:131], v[130:131], v[224:225]
	;; [unrolled: 1-line block ×48, first 2 shown]
	s_cbranch_scc0 .LBB147_22
; %bb.23:
	s_load_dword s14, s[0:1], 0x8
	v_lshl_or_b32 v0, v141, 5, v0
	ds_write2st64_b64 v0, v[132:133], v[134:135] offset0:8 offset1:12
	ds_write2st64_b64 v143, v[138:139], v[136:137] offset0:24 offset1:28
	s_waitcnt lgkmcnt(0)
	s_barrier
	s_cmp_gt_i32 s14, 8
	s_cbranch_scc1 .LBB147_25
; %bb.24:
	v_add_u32_e32 v152, 0x3000, v142
	s_cbranch_execz .LBB147_26
	s_branch .LBB147_44
.LBB147_25:
                                        ; implicit-def: $vgpr152
.LBB147_26:
	v_add_u32_e32 v158, 0x1000, v0
	v_mov_b32_e32 v0, 0x1000
	v_or_b32_e32 v159, 0x3000, v143
	s_add_i32 s14, s14, -8
	v_mad_i64_i32 v[132:133], s[12:13], v140, s28, 0
	v_mad_i64_i32 v[134:135], s[12:13], v1, s28, 0
	v_lshl_add_u64 v[136:137], v[2:3], 3, s[22:23]
	v_lshl_add_u32 v160, v148, 5, v0
	v_add_u32_e32 v152, 0x3000, v142
	s_mov_b32 s15, 8
	s_mov_b32 s22, 0
	v_mov_b32_e32 v139, 0
	s_mov_b32 s23, 0
.LBB147_27:                             ; =>This Loop Header: Depth=1
                                        ;     Child Loop BB147_33 Depth 2
                                        ;     Child Loop BB147_40 Depth 2
	v_or_b32_e32 v138, s15, v150
	v_lshl_add_u64 v[140:141], v[138:139], 3, s[20:21]
	s_and_b64 vcc, exec, s[6:7]
	v_lshl_add_u64 v[142:143], v[132:133], 3, v[140:141]
	s_cbranch_vccnz .LBB147_42
; %bb.28:                               ;   in Loop: Header=BB147_27 Depth=1
	flat_load_dwordx2 v[0:1], v[142:143]
	s_waitcnt vmcnt(0) lgkmcnt(0)
	v_mul_f64 v[144:145], s[18:19], v[0:1]
	s_mov_b64 s[12:13], -1
                                        ; implicit-def: $vgpr0_vgpr1_vgpr2_vgpr3
	s_mov_b64 vcc, s[4:5]
                                        ; implicit-def: $vgpr2_vgpr3
	s_cbranch_vccz .LBB147_30
.LBB147_29:                             ;   in Loop: Header=BB147_27 Depth=1
	v_mov_b32_e32 v2, s22
	v_mov_b32_e32 v3, s22
	;; [unrolled: 1-line block ×4, first 2 shown]
	s_mov_b64 s[12:13], 0
.LBB147_30:                             ;   in Loop: Header=BB147_27 Depth=1
	v_mov_b64_e32 v[146:147], 0
	s_andn2_b64 vcc, exec, s[12:13]
	v_lshl_add_u64 v[140:141], v[134:135], 3, v[140:141]
	s_cbranch_vccnz .LBB147_32
; %bb.31:                               ;   in Loop: Header=BB147_27 Depth=1
	v_add_u32_e32 v146, s15, v151
	v_mad_u64_u32 v[2:3], s[12:13], v146, s26, 0
	v_mov_b32_e32 v138, v3
	v_mad_u64_u32 v[146:147], s[12:13], v146, s27, v[138:139]
	v_mov_b32_e32 v3, v146
	v_lshl_add_u64 v[2:3], v[2:3], 3, v[136:137]
	flat_load_dwordx2 v[0:1], v[140:141]
	flat_load_dwordx2 v[146:147], v[2:3]
	flat_load_dwordx2 v[162:163], v[2:3] offset:512
	s_waitcnt vmcnt(0) lgkmcnt(0)
	v_mul_f64 v[2:3], s[18:19], v[0:1]
	v_mul_f64 v[0:1], s[18:19], v[146:147]
	;; [unrolled: 1-line block ×3, first 2 shown]
.LBB147_32:                             ;   in Loop: Header=BB147_27 Depth=1
	s_mov_b32 s12, 0
.LBB147_33:                             ;   Parent Loop BB147_27 Depth=1
                                        ; =>  This Inner Loop Header: Depth=2
	v_add_u32_e32 v138, s12, v160
	ds_read2_b64 v[162:165], v138 offset1:16
	ds_read2_b64 v[166:169], v138 offset0:32 offset1:48
	ds_read2_b64 v[170:173], v138 offset0:64 offset1:80
	;; [unrolled: 1-line block ×7, first 2 shown]
	v_add_u32_e32 v138, 0x800, v138
	ds_read2_b64 v[194:197], v138 offset1:16
	ds_read2_b64 v[198:201], v138 offset0:32 offset1:48
	ds_read2_b64 v[202:205], v138 offset0:64 offset1:80
	ds_read2_b64 v[206:209], v138 offset0:96 offset1:112
	ds_read2_b64 v[210:213], v138 offset0:128 offset1:144
	ds_read2_b64 v[214:217], v138 offset0:160 offset1:176
	ds_read2_b64 v[218:221], v138 offset0:192 offset1:208
	ds_read2_b64 v[222:225], v138 offset0:224 offset1:240
	v_add_u32_e32 v138, s12, v152
	ds_read2st64_b64 v[226:229], v138 offset1:4
	s_waitcnt lgkmcnt(14)
	v_max_f64 v[162:163], v[162:163], v[162:163]
	v_max_f64 v[164:165], v[164:165], v[164:165]
	;; [unrolled: 1-line block ×4, first 2 shown]
	s_waitcnt lgkmcnt(0)
	v_max_f64 v[226:227], v[226:227], v[226:227]
	v_min_f64 v[230:231], v[162:163], v[226:227]
	v_add_f64 v[124:125], v[124:125], v[230:231]
	v_min_f64 v[230:231], v[164:165], v[226:227]
	v_add_f64 v[130:131], v[130:131], v[230:231]
	;; [unrolled: 2-line block ×3, first 2 shown]
	v_min_f64 v[230:231], v[168:169], v[226:227]
	v_max_f64 v[170:171], v[170:171], v[170:171]
	v_add_f64 v[126:127], v[126:127], v[230:231]
	v_min_f64 v[230:231], v[170:171], v[226:227]
	v_max_f64 v[172:173], v[172:173], v[172:173]
	v_add_f64 v[122:123], v[122:123], v[230:231]
	;; [unrolled: 3-line block ×26, first 2 shown]
	v_min_f64 v[230:231], v[220:221], v[226:227]
	v_max_f64 v[222:223], v[222:223], v[222:223]
	v_max_f64 v[224:225], v[224:225], v[224:225]
	v_add_f64 v[72:73], v[72:73], v[230:231]
	v_min_f64 v[230:231], v[222:223], v[226:227]
	v_min_f64 v[226:227], v[224:225], v[226:227]
	v_add_f64 v[68:69], v[68:69], v[226:227]
	v_max_f64 v[226:227], v[228:229], v[228:229]
	v_min_f64 v[162:163], v[162:163], v[226:227]
	v_add_f64 v[66:67], v[66:67], v[162:163]
	v_min_f64 v[162:163], v[164:165], v[226:227]
	v_add_f64 v[64:65], v[64:65], v[162:163]
	;; [unrolled: 2-line block ×31, first 2 shown]
	v_min_f64 v[162:163], v[224:225], v[226:227]
	s_add_i32 s12, s12, 8
	v_add_f64 v[70:71], v[70:71], v[230:231]
	v_add_f64 v[4:5], v[4:5], v[162:163]
	s_cmp_eq_u32 s12, 32
	s_cbranch_scc0 .LBB147_33
; %bb.34:                               ;   in Loop: Header=BB147_27 Depth=1
	s_and_b64 vcc, exec, s[6:7]
	ds_write2st64_b64 v154, v[144:145], v[2:3] offset1:4
	ds_write2st64_b64 v155, v[0:1], v[146:147] offset1:4
	s_waitcnt lgkmcnt(0)
	s_barrier
	s_cbranch_vccnz .LBB147_43
; %bb.35:                               ;   in Loop: Header=BB147_27 Depth=1
	flat_load_dwordx2 v[0:1], v[142:143] offset:32
	s_waitcnt vmcnt(0) lgkmcnt(0)
	v_mul_f64 v[142:143], s[18:19], v[0:1]
	s_mov_b64 s[12:13], -1
                                        ; implicit-def: $vgpr0_vgpr1_vgpr2_vgpr3
	s_mov_b64 vcc, s[4:5]
                                        ; implicit-def: $vgpr2_vgpr3
	s_cbranch_vccz .LBB147_37
.LBB147_36:                             ;   in Loop: Header=BB147_27 Depth=1
	v_mov_b32_e32 v2, s22
	v_mov_b32_e32 v3, s22
	;; [unrolled: 1-line block ×4, first 2 shown]
	s_mov_b64 s[12:13], 0
.LBB147_37:                             ;   in Loop: Header=BB147_27 Depth=1
	s_andn2_b64 vcc, exec, s[12:13]
	v_mov_b64_e32 v[144:145], 0
	s_cbranch_vccnz .LBB147_39
; %bb.38:                               ;   in Loop: Header=BB147_27 Depth=1
	flat_load_dwordx2 v[0:1], v[140:141] offset:32
	v_add_u32_e32 v140, s15, v153
	v_mad_u64_u32 v[2:3], s[12:13], v140, s26, 0
	v_mov_b32_e32 v138, v3
	v_mad_u64_u32 v[140:141], s[12:13], v140, s27, v[138:139]
	v_mov_b32_e32 v3, v140
	v_lshl_add_u64 v[2:3], v[2:3], 3, v[136:137]
	flat_load_dwordx2 v[140:141], v[2:3]
	flat_load_dwordx2 v[144:145], v[2:3] offset:512
	s_waitcnt vmcnt(0) lgkmcnt(0)
	v_mul_f64 v[2:3], s[18:19], v[0:1]
	v_mul_f64 v[0:1], s[18:19], v[140:141]
	v_mul_f64 v[144:145], s[18:19], v[144:145]
.LBB147_39:                             ;   in Loop: Header=BB147_27 Depth=1
	s_mov_b32 s12, 0
.LBB147_40:                             ;   Parent Loop BB147_27 Depth=1
                                        ; =>  This Inner Loop Header: Depth=2
	v_add_u32_e32 v138, s12, v156
	ds_read2_b64 v[162:165], v138 offset1:16
	ds_read2_b64 v[166:169], v138 offset0:32 offset1:48
	ds_read2_b64 v[170:173], v138 offset0:64 offset1:80
	;; [unrolled: 1-line block ×7, first 2 shown]
	v_add_u32_e32 v138, 0x800, v138
	ds_read2_b64 v[194:197], v138 offset1:16
	ds_read2_b64 v[198:201], v138 offset0:32 offset1:48
	ds_read2_b64 v[202:205], v138 offset0:64 offset1:80
	;; [unrolled: 1-line block ×7, first 2 shown]
	v_add_u32_e32 v138, s12, v157
	ds_read2st64_b64 v[226:229], v138 offset1:4
	s_waitcnt lgkmcnt(14)
	v_max_f64 v[146:147], v[162:163], v[162:163]
	s_add_i32 s12, s12, 8
	s_cmp_eq_u32 s12, 32
	s_waitcnt lgkmcnt(0)
	v_max_f64 v[140:141], v[226:227], v[226:227]
	v_min_f64 v[162:163], v[146:147], v[140:141]
	v_add_f64 v[124:125], v[124:125], v[162:163]
	v_max_f64 v[162:163], v[164:165], v[164:165]
	v_min_f64 v[164:165], v[162:163], v[140:141]
	v_add_f64 v[130:131], v[130:131], v[164:165]
	;; [unrolled: 3-line block ×33, first 2 shown]
	v_min_f64 v[146:147], v[162:163], v[140:141]
	v_add_f64 v[64:65], v[64:65], v[146:147]
	v_min_f64 v[146:147], v[164:165], v[140:141]
	v_add_f64 v[62:63], v[62:63], v[146:147]
	v_min_f64 v[146:147], v[166:167], v[140:141]
	v_add_f64 v[60:61], v[60:61], v[146:147]
	v_min_f64 v[146:147], v[168:169], v[140:141]
	v_add_f64 v[58:59], v[58:59], v[146:147]
	v_min_f64 v[146:147], v[170:171], v[140:141]
	v_add_f64 v[56:57], v[56:57], v[146:147]
	v_min_f64 v[146:147], v[172:173], v[140:141]
	v_add_f64 v[54:55], v[54:55], v[146:147]
	v_min_f64 v[146:147], v[174:175], v[140:141]
	v_add_f64 v[52:53], v[52:53], v[146:147]
	v_min_f64 v[146:147], v[176:177], v[140:141]
	v_add_f64 v[50:51], v[50:51], v[146:147]
	v_min_f64 v[146:147], v[178:179], v[140:141]
	v_add_f64 v[48:49], v[48:49], v[146:147]
	v_min_f64 v[146:147], v[180:181], v[140:141]
	v_add_f64 v[46:47], v[46:47], v[146:147]
	v_min_f64 v[146:147], v[182:183], v[140:141]
	v_add_f64 v[44:45], v[44:45], v[146:147]
	v_min_f64 v[146:147], v[184:185], v[140:141]
	v_add_f64 v[42:43], v[42:43], v[146:147]
	v_min_f64 v[146:147], v[186:187], v[140:141]
	v_add_f64 v[40:41], v[40:41], v[146:147]
	v_min_f64 v[146:147], v[188:189], v[140:141]
	v_add_f64 v[38:39], v[38:39], v[146:147]
	v_min_f64 v[146:147], v[190:191], v[140:141]
	v_add_f64 v[36:37], v[36:37], v[146:147]
	v_min_f64 v[146:147], v[192:193], v[140:141]
	v_add_f64 v[34:35], v[34:35], v[146:147]
	v_min_f64 v[146:147], v[194:195], v[140:141]
	v_add_f64 v[32:33], v[32:33], v[146:147]
	v_min_f64 v[146:147], v[196:197], v[140:141]
	v_add_f64 v[30:31], v[30:31], v[146:147]
	v_min_f64 v[146:147], v[198:199], v[140:141]
	v_add_f64 v[28:29], v[28:29], v[146:147]
	v_min_f64 v[146:147], v[200:201], v[140:141]
	v_add_f64 v[26:27], v[26:27], v[146:147]
	v_min_f64 v[146:147], v[202:203], v[140:141]
	v_add_f64 v[24:25], v[24:25], v[146:147]
	v_min_f64 v[146:147], v[204:205], v[140:141]
	v_add_f64 v[22:23], v[22:23], v[146:147]
	v_min_f64 v[146:147], v[206:207], v[140:141]
	v_add_f64 v[20:21], v[20:21], v[146:147]
	v_min_f64 v[146:147], v[208:209], v[140:141]
	v_add_f64 v[18:19], v[18:19], v[146:147]
	v_min_f64 v[146:147], v[210:211], v[140:141]
	v_add_f64 v[16:17], v[16:17], v[146:147]
	v_min_f64 v[146:147], v[212:213], v[140:141]
	v_add_f64 v[14:15], v[14:15], v[146:147]
	v_min_f64 v[146:147], v[214:215], v[140:141]
	v_add_f64 v[12:13], v[12:13], v[146:147]
	v_min_f64 v[146:147], v[216:217], v[140:141]
	v_add_f64 v[10:11], v[10:11], v[146:147]
	v_min_f64 v[146:147], v[218:219], v[140:141]
	v_add_f64 v[8:9], v[8:9], v[146:147]
	v_min_f64 v[146:147], v[220:221], v[140:141]
	v_min_f64 v[140:141], v[222:223], v[140:141]
	v_add_f64 v[6:7], v[6:7], v[146:147]
	v_add_f64 v[4:5], v[4:5], v[140:141]
	s_cbranch_scc0 .LBB147_40
; %bb.41:                               ;   in Loop: Header=BB147_27 Depth=1
	s_add_i32 s15, s15, 8
	s_add_i32 s23, s23, 8
	s_cmp_ge_i32 s23, s14
	ds_write2st64_b64 v158, v[142:143], v[2:3] offset1:4
	ds_write2st64_b64 v159, v[0:1], v[144:145] offset1:4
	s_waitcnt lgkmcnt(0)
	s_barrier
	s_cbranch_scc0 .LBB147_27
	s_branch .LBB147_44
.LBB147_42:                             ;   in Loop: Header=BB147_27 Depth=1
	v_mov_b64_e32 v[144:145], 0
	s_mov_b64 s[12:13], -1
                                        ; implicit-def: $vgpr0_vgpr1_vgpr2_vgpr3
	s_mov_b64 vcc, s[4:5]
                                        ; implicit-def: $vgpr2_vgpr3
	s_cbranch_vccz .LBB147_30
	s_branch .LBB147_29
.LBB147_43:                             ;   in Loop: Header=BB147_27 Depth=1
	v_mov_b64_e32 v[142:143], 0
	s_mov_b64 s[12:13], -1
                                        ; implicit-def: $vgpr0_vgpr1_vgpr2_vgpr3
	s_mov_b64 vcc, s[4:5]
                                        ; implicit-def: $vgpr2_vgpr3
	s_cbranch_vccz .LBB147_37
	s_branch .LBB147_36
.LBB147_44:
	v_mov_b32_e32 v0, 0x1000
	v_lshl_add_u32 v0, v148, 5, v0
	s_mov_b32 s4, 0
.LBB147_45:                             ; =>This Inner Loop Header: Depth=1
	v_add_u32_e32 v1, s4, v0
	v_add_u32_e32 v2, s4, v152
	ds_read2_b64 v[132:135], v1 offset1:16
	ds_read2_b64 v[136:139], v1 offset0:32 offset1:48
	ds_read2_b64 v[140:143], v1 offset0:64 offset1:80
	;; [unrolled: 1-line block ×7, first 2 shown]
	v_add_u32_e32 v1, 0x800, v1
	ds_read2st64_b64 v[170:173], v2 offset1:4
	ds_read2_b64 v[174:177], v1 offset1:16
	ds_read2_b64 v[178:181], v1 offset0:32 offset1:48
	ds_read2_b64 v[182:185], v1 offset0:64 offset1:80
	;; [unrolled: 1-line block ×7, first 2 shown]
	s_waitcnt lgkmcnt(14)
	v_max_f64 v[132:133], v[132:133], v[132:133]
	v_max_f64 v[134:135], v[134:135], v[134:135]
	;; [unrolled: 1-line block ×3, first 2 shown]
	s_waitcnt lgkmcnt(8)
	v_max_f64 v[2:3], v[170:171], v[170:171]
	v_max_f64 v[138:139], v[138:139], v[138:139]
	;; [unrolled: 1-line block ×15, first 2 shown]
	v_min_f64 v[170:171], v[132:133], v[2:3]
	v_min_f64 v[172:173], v[134:135], v[2:3]
	;; [unrolled: 1-line block ×16, first 2 shown]
	s_waitcnt lgkmcnt(7)
	v_max_f64 v[174:175], v[174:175], v[174:175]
	v_max_f64 v[176:177], v[176:177], v[176:177]
	s_waitcnt lgkmcnt(6)
	v_max_f64 v[178:179], v[178:179], v[178:179]
	v_max_f64 v[180:181], v[180:181], v[180:181]
	;; [unrolled: 3-line block ×8, first 2 shown]
	v_min_f64 v[132:133], v[132:133], v[168:169]
	v_min_f64 v[134:135], v[134:135], v[168:169]
	v_min_f64 v[136:137], v[136:137], v[168:169]
	v_min_f64 v[138:139], v[138:139], v[168:169]
	v_min_f64 v[140:141], v[140:141], v[168:169]
	v_min_f64 v[142:143], v[142:143], v[168:169]
	v_min_f64 v[144:145], v[144:145], v[168:169]
	v_min_f64 v[146:147], v[146:147], v[168:169]
	v_min_f64 v[150:151], v[150:151], v[168:169]
	v_min_f64 v[154:155], v[154:155], v[168:169]
	v_min_f64 v[156:157], v[156:157], v[168:169]
	v_min_f64 v[158:159], v[158:159], v[168:169]
	v_min_f64 v[160:161], v[160:161], v[168:169]
	v_min_f64 v[162:163], v[162:163], v[168:169]
	v_min_f64 v[164:165], v[164:165], v[168:169]
	v_min_f64 v[166:167], v[166:167], v[168:169]
	s_add_i32 s4, s4, 8
	v_add_f64 v[124:125], v[124:125], v[170:171]
	v_add_f64 v[130:131], v[130:131], v[172:173]
	;; [unrolled: 1-line block ×15, first 2 shown]
	v_min_f64 v[170:171], v[174:175], v[2:3]
	v_min_f64 v[172:173], v[176:177], v[2:3]
	;; [unrolled: 1-line block ×16, first 2 shown]
	v_add_f64 v[66:67], v[66:67], v[132:133]
	v_add_f64 v[64:65], v[64:65], v[134:135]
	;; [unrolled: 1-line block ×16, first 2 shown]
	v_min_f64 v[132:133], v[174:175], v[168:169]
	v_min_f64 v[134:135], v[176:177], v[168:169]
	;; [unrolled: 1-line block ×16, first 2 shown]
	s_cmp_eq_u32 s4, 32
	v_add_f64 v[100:101], v[100:101], v[232:233]
	v_add_f64 v[98:99], v[98:99], v[170:171]
	;; [unrolled: 1-line block ×33, first 2 shown]
	s_cbranch_scc0 .LBB147_45
; %bb.46:
	s_load_dwordx2 s[6:7], s[0:1], 0x78
	s_load_dword s4, s[0:1], 0x58
	s_load_dword s5, s[0:1], 0x70
	v_add_u32_e32 v170, s25, v149
	v_add_u32_e32 v132, s24, v148
	s_waitcnt lgkmcnt(0)
	s_lshl_b64 s[0:1], s[6:7], 3
	s_add_u32 s0, s2, s0
	s_addc_u32 s1, s3, s1
	v_mad_i64_i32 v[2:3], s[2:3], v170, s5, 0
	v_add_u32_e32 v0, 4, v132
	v_lshl_add_u64 v[138:139], v[2:3], 3, s[0:1]
	v_mad_i64_i32 v[2:3], s[2:3], v170, s4, 0
	v_ashrrev_i32_e32 v133, 31, v132
	v_ashrrev_i32_e32 v1, 31, v0
	s_mov_b64 s[2:3], -1
	s_mov_b64 vcc, s[8:9]
	s_cbranch_vccz .LBB147_48
; %bb.47:
	v_add_f64 v[134:135], v[124:125], 0
	v_lshl_add_u64 v[136:137], v[132:133], 3, v[138:139]
	s_mov_b64 s[2:3], 0
	flat_store_dwordx2 v[136:137], v[134:135]
.LBB147_48:
	v_lshl_add_u64 v[146:147], v[2:3], 3, s[16:17]
	v_mov_b64_e32 v[140:141], 0
	s_andn2_b64 vcc, exec, s[2:3]
	v_lshlrev_b64 v[136:137], 3, v[132:133]
	s_cbranch_vccnz .LBB147_50
; %bb.49:
	v_lshl_add_u64 v[2:3], v[146:147], 0, v[136:137]
	flat_load_dwordx2 v[2:3], v[2:3]
	v_lshl_add_u64 v[134:135], v[138:139], 0, v[136:137]
	s_waitcnt vmcnt(0) lgkmcnt(0)
	v_fmac_f64_e32 v[124:125], s[10:11], v[2:3]
	flat_store_dwordx2 v[134:135], v[124:125]
	v_lshl_add_u64 v[2:3], v[0:1], 3, v[146:147]
	flat_load_dwordx2 v[2:3], v[2:3]
	s_waitcnt vmcnt(0) lgkmcnt(0)
	v_mul_f64 v[140:141], s[10:11], v[2:3]
.LBB147_50:
	v_add_u32_e32 v134, 8, v132
	v_add_u32_e32 v2, 12, v132
	v_ashrrev_i32_e32 v135, 31, v134
	v_ashrrev_i32_e32 v3, 31, v2
	v_add_f64 v[124:125], v[130:131], v[140:141]
	v_lshl_add_u64 v[130:131], v[0:1], 3, v[138:139]
	s_mov_b64 s[2:3], -1
	s_mov_b64 vcc, s[8:9]
	flat_store_dwordx2 v[130:131], v[124:125]
	s_cbranch_vccz .LBB147_52
; %bb.51:
	v_add_f64 v[124:125], v[128:129], 0
	v_lshl_add_u64 v[130:131], v[134:135], 3, v[138:139]
	s_mov_b64 s[2:3], 0
	flat_store_dwordx2 v[130:131], v[124:125]
.LBB147_52:
	v_mov_b64_e32 v[140:141], 0
	s_andn2_b64 vcc, exec, s[2:3]
	v_lshlrev_b64 v[130:131], 3, v[134:135]
	s_cbranch_vccnz .LBB147_54
; %bb.53:
	v_lshl_add_u64 v[124:125], v[146:147], 0, v[130:131]
	flat_load_dwordx2 v[124:125], v[124:125]
	v_lshl_add_u64 v[140:141], v[138:139], 0, v[130:131]
	s_waitcnt vmcnt(0) lgkmcnt(0)
	v_fmac_f64_e32 v[128:129], s[10:11], v[124:125]
	flat_store_dwordx2 v[140:141], v[128:129]
	v_lshl_add_u64 v[124:125], v[2:3], 3, v[146:147]
	flat_load_dwordx2 v[124:125], v[124:125]
	s_waitcnt vmcnt(0) lgkmcnt(0)
	v_mul_f64 v[140:141], s[10:11], v[124:125]
.LBB147_54:
	v_add_u32_e32 v128, 16, v132
	v_add_u32_e32 v124, 20, v132
	v_ashrrev_i32_e32 v129, 31, v128
	v_ashrrev_i32_e32 v125, 31, v124
	v_add_f64 v[126:127], v[126:127], v[140:141]
	v_lshl_add_u64 v[140:141], v[2:3], 3, v[138:139]
	s_mov_b64 s[2:3], -1
	s_mov_b64 vcc, s[8:9]
	flat_store_dwordx2 v[140:141], v[126:127]
	s_cbranch_vccz .LBB147_56
; %bb.55:
	v_add_f64 v[126:127], v[122:123], 0
	v_lshl_add_u64 v[140:141], v[128:129], 3, v[138:139]
	s_mov_b64 s[2:3], 0
	flat_store_dwordx2 v[140:141], v[126:127]
.LBB147_56:
	;; [unrolled: 32-line block ×15, first 2 shown]
	v_mov_b64_e32 v[168:169], 0
	s_andn2_b64 vcc, exec, s[2:3]
	v_lshlrev_b64 v[72:73], 3, v[76:77]
	s_cbranch_vccnz .LBB147_110
; %bb.109:
	v_lshl_add_u64 v[168:169], v[146:147], 0, v[72:73]
	flat_load_dwordx2 v[168:169], v[168:169]
	v_lshl_add_u64 v[172:173], v[138:139], 0, v[72:73]
	s_waitcnt vmcnt(0) lgkmcnt(0)
	v_fmac_f64_e32 v[70:71], s[10:11], v[168:169]
	flat_store_dwordx2 v[172:173], v[70:71]
	v_lshl_add_u64 v[70:71], v[74:75], 3, v[146:147]
	flat_load_dwordx2 v[70:71], v[70:71]
	s_waitcnt vmcnt(0) lgkmcnt(0)
	v_mul_f64 v[168:169], s[10:11], v[70:71]
.LBB147_110:
	v_add_f64 v[68:69], v[68:69], v[168:169]
	v_lshl_add_u64 v[70:71], v[74:75], 3, v[138:139]
	flat_store_dwordx2 v[70:71], v[68:69]
	v_add_u32_e32 v70, 64, v170
	v_mad_i64_i32 v[68:69], s[2:3], v70, s5, 0
	v_lshl_add_u64 v[68:69], v[68:69], 3, s[0:1]
	v_mad_i64_i32 v[70:71], s[0:1], v70, s4, 0
	s_mov_b64 s[0:1], -1
	s_mov_b64 vcc, s[8:9]
	s_cbranch_vccz .LBB147_112
; %bb.111:
	v_add_f64 v[138:139], v[66:67], 0
	v_lshl_add_u64 v[132:133], v[132:133], 3, v[68:69]
	s_mov_b64 s[0:1], 0
	flat_store_dwordx2 v[132:133], v[138:139]
.LBB147_112:
	v_lshl_add_u64 v[70:71], v[70:71], 3, s[16:17]
	s_andn2_b64 vcc, exec, s[0:1]
	v_mov_b64_e32 v[132:133], 0
	s_cbranch_vccnz .LBB147_114
; %bb.113:
	v_lshl_add_u64 v[132:133], v[70:71], 0, v[136:137]
	flat_load_dwordx2 v[132:133], v[132:133]
	v_lshl_add_u64 v[136:137], v[68:69], 0, v[136:137]
	s_waitcnt vmcnt(0) lgkmcnt(0)
	v_fmac_f64_e32 v[66:67], s[10:11], v[132:133]
	flat_store_dwordx2 v[136:137], v[66:67]
	v_lshl_add_u64 v[66:67], v[0:1], 3, v[70:71]
	flat_load_dwordx2 v[66:67], v[66:67]
	s_waitcnt vmcnt(0) lgkmcnt(0)
	v_mul_f64 v[132:133], s[10:11], v[66:67]
.LBB147_114:
	v_add_f64 v[64:65], v[64:65], v[132:133]
	v_lshl_add_u64 v[0:1], v[0:1], 3, v[68:69]
	s_mov_b64 s[0:1], -1
	s_mov_b64 vcc, s[8:9]
	flat_store_dwordx2 v[0:1], v[64:65]
	s_cbranch_vccz .LBB147_116
; %bb.115:
	v_add_f64 v[0:1], v[62:63], 0
	v_lshl_add_u64 v[64:65], v[134:135], 3, v[68:69]
	s_mov_b64 s[0:1], 0
	flat_store_dwordx2 v[64:65], v[0:1]
.LBB147_116:
	s_andn2_b64 vcc, exec, s[0:1]
	v_mov_b64_e32 v[0:1], 0
	s_cbranch_vccnz .LBB147_118
; %bb.117:
	v_lshl_add_u64 v[0:1], v[70:71], 0, v[130:131]
	flat_load_dwordx2 v[0:1], v[0:1]
	v_lshl_add_u64 v[64:65], v[68:69], 0, v[130:131]
	s_waitcnt vmcnt(0) lgkmcnt(0)
	v_fmac_f64_e32 v[62:63], s[10:11], v[0:1]
	flat_store_dwordx2 v[64:65], v[62:63]
	v_lshl_add_u64 v[0:1], v[2:3], 3, v[70:71]
	flat_load_dwordx2 v[0:1], v[0:1]
	s_waitcnt vmcnt(0) lgkmcnt(0)
	v_mul_f64 v[0:1], s[10:11], v[0:1]
.LBB147_118:
	v_add_f64 v[0:1], v[60:61], v[0:1]
	v_lshl_add_u64 v[2:3], v[2:3], 3, v[68:69]
	s_mov_b64 s[0:1], -1
	s_mov_b64 vcc, s[8:9]
	flat_store_dwordx2 v[2:3], v[0:1]
	s_cbranch_vccz .LBB147_120
; %bb.119:
	v_add_f64 v[0:1], v[58:59], 0
	v_lshl_add_u64 v[2:3], v[128:129], 3, v[68:69]
	s_mov_b64 s[0:1], 0
	flat_store_dwordx2 v[2:3], v[0:1]
.LBB147_120:
	;; [unrolled: 27-line block ×14, first 2 shown]
	s_andn2_b64 vcc, exec, s[0:1]
	v_mov_b64_e32 v[0:1], 0
	s_cbranch_vccnz .LBB147_170
; %bb.169:
	v_lshl_add_u64 v[0:1], v[70:71], 0, v[166:167]
	flat_load_dwordx2 v[0:1], v[0:1]
	v_lshl_add_u64 v[2:3], v[68:69], 0, v[166:167]
	s_waitcnt vmcnt(0) lgkmcnt(0)
	v_fmac_f64_e32 v[10:11], s[10:11], v[0:1]
	flat_store_dwordx2 v[2:3], v[10:11]
	v_lshl_add_u64 v[0:1], v[78:79], 3, v[70:71]
	flat_load_dwordx2 v[0:1], v[0:1]
	s_waitcnt vmcnt(0) lgkmcnt(0)
	v_mul_f64 v[0:1], s[10:11], v[0:1]
.LBB147_170:
	v_add_f64 v[0:1], v[8:9], v[0:1]
	v_lshl_add_u64 v[2:3], v[78:79], 3, v[68:69]
	s_mov_b64 s[0:1], -1
	s_mov_b64 vcc, s[8:9]
	flat_store_dwordx2 v[2:3], v[0:1]
	s_cbranch_vccz .LBB147_173
; %bb.171:
	v_add_f64 v[0:1], v[6:7], 0
	v_lshl_add_u64 v[2:3], v[76:77], 3, v[68:69]
	flat_store_dwordx2 v[2:3], v[0:1]
	v_mov_b64_e32 v[0:1], 0
	s_cbranch_execz .LBB147_174
.LBB147_172:
	v_add_f64 v[0:1], v[4:5], v[0:1]
	v_lshl_add_u64 v[2:3], v[74:75], 3, v[68:69]
	flat_store_dwordx2 v[2:3], v[0:1]
	s_endpgm
.LBB147_173:
	s_andn2_b64 vcc, exec, s[0:1]
	v_mov_b64_e32 v[0:1], 0
	s_cbranch_vccnz .LBB147_172
.LBB147_174:
	v_lshl_add_u64 v[0:1], v[70:71], 0, v[72:73]
	flat_load_dwordx2 v[0:1], v[0:1]
	v_lshl_add_u64 v[2:3], v[68:69], 0, v[72:73]
	s_waitcnt vmcnt(0) lgkmcnt(0)
	v_fmac_f64_e32 v[6:7], s[10:11], v[0:1]
	flat_store_dwordx2 v[2:3], v[6:7]
	v_lshl_add_u64 v[0:1], v[74:75], 3, v[70:71]
	flat_load_dwordx2 v[0:1], v[0:1]
	s_waitcnt vmcnt(0) lgkmcnt(0)
	v_mul_f64 v[0:1], s[10:11], v[0:1]
	v_add_f64 v[0:1], v[4:5], v[0:1]
	v_lshl_add_u64 v[2:3], v[74:75], 3, v[68:69]
	flat_store_dwordx2 v[2:3], v[0:1]
	s_endpgm
	.section	.rodata,"a",@progbits
	.p2align	6, 0x0
	.amdhsa_kernel _ZN12_GLOBAL__N_120geam_min_plus_kernelIdddLi4ELi64ELi128ELi128ELi4ELi4ELi64ELi64ELi4ELc84ELc84ELb0ELb0ELb0EPKdKS2_KPdEEviiiT16_PT17_ilS8_ilS6_S8_ilPT18_ili26rocblas_geam_ex_operation_
		.amdhsa_group_segment_fixed_size 16384
		.amdhsa_private_segment_fixed_size 0
		.amdhsa_kernarg_size 136
		.amdhsa_user_sgpr_count 2
		.amdhsa_user_sgpr_dispatch_ptr 0
		.amdhsa_user_sgpr_queue_ptr 0
		.amdhsa_user_sgpr_kernarg_segment_ptr 1
		.amdhsa_user_sgpr_dispatch_id 0
		.amdhsa_user_sgpr_kernarg_preload_length 0
		.amdhsa_user_sgpr_kernarg_preload_offset 0
		.amdhsa_user_sgpr_private_segment_size 0
		.amdhsa_uses_dynamic_stack 0
		.amdhsa_enable_private_segment 0
		.amdhsa_system_sgpr_workgroup_id_x 1
		.amdhsa_system_sgpr_workgroup_id_y 0
		.amdhsa_system_sgpr_workgroup_id_z 1
		.amdhsa_system_sgpr_workgroup_info 0
		.amdhsa_system_vgpr_workitem_id 1
		.amdhsa_next_free_vgpr 254
		.amdhsa_next_free_sgpr 29
		.amdhsa_accum_offset 256
		.amdhsa_reserve_vcc 1
		.amdhsa_float_round_mode_32 0
		.amdhsa_float_round_mode_16_64 0
		.amdhsa_float_denorm_mode_32 3
		.amdhsa_float_denorm_mode_16_64 3
		.amdhsa_dx10_clamp 1
		.amdhsa_ieee_mode 1
		.amdhsa_fp16_overflow 0
		.amdhsa_tg_split 0
		.amdhsa_exception_fp_ieee_invalid_op 0
		.amdhsa_exception_fp_denorm_src 0
		.amdhsa_exception_fp_ieee_div_zero 0
		.amdhsa_exception_fp_ieee_overflow 0
		.amdhsa_exception_fp_ieee_underflow 0
		.amdhsa_exception_fp_ieee_inexact 0
		.amdhsa_exception_int_div_zero 0
	.end_amdhsa_kernel
	.section	.text._ZN12_GLOBAL__N_120geam_min_plus_kernelIdddLi4ELi64ELi128ELi128ELi4ELi4ELi64ELi64ELi4ELc84ELc84ELb0ELb0ELb0EPKdKS2_KPdEEviiiT16_PT17_ilS8_ilS6_S8_ilPT18_ili26rocblas_geam_ex_operation_,"axG",@progbits,_ZN12_GLOBAL__N_120geam_min_plus_kernelIdddLi4ELi64ELi128ELi128ELi4ELi4ELi64ELi64ELi4ELc84ELc84ELb0ELb0ELb0EPKdKS2_KPdEEviiiT16_PT17_ilS8_ilS6_S8_ilPT18_ili26rocblas_geam_ex_operation_,comdat
.Lfunc_end147:
	.size	_ZN12_GLOBAL__N_120geam_min_plus_kernelIdddLi4ELi64ELi128ELi128ELi4ELi4ELi64ELi64ELi4ELc84ELc84ELb0ELb0ELb0EPKdKS2_KPdEEviiiT16_PT17_ilS8_ilS6_S8_ilPT18_ili26rocblas_geam_ex_operation_, .Lfunc_end147-_ZN12_GLOBAL__N_120geam_min_plus_kernelIdddLi4ELi64ELi128ELi128ELi4ELi4ELi64ELi64ELi4ELc84ELc84ELb0ELb0ELb0EPKdKS2_KPdEEviiiT16_PT17_ilS8_ilS6_S8_ilPT18_ili26rocblas_geam_ex_operation_
                                        ; -- End function
	.set _ZN12_GLOBAL__N_120geam_min_plus_kernelIdddLi4ELi64ELi128ELi128ELi4ELi4ELi64ELi64ELi4ELc84ELc84ELb0ELb0ELb0EPKdKS2_KPdEEviiiT16_PT17_ilS8_ilS6_S8_ilPT18_ili26rocblas_geam_ex_operation_.num_vgpr, 254
	.set _ZN12_GLOBAL__N_120geam_min_plus_kernelIdddLi4ELi64ELi128ELi128ELi4ELi4ELi64ELi64ELi4ELc84ELc84ELb0ELb0ELb0EPKdKS2_KPdEEviiiT16_PT17_ilS8_ilS6_S8_ilPT18_ili26rocblas_geam_ex_operation_.num_agpr, 0
	.set _ZN12_GLOBAL__N_120geam_min_plus_kernelIdddLi4ELi64ELi128ELi128ELi4ELi4ELi64ELi64ELi4ELc84ELc84ELb0ELb0ELb0EPKdKS2_KPdEEviiiT16_PT17_ilS8_ilS6_S8_ilPT18_ili26rocblas_geam_ex_operation_.numbered_sgpr, 29
	.set _ZN12_GLOBAL__N_120geam_min_plus_kernelIdddLi4ELi64ELi128ELi128ELi4ELi4ELi64ELi64ELi4ELc84ELc84ELb0ELb0ELb0EPKdKS2_KPdEEviiiT16_PT17_ilS8_ilS6_S8_ilPT18_ili26rocblas_geam_ex_operation_.num_named_barrier, 0
	.set _ZN12_GLOBAL__N_120geam_min_plus_kernelIdddLi4ELi64ELi128ELi128ELi4ELi4ELi64ELi64ELi4ELc84ELc84ELb0ELb0ELb0EPKdKS2_KPdEEviiiT16_PT17_ilS8_ilS6_S8_ilPT18_ili26rocblas_geam_ex_operation_.private_seg_size, 0
	.set _ZN12_GLOBAL__N_120geam_min_plus_kernelIdddLi4ELi64ELi128ELi128ELi4ELi4ELi64ELi64ELi4ELc84ELc84ELb0ELb0ELb0EPKdKS2_KPdEEviiiT16_PT17_ilS8_ilS6_S8_ilPT18_ili26rocblas_geam_ex_operation_.uses_vcc, 1
	.set _ZN12_GLOBAL__N_120geam_min_plus_kernelIdddLi4ELi64ELi128ELi128ELi4ELi4ELi64ELi64ELi4ELc84ELc84ELb0ELb0ELb0EPKdKS2_KPdEEviiiT16_PT17_ilS8_ilS6_S8_ilPT18_ili26rocblas_geam_ex_operation_.uses_flat_scratch, 0
	.set _ZN12_GLOBAL__N_120geam_min_plus_kernelIdddLi4ELi64ELi128ELi128ELi4ELi4ELi64ELi64ELi4ELc84ELc84ELb0ELb0ELb0EPKdKS2_KPdEEviiiT16_PT17_ilS8_ilS6_S8_ilPT18_ili26rocblas_geam_ex_operation_.has_dyn_sized_stack, 0
	.set _ZN12_GLOBAL__N_120geam_min_plus_kernelIdddLi4ELi64ELi128ELi128ELi4ELi4ELi64ELi64ELi4ELc84ELc84ELb0ELb0ELb0EPKdKS2_KPdEEviiiT16_PT17_ilS8_ilS6_S8_ilPT18_ili26rocblas_geam_ex_operation_.has_recursion, 0
	.set _ZN12_GLOBAL__N_120geam_min_plus_kernelIdddLi4ELi64ELi128ELi128ELi4ELi4ELi64ELi64ELi4ELc84ELc84ELb0ELb0ELb0EPKdKS2_KPdEEviiiT16_PT17_ilS8_ilS6_S8_ilPT18_ili26rocblas_geam_ex_operation_.has_indirect_call, 0
	.section	.AMDGPU.csdata,"",@progbits
; Kernel info:
; codeLenInByte = 13036
; TotalNumSgprs: 35
; NumVgprs: 254
; NumAgprs: 0
; TotalNumVgprs: 254
; ScratchSize: 0
; MemoryBound: 0
; FloatMode: 240
; IeeeMode: 1
; LDSByteSize: 16384 bytes/workgroup (compile time only)
; SGPRBlocks: 4
; VGPRBlocks: 31
; NumSGPRsForWavesPerEU: 35
; NumVGPRsForWavesPerEU: 254
; AccumOffset: 256
; Occupancy: 2
; WaveLimiterHint : 1
; COMPUTE_PGM_RSRC2:SCRATCH_EN: 0
; COMPUTE_PGM_RSRC2:USER_SGPR: 2
; COMPUTE_PGM_RSRC2:TRAP_HANDLER: 0
; COMPUTE_PGM_RSRC2:TGID_X_EN: 1
; COMPUTE_PGM_RSRC2:TGID_Y_EN: 0
; COMPUTE_PGM_RSRC2:TGID_Z_EN: 1
; COMPUTE_PGM_RSRC2:TIDIG_COMP_CNT: 1
; COMPUTE_PGM_RSRC3_GFX90A:ACCUM_OFFSET: 63
; COMPUTE_PGM_RSRC3_GFX90A:TG_SPLIT: 0
	.section	.text._ZN12_GLOBAL__N_120geam_min_plus_kernelIdddLi4ELi64ELi128ELi128ELi4ELi4ELi64ELi64ELi4ELc84ELc84ELb1ELb0ELb0EdKPKdKPdEEviiiT16_PT17_ilS8_ilS6_S8_ilPT18_ili26rocblas_geam_ex_operation_,"axG",@progbits,_ZN12_GLOBAL__N_120geam_min_plus_kernelIdddLi4ELi64ELi128ELi128ELi4ELi4ELi64ELi64ELi4ELc84ELc84ELb1ELb0ELb0EdKPKdKPdEEviiiT16_PT17_ilS8_ilS6_S8_ilPT18_ili26rocblas_geam_ex_operation_,comdat
	.globl	_ZN12_GLOBAL__N_120geam_min_plus_kernelIdddLi4ELi64ELi128ELi128ELi4ELi4ELi64ELi64ELi4ELc84ELc84ELb1ELb0ELb0EdKPKdKPdEEviiiT16_PT17_ilS8_ilS6_S8_ilPT18_ili26rocblas_geam_ex_operation_ ; -- Begin function _ZN12_GLOBAL__N_120geam_min_plus_kernelIdddLi4ELi64ELi128ELi128ELi4ELi4ELi64ELi64ELi4ELc84ELc84ELb1ELb0ELb0EdKPKdKPdEEviiiT16_PT17_ilS8_ilS6_S8_ilPT18_ili26rocblas_geam_ex_operation_
	.p2align	8
	.type	_ZN12_GLOBAL__N_120geam_min_plus_kernelIdddLi4ELi64ELi128ELi128ELi4ELi4ELi64ELi64ELi4ELc84ELc84ELb1ELb0ELb0EdKPKdKPdEEviiiT16_PT17_ilS8_ilS6_S8_ilPT18_ili26rocblas_geam_ex_operation_,@function
_ZN12_GLOBAL__N_120geam_min_plus_kernelIdddLi4ELi64ELi128ELi128ELi4ELi4ELi64ELi64ELi4ELc84ELc84ELb1ELb0ELb0EdKPKdKPdEEviiiT16_PT17_ilS8_ilS6_S8_ilPT18_ili26rocblas_geam_ex_operation_: ; @_ZN12_GLOBAL__N_120geam_min_plus_kernelIdddLi4ELi64ELi128ELi128ELi4ELi4ELi64ELi64ELi4ELc84ELc84ELb1ELb0ELb0EdKPKdKPdEEviiiT16_PT17_ilS8_ilS6_S8_ilPT18_ili26rocblas_geam_ex_operation_
; %bb.0:
	s_load_dwordx4 s[4:7], s[0:1], 0x10
	s_load_dwordx4 s[8:11], s[0:1], 0x28
	s_mov_b32 s18, s3
	s_mov_b64 s[14:15], 0
	s_waitcnt lgkmcnt(0)
	v_cmp_eq_f64_e64 s[12:13], s[4:5], 0
	s_and_b64 vcc, exec, s[12:13]
	s_cbranch_vccnz .LBB148_2
; %bb.1:
	s_mov_b32 s19, 0
	s_lshl_b64 s[4:5], s[18:19], 3
	s_add_u32 s4, s6, s4
	s_addc_u32 s5, s7, s5
	s_load_dwordx2 s[4:5], s[4:5], 0x0
	s_lshl_b64 s[6:7], s[8:9], 3
	s_waitcnt lgkmcnt(0)
	s_add_u32 s14, s4, s6
	s_addc_u32 s15, s5, s7
.LBB148_2:
	s_load_dwordx4 s[4:7], s[0:1], 0x40
	s_load_dwordx2 s[20:21], s[0:1], 0x50
	s_andn2_b64 vcc, exec, s[12:13]
	s_mov_b32 s19, 0
	s_cbranch_vccnz .LBB148_4
; %bb.3:
	s_mov_b64 s[12:13], 0
	s_mov_b64 s[16:17], 0
	s_cbranch_execz .LBB148_5
	s_branch .LBB148_6
.LBB148_4:
	s_mov_b64 s[12:13], 0
	s_mov_b64 s[16:17], 0
.LBB148_5:
	s_lshl_b64 s[8:9], s[18:19], 3
	s_add_u32 s8, s10, s8
	s_addc_u32 s9, s11, s9
	s_load_dwordx2 s[8:9], s[8:9], 0x0
	s_waitcnt lgkmcnt(0)
	s_lshl_b64 s[4:5], s[4:5], 3
	s_add_u32 s16, s8, s4
	s_addc_u32 s17, s9, s5
.LBB148_6:
	s_load_dwordx4 s[8:11], s[0:1], 0x60
	s_waitcnt lgkmcnt(0)
	v_cmp_eq_f64_e64 s[4:5], s[6:7], 0
	s_and_b64 s[4:5], exec, s[4:5]
	s_mov_b64 vcc, s[4:5]
	s_cbranch_vccnz .LBB148_8
; %bb.7:
	s_lshl_b64 s[12:13], s[18:19], 3
	s_add_u32 s12, s20, s12
	s_addc_u32 s13, s21, s13
	s_load_dwordx2 s[12:13], s[12:13], 0x0
	s_lshl_b64 s[8:9], s[8:9], 3
	s_waitcnt lgkmcnt(0)
	s_add_u32 s12, s12, s8
	s_addc_u32 s13, s13, s9
.LBB148_8:
	s_load_dword s20, s[0:1], 0x38
	s_load_dword s3, s[0:1], 0x0
	;; [unrolled: 1-line block ×3, first 2 shown]
	s_lshl_b64 s[8:9], s[18:19], 3
	v_and_b32_e32 v148, 0x3ff, v0
	s_waitcnt lgkmcnt(0)
	s_ashr_i32 s18, s20, 31
	s_add_u32 s8, s10, s8
	s_addc_u32 s9, s11, s9
	s_add_i32 s3, s3, -1
	s_ashr_i32 s10, s3, 31
	s_lshr_b32 s10, s10, 25
	s_add_i32 s3, s3, s10
	s_ashr_i32 s3, s3, 7
	s_add_i32 s10, s3, 1
	v_cvt_f32_u32_e32 v1, s10
	s_not_b32 s3, s3
	v_bfe_u32 v149, v0, 10, 10
	v_and_b32_e32 v150, 3, v0
	v_rcp_iflag_f32_e32 v1, v1
	v_lshl_add_u32 v0, v149, 2, v148
	v_lshrrev_b32_e32 v16, 2, v0
	v_and_b32_e32 v17, 63, v0
	v_mul_f32_e32 v1, 0x4f7ffffe, v1
	v_cvt_u32_f32_e32 v1, v1
	v_lshrrev_b32_e32 v151, 6, v0
	v_lshlrev_b32_e32 v0, 3, v150
	v_add_u32_e32 v155, 4, v151
	v_readfirstlane_b32 s11, v1
	s_mul_i32 s3, s3, s11
	s_mul_hi_u32 s3, s11, s3
	s_add_i32 s11, s11, s3
	s_mul_hi_u32 s3, s2, s11
	s_mul_i32 s11, s3, s10
	s_sub_i32 s11, s2, s11
	s_add_i32 s19, s3, 1
	s_sub_i32 s22, s11, s10
	s_cmp_ge_u32 s11, s10
	s_cselect_b32 s3, s19, s3
	s_cselect_b32 s11, s22, s11
	s_add_i32 s19, s3, 1
	s_cmp_ge_u32 s11, s10
	s_cselect_b32 s3, s19, s3
	s_mul_i32 s10, s3, s10
	s_sub_i32 s2, s2, s10
	s_lshl_b32 s10, s2, 7
	s_lshl_b32 s11, s3, 7
	v_add_u32_e32 v12, s10, v16
	v_mov_b32_e32 v1, 0
	v_lshl_add_u64 v[2:3], s[14:15], 0, v[0:1]
	v_or_b32_e32 v132, s11, v17
	v_add_u32_e32 v1, 64, v12
	v_mad_i64_i32 v[4:5], s[2:3], s20, v151, 0
	v_ashrrev_i32_e32 v133, 31, v132
	v_mad_i64_i32 v[130:131], s[2:3], v1, s21, 0
	v_lshlrev_b32_e32 v1, 3, v151
	v_lshl_add_u64 v[4:5], v[4:5], 3, s[16:17]
	v_lshlrev_b64 v[6:7], 3, v[132:133]
	v_lshl_or_b32 v156, v16, 5, v0
	v_lshl_add_u32 v143, v17, 5, v1
	v_mad_i64_i32 v[0:1], s[2:3], s20, v155, 0
	v_lshl_add_u64 v[4:5], v[4:5], 0, v[6:7]
	v_mad_i64_i32 v[128:129], s[2:3], v12, s21, 0
	v_lshl_add_u64 v[0:1], v[0:1], 3, s[16:17]
	flat_load_dwordx2 v[8:9], v[4:5]
	flat_load_dwordx2 v[10:11], v[4:5] offset:512
	v_lshl_add_u64 v[4:5], v[128:129], 3, v[2:3]
	v_lshl_add_u64 v[0:1], v[0:1], 0, v[6:7]
	;; [unrolled: 1-line block ×3, first 2 shown]
	flat_load_dwordx2 v[12:13], v[4:5]
	flat_load_dwordx2 v[14:15], v[2:3]
	s_load_dwordx2 s[2:3], s[8:9], 0x0
	flat_load_dwordx2 v[134:135], v[0:1]
	flat_load_dwordx2 v[136:137], v[0:1] offset:512
	flat_load_dwordx2 v[138:139], v[2:3] offset:32
	;; [unrolled: 1-line block ×3, first 2 shown]
	v_lshlrev_b32_e32 v142, 5, v149
	v_mov_b64_e32 v[126:127], 0
	s_mov_b32 s19, 0
	v_mov_b64_e32 v[124:125], 0
	v_mov_b64_e32 v[122:123], 0
	;; [unrolled: 1-line block ×18, first 2 shown]
	v_lshlrev_b32_e32 v153, 5, v148
	v_add_u32_e32 v154, 0x2000, v142
	v_or_b32_e32 v157, 0x2000, v143
	v_mov_b64_e32 v[90:91], 0
	v_mov_b64_e32 v[86:87], 0
	;; [unrolled: 1-line block ×27, first 2 shown]
	s_waitcnt vmcnt(0) lgkmcnt(0)
	ds_write2st64_b64 v143, v[8:9], v[10:11] offset0:16 offset1:20
	ds_write2st64_b64 v156, v[12:13], v[14:15] offset1:4
	v_mov_b64_e32 v[34:35], 0
	v_mov_b64_e32 v[32:33], 0
	;; [unrolled: 1-line block ×18, first 2 shown]
	s_waitcnt lgkmcnt(0)
	s_barrier
.LBB148_9:                              ; =>This Inner Loop Header: Depth=1
	v_add_u32_e32 v152, s19, v153
	v_add_u32_e32 v186, s19, v154
	ds_read2_b64 v[144:147], v152 offset1:16
	ds_read2_b64 v[158:161], v152 offset0:32 offset1:48
	ds_read2_b64 v[162:165], v152 offset0:64 offset1:80
	;; [unrolled: 1-line block ×7, first 2 shown]
	ds_read2st64_b64 v[186:189], v186 offset1:4
	v_add_u32_e32 v152, 0x800, v152
	ds_read2_b64 v[190:193], v152 offset1:16
	ds_read2_b64 v[194:197], v152 offset0:32 offset1:48
	ds_read2_b64 v[198:201], v152 offset0:64 offset1:80
	;; [unrolled: 1-line block ×7, first 2 shown]
	s_waitcnt lgkmcnt(14)
	v_max_f64 v[144:145], v[144:145], v[144:145]
	v_max_f64 v[146:147], v[146:147], v[146:147]
	;; [unrolled: 1-line block ×6, first 2 shown]
	s_waitcnt lgkmcnt(13)
	v_max_f64 v[166:167], v[166:167], v[166:167]
	v_max_f64 v[168:169], v[168:169], v[168:169]
	s_waitcnt lgkmcnt(12)
	v_max_f64 v[170:171], v[170:171], v[170:171]
	v_max_f64 v[172:173], v[172:173], v[172:173]
	;; [unrolled: 3-line block ×14, first 2 shown]
	v_min_f64 v[222:223], v[144:145], v[186:187]
	v_min_f64 v[224:225], v[146:147], v[186:187]
	;; [unrolled: 1-line block ×32, first 2 shown]
	s_add_i32 s19, s19, 8
	v_add_f64 v[62:63], v[62:63], v[144:145]
	v_add_f64 v[60:61], v[60:61], v[146:147]
	;; [unrolled: 1-line block ×16, first 2 shown]
	v_min_f64 v[144:145], v[190:191], v[186:187]
	v_min_f64 v[146:147], v[192:193], v[186:187]
	;; [unrolled: 1-line block ×32, first 2 shown]
	s_cmp_eq_u32 s19, 32
	v_add_f64 v[126:127], v[126:127], v[222:223]
	v_add_f64 v[124:125], v[124:125], v[224:225]
	;; [unrolled: 1-line block ×48, first 2 shown]
	s_cbranch_scc0 .LBB148_9
; %bb.10:
	s_load_dword s19, s[0:1], 0x8
	ds_write2st64_b64 v156, v[140:141], v[138:139] offset0:8 offset1:12
	ds_write2st64_b64 v143, v[134:135], v[136:137] offset0:24 offset1:28
	s_waitcnt lgkmcnt(0)
	s_barrier
	s_cmp_gt_i32 s19, 8
	s_cbranch_scc1 .LBB148_12
; %bb.11:
	v_add_u32_e32 v152, 0x3000, v142
	s_cbranch_execz .LBB148_13
	s_branch .LBB148_19
.LBB148_12:
                                        ; implicit-def: $vgpr152
.LBB148_13:
	v_mov_b32_e32 v134, 0x1000
	v_add_u32_e32 v158, 0x1000, v156
	v_or_b32_e32 v159, 0x3000, v143
	s_add_i32 s8, s19, -8
	v_lshl_add_u32 v160, v148, 5, v134
	v_lshl_add_u64 v[132:133], v[132:133], 3, s[16:17]
	v_add_u32_e32 v152, 0x3000, v142
	s_mov_b32 s9, 8
	s_mov_b32 s16, 0
	v_mov_b32_e32 v135, 0
.LBB148_14:                             ; =>This Loop Header: Depth=1
                                        ;     Child Loop BB148_15 Depth 2
                                        ;     Child Loop BB148_17 Depth 2
	v_add_u32_e32 v146, s9, v151
	v_or_b32_e32 v134, s9, v150
	v_mad_u64_u32 v[144:145], s[22:23], v146, s20, 0
	v_lshl_add_u64 v[138:139], v[134:135], 3, s[14:15]
	v_mov_b32_e32 v134, v145
	v_mad_u64_u32 v[146:147], s[22:23], v146, s18, v[134:135]
	v_mov_b32_e32 v145, v146
	v_lshl_add_u64 v[136:137], v[128:129], 3, v[138:139]
	v_lshl_add_u64 v[146:147], v[144:145], 3, v[132:133]
	;; [unrolled: 1-line block ×3, first 2 shown]
	flat_load_dwordx2 v[140:141], v[136:137]
	flat_load_dwordx2 v[142:143], v[138:139]
	;; [unrolled: 1-line block ×3, first 2 shown]
	s_nop 0
	flat_load_dwordx2 v[146:147], v[146:147] offset:512
	s_mov_b32 s17, 0
.LBB148_15:                             ;   Parent Loop BB148_14 Depth=1
                                        ; =>  This Inner Loop Header: Depth=2
	v_add_u32_e32 v134, s17, v160
	ds_read2_b64 v[162:165], v134 offset1:16
	ds_read2_b64 v[166:169], v134 offset0:32 offset1:48
	ds_read2_b64 v[170:173], v134 offset0:64 offset1:80
	ds_read2_b64 v[174:177], v134 offset0:96 offset1:112
	ds_read2_b64 v[178:181], v134 offset0:128 offset1:144
	ds_read2_b64 v[182:185], v134 offset0:160 offset1:176
	ds_read2_b64 v[186:189], v134 offset0:192 offset1:208
	ds_read2_b64 v[190:193], v134 offset0:224 offset1:240
	v_add_u32_e32 v134, 0x800, v134
	ds_read2_b64 v[194:197], v134 offset1:16
	ds_read2_b64 v[198:201], v134 offset0:32 offset1:48
	ds_read2_b64 v[202:205], v134 offset0:64 offset1:80
	;; [unrolled: 1-line block ×7, first 2 shown]
	v_add_u32_e32 v134, s17, v152
	ds_read2st64_b64 v[226:229], v134 offset1:4
	s_waitcnt lgkmcnt(0)
	v_max_f64 v[162:163], v[162:163], v[162:163]
	v_max_f64 v[164:165], v[164:165], v[164:165]
	;; [unrolled: 1-line block ×5, first 2 shown]
	v_min_f64 v[230:231], v[162:163], v[226:227]
	v_add_f64 v[126:127], v[126:127], v[230:231]
	v_min_f64 v[230:231], v[164:165], v[226:227]
	v_add_f64 v[124:125], v[124:125], v[230:231]
	;; [unrolled: 2-line block ×3, first 2 shown]
	v_min_f64 v[230:231], v[168:169], v[226:227]
	v_max_f64 v[170:171], v[170:171], v[170:171]
	v_add_f64 v[120:121], v[120:121], v[230:231]
	v_min_f64 v[230:231], v[170:171], v[226:227]
	v_max_f64 v[172:173], v[172:173], v[172:173]
	v_add_f64 v[118:119], v[118:119], v[230:231]
	;; [unrolled: 3-line block ×26, first 2 shown]
	v_min_f64 v[230:231], v[220:221], v[226:227]
	v_max_f64 v[222:223], v[222:223], v[222:223]
	v_max_f64 v[224:225], v[224:225], v[224:225]
	v_add_f64 v[68:69], v[68:69], v[230:231]
	v_min_f64 v[230:231], v[222:223], v[226:227]
	v_min_f64 v[226:227], v[224:225], v[226:227]
	v_add_f64 v[64:65], v[64:65], v[226:227]
	v_max_f64 v[226:227], v[228:229], v[228:229]
	v_min_f64 v[162:163], v[162:163], v[226:227]
	v_add_f64 v[62:63], v[62:63], v[162:163]
	v_min_f64 v[162:163], v[164:165], v[226:227]
	v_add_f64 v[60:61], v[60:61], v[162:163]
	;; [unrolled: 2-line block ×31, first 2 shown]
	v_min_f64 v[162:163], v[224:225], v[226:227]
	s_add_i32 s17, s17, 8
	v_add_f64 v[66:67], v[66:67], v[230:231]
	v_add_f64 v[0:1], v[0:1], v[162:163]
	s_cmp_eq_u32 s17, 32
	s_cbranch_scc0 .LBB148_15
; %bb.16:                               ;   in Loop: Header=BB148_14 Depth=1
	s_waitcnt vmcnt(0)
	ds_write2st64_b64 v156, v[140:141], v[142:143] offset1:4
	ds_write2st64_b64 v157, v[144:145], v[146:147] offset1:4
	v_add_u32_e32 v142, s9, v155
	v_mad_u64_u32 v[140:141], s[22:23], v142, s20, 0
	v_mov_b32_e32 v134, v141
	v_mad_u64_u32 v[142:143], s[22:23], v142, s18, v[134:135]
	v_mov_b32_e32 v141, v142
	v_lshl_add_u64 v[142:143], v[140:141], 3, v[132:133]
	s_waitcnt lgkmcnt(0)
	s_barrier
	flat_load_dwordx2 v[136:137], v[136:137] offset:32
	s_nop 0
	flat_load_dwordx2 v[138:139], v[138:139] offset:32
	s_nop 0
	flat_load_dwordx2 v[140:141], v[142:143]
	s_nop 0
	flat_load_dwordx2 v[142:143], v[142:143] offset:512
	s_mov_b32 s17, 0
.LBB148_17:                             ;   Parent Loop BB148_14 Depth=1
                                        ; =>  This Inner Loop Header: Depth=2
	v_add_u32_e32 v134, s17, v153
	ds_read2_b64 v[144:147], v134 offset1:16
	ds_read2_b64 v[162:165], v134 offset0:32 offset1:48
	ds_read2_b64 v[166:169], v134 offset0:64 offset1:80
	;; [unrolled: 1-line block ×7, first 2 shown]
	v_add_u32_e32 v134, 0x800, v134
	ds_read2_b64 v[190:193], v134 offset1:16
	ds_read2_b64 v[194:197], v134 offset0:32 offset1:48
	ds_read2_b64 v[198:201], v134 offset0:64 offset1:80
	;; [unrolled: 1-line block ×7, first 2 shown]
	v_add_u32_e32 v134, s17, v154
	ds_read2st64_b64 v[222:225], v134 offset1:4
	s_waitcnt lgkmcnt(0)
	v_max_f64 v[144:145], v[144:145], v[144:145]
	v_max_f64 v[146:147], v[146:147], v[146:147]
	;; [unrolled: 1-line block ×5, first 2 shown]
	v_min_f64 v[226:227], v[144:145], v[222:223]
	v_add_f64 v[126:127], v[126:127], v[226:227]
	v_min_f64 v[226:227], v[146:147], v[222:223]
	v_add_f64 v[124:125], v[124:125], v[226:227]
	;; [unrolled: 2-line block ×3, first 2 shown]
	v_min_f64 v[226:227], v[164:165], v[222:223]
	v_max_f64 v[166:167], v[166:167], v[166:167]
	v_add_f64 v[120:121], v[120:121], v[226:227]
	v_min_f64 v[226:227], v[166:167], v[222:223]
	v_max_f64 v[168:169], v[168:169], v[168:169]
	v_add_f64 v[118:119], v[118:119], v[226:227]
	;; [unrolled: 3-line block ×26, first 2 shown]
	v_min_f64 v[226:227], v[216:217], v[222:223]
	v_max_f64 v[218:219], v[218:219], v[218:219]
	v_max_f64 v[220:221], v[220:221], v[220:221]
	v_add_f64 v[68:69], v[68:69], v[226:227]
	v_min_f64 v[226:227], v[218:219], v[222:223]
	v_min_f64 v[222:223], v[220:221], v[222:223]
	v_add_f64 v[64:65], v[64:65], v[222:223]
	v_max_f64 v[222:223], v[224:225], v[224:225]
	v_min_f64 v[144:145], v[144:145], v[222:223]
	v_add_f64 v[62:63], v[62:63], v[144:145]
	v_min_f64 v[144:145], v[146:147], v[222:223]
	v_add_f64 v[60:61], v[60:61], v[144:145]
	;; [unrolled: 2-line block ×31, first 2 shown]
	v_min_f64 v[144:145], v[220:221], v[222:223]
	s_add_i32 s17, s17, 8
	v_add_f64 v[66:67], v[66:67], v[226:227]
	v_add_f64 v[0:1], v[0:1], v[144:145]
	s_cmp_eq_u32 s17, 32
	s_cbranch_scc0 .LBB148_17
; %bb.18:                               ;   in Loop: Header=BB148_14 Depth=1
	s_add_i32 s9, s9, 8
	s_add_i32 s16, s16, 8
	s_cmp_ge_i32 s16, s8
	s_waitcnt vmcnt(0)
	ds_write2st64_b64 v158, v[136:137], v[138:139] offset1:4
	ds_write2st64_b64 v159, v[140:141], v[142:143] offset1:4
	s_waitcnt lgkmcnt(0)
	s_barrier
	s_cbranch_scc0 .LBB148_14
.LBB148_19:
	v_mov_b32_e32 v128, 0x1000
	v_lshl_add_u32 v128, v148, 5, v128
	s_mov_b32 s8, 0
.LBB148_20:                             ; =>This Inner Loop Header: Depth=1
	v_add_u32_e32 v129, s8, v128
	v_add_u32_e32 v146, s8, v152
	ds_read2_b64 v[130:133], v129 offset1:16
	ds_read2_b64 v[134:137], v129 offset0:32 offset1:48
	ds_read2_b64 v[138:141], v129 offset0:64 offset1:80
	;; [unrolled: 1-line block ×7, first 2 shown]
	v_add_u32_e32 v129, 0x800, v129
	ds_read2st64_b64 v[170:173], v146 offset1:4
	ds_read2_b64 v[174:177], v129 offset1:16
	ds_read2_b64 v[178:181], v129 offset0:32 offset1:48
	ds_read2_b64 v[182:185], v129 offset0:64 offset1:80
	;; [unrolled: 1-line block ×7, first 2 shown]
	s_waitcnt lgkmcnt(14)
	v_max_f64 v[130:131], v[130:131], v[130:131]
	v_max_f64 v[132:133], v[132:133], v[132:133]
	;; [unrolled: 1-line block ×3, first 2 shown]
	s_waitcnt lgkmcnt(8)
	v_max_f64 v[146:147], v[170:171], v[170:171]
	v_max_f64 v[136:137], v[136:137], v[136:137]
	;; [unrolled: 1-line block ×15, first 2 shown]
	v_min_f64 v[170:171], v[130:131], v[146:147]
	v_min_f64 v[172:173], v[132:133], v[146:147]
	;; [unrolled: 1-line block ×16, first 2 shown]
	s_waitcnt lgkmcnt(7)
	v_max_f64 v[174:175], v[174:175], v[174:175]
	v_max_f64 v[176:177], v[176:177], v[176:177]
	s_waitcnt lgkmcnt(6)
	v_max_f64 v[178:179], v[178:179], v[178:179]
	v_max_f64 v[180:181], v[180:181], v[180:181]
	;; [unrolled: 3-line block ×8, first 2 shown]
	v_min_f64 v[130:131], v[130:131], v[168:169]
	v_min_f64 v[132:133], v[132:133], v[168:169]
	;; [unrolled: 1-line block ×16, first 2 shown]
	s_add_i32 s8, s8, 8
	v_add_f64 v[126:127], v[126:127], v[170:171]
	v_add_f64 v[124:125], v[124:125], v[172:173]
	;; [unrolled: 1-line block ×15, first 2 shown]
	v_min_f64 v[170:171], v[174:175], v[146:147]
	v_min_f64 v[172:173], v[176:177], v[146:147]
	;; [unrolled: 1-line block ×16, first 2 shown]
	v_add_f64 v[62:63], v[62:63], v[130:131]
	v_add_f64 v[60:61], v[60:61], v[132:133]
	;; [unrolled: 1-line block ×16, first 2 shown]
	v_min_f64 v[130:131], v[174:175], v[168:169]
	v_min_f64 v[132:133], v[176:177], v[168:169]
	;; [unrolled: 1-line block ×16, first 2 shown]
	s_cmp_eq_u32 s8, 32
	v_add_f64 v[96:97], v[96:97], v[232:233]
	v_add_f64 v[94:95], v[94:95], v[170:171]
	;; [unrolled: 1-line block ×33, first 2 shown]
	s_cbranch_scc0 .LBB148_20
; %bb.21:
	s_load_dwordx2 s[14:15], s[0:1], 0x78
	s_load_dword s8, s[0:1], 0x58
	s_load_dword s9, s[0:1], 0x70
	v_add_u32_e32 v170, s11, v149
	v_add_u32_e32 v130, s10, v148
	s_waitcnt lgkmcnt(0)
	s_lshl_b64 s[0:1], s[14:15], 3
	s_add_u32 s0, s2, s0
	s_addc_u32 s1, s3, s1
	v_mad_i64_i32 v[132:133], s[2:3], v170, s9, 0
	v_add_u32_e32 v128, 4, v130
	v_lshl_add_u64 v[138:139], v[132:133], 3, s[0:1]
	v_mad_i64_i32 v[132:133], s[2:3], v170, s8, 0
	v_ashrrev_i32_e32 v131, 31, v130
	v_ashrrev_i32_e32 v129, 31, v128
	s_mov_b64 s[2:3], -1
	s_mov_b64 vcc, s[4:5]
	s_cbranch_vccz .LBB148_23
; %bb.22:
	v_add_f64 v[134:135], v[126:127], 0
	v_lshl_add_u64 v[136:137], v[130:131], 3, v[138:139]
	s_mov_b64 s[2:3], 0
	flat_store_dwordx2 v[136:137], v[134:135]
.LBB148_23:
	v_lshl_add_u64 v[146:147], v[132:133], 3, s[12:13]
	v_mov_b64_e32 v[136:137], 0
	s_andn2_b64 vcc, exec, s[2:3]
	v_lshlrev_b64 v[134:135], 3, v[130:131]
	s_cbranch_vccnz .LBB148_25
; %bb.24:
	v_lshl_add_u64 v[132:133], v[146:147], 0, v[134:135]
	flat_load_dwordx2 v[132:133], v[132:133]
	v_lshl_add_u64 v[136:137], v[138:139], 0, v[134:135]
	s_waitcnt vmcnt(0) lgkmcnt(0)
	v_fmac_f64_e32 v[126:127], s[6:7], v[132:133]
	flat_store_dwordx2 v[136:137], v[126:127]
	v_lshl_add_u64 v[126:127], v[128:129], 3, v[146:147]
	flat_load_dwordx2 v[126:127], v[126:127]
	s_waitcnt vmcnt(0) lgkmcnt(0)
	v_mul_f64 v[136:137], s[6:7], v[126:127]
.LBB148_25:
	v_add_u32_e32 v132, 8, v130
	v_add_u32_e32 v126, 12, v130
	v_ashrrev_i32_e32 v133, 31, v132
	v_ashrrev_i32_e32 v127, 31, v126
	v_add_f64 v[124:125], v[124:125], v[136:137]
	v_lshl_add_u64 v[136:137], v[128:129], 3, v[138:139]
	s_mov_b64 s[2:3], -1
	s_mov_b64 vcc, s[4:5]
	flat_store_dwordx2 v[136:137], v[124:125]
	s_cbranch_vccz .LBB148_27
; %bb.26:
	v_add_f64 v[124:125], v[122:123], 0
	v_lshl_add_u64 v[136:137], v[132:133], 3, v[138:139]
	s_mov_b64 s[2:3], 0
	flat_store_dwordx2 v[136:137], v[124:125]
.LBB148_27:
	v_mov_b64_e32 v[140:141], 0
	s_andn2_b64 vcc, exec, s[2:3]
	v_lshlrev_b64 v[136:137], 3, v[132:133]
	s_cbranch_vccnz .LBB148_29
; %bb.28:
	v_lshl_add_u64 v[124:125], v[146:147], 0, v[136:137]
	flat_load_dwordx2 v[124:125], v[124:125]
	v_lshl_add_u64 v[140:141], v[138:139], 0, v[136:137]
	s_waitcnt vmcnt(0) lgkmcnt(0)
	v_fmac_f64_e32 v[122:123], s[6:7], v[124:125]
	flat_store_dwordx2 v[140:141], v[122:123]
	v_lshl_add_u64 v[122:123], v[126:127], 3, v[146:147]
	flat_load_dwordx2 v[122:123], v[122:123]
	s_waitcnt vmcnt(0) lgkmcnt(0)
	v_mul_f64 v[140:141], s[6:7], v[122:123]
.LBB148_29:
	v_add_u32_e32 v124, 16, v130
	v_add_u32_e32 v122, 20, v130
	v_ashrrev_i32_e32 v125, 31, v124
	v_ashrrev_i32_e32 v123, 31, v122
	v_add_f64 v[120:121], v[120:121], v[140:141]
	v_lshl_add_u64 v[140:141], v[126:127], 3, v[138:139]
	s_mov_b64 s[2:3], -1
	s_mov_b64 vcc, s[4:5]
	flat_store_dwordx2 v[140:141], v[120:121]
	s_cbranch_vccz .LBB148_31
; %bb.30:
	v_add_f64 v[120:121], v[118:119], 0
	v_lshl_add_u64 v[140:141], v[124:125], 3, v[138:139]
	s_mov_b64 s[2:3], 0
	flat_store_dwordx2 v[140:141], v[120:121]
.LBB148_31:
	;; [unrolled: 32-line block ×15, first 2 shown]
	v_mov_b64_e32 v[168:169], 0
	s_andn2_b64 vcc, exec, s[2:3]
	v_lshlrev_b64 v[68:69], 3, v[72:73]
	s_cbranch_vccnz .LBB148_85
; %bb.84:
	v_lshl_add_u64 v[168:169], v[146:147], 0, v[68:69]
	flat_load_dwordx2 v[168:169], v[168:169]
	v_lshl_add_u64 v[172:173], v[138:139], 0, v[68:69]
	s_waitcnt vmcnt(0) lgkmcnt(0)
	v_fmac_f64_e32 v[66:67], s[6:7], v[168:169]
	flat_store_dwordx2 v[172:173], v[66:67]
	v_lshl_add_u64 v[66:67], v[70:71], 3, v[146:147]
	flat_load_dwordx2 v[66:67], v[66:67]
	s_waitcnt vmcnt(0) lgkmcnt(0)
	v_mul_f64 v[168:169], s[6:7], v[66:67]
.LBB148_85:
	v_add_f64 v[64:65], v[64:65], v[168:169]
	v_lshl_add_u64 v[66:67], v[70:71], 3, v[138:139]
	flat_store_dwordx2 v[66:67], v[64:65]
	v_add_u32_e32 v66, 64, v170
	v_mad_i64_i32 v[64:65], s[2:3], v66, s9, 0
	v_lshl_add_u64 v[64:65], v[64:65], 3, s[0:1]
	v_mad_i64_i32 v[66:67], s[0:1], v66, s8, 0
	s_mov_b64 s[0:1], -1
	s_mov_b64 vcc, s[4:5]
	s_cbranch_vccz .LBB148_87
; %bb.86:
	v_add_f64 v[138:139], v[62:63], 0
	v_lshl_add_u64 v[130:131], v[130:131], 3, v[64:65]
	s_mov_b64 s[0:1], 0
	flat_store_dwordx2 v[130:131], v[138:139]
.LBB148_87:
	v_lshl_add_u64 v[66:67], v[66:67], 3, s[12:13]
	s_andn2_b64 vcc, exec, s[0:1]
	v_mov_b64_e32 v[130:131], 0
	s_cbranch_vccnz .LBB148_89
; %bb.88:
	v_lshl_add_u64 v[130:131], v[66:67], 0, v[134:135]
	flat_load_dwordx2 v[130:131], v[130:131]
	v_lshl_add_u64 v[134:135], v[64:65], 0, v[134:135]
	s_waitcnt vmcnt(0) lgkmcnt(0)
	v_fmac_f64_e32 v[62:63], s[6:7], v[130:131]
	flat_store_dwordx2 v[134:135], v[62:63]
	v_lshl_add_u64 v[62:63], v[128:129], 3, v[66:67]
	flat_load_dwordx2 v[62:63], v[62:63]
	s_waitcnt vmcnt(0) lgkmcnt(0)
	v_mul_f64 v[130:131], s[6:7], v[62:63]
.LBB148_89:
	v_add_f64 v[60:61], v[60:61], v[130:131]
	v_lshl_add_u64 v[62:63], v[128:129], 3, v[64:65]
	s_mov_b64 s[0:1], -1
	s_mov_b64 vcc, s[4:5]
	flat_store_dwordx2 v[62:63], v[60:61]
	s_cbranch_vccz .LBB148_91
; %bb.90:
	v_add_f64 v[60:61], v[58:59], 0
	v_lshl_add_u64 v[62:63], v[132:133], 3, v[64:65]
	s_mov_b64 s[0:1], 0
	flat_store_dwordx2 v[62:63], v[60:61]
.LBB148_91:
	s_andn2_b64 vcc, exec, s[0:1]
	v_mov_b64_e32 v[60:61], 0
	s_cbranch_vccnz .LBB148_93
; %bb.92:
	v_lshl_add_u64 v[60:61], v[66:67], 0, v[136:137]
	flat_load_dwordx2 v[60:61], v[60:61]
	v_lshl_add_u64 v[62:63], v[64:65], 0, v[136:137]
	s_waitcnt vmcnt(0) lgkmcnt(0)
	v_fmac_f64_e32 v[58:59], s[6:7], v[60:61]
	flat_store_dwordx2 v[62:63], v[58:59]
	v_lshl_add_u64 v[58:59], v[126:127], 3, v[66:67]
	flat_load_dwordx2 v[58:59], v[58:59]
	s_waitcnt vmcnt(0) lgkmcnt(0)
	v_mul_f64 v[60:61], s[6:7], v[58:59]
.LBB148_93:
	v_add_f64 v[56:57], v[56:57], v[60:61]
	v_lshl_add_u64 v[58:59], v[126:127], 3, v[64:65]
	s_mov_b64 s[0:1], -1
	s_mov_b64 vcc, s[4:5]
	flat_store_dwordx2 v[58:59], v[56:57]
	s_cbranch_vccz .LBB148_95
; %bb.94:
	v_add_f64 v[56:57], v[54:55], 0
	v_lshl_add_u64 v[58:59], v[124:125], 3, v[64:65]
	s_mov_b64 s[0:1], 0
	flat_store_dwordx2 v[58:59], v[56:57]
.LBB148_95:
	;; [unrolled: 27-line block ×14, first 2 shown]
	s_andn2_b64 vcc, exec, s[0:1]
	v_mov_b64_e32 v[8:9], 0
	s_cbranch_vccnz .LBB148_145
; %bb.144:
	v_lshl_add_u64 v[8:9], v[66:67], 0, v[166:167]
	flat_load_dwordx2 v[8:9], v[8:9]
	v_lshl_add_u64 v[10:11], v[64:65], 0, v[166:167]
	s_waitcnt vmcnt(0) lgkmcnt(0)
	v_fmac_f64_e32 v[6:7], s[6:7], v[8:9]
	flat_store_dwordx2 v[10:11], v[6:7]
	v_lshl_add_u64 v[6:7], v[74:75], 3, v[66:67]
	flat_load_dwordx2 v[6:7], v[6:7]
	s_waitcnt vmcnt(0) lgkmcnt(0)
	v_mul_f64 v[8:9], s[6:7], v[6:7]
.LBB148_145:
	v_add_f64 v[4:5], v[4:5], v[8:9]
	v_lshl_add_u64 v[6:7], v[74:75], 3, v[64:65]
	s_mov_b64 s[0:1], -1
	s_mov_b64 vcc, s[4:5]
	flat_store_dwordx2 v[6:7], v[4:5]
	s_cbranch_vccnz .LBB148_148
; %bb.146:
	s_andn2_b64 vcc, exec, s[0:1]
	v_mov_b64_e32 v[4:5], 0
	s_cbranch_vccz .LBB148_149
.LBB148_147:
	v_add_f64 v[0:1], v[0:1], v[4:5]
	v_lshl_add_u64 v[2:3], v[70:71], 3, v[64:65]
	flat_store_dwordx2 v[2:3], v[0:1]
	s_endpgm
.LBB148_148:
	v_add_f64 v[4:5], v[2:3], 0
	v_lshl_add_u64 v[6:7], v[72:73], 3, v[64:65]
	flat_store_dwordx2 v[6:7], v[4:5]
	v_mov_b64_e32 v[4:5], 0
	s_cbranch_execnz .LBB148_147
.LBB148_149:
	v_lshl_add_u64 v[4:5], v[66:67], 0, v[68:69]
	flat_load_dwordx2 v[4:5], v[4:5]
	v_lshl_add_u64 v[6:7], v[64:65], 0, v[68:69]
	s_waitcnt vmcnt(0) lgkmcnt(0)
	v_fmac_f64_e32 v[2:3], s[6:7], v[4:5]
	flat_store_dwordx2 v[6:7], v[2:3]
	v_lshl_add_u64 v[2:3], v[70:71], 3, v[66:67]
	flat_load_dwordx2 v[2:3], v[2:3]
	s_waitcnt vmcnt(0) lgkmcnt(0)
	v_mul_f64 v[4:5], s[6:7], v[2:3]
	v_add_f64 v[0:1], v[0:1], v[4:5]
	v_lshl_add_u64 v[2:3], v[70:71], 3, v[64:65]
	flat_store_dwordx2 v[2:3], v[0:1]
	s_endpgm
	.section	.rodata,"a",@progbits
	.p2align	6, 0x0
	.amdhsa_kernel _ZN12_GLOBAL__N_120geam_min_plus_kernelIdddLi4ELi64ELi128ELi128ELi4ELi4ELi64ELi64ELi4ELc84ELc84ELb1ELb0ELb0EdKPKdKPdEEviiiT16_PT17_ilS8_ilS6_S8_ilPT18_ili26rocblas_geam_ex_operation_
		.amdhsa_group_segment_fixed_size 16384
		.amdhsa_private_segment_fixed_size 0
		.amdhsa_kernarg_size 136
		.amdhsa_user_sgpr_count 2
		.amdhsa_user_sgpr_dispatch_ptr 0
		.amdhsa_user_sgpr_queue_ptr 0
		.amdhsa_user_sgpr_kernarg_segment_ptr 1
		.amdhsa_user_sgpr_dispatch_id 0
		.amdhsa_user_sgpr_kernarg_preload_length 0
		.amdhsa_user_sgpr_kernarg_preload_offset 0
		.amdhsa_user_sgpr_private_segment_size 0
		.amdhsa_uses_dynamic_stack 0
		.amdhsa_enable_private_segment 0
		.amdhsa_system_sgpr_workgroup_id_x 1
		.amdhsa_system_sgpr_workgroup_id_y 0
		.amdhsa_system_sgpr_workgroup_id_z 1
		.amdhsa_system_sgpr_workgroup_info 0
		.amdhsa_system_vgpr_workitem_id 1
		.amdhsa_next_free_vgpr 254
		.amdhsa_next_free_sgpr 24
		.amdhsa_accum_offset 256
		.amdhsa_reserve_vcc 1
		.amdhsa_float_round_mode_32 0
		.amdhsa_float_round_mode_16_64 0
		.amdhsa_float_denorm_mode_32 3
		.amdhsa_float_denorm_mode_16_64 3
		.amdhsa_dx10_clamp 1
		.amdhsa_ieee_mode 1
		.amdhsa_fp16_overflow 0
		.amdhsa_tg_split 0
		.amdhsa_exception_fp_ieee_invalid_op 0
		.amdhsa_exception_fp_denorm_src 0
		.amdhsa_exception_fp_ieee_div_zero 0
		.amdhsa_exception_fp_ieee_overflow 0
		.amdhsa_exception_fp_ieee_underflow 0
		.amdhsa_exception_fp_ieee_inexact 0
		.amdhsa_exception_int_div_zero 0
	.end_amdhsa_kernel
	.section	.text._ZN12_GLOBAL__N_120geam_min_plus_kernelIdddLi4ELi64ELi128ELi128ELi4ELi4ELi64ELi64ELi4ELc84ELc84ELb1ELb0ELb0EdKPKdKPdEEviiiT16_PT17_ilS8_ilS6_S8_ilPT18_ili26rocblas_geam_ex_operation_,"axG",@progbits,_ZN12_GLOBAL__N_120geam_min_plus_kernelIdddLi4ELi64ELi128ELi128ELi4ELi4ELi64ELi64ELi4ELc84ELc84ELb1ELb0ELb0EdKPKdKPdEEviiiT16_PT17_ilS8_ilS6_S8_ilPT18_ili26rocblas_geam_ex_operation_,comdat
.Lfunc_end148:
	.size	_ZN12_GLOBAL__N_120geam_min_plus_kernelIdddLi4ELi64ELi128ELi128ELi4ELi4ELi64ELi64ELi4ELc84ELc84ELb1ELb0ELb0EdKPKdKPdEEviiiT16_PT17_ilS8_ilS6_S8_ilPT18_ili26rocblas_geam_ex_operation_, .Lfunc_end148-_ZN12_GLOBAL__N_120geam_min_plus_kernelIdddLi4ELi64ELi128ELi128ELi4ELi4ELi64ELi64ELi4ELc84ELc84ELb1ELb0ELb0EdKPKdKPdEEviiiT16_PT17_ilS8_ilS6_S8_ilPT18_ili26rocblas_geam_ex_operation_
                                        ; -- End function
	.set _ZN12_GLOBAL__N_120geam_min_plus_kernelIdddLi4ELi64ELi128ELi128ELi4ELi4ELi64ELi64ELi4ELc84ELc84ELb1ELb0ELb0EdKPKdKPdEEviiiT16_PT17_ilS8_ilS6_S8_ilPT18_ili26rocblas_geam_ex_operation_.num_vgpr, 254
	.set _ZN12_GLOBAL__N_120geam_min_plus_kernelIdddLi4ELi64ELi128ELi128ELi4ELi4ELi64ELi64ELi4ELc84ELc84ELb1ELb0ELb0EdKPKdKPdEEviiiT16_PT17_ilS8_ilS6_S8_ilPT18_ili26rocblas_geam_ex_operation_.num_agpr, 0
	.set _ZN12_GLOBAL__N_120geam_min_plus_kernelIdddLi4ELi64ELi128ELi128ELi4ELi4ELi64ELi64ELi4ELc84ELc84ELb1ELb0ELb0EdKPKdKPdEEviiiT16_PT17_ilS8_ilS6_S8_ilPT18_ili26rocblas_geam_ex_operation_.numbered_sgpr, 24
	.set _ZN12_GLOBAL__N_120geam_min_plus_kernelIdddLi4ELi64ELi128ELi128ELi4ELi4ELi64ELi64ELi4ELc84ELc84ELb1ELb0ELb0EdKPKdKPdEEviiiT16_PT17_ilS8_ilS6_S8_ilPT18_ili26rocblas_geam_ex_operation_.num_named_barrier, 0
	.set _ZN12_GLOBAL__N_120geam_min_plus_kernelIdddLi4ELi64ELi128ELi128ELi4ELi4ELi64ELi64ELi4ELc84ELc84ELb1ELb0ELb0EdKPKdKPdEEviiiT16_PT17_ilS8_ilS6_S8_ilPT18_ili26rocblas_geam_ex_operation_.private_seg_size, 0
	.set _ZN12_GLOBAL__N_120geam_min_plus_kernelIdddLi4ELi64ELi128ELi128ELi4ELi4ELi64ELi64ELi4ELc84ELc84ELb1ELb0ELb0EdKPKdKPdEEviiiT16_PT17_ilS8_ilS6_S8_ilPT18_ili26rocblas_geam_ex_operation_.uses_vcc, 1
	.set _ZN12_GLOBAL__N_120geam_min_plus_kernelIdddLi4ELi64ELi128ELi128ELi4ELi4ELi64ELi64ELi4ELc84ELc84ELb1ELb0ELb0EdKPKdKPdEEviiiT16_PT17_ilS8_ilS6_S8_ilPT18_ili26rocblas_geam_ex_operation_.uses_flat_scratch, 0
	.set _ZN12_GLOBAL__N_120geam_min_plus_kernelIdddLi4ELi64ELi128ELi128ELi4ELi4ELi64ELi64ELi4ELc84ELc84ELb1ELb0ELb0EdKPKdKPdEEviiiT16_PT17_ilS8_ilS6_S8_ilPT18_ili26rocblas_geam_ex_operation_.has_dyn_sized_stack, 0
	.set _ZN12_GLOBAL__N_120geam_min_plus_kernelIdddLi4ELi64ELi128ELi128ELi4ELi4ELi64ELi64ELi4ELc84ELc84ELb1ELb0ELb0EdKPKdKPdEEviiiT16_PT17_ilS8_ilS6_S8_ilPT18_ili26rocblas_geam_ex_operation_.has_recursion, 0
	.set _ZN12_GLOBAL__N_120geam_min_plus_kernelIdddLi4ELi64ELi128ELi128ELi4ELi4ELi64ELi64ELi4ELc84ELc84ELb1ELb0ELb0EdKPKdKPdEEviiiT16_PT17_ilS8_ilS6_S8_ilPT18_ili26rocblas_geam_ex_operation_.has_indirect_call, 0
	.section	.AMDGPU.csdata,"",@progbits
; Kernel info:
; codeLenInByte = 12524
; TotalNumSgprs: 30
; NumVgprs: 254
; NumAgprs: 0
; TotalNumVgprs: 254
; ScratchSize: 0
; MemoryBound: 0
; FloatMode: 240
; IeeeMode: 1
; LDSByteSize: 16384 bytes/workgroup (compile time only)
; SGPRBlocks: 3
; VGPRBlocks: 31
; NumSGPRsForWavesPerEU: 30
; NumVGPRsForWavesPerEU: 254
; AccumOffset: 256
; Occupancy: 2
; WaveLimiterHint : 1
; COMPUTE_PGM_RSRC2:SCRATCH_EN: 0
; COMPUTE_PGM_RSRC2:USER_SGPR: 2
; COMPUTE_PGM_RSRC2:TRAP_HANDLER: 0
; COMPUTE_PGM_RSRC2:TGID_X_EN: 1
; COMPUTE_PGM_RSRC2:TGID_Y_EN: 0
; COMPUTE_PGM_RSRC2:TGID_Z_EN: 1
; COMPUTE_PGM_RSRC2:TIDIG_COMP_CNT: 1
; COMPUTE_PGM_RSRC3_GFX90A:ACCUM_OFFSET: 63
; COMPUTE_PGM_RSRC3_GFX90A:TG_SPLIT: 0
	.section	.text._ZN12_GLOBAL__N_120geam_min_plus_kernelIdddLi4ELi64ELi128ELi128ELi4ELi4ELi64ELi64ELi4ELc84ELc84ELb0ELb0ELb0EdKPKdKPdEEviiiT16_PT17_ilS8_ilS6_S8_ilPT18_ili26rocblas_geam_ex_operation_,"axG",@progbits,_ZN12_GLOBAL__N_120geam_min_plus_kernelIdddLi4ELi64ELi128ELi128ELi4ELi4ELi64ELi64ELi4ELc84ELc84ELb0ELb0ELb0EdKPKdKPdEEviiiT16_PT17_ilS8_ilS6_S8_ilPT18_ili26rocblas_geam_ex_operation_,comdat
	.globl	_ZN12_GLOBAL__N_120geam_min_plus_kernelIdddLi4ELi64ELi128ELi128ELi4ELi4ELi64ELi64ELi4ELc84ELc84ELb0ELb0ELb0EdKPKdKPdEEviiiT16_PT17_ilS8_ilS6_S8_ilPT18_ili26rocblas_geam_ex_operation_ ; -- Begin function _ZN12_GLOBAL__N_120geam_min_plus_kernelIdddLi4ELi64ELi128ELi128ELi4ELi4ELi64ELi64ELi4ELc84ELc84ELb0ELb0ELb0EdKPKdKPdEEviiiT16_PT17_ilS8_ilS6_S8_ilPT18_ili26rocblas_geam_ex_operation_
	.p2align	8
	.type	_ZN12_GLOBAL__N_120geam_min_plus_kernelIdddLi4ELi64ELi128ELi128ELi4ELi4ELi64ELi64ELi4ELc84ELc84ELb0ELb0ELb0EdKPKdKPdEEviiiT16_PT17_ilS8_ilS6_S8_ilPT18_ili26rocblas_geam_ex_operation_,@function
_ZN12_GLOBAL__N_120geam_min_plus_kernelIdddLi4ELi64ELi128ELi128ELi4ELi4ELi64ELi64ELi4ELc84ELc84ELb0ELb0ELb0EdKPKdKPdEEviiiT16_PT17_ilS8_ilS6_S8_ilPT18_ili26rocblas_geam_ex_operation_: ; @_ZN12_GLOBAL__N_120geam_min_plus_kernelIdddLi4ELi64ELi128ELi128ELi4ELi4ELi64ELi64ELi4ELc84ELc84ELb0ELb0ELb0EdKPKdKPdEEviiiT16_PT17_ilS8_ilS6_S8_ilPT18_ili26rocblas_geam_ex_operation_
; %bb.0:
	s_load_dwordx4 s[12:15], s[0:1], 0x10
	s_load_dwordx4 s[16:19], s[0:1], 0x28
	s_mov_b32 s6, s3
	s_mov_b64 s[20:21], 0
	s_waitcnt lgkmcnt(0)
	v_cmp_eq_f64_e64 s[22:23], s[12:13], 0
	s_and_b64 s[4:5], exec, s[22:23]
	s_mov_b64 vcc, s[4:5]
	s_cbranch_vccnz .LBB149_2
; %bb.1:
	s_mov_b32 s7, 0
	s_lshl_b64 s[8:9], s[6:7], 3
	s_add_u32 s8, s14, s8
	s_addc_u32 s9, s15, s9
	s_load_dwordx2 s[8:9], s[8:9], 0x0
	s_lshl_b64 s[10:11], s[16:17], 3
	s_waitcnt lgkmcnt(0)
	s_add_u32 s20, s8, s10
	s_addc_u32 s21, s9, s11
.LBB149_2:
	s_load_dwordx4 s[8:11], s[0:1], 0x40
	s_load_dwordx2 s[26:27], s[0:1], 0x50
	s_andn2_b64 vcc, exec, s[22:23]
	s_mov_b32 s7, 0
	s_cbranch_vccnz .LBB149_4
; %bb.3:
	s_mov_b64 s[14:15], 0
	s_mov_b64 s[22:23], 0
	s_cbranch_execz .LBB149_5
	s_branch .LBB149_6
.LBB149_4:
	s_mov_b64 s[14:15], 0
	s_mov_b64 s[22:23], 0
.LBB149_5:
	s_lshl_b64 s[16:17], s[6:7], 3
	s_add_u32 s16, s18, s16
	s_addc_u32 s17, s19, s17
	s_load_dwordx2 s[16:17], s[16:17], 0x0
	s_waitcnt lgkmcnt(0)
	s_lshl_b64 s[8:9], s[8:9], 3
	s_add_u32 s22, s16, s8
	s_addc_u32 s23, s17, s9
.LBB149_6:
	s_load_dwordx4 s[16:19], s[0:1], 0x60
	s_waitcnt lgkmcnt(0)
	v_cmp_eq_f64_e64 s[8:9], s[10:11], 0
	s_and_b64 s[8:9], exec, s[8:9]
	v_cmp_neq_f64_e64 s[24:25], s[12:13], 0
	s_mov_b64 vcc, s[8:9]
	s_cbranch_vccnz .LBB149_8
; %bb.7:
	s_lshl_b64 s[14:15], s[6:7], 3
	s_add_u32 s14, s26, s14
	s_addc_u32 s15, s27, s15
	s_load_dwordx2 s[14:15], s[14:15], 0x0
	s_lshl_b64 s[16:17], s[16:17], 3
	s_waitcnt lgkmcnt(0)
	s_add_u32 s14, s14, s16
	s_addc_u32 s15, s15, s17
.LBB149_8:
	s_load_dword s3, s[0:1], 0x0
	s_load_dword s28, s[0:1], 0x20
	s_lshl_b64 s[6:7], s[6:7], 3
	s_add_u32 s16, s18, s6
	s_addc_u32 s17, s19, s7
	s_waitcnt lgkmcnt(0)
	s_add_i32 s3, s3, -1
	s_ashr_i32 s6, s3, 31
	s_lshr_b32 s6, s6, 25
	s_add_i32 s3, s3, s6
	s_ashr_i32 s3, s3, 7
	s_add_i32 s6, s3, 1
	v_cvt_f32_u32_e32 v1, s6
	v_and_b32_e32 v148, 0x3ff, v0
	v_bfe_u32 v149, v0, 10, 10
	v_and_b32_e32 v150, 3, v0
	v_rcp_iflag_f32_e32 v1, v1
	s_not_b32 s3, s3
	v_lshl_add_u32 v2, v149, 2, v148
	v_lshrrev_b32_e32 v141, 2, v2
	v_mul_f32_e32 v0, 0x4f7ffffe, v1
	v_cvt_u32_f32_e32 v1, v0
	v_lshlrev_b32_e32 v0, 3, v150
	v_cndmask_b32_e64 v3, 0, 1, s[24:25]
	v_readfirstlane_b32 s7, v1
	s_mul_i32 s3, s3, s7
	s_mul_hi_u32 s3, s7, s3
	s_add_i32 s7, s7, s3
	s_mul_hi_u32 s3, s2, s7
	s_mul_i32 s7, s3, s6
	s_sub_i32 s7, s2, s7
	s_add_i32 s18, s3, 1
	s_sub_i32 s19, s7, s6
	s_cmp_ge_u32 s7, s6
	s_cselect_b32 s3, s18, s3
	s_cselect_b32 s7, s19, s7
	s_add_i32 s18, s3, 1
	s_cmp_ge_u32 s7, s6
	s_cselect_b32 s3, s18, s3
	s_mul_i32 s6, s3, s6
	s_sub_i32 s2, s2, s6
	s_lshl_b32 s26, s2, 7
	v_mov_b32_e32 v1, 0
	v_add_u32_e32 v140, s26, v141
	v_cmp_ne_u32_e64 s[6:7], 1, v3
	s_andn2_b64 vcc, exec, s[24:25]
	v_lshl_add_u64 v[6:7], s[20:21], 0, v[0:1]
	s_cbranch_vccnz .LBB149_10
; %bb.9:
	v_mad_i64_i32 v[4:5], s[18:19], v140, s28, 0
	v_lshl_add_u64 v[4:5], v[4:5], 3, v[6:7]
	flat_load_dwordx2 v[4:5], v[4:5]
	s_waitcnt vmcnt(0) lgkmcnt(0)
	v_mul_f64 v[4:5], s[12:13], v[4:5]
	s_branch .LBB149_11
.LBB149_10:
	v_mov_b64_e32 v[4:5], 0
.LBB149_11:
	s_load_dword s25, s[0:1], 0x38
	v_and_b32_e32 v14, 63, v2
	s_lshl_b32 s24, s3, 7
	s_mov_b64 vcc, s[4:5]
	s_waitcnt lgkmcnt(0)
	s_ashr_i32 s27, s25, 31
	s_cbranch_vccz .LBB149_13
; %bb.12:
	s_mov_b32 s2, 0
	v_mov_b32_e32 v8, s2
	v_mov_b32_e32 v9, s2
	s_mov_b64 s[2:3], 0
	s_branch .LBB149_14
.LBB149_13:
	s_mov_b64 s[2:3], -1
                                        ; implicit-def: $vgpr8_vgpr9
.LBB149_14:
	v_lshrrev_b32_e32 v151, 6, v2
	v_or_b32_e32 v2, s24, v14
	v_mov_b64_e32 v[132:133], 0
	s_andn2_b64 vcc, exec, s[2:3]
	v_add_u32_e32 v1, 64, v140
	v_ashrrev_i32_e32 v3, 31, v2
	v_mov_b64_e32 v[10:11], 0
	v_mov_b64_e32 v[12:13], 0
	s_cbranch_vccnz .LBB149_16
; %bb.15:
	v_mad_i64_i32 v[10:11], s[2:3], s25, v151, 0
	v_mad_i64_i32 v[8:9], s[2:3], v1, s28, 0
	v_lshl_add_u64 v[10:11], v[10:11], 3, s[22:23]
	v_lshl_add_u64 v[8:9], v[8:9], 3, v[6:7]
	;; [unrolled: 1-line block ×3, first 2 shown]
	flat_load_dwordx2 v[8:9], v[8:9]
	s_nop 0
	flat_load_dwordx2 v[12:13], v[10:11]
	flat_load_dwordx2 v[16:17], v[10:11] offset:512
	s_waitcnt vmcnt(0) lgkmcnt(0)
	v_mul_f64 v[8:9], s[12:13], v[8:9]
	v_mul_f64 v[12:13], s[12:13], v[12:13]
	;; [unrolled: 1-line block ×3, first 2 shown]
.LBB149_16:
	s_and_b64 vcc, exec, s[6:7]
	s_cbranch_vccnz .LBB149_18
; %bb.17:
	v_mad_i64_i32 v[16:17], s[2:3], v140, s28, 0
	v_lshl_add_u64 v[16:17], v[16:17], 3, v[6:7]
	flat_load_dwordx2 v[16:17], v[16:17] offset:32
	s_waitcnt vmcnt(0) lgkmcnt(0)
	v_mul_f64 v[132:133], s[12:13], v[16:17]
.LBB149_18:
	s_mov_b64 vcc, s[4:5]
	s_cbranch_vccz .LBB149_20
; %bb.19:
	s_mov_b32 s2, 0
	v_mov_b32_e32 v134, s2
	v_mov_b32_e32 v135, s2
	s_mov_b64 s[18:19], 0
	s_branch .LBB149_21
.LBB149_20:
	s_mov_b64 s[18:19], -1
                                        ; implicit-def: $vgpr134_vgpr135
.LBB149_21:
	s_load_dwordx2 s[2:3], s[16:17], 0x0
	v_mov_b64_e32 v[124:125], 0
	s_andn2_b64 vcc, exec, s[18:19]
	v_add_u32_e32 v153, 4, v151
	v_mov_b64_e32 v[136:137], 0
	v_mov_b64_e32 v[138:139], 0
	s_cbranch_vccnz .LBB149_23
; %bb.22:
	v_mad_i64_i32 v[16:17], s[16:17], v1, s28, 0
	v_lshl_add_u64 v[6:7], v[16:17], 3, v[6:7]
	v_mad_i64_i32 v[16:17], s[16:17], s25, v153, 0
	v_lshl_add_u64 v[16:17], v[16:17], 3, s[22:23]
	v_lshl_add_u64 v[16:17], v[2:3], 3, v[16:17]
	flat_load_dwordx2 v[6:7], v[6:7] offset:32
	s_nop 0
	flat_load_dwordx2 v[18:19], v[16:17]
	flat_load_dwordx2 v[20:21], v[16:17] offset:512
	s_waitcnt vmcnt(0) lgkmcnt(0)
	v_mul_f64 v[134:135], s[12:13], v[6:7]
	v_mul_f64 v[138:139], s[12:13], v[18:19]
	;; [unrolled: 1-line block ×3, first 2 shown]
.LBB149_23:
	v_lshlrev_b32_e32 v6, 5, v141
	v_lshl_or_b32 v154, v150, 3, v6
	ds_write2st64_b64 v154, v[4:5], v[8:9] offset1:4
	v_lshlrev_b32_e32 v4, 3, v151
	v_lshl_add_u32 v143, v14, 5, v4
	v_lshlrev_b32_e32 v142, 5, v149
	v_or_b32_e32 v155, 0x2000, v143
	ds_write2st64_b64 v143, v[12:13], v[10:11] offset0:16 offset1:20
	v_lshlrev_b32_e32 v156, 5, v148
	v_add_u32_e32 v157, 0x2000, v142
	s_mov_b32 s16, 0
	v_mov_b64_e32 v[130:131], 0
	v_mov_b64_e32 v[128:129], 0
	;; [unrolled: 1-line block ×63, first 2 shown]
	s_waitcnt lgkmcnt(0)
	s_barrier
.LBB149_24:                             ; =>This Inner Loop Header: Depth=1
	v_add_u32_e32 v152, s16, v156
	v_add_u32_e32 v186, s16, v157
	ds_read2_b64 v[144:147], v152 offset1:16
	ds_read2_b64 v[158:161], v152 offset0:32 offset1:48
	ds_read2_b64 v[162:165], v152 offset0:64 offset1:80
	;; [unrolled: 1-line block ×7, first 2 shown]
	ds_read2st64_b64 v[186:189], v186 offset1:4
	v_add_u32_e32 v152, 0x800, v152
	ds_read2_b64 v[190:193], v152 offset1:16
	ds_read2_b64 v[194:197], v152 offset0:32 offset1:48
	ds_read2_b64 v[198:201], v152 offset0:64 offset1:80
	;; [unrolled: 1-line block ×7, first 2 shown]
	s_waitcnt lgkmcnt(14)
	v_max_f64 v[144:145], v[144:145], v[144:145]
	v_max_f64 v[146:147], v[146:147], v[146:147]
	;; [unrolled: 1-line block ×6, first 2 shown]
	s_waitcnt lgkmcnt(13)
	v_max_f64 v[166:167], v[166:167], v[166:167]
	v_max_f64 v[168:169], v[168:169], v[168:169]
	s_waitcnt lgkmcnt(12)
	v_max_f64 v[170:171], v[170:171], v[170:171]
	v_max_f64 v[172:173], v[172:173], v[172:173]
	;; [unrolled: 3-line block ×14, first 2 shown]
	v_min_f64 v[222:223], v[144:145], v[186:187]
	v_min_f64 v[224:225], v[146:147], v[186:187]
	;; [unrolled: 1-line block ×32, first 2 shown]
	s_add_i32 s16, s16, 8
	v_add_f64 v[66:67], v[66:67], v[144:145]
	v_add_f64 v[64:65], v[64:65], v[146:147]
	;; [unrolled: 1-line block ×16, first 2 shown]
	v_min_f64 v[144:145], v[190:191], v[186:187]
	v_min_f64 v[146:147], v[192:193], v[186:187]
	;; [unrolled: 1-line block ×32, first 2 shown]
	s_cmp_eq_u32 s16, 32
	v_add_f64 v[124:125], v[124:125], v[222:223]
	v_add_f64 v[130:131], v[130:131], v[224:225]
	;; [unrolled: 1-line block ×48, first 2 shown]
	s_cbranch_scc0 .LBB149_24
; %bb.25:
	s_load_dword s18, s[0:1], 0x8
	v_lshl_or_b32 v0, v141, 5, v0
	ds_write2st64_b64 v0, v[132:133], v[134:135] offset0:8 offset1:12
	ds_write2st64_b64 v143, v[138:139], v[136:137] offset0:24 offset1:28
	s_waitcnt lgkmcnt(0)
	s_barrier
	s_cmp_gt_i32 s18, 8
	s_cbranch_scc1 .LBB149_27
; %bb.26:
	v_add_u32_e32 v152, 0x3000, v142
	s_cbranch_execz .LBB149_28
	s_branch .LBB149_46
.LBB149_27:
                                        ; implicit-def: $vgpr152
.LBB149_28:
	v_add_u32_e32 v158, 0x1000, v0
	v_mov_b32_e32 v0, 0x1000
	v_or_b32_e32 v159, 0x3000, v143
	s_add_i32 s18, s18, -8
	v_mad_i64_i32 v[132:133], s[16:17], v140, s28, 0
	v_mad_i64_i32 v[134:135], s[16:17], v1, s28, 0
	v_lshl_add_u64 v[136:137], v[2:3], 3, s[22:23]
	v_lshl_add_u32 v160, v148, 5, v0
	v_add_u32_e32 v152, 0x3000, v142
	s_mov_b32 s19, 8
	s_mov_b32 s22, 0
	v_mov_b32_e32 v139, 0
	s_mov_b32 s23, 0
.LBB149_29:                             ; =>This Loop Header: Depth=1
                                        ;     Child Loop BB149_35 Depth 2
                                        ;     Child Loop BB149_42 Depth 2
	v_or_b32_e32 v138, s19, v150
	v_lshl_add_u64 v[140:141], v[138:139], 3, s[20:21]
	s_and_b64 vcc, exec, s[6:7]
	v_lshl_add_u64 v[142:143], v[132:133], 3, v[140:141]
	s_cbranch_vccnz .LBB149_44
; %bb.30:                               ;   in Loop: Header=BB149_29 Depth=1
	flat_load_dwordx2 v[0:1], v[142:143]
	s_waitcnt vmcnt(0) lgkmcnt(0)
	v_mul_f64 v[144:145], s[12:13], v[0:1]
	s_mov_b64 s[16:17], -1
                                        ; implicit-def: $vgpr0_vgpr1_vgpr2_vgpr3
	s_mov_b64 vcc, s[4:5]
                                        ; implicit-def: $vgpr2_vgpr3
	s_cbranch_vccz .LBB149_32
.LBB149_31:                             ;   in Loop: Header=BB149_29 Depth=1
	v_mov_b32_e32 v2, s22
	v_mov_b32_e32 v3, s22
	;; [unrolled: 1-line block ×4, first 2 shown]
	s_mov_b64 s[16:17], 0
.LBB149_32:                             ;   in Loop: Header=BB149_29 Depth=1
	v_mov_b64_e32 v[146:147], 0
	s_andn2_b64 vcc, exec, s[16:17]
	v_lshl_add_u64 v[140:141], v[134:135], 3, v[140:141]
	s_cbranch_vccnz .LBB149_34
; %bb.33:                               ;   in Loop: Header=BB149_29 Depth=1
	v_add_u32_e32 v146, s19, v151
	v_mad_u64_u32 v[2:3], s[16:17], v146, s25, 0
	v_mov_b32_e32 v138, v3
	v_mad_u64_u32 v[146:147], s[16:17], v146, s27, v[138:139]
	v_mov_b32_e32 v3, v146
	v_lshl_add_u64 v[2:3], v[2:3], 3, v[136:137]
	flat_load_dwordx2 v[0:1], v[140:141]
	flat_load_dwordx2 v[146:147], v[2:3]
	flat_load_dwordx2 v[162:163], v[2:3] offset:512
	s_waitcnt vmcnt(0) lgkmcnt(0)
	v_mul_f64 v[2:3], s[12:13], v[0:1]
	v_mul_f64 v[0:1], s[12:13], v[146:147]
	;; [unrolled: 1-line block ×3, first 2 shown]
.LBB149_34:                             ;   in Loop: Header=BB149_29 Depth=1
	s_mov_b32 s16, 0
.LBB149_35:                             ;   Parent Loop BB149_29 Depth=1
                                        ; =>  This Inner Loop Header: Depth=2
	v_add_u32_e32 v138, s16, v160
	ds_read2_b64 v[162:165], v138 offset1:16
	ds_read2_b64 v[166:169], v138 offset0:32 offset1:48
	ds_read2_b64 v[170:173], v138 offset0:64 offset1:80
	;; [unrolled: 1-line block ×7, first 2 shown]
	v_add_u32_e32 v138, 0x800, v138
	ds_read2_b64 v[194:197], v138 offset1:16
	ds_read2_b64 v[198:201], v138 offset0:32 offset1:48
	ds_read2_b64 v[202:205], v138 offset0:64 offset1:80
	;; [unrolled: 1-line block ×7, first 2 shown]
	v_add_u32_e32 v138, s16, v152
	ds_read2st64_b64 v[226:229], v138 offset1:4
	s_waitcnt lgkmcnt(14)
	v_max_f64 v[162:163], v[162:163], v[162:163]
	v_max_f64 v[164:165], v[164:165], v[164:165]
	;; [unrolled: 1-line block ×4, first 2 shown]
	s_waitcnt lgkmcnt(0)
	v_max_f64 v[226:227], v[226:227], v[226:227]
	v_min_f64 v[230:231], v[162:163], v[226:227]
	v_add_f64 v[124:125], v[124:125], v[230:231]
	v_min_f64 v[230:231], v[164:165], v[226:227]
	v_add_f64 v[130:131], v[130:131], v[230:231]
	;; [unrolled: 2-line block ×3, first 2 shown]
	v_min_f64 v[230:231], v[168:169], v[226:227]
	v_max_f64 v[170:171], v[170:171], v[170:171]
	v_add_f64 v[126:127], v[126:127], v[230:231]
	v_min_f64 v[230:231], v[170:171], v[226:227]
	v_max_f64 v[172:173], v[172:173], v[172:173]
	v_add_f64 v[122:123], v[122:123], v[230:231]
	;; [unrolled: 3-line block ×26, first 2 shown]
	v_min_f64 v[230:231], v[220:221], v[226:227]
	v_max_f64 v[222:223], v[222:223], v[222:223]
	v_max_f64 v[224:225], v[224:225], v[224:225]
	v_add_f64 v[72:73], v[72:73], v[230:231]
	v_min_f64 v[230:231], v[222:223], v[226:227]
	v_min_f64 v[226:227], v[224:225], v[226:227]
	v_add_f64 v[68:69], v[68:69], v[226:227]
	v_max_f64 v[226:227], v[228:229], v[228:229]
	v_min_f64 v[162:163], v[162:163], v[226:227]
	v_add_f64 v[66:67], v[66:67], v[162:163]
	v_min_f64 v[162:163], v[164:165], v[226:227]
	v_add_f64 v[64:65], v[64:65], v[162:163]
	;; [unrolled: 2-line block ×31, first 2 shown]
	v_min_f64 v[162:163], v[224:225], v[226:227]
	s_add_i32 s16, s16, 8
	v_add_f64 v[70:71], v[70:71], v[230:231]
	v_add_f64 v[4:5], v[4:5], v[162:163]
	s_cmp_eq_u32 s16, 32
	s_cbranch_scc0 .LBB149_35
; %bb.36:                               ;   in Loop: Header=BB149_29 Depth=1
	s_and_b64 vcc, exec, s[6:7]
	ds_write2st64_b64 v154, v[144:145], v[2:3] offset1:4
	ds_write2st64_b64 v155, v[0:1], v[146:147] offset1:4
	s_waitcnt lgkmcnt(0)
	s_barrier
	s_cbranch_vccnz .LBB149_45
; %bb.37:                               ;   in Loop: Header=BB149_29 Depth=1
	flat_load_dwordx2 v[0:1], v[142:143] offset:32
	s_waitcnt vmcnt(0) lgkmcnt(0)
	v_mul_f64 v[142:143], s[12:13], v[0:1]
	s_mov_b64 s[16:17], -1
                                        ; implicit-def: $vgpr0_vgpr1_vgpr2_vgpr3
	s_mov_b64 vcc, s[4:5]
                                        ; implicit-def: $vgpr2_vgpr3
	s_cbranch_vccz .LBB149_39
.LBB149_38:                             ;   in Loop: Header=BB149_29 Depth=1
	v_mov_b32_e32 v2, s22
	v_mov_b32_e32 v3, s22
	;; [unrolled: 1-line block ×4, first 2 shown]
	s_mov_b64 s[16:17], 0
.LBB149_39:                             ;   in Loop: Header=BB149_29 Depth=1
	s_andn2_b64 vcc, exec, s[16:17]
	v_mov_b64_e32 v[144:145], 0
	s_cbranch_vccnz .LBB149_41
; %bb.40:                               ;   in Loop: Header=BB149_29 Depth=1
	flat_load_dwordx2 v[0:1], v[140:141] offset:32
	v_add_u32_e32 v140, s19, v153
	v_mad_u64_u32 v[2:3], s[16:17], v140, s25, 0
	v_mov_b32_e32 v138, v3
	v_mad_u64_u32 v[140:141], s[16:17], v140, s27, v[138:139]
	v_mov_b32_e32 v3, v140
	v_lshl_add_u64 v[2:3], v[2:3], 3, v[136:137]
	flat_load_dwordx2 v[140:141], v[2:3]
	flat_load_dwordx2 v[144:145], v[2:3] offset:512
	s_waitcnt vmcnt(0) lgkmcnt(0)
	v_mul_f64 v[2:3], s[12:13], v[0:1]
	v_mul_f64 v[0:1], s[12:13], v[140:141]
	;; [unrolled: 1-line block ×3, first 2 shown]
.LBB149_41:                             ;   in Loop: Header=BB149_29 Depth=1
	s_mov_b32 s16, 0
.LBB149_42:                             ;   Parent Loop BB149_29 Depth=1
                                        ; =>  This Inner Loop Header: Depth=2
	v_add_u32_e32 v138, s16, v156
	ds_read2_b64 v[162:165], v138 offset1:16
	ds_read2_b64 v[166:169], v138 offset0:32 offset1:48
	ds_read2_b64 v[170:173], v138 offset0:64 offset1:80
	;; [unrolled: 1-line block ×7, first 2 shown]
	v_add_u32_e32 v138, 0x800, v138
	ds_read2_b64 v[194:197], v138 offset1:16
	ds_read2_b64 v[198:201], v138 offset0:32 offset1:48
	ds_read2_b64 v[202:205], v138 offset0:64 offset1:80
	;; [unrolled: 1-line block ×7, first 2 shown]
	v_add_u32_e32 v138, s16, v157
	ds_read2st64_b64 v[226:229], v138 offset1:4
	s_waitcnt lgkmcnt(14)
	v_max_f64 v[146:147], v[162:163], v[162:163]
	s_add_i32 s16, s16, 8
	s_cmp_eq_u32 s16, 32
	s_waitcnt lgkmcnt(0)
	v_max_f64 v[140:141], v[226:227], v[226:227]
	v_min_f64 v[162:163], v[146:147], v[140:141]
	v_add_f64 v[124:125], v[124:125], v[162:163]
	v_max_f64 v[162:163], v[164:165], v[164:165]
	v_min_f64 v[164:165], v[162:163], v[140:141]
	v_add_f64 v[130:131], v[130:131], v[164:165]
	;; [unrolled: 3-line block ×33, first 2 shown]
	v_min_f64 v[146:147], v[162:163], v[140:141]
	v_add_f64 v[64:65], v[64:65], v[146:147]
	v_min_f64 v[146:147], v[164:165], v[140:141]
	v_add_f64 v[62:63], v[62:63], v[146:147]
	;; [unrolled: 2-line block ×29, first 2 shown]
	v_min_f64 v[146:147], v[220:221], v[140:141]
	v_min_f64 v[140:141], v[222:223], v[140:141]
	v_add_f64 v[6:7], v[6:7], v[146:147]
	v_add_f64 v[4:5], v[4:5], v[140:141]
	s_cbranch_scc0 .LBB149_42
; %bb.43:                               ;   in Loop: Header=BB149_29 Depth=1
	s_add_i32 s19, s19, 8
	s_add_i32 s23, s23, 8
	s_cmp_ge_i32 s23, s18
	ds_write2st64_b64 v158, v[142:143], v[2:3] offset1:4
	ds_write2st64_b64 v159, v[0:1], v[144:145] offset1:4
	s_waitcnt lgkmcnt(0)
	s_barrier
	s_cbranch_scc0 .LBB149_29
	s_branch .LBB149_46
.LBB149_44:                             ;   in Loop: Header=BB149_29 Depth=1
	v_mov_b64_e32 v[144:145], 0
	s_mov_b64 s[16:17], -1
                                        ; implicit-def: $vgpr0_vgpr1_vgpr2_vgpr3
	s_mov_b64 vcc, s[4:5]
                                        ; implicit-def: $vgpr2_vgpr3
	s_cbranch_vccz .LBB149_32
	s_branch .LBB149_31
.LBB149_45:                             ;   in Loop: Header=BB149_29 Depth=1
	v_mov_b64_e32 v[142:143], 0
	s_mov_b64 s[16:17], -1
                                        ; implicit-def: $vgpr0_vgpr1_vgpr2_vgpr3
	s_mov_b64 vcc, s[4:5]
                                        ; implicit-def: $vgpr2_vgpr3
	s_cbranch_vccz .LBB149_39
	s_branch .LBB149_38
.LBB149_46:
	v_mov_b32_e32 v0, 0x1000
	v_lshl_add_u32 v0, v148, 5, v0
	s_mov_b32 s4, 0
.LBB149_47:                             ; =>This Inner Loop Header: Depth=1
	v_add_u32_e32 v1, s4, v0
	v_add_u32_e32 v2, s4, v152
	ds_read2_b64 v[132:135], v1 offset1:16
	ds_read2_b64 v[136:139], v1 offset0:32 offset1:48
	ds_read2_b64 v[140:143], v1 offset0:64 offset1:80
	;; [unrolled: 1-line block ×7, first 2 shown]
	v_add_u32_e32 v1, 0x800, v1
	ds_read2st64_b64 v[170:173], v2 offset1:4
	ds_read2_b64 v[174:177], v1 offset1:16
	ds_read2_b64 v[178:181], v1 offset0:32 offset1:48
	ds_read2_b64 v[182:185], v1 offset0:64 offset1:80
	;; [unrolled: 1-line block ×7, first 2 shown]
	s_waitcnt lgkmcnt(14)
	v_max_f64 v[132:133], v[132:133], v[132:133]
	v_max_f64 v[134:135], v[134:135], v[134:135]
	;; [unrolled: 1-line block ×3, first 2 shown]
	s_waitcnt lgkmcnt(8)
	v_max_f64 v[2:3], v[170:171], v[170:171]
	v_max_f64 v[138:139], v[138:139], v[138:139]
	;; [unrolled: 1-line block ×15, first 2 shown]
	v_min_f64 v[170:171], v[132:133], v[2:3]
	v_min_f64 v[172:173], v[134:135], v[2:3]
	;; [unrolled: 1-line block ×16, first 2 shown]
	s_waitcnt lgkmcnt(7)
	v_max_f64 v[174:175], v[174:175], v[174:175]
	v_max_f64 v[176:177], v[176:177], v[176:177]
	s_waitcnt lgkmcnt(6)
	v_max_f64 v[178:179], v[178:179], v[178:179]
	v_max_f64 v[180:181], v[180:181], v[180:181]
	s_waitcnt lgkmcnt(5)
	v_max_f64 v[182:183], v[182:183], v[182:183]
	v_max_f64 v[184:185], v[184:185], v[184:185]
	s_waitcnt lgkmcnt(4)
	v_max_f64 v[186:187], v[186:187], v[186:187]
	v_max_f64 v[188:189], v[188:189], v[188:189]
	s_waitcnt lgkmcnt(3)
	v_max_f64 v[190:191], v[190:191], v[190:191]
	v_max_f64 v[192:193], v[192:193], v[192:193]
	s_waitcnt lgkmcnt(2)
	v_max_f64 v[194:195], v[194:195], v[194:195]
	v_max_f64 v[196:197], v[196:197], v[196:197]
	s_waitcnt lgkmcnt(1)
	v_max_f64 v[198:199], v[198:199], v[198:199]
	v_max_f64 v[200:201], v[200:201], v[200:201]
	s_waitcnt lgkmcnt(0)
	v_max_f64 v[202:203], v[202:203], v[202:203]
	v_max_f64 v[204:205], v[204:205], v[204:205]
	v_min_f64 v[132:133], v[132:133], v[168:169]
	v_min_f64 v[134:135], v[134:135], v[168:169]
	;; [unrolled: 1-line block ×16, first 2 shown]
	s_add_i32 s4, s4, 8
	v_add_f64 v[124:125], v[124:125], v[170:171]
	v_add_f64 v[130:131], v[130:131], v[172:173]
	;; [unrolled: 1-line block ×15, first 2 shown]
	v_min_f64 v[170:171], v[174:175], v[2:3]
	v_min_f64 v[172:173], v[176:177], v[2:3]
	;; [unrolled: 1-line block ×16, first 2 shown]
	v_add_f64 v[66:67], v[66:67], v[132:133]
	v_add_f64 v[64:65], v[64:65], v[134:135]
	;; [unrolled: 1-line block ×16, first 2 shown]
	v_min_f64 v[132:133], v[174:175], v[168:169]
	v_min_f64 v[134:135], v[176:177], v[168:169]
	;; [unrolled: 1-line block ×16, first 2 shown]
	s_cmp_eq_u32 s4, 32
	v_add_f64 v[100:101], v[100:101], v[232:233]
	v_add_f64 v[98:99], v[98:99], v[170:171]
	;; [unrolled: 1-line block ×33, first 2 shown]
	s_cbranch_scc0 .LBB149_47
; %bb.48:
	s_load_dwordx2 s[6:7], s[0:1], 0x78
	s_load_dword s4, s[0:1], 0x58
	s_load_dword s5, s[0:1], 0x70
	v_add_u32_e32 v170, s24, v149
	v_add_u32_e32 v132, s26, v148
	s_waitcnt lgkmcnt(0)
	s_lshl_b64 s[0:1], s[6:7], 3
	s_add_u32 s0, s2, s0
	s_addc_u32 s1, s3, s1
	v_mad_i64_i32 v[2:3], s[2:3], v170, s5, 0
	v_add_u32_e32 v0, 4, v132
	v_lshl_add_u64 v[138:139], v[2:3], 3, s[0:1]
	v_mad_i64_i32 v[2:3], s[2:3], v170, s4, 0
	v_ashrrev_i32_e32 v133, 31, v132
	v_ashrrev_i32_e32 v1, 31, v0
	s_mov_b64 s[2:3], -1
	s_mov_b64 vcc, s[8:9]
	s_cbranch_vccz .LBB149_50
; %bb.49:
	v_add_f64 v[134:135], v[124:125], 0
	v_lshl_add_u64 v[136:137], v[132:133], 3, v[138:139]
	s_mov_b64 s[2:3], 0
	flat_store_dwordx2 v[136:137], v[134:135]
.LBB149_50:
	v_lshl_add_u64 v[146:147], v[2:3], 3, s[14:15]
	v_mov_b64_e32 v[140:141], 0
	s_andn2_b64 vcc, exec, s[2:3]
	v_lshlrev_b64 v[136:137], 3, v[132:133]
	s_cbranch_vccnz .LBB149_52
; %bb.51:
	v_lshl_add_u64 v[2:3], v[146:147], 0, v[136:137]
	flat_load_dwordx2 v[2:3], v[2:3]
	v_lshl_add_u64 v[134:135], v[138:139], 0, v[136:137]
	s_waitcnt vmcnt(0) lgkmcnt(0)
	v_fmac_f64_e32 v[124:125], s[10:11], v[2:3]
	flat_store_dwordx2 v[134:135], v[124:125]
	v_lshl_add_u64 v[2:3], v[0:1], 3, v[146:147]
	flat_load_dwordx2 v[2:3], v[2:3]
	s_waitcnt vmcnt(0) lgkmcnt(0)
	v_mul_f64 v[140:141], s[10:11], v[2:3]
.LBB149_52:
	v_add_u32_e32 v134, 8, v132
	v_add_u32_e32 v2, 12, v132
	v_ashrrev_i32_e32 v135, 31, v134
	v_ashrrev_i32_e32 v3, 31, v2
	v_add_f64 v[124:125], v[130:131], v[140:141]
	v_lshl_add_u64 v[130:131], v[0:1], 3, v[138:139]
	s_mov_b64 s[2:3], -1
	s_mov_b64 vcc, s[8:9]
	flat_store_dwordx2 v[130:131], v[124:125]
	s_cbranch_vccz .LBB149_54
; %bb.53:
	v_add_f64 v[124:125], v[128:129], 0
	v_lshl_add_u64 v[130:131], v[134:135], 3, v[138:139]
	s_mov_b64 s[2:3], 0
	flat_store_dwordx2 v[130:131], v[124:125]
.LBB149_54:
	v_mov_b64_e32 v[140:141], 0
	s_andn2_b64 vcc, exec, s[2:3]
	v_lshlrev_b64 v[130:131], 3, v[134:135]
	s_cbranch_vccnz .LBB149_56
; %bb.55:
	v_lshl_add_u64 v[124:125], v[146:147], 0, v[130:131]
	flat_load_dwordx2 v[124:125], v[124:125]
	v_lshl_add_u64 v[140:141], v[138:139], 0, v[130:131]
	s_waitcnt vmcnt(0) lgkmcnt(0)
	v_fmac_f64_e32 v[128:129], s[10:11], v[124:125]
	flat_store_dwordx2 v[140:141], v[128:129]
	v_lshl_add_u64 v[124:125], v[2:3], 3, v[146:147]
	flat_load_dwordx2 v[124:125], v[124:125]
	s_waitcnt vmcnt(0) lgkmcnt(0)
	v_mul_f64 v[140:141], s[10:11], v[124:125]
.LBB149_56:
	v_add_u32_e32 v128, 16, v132
	v_add_u32_e32 v124, 20, v132
	v_ashrrev_i32_e32 v129, 31, v128
	v_ashrrev_i32_e32 v125, 31, v124
	v_add_f64 v[126:127], v[126:127], v[140:141]
	v_lshl_add_u64 v[140:141], v[2:3], 3, v[138:139]
	s_mov_b64 s[2:3], -1
	s_mov_b64 vcc, s[8:9]
	flat_store_dwordx2 v[140:141], v[126:127]
	s_cbranch_vccz .LBB149_58
; %bb.57:
	v_add_f64 v[126:127], v[122:123], 0
	v_lshl_add_u64 v[140:141], v[128:129], 3, v[138:139]
	s_mov_b64 s[2:3], 0
	flat_store_dwordx2 v[140:141], v[126:127]
.LBB149_58:
	;; [unrolled: 32-line block ×15, first 2 shown]
	v_mov_b64_e32 v[168:169], 0
	s_andn2_b64 vcc, exec, s[2:3]
	v_lshlrev_b64 v[72:73], 3, v[76:77]
	s_cbranch_vccnz .LBB149_112
; %bb.111:
	v_lshl_add_u64 v[168:169], v[146:147], 0, v[72:73]
	flat_load_dwordx2 v[168:169], v[168:169]
	v_lshl_add_u64 v[172:173], v[138:139], 0, v[72:73]
	s_waitcnt vmcnt(0) lgkmcnt(0)
	v_fmac_f64_e32 v[70:71], s[10:11], v[168:169]
	flat_store_dwordx2 v[172:173], v[70:71]
	v_lshl_add_u64 v[70:71], v[74:75], 3, v[146:147]
	flat_load_dwordx2 v[70:71], v[70:71]
	s_waitcnt vmcnt(0) lgkmcnt(0)
	v_mul_f64 v[168:169], s[10:11], v[70:71]
.LBB149_112:
	v_add_f64 v[68:69], v[68:69], v[168:169]
	v_lshl_add_u64 v[70:71], v[74:75], 3, v[138:139]
	flat_store_dwordx2 v[70:71], v[68:69]
	v_add_u32_e32 v70, 64, v170
	v_mad_i64_i32 v[68:69], s[2:3], v70, s5, 0
	v_lshl_add_u64 v[68:69], v[68:69], 3, s[0:1]
	v_mad_i64_i32 v[70:71], s[0:1], v70, s4, 0
	s_mov_b64 s[0:1], -1
	s_mov_b64 vcc, s[8:9]
	s_cbranch_vccz .LBB149_114
; %bb.113:
	v_add_f64 v[138:139], v[66:67], 0
	v_lshl_add_u64 v[132:133], v[132:133], 3, v[68:69]
	s_mov_b64 s[0:1], 0
	flat_store_dwordx2 v[132:133], v[138:139]
.LBB149_114:
	v_lshl_add_u64 v[70:71], v[70:71], 3, s[14:15]
	s_andn2_b64 vcc, exec, s[0:1]
	v_mov_b64_e32 v[132:133], 0
	s_cbranch_vccnz .LBB149_116
; %bb.115:
	v_lshl_add_u64 v[132:133], v[70:71], 0, v[136:137]
	flat_load_dwordx2 v[132:133], v[132:133]
	v_lshl_add_u64 v[136:137], v[68:69], 0, v[136:137]
	s_waitcnt vmcnt(0) lgkmcnt(0)
	v_fmac_f64_e32 v[66:67], s[10:11], v[132:133]
	flat_store_dwordx2 v[136:137], v[66:67]
	v_lshl_add_u64 v[66:67], v[0:1], 3, v[70:71]
	flat_load_dwordx2 v[66:67], v[66:67]
	s_waitcnt vmcnt(0) lgkmcnt(0)
	v_mul_f64 v[132:133], s[10:11], v[66:67]
.LBB149_116:
	v_add_f64 v[64:65], v[64:65], v[132:133]
	v_lshl_add_u64 v[0:1], v[0:1], 3, v[68:69]
	s_mov_b64 s[0:1], -1
	s_mov_b64 vcc, s[8:9]
	flat_store_dwordx2 v[0:1], v[64:65]
	s_cbranch_vccz .LBB149_118
; %bb.117:
	v_add_f64 v[0:1], v[62:63], 0
	v_lshl_add_u64 v[64:65], v[134:135], 3, v[68:69]
	s_mov_b64 s[0:1], 0
	flat_store_dwordx2 v[64:65], v[0:1]
.LBB149_118:
	s_andn2_b64 vcc, exec, s[0:1]
	v_mov_b64_e32 v[0:1], 0
	s_cbranch_vccnz .LBB149_120
; %bb.119:
	v_lshl_add_u64 v[0:1], v[70:71], 0, v[130:131]
	flat_load_dwordx2 v[0:1], v[0:1]
	v_lshl_add_u64 v[64:65], v[68:69], 0, v[130:131]
	s_waitcnt vmcnt(0) lgkmcnt(0)
	v_fmac_f64_e32 v[62:63], s[10:11], v[0:1]
	flat_store_dwordx2 v[64:65], v[62:63]
	v_lshl_add_u64 v[0:1], v[2:3], 3, v[70:71]
	flat_load_dwordx2 v[0:1], v[0:1]
	s_waitcnt vmcnt(0) lgkmcnt(0)
	v_mul_f64 v[0:1], s[10:11], v[0:1]
.LBB149_120:
	v_add_f64 v[0:1], v[60:61], v[0:1]
	v_lshl_add_u64 v[2:3], v[2:3], 3, v[68:69]
	s_mov_b64 s[0:1], -1
	s_mov_b64 vcc, s[8:9]
	flat_store_dwordx2 v[2:3], v[0:1]
	s_cbranch_vccz .LBB149_122
; %bb.121:
	v_add_f64 v[0:1], v[58:59], 0
	v_lshl_add_u64 v[2:3], v[128:129], 3, v[68:69]
	s_mov_b64 s[0:1], 0
	flat_store_dwordx2 v[2:3], v[0:1]
.LBB149_122:
	;; [unrolled: 27-line block ×14, first 2 shown]
	s_andn2_b64 vcc, exec, s[0:1]
	v_mov_b64_e32 v[0:1], 0
	s_cbranch_vccnz .LBB149_172
; %bb.171:
	v_lshl_add_u64 v[0:1], v[70:71], 0, v[166:167]
	flat_load_dwordx2 v[0:1], v[0:1]
	v_lshl_add_u64 v[2:3], v[68:69], 0, v[166:167]
	s_waitcnt vmcnt(0) lgkmcnt(0)
	v_fmac_f64_e32 v[10:11], s[10:11], v[0:1]
	flat_store_dwordx2 v[2:3], v[10:11]
	v_lshl_add_u64 v[0:1], v[78:79], 3, v[70:71]
	flat_load_dwordx2 v[0:1], v[0:1]
	s_waitcnt vmcnt(0) lgkmcnt(0)
	v_mul_f64 v[0:1], s[10:11], v[0:1]
.LBB149_172:
	v_add_f64 v[0:1], v[8:9], v[0:1]
	v_lshl_add_u64 v[2:3], v[78:79], 3, v[68:69]
	s_mov_b64 s[0:1], -1
	s_mov_b64 vcc, s[8:9]
	flat_store_dwordx2 v[2:3], v[0:1]
	s_cbranch_vccz .LBB149_175
; %bb.173:
	v_add_f64 v[0:1], v[6:7], 0
	v_lshl_add_u64 v[2:3], v[76:77], 3, v[68:69]
	flat_store_dwordx2 v[2:3], v[0:1]
	v_mov_b64_e32 v[0:1], 0
	s_cbranch_execz .LBB149_176
.LBB149_174:
	v_add_f64 v[0:1], v[4:5], v[0:1]
	v_lshl_add_u64 v[2:3], v[74:75], 3, v[68:69]
	flat_store_dwordx2 v[2:3], v[0:1]
	s_endpgm
.LBB149_175:
	s_andn2_b64 vcc, exec, s[0:1]
	v_mov_b64_e32 v[0:1], 0
	s_cbranch_vccnz .LBB149_174
.LBB149_176:
	v_lshl_add_u64 v[0:1], v[70:71], 0, v[72:73]
	flat_load_dwordx2 v[0:1], v[0:1]
	v_lshl_add_u64 v[2:3], v[68:69], 0, v[72:73]
	s_waitcnt vmcnt(0) lgkmcnt(0)
	v_fmac_f64_e32 v[6:7], s[10:11], v[0:1]
	flat_store_dwordx2 v[2:3], v[6:7]
	v_lshl_add_u64 v[0:1], v[74:75], 3, v[70:71]
	flat_load_dwordx2 v[0:1], v[0:1]
	s_waitcnt vmcnt(0) lgkmcnt(0)
	v_mul_f64 v[0:1], s[10:11], v[0:1]
	v_add_f64 v[0:1], v[4:5], v[0:1]
	v_lshl_add_u64 v[2:3], v[74:75], 3, v[68:69]
	flat_store_dwordx2 v[2:3], v[0:1]
	s_endpgm
	.section	.rodata,"a",@progbits
	.p2align	6, 0x0
	.amdhsa_kernel _ZN12_GLOBAL__N_120geam_min_plus_kernelIdddLi4ELi64ELi128ELi128ELi4ELi4ELi64ELi64ELi4ELc84ELc84ELb0ELb0ELb0EdKPKdKPdEEviiiT16_PT17_ilS8_ilS6_S8_ilPT18_ili26rocblas_geam_ex_operation_
		.amdhsa_group_segment_fixed_size 16384
		.amdhsa_private_segment_fixed_size 0
		.amdhsa_kernarg_size 136
		.amdhsa_user_sgpr_count 2
		.amdhsa_user_sgpr_dispatch_ptr 0
		.amdhsa_user_sgpr_queue_ptr 0
		.amdhsa_user_sgpr_kernarg_segment_ptr 1
		.amdhsa_user_sgpr_dispatch_id 0
		.amdhsa_user_sgpr_kernarg_preload_length 0
		.amdhsa_user_sgpr_kernarg_preload_offset 0
		.amdhsa_user_sgpr_private_segment_size 0
		.amdhsa_uses_dynamic_stack 0
		.amdhsa_enable_private_segment 0
		.amdhsa_system_sgpr_workgroup_id_x 1
		.amdhsa_system_sgpr_workgroup_id_y 0
		.amdhsa_system_sgpr_workgroup_id_z 1
		.amdhsa_system_sgpr_workgroup_info 0
		.amdhsa_system_vgpr_workitem_id 1
		.amdhsa_next_free_vgpr 254
		.amdhsa_next_free_sgpr 29
		.amdhsa_accum_offset 256
		.amdhsa_reserve_vcc 1
		.amdhsa_float_round_mode_32 0
		.amdhsa_float_round_mode_16_64 0
		.amdhsa_float_denorm_mode_32 3
		.amdhsa_float_denorm_mode_16_64 3
		.amdhsa_dx10_clamp 1
		.amdhsa_ieee_mode 1
		.amdhsa_fp16_overflow 0
		.amdhsa_tg_split 0
		.amdhsa_exception_fp_ieee_invalid_op 0
		.amdhsa_exception_fp_denorm_src 0
		.amdhsa_exception_fp_ieee_div_zero 0
		.amdhsa_exception_fp_ieee_overflow 0
		.amdhsa_exception_fp_ieee_underflow 0
		.amdhsa_exception_fp_ieee_inexact 0
		.amdhsa_exception_int_div_zero 0
	.end_amdhsa_kernel
	.section	.text._ZN12_GLOBAL__N_120geam_min_plus_kernelIdddLi4ELi64ELi128ELi128ELi4ELi4ELi64ELi64ELi4ELc84ELc84ELb0ELb0ELb0EdKPKdKPdEEviiiT16_PT17_ilS8_ilS6_S8_ilPT18_ili26rocblas_geam_ex_operation_,"axG",@progbits,_ZN12_GLOBAL__N_120geam_min_plus_kernelIdddLi4ELi64ELi128ELi128ELi4ELi4ELi64ELi64ELi4ELc84ELc84ELb0ELb0ELb0EdKPKdKPdEEviiiT16_PT17_ilS8_ilS6_S8_ilPT18_ili26rocblas_geam_ex_operation_,comdat
.Lfunc_end149:
	.size	_ZN12_GLOBAL__N_120geam_min_plus_kernelIdddLi4ELi64ELi128ELi128ELi4ELi4ELi64ELi64ELi4ELc84ELc84ELb0ELb0ELb0EdKPKdKPdEEviiiT16_PT17_ilS8_ilS6_S8_ilPT18_ili26rocblas_geam_ex_operation_, .Lfunc_end149-_ZN12_GLOBAL__N_120geam_min_plus_kernelIdddLi4ELi64ELi128ELi128ELi4ELi4ELi64ELi64ELi4ELc84ELc84ELb0ELb0ELb0EdKPKdKPdEEviiiT16_PT17_ilS8_ilS6_S8_ilPT18_ili26rocblas_geam_ex_operation_
                                        ; -- End function
	.set _ZN12_GLOBAL__N_120geam_min_plus_kernelIdddLi4ELi64ELi128ELi128ELi4ELi4ELi64ELi64ELi4ELc84ELc84ELb0ELb0ELb0EdKPKdKPdEEviiiT16_PT17_ilS8_ilS6_S8_ilPT18_ili26rocblas_geam_ex_operation_.num_vgpr, 254
	.set _ZN12_GLOBAL__N_120geam_min_plus_kernelIdddLi4ELi64ELi128ELi128ELi4ELi4ELi64ELi64ELi4ELc84ELc84ELb0ELb0ELb0EdKPKdKPdEEviiiT16_PT17_ilS8_ilS6_S8_ilPT18_ili26rocblas_geam_ex_operation_.num_agpr, 0
	.set _ZN12_GLOBAL__N_120geam_min_plus_kernelIdddLi4ELi64ELi128ELi128ELi4ELi4ELi64ELi64ELi4ELc84ELc84ELb0ELb0ELb0EdKPKdKPdEEviiiT16_PT17_ilS8_ilS6_S8_ilPT18_ili26rocblas_geam_ex_operation_.numbered_sgpr, 29
	.set _ZN12_GLOBAL__N_120geam_min_plus_kernelIdddLi4ELi64ELi128ELi128ELi4ELi4ELi64ELi64ELi4ELc84ELc84ELb0ELb0ELb0EdKPKdKPdEEviiiT16_PT17_ilS8_ilS6_S8_ilPT18_ili26rocblas_geam_ex_operation_.num_named_barrier, 0
	.set _ZN12_GLOBAL__N_120geam_min_plus_kernelIdddLi4ELi64ELi128ELi128ELi4ELi4ELi64ELi64ELi4ELc84ELc84ELb0ELb0ELb0EdKPKdKPdEEviiiT16_PT17_ilS8_ilS6_S8_ilPT18_ili26rocblas_geam_ex_operation_.private_seg_size, 0
	.set _ZN12_GLOBAL__N_120geam_min_plus_kernelIdddLi4ELi64ELi128ELi128ELi4ELi4ELi64ELi64ELi4ELc84ELc84ELb0ELb0ELb0EdKPKdKPdEEviiiT16_PT17_ilS8_ilS6_S8_ilPT18_ili26rocblas_geam_ex_operation_.uses_vcc, 1
	.set _ZN12_GLOBAL__N_120geam_min_plus_kernelIdddLi4ELi64ELi128ELi128ELi4ELi4ELi64ELi64ELi4ELc84ELc84ELb0ELb0ELb0EdKPKdKPdEEviiiT16_PT17_ilS8_ilS6_S8_ilPT18_ili26rocblas_geam_ex_operation_.uses_flat_scratch, 0
	.set _ZN12_GLOBAL__N_120geam_min_plus_kernelIdddLi4ELi64ELi128ELi128ELi4ELi4ELi64ELi64ELi4ELc84ELc84ELb0ELb0ELb0EdKPKdKPdEEviiiT16_PT17_ilS8_ilS6_S8_ilPT18_ili26rocblas_geam_ex_operation_.has_dyn_sized_stack, 0
	.set _ZN12_GLOBAL__N_120geam_min_plus_kernelIdddLi4ELi64ELi128ELi128ELi4ELi4ELi64ELi64ELi4ELc84ELc84ELb0ELb0ELb0EdKPKdKPdEEviiiT16_PT17_ilS8_ilS6_S8_ilPT18_ili26rocblas_geam_ex_operation_.has_recursion, 0
	.set _ZN12_GLOBAL__N_120geam_min_plus_kernelIdddLi4ELi64ELi128ELi128ELi4ELi4ELi64ELi64ELi4ELc84ELc84ELb0ELb0ELb0EdKPKdKPdEEviiiT16_PT17_ilS8_ilS6_S8_ilPT18_ili26rocblas_geam_ex_operation_.has_indirect_call, 0
	.section	.AMDGPU.csdata,"",@progbits
; Kernel info:
; codeLenInByte = 13032
; TotalNumSgprs: 35
; NumVgprs: 254
; NumAgprs: 0
; TotalNumVgprs: 254
; ScratchSize: 0
; MemoryBound: 0
; FloatMode: 240
; IeeeMode: 1
; LDSByteSize: 16384 bytes/workgroup (compile time only)
; SGPRBlocks: 4
; VGPRBlocks: 31
; NumSGPRsForWavesPerEU: 35
; NumVGPRsForWavesPerEU: 254
; AccumOffset: 256
; Occupancy: 2
; WaveLimiterHint : 1
; COMPUTE_PGM_RSRC2:SCRATCH_EN: 0
; COMPUTE_PGM_RSRC2:USER_SGPR: 2
; COMPUTE_PGM_RSRC2:TRAP_HANDLER: 0
; COMPUTE_PGM_RSRC2:TGID_X_EN: 1
; COMPUTE_PGM_RSRC2:TGID_Y_EN: 0
; COMPUTE_PGM_RSRC2:TGID_Z_EN: 1
; COMPUTE_PGM_RSRC2:TIDIG_COMP_CNT: 1
; COMPUTE_PGM_RSRC3_GFX90A:ACCUM_OFFSET: 63
; COMPUTE_PGM_RSRC3_GFX90A:TG_SPLIT: 0
	.section	.text._ZN12_GLOBAL__N_120geam_min_plus_kernelIdddLi4ELi64ELi128ELi128ELi4ELi4ELi64ELi64ELi4ELc84ELc84ELb0ELb1ELb0EPKdKS2_KPdEEviiiT16_PT17_ilS8_ilS6_S8_ilPT18_ili26rocblas_geam_ex_operation_,"axG",@progbits,_ZN12_GLOBAL__N_120geam_min_plus_kernelIdddLi4ELi64ELi128ELi128ELi4ELi4ELi64ELi64ELi4ELc84ELc84ELb0ELb1ELb0EPKdKS2_KPdEEviiiT16_PT17_ilS8_ilS6_S8_ilPT18_ili26rocblas_geam_ex_operation_,comdat
	.globl	_ZN12_GLOBAL__N_120geam_min_plus_kernelIdddLi4ELi64ELi128ELi128ELi4ELi4ELi64ELi64ELi4ELc84ELc84ELb0ELb1ELb0EPKdKS2_KPdEEviiiT16_PT17_ilS8_ilS6_S8_ilPT18_ili26rocblas_geam_ex_operation_ ; -- Begin function _ZN12_GLOBAL__N_120geam_min_plus_kernelIdddLi4ELi64ELi128ELi128ELi4ELi4ELi64ELi64ELi4ELc84ELc84ELb0ELb1ELb0EPKdKS2_KPdEEviiiT16_PT17_ilS8_ilS6_S8_ilPT18_ili26rocblas_geam_ex_operation_
	.p2align	8
	.type	_ZN12_GLOBAL__N_120geam_min_plus_kernelIdddLi4ELi64ELi128ELi128ELi4ELi4ELi64ELi64ELi4ELc84ELc84ELb0ELb1ELb0EPKdKS2_KPdEEviiiT16_PT17_ilS8_ilS6_S8_ilPT18_ili26rocblas_geam_ex_operation_,@function
_ZN12_GLOBAL__N_120geam_min_plus_kernelIdddLi4ELi64ELi128ELi128ELi4ELi4ELi64ELi64ELi4ELc84ELc84ELb0ELb1ELb0EPKdKS2_KPdEEviiiT16_PT17_ilS8_ilS6_S8_ilPT18_ili26rocblas_geam_ex_operation_: ; @_ZN12_GLOBAL__N_120geam_min_plus_kernelIdddLi4ELi64ELi128ELi128ELi4ELi4ELi64ELi64ELi4ELc84ELc84ELb0ELb1ELb0EPKdKS2_KPdEEviiiT16_PT17_ilS8_ilS6_S8_ilPT18_ili26rocblas_geam_ex_operation_
; %bb.0:
	s_load_dwordx4 s[12:15], s[0:1], 0x10
	s_load_dwordx4 s[8:11], s[0:1], 0x28
	;; [unrolled: 1-line block ×3, first 2 shown]
	s_mov_b32 s16, s3
	s_mov_b32 s17, 0
	s_lshl_b64 s[22:23], s[16:17], 3
	s_waitcnt lgkmcnt(0)
	s_add_u32 s18, s12, s22
	s_addc_u32 s19, s13, s23
	s_load_dwordx2 s[16:17], s[18:19], 0x0
	s_load_dwordx2 s[12:13], s[0:1], 0x50
	s_add_u32 s6, s6, s22
	s_addc_u32 s7, s7, s23
	s_mov_b64 s[18:19], 0
	s_waitcnt lgkmcnt(0)
	v_cmp_eq_f64_e64 s[20:21], s[16:17], 0
	v_cmp_neq_f64_e64 s[24:25], s[16:17], 0
	s_and_b64 vcc, exec, s[20:21]
	s_mov_b64 s[20:21], 0
	s_cbranch_vccnz .LBB150_2
; %bb.1:
	s_add_u32 s14, s14, s22
	s_addc_u32 s15, s15, s23
	s_load_dwordx2 s[14:15], s[14:15], 0x0
	s_lshl_b64 s[8:9], s[8:9], 3
	s_waitcnt lgkmcnt(0)
	s_add_u32 s20, s14, s8
	s_addc_u32 s21, s15, s9
.LBB150_2:
	s_load_dwordx2 s[70:71], s[6:7], 0x0
	s_andn2_b64 vcc, exec, s[24:25]
	s_cbranch_vccnz .LBB150_4
; %bb.3:
	s_add_u32 s6, s10, s22
	s_addc_u32 s7, s11, s23
	s_load_dwordx2 s[6:7], s[6:7], 0x0
	s_lshl_b64 s[4:5], s[4:5], 3
	s_waitcnt lgkmcnt(0)
	s_add_u32 s18, s6, s4
	s_addc_u32 s19, s7, s5
.LBB150_4:
	s_load_dwordx4 s[4:7], s[0:1], 0x60
	s_waitcnt lgkmcnt(0)
	v_cmp_eq_f64_e64 s[8:9], s[70:71], 0
	s_mov_b64 s[76:77], 0
	v_cmp_neq_f64_e64 s[10:11], s[70:71], 0
	s_and_b64 vcc, exec, s[8:9]
	s_cbranch_vccnz .LBB150_6
; %bb.5:
	s_add_u32 s8, s12, s22
	s_addc_u32 s9, s13, s23
	s_load_dwordx2 s[8:9], s[8:9], 0x0
	s_lshl_b64 s[4:5], s[4:5], 3
	s_waitcnt lgkmcnt(0)
	s_add_u32 s76, s8, s4
	s_addc_u32 s77, s9, s5
.LBB150_6:
	s_load_dwordx4 s[72:75], s[0:1], 0x0
	s_load_dword s29, s[0:1], 0x20
	s_add_u32 s12, s6, s22
	s_addc_u32 s13, s7, s23
	v_and_b32_e32 v144, 0x3ff, v0
	s_waitcnt lgkmcnt(0)
	s_add_i32 s3, s72, -1
	s_ashr_i32 s4, s3, 31
	s_lshr_b32 s4, s4, 25
	s_add_i32 s3, s3, s4
	s_ashr_i32 s3, s3, 7
	s_add_i32 s5, s3, 1
	v_cvt_f32_u32_e32 v1, s5
	v_bfe_u32 v145, v0, 10, 10
	v_and_b32_e32 v146, 3, v0
	s_not_b32 s3, s3
	v_rcp_iflag_f32_e32 v1, v1
	v_lshl_add_u32 v6, v145, 2, v144
	v_lshrrev_b32_e32 v139, 2, v6
	v_cmp_le_i32_e32 vcc, s74, v146
	v_mul_f32_e32 v0, 0x4f7ffffe, v1
	v_cvt_u32_f32_e32 v0, v0
	v_cmp_eq_f64_e64 s[14:15], s[16:17], 0
	v_readfirstlane_b32 s4, v0
	s_mul_i32 s3, s3, s4
	s_mul_hi_u32 s3, s4, s3
	s_add_i32 s4, s4, s3
	s_mul_hi_u32 s3, s2, s4
	s_mul_i32 s4, s3, s5
	s_sub_i32 s4, s2, s4
	s_add_i32 s6, s3, 1
	s_sub_i32 s7, s4, s5
	s_cmp_ge_u32 s4, s5
	s_cselect_b32 s3, s6, s3
	s_cselect_b32 s4, s7, s4
	s_add_i32 s6, s3, 1
	s_cmp_ge_u32 s4, s5
	s_cselect_b32 s4, s6, s3
	s_mul_i32 s3, s4, s5
	s_sub_i32 s2, s2, s3
	s_lshl_b32 s24, s2, 7
	s_add_i32 s26, s74, -1
	v_add_u32_e32 v138, s24, v139
	v_min_i32_e32 v2, s26, v146
	v_cmp_le_i32_e64 s[6:7], s72, v138
	v_ashrrev_i32_e32 v3, 31, v2
	s_or_b64 s[2:3], vcc, s[6:7]
	v_mov_b64_e32 v[0:1], 0
	v_lshl_add_u64 v[4:5], v[2:3], 3, s[20:21]
	s_nor_b64 s[8:9], s[14:15], s[2:3]
	v_mov_b64_e32 v[2:3], 0
	s_and_saveexec_b64 s[2:3], s[8:9]
	s_cbranch_execz .LBB150_8
; %bb.7:
	v_mad_i64_i32 v[2:3], s[8:9], v138, s29, 0
	v_lshl_add_u64 v[2:3], v[2:3], 3, v[4:5]
	flat_load_dwordx2 v[2:3], v[2:3]
	s_waitcnt vmcnt(0) lgkmcnt(0)
	v_mul_f64 v[2:3], s[16:17], v[2:3]
.LBB150_8:
	s_or_b64 exec, exec, s[2:3]
	v_add_u32_e32 v140, 64, v138
	v_cmp_le_i32_e64 s[8:9], s72, v140
	s_or_b64 s[2:3], vcc, s[8:9]
	s_nor_b64 s[22:23], s[14:15], s[2:3]
	s_and_saveexec_b64 s[2:3], s[22:23]
	s_cbranch_execz .LBB150_10
; %bb.9:
	v_mad_i64_i32 v[0:1], s[22:23], v140, s29, 0
	v_lshl_add_u64 v[0:1], v[0:1], 3, v[4:5]
	flat_load_dwordx2 v[0:1], v[0:1]
	s_waitcnt vmcnt(0) lgkmcnt(0)
	v_mul_f64 v[0:1], s[16:17], v[0:1]
.LBB150_10:
	s_or_b64 exec, exec, s[2:3]
	s_load_dword s27, s[0:1], 0x38
	v_lshrrev_b32_e32 v147, 6, v6
	v_and_b32_e32 v10, 63, v6
	s_lshl_b32 s25, s4, 7
	v_min_i32_e32 v4, s26, v147
	v_or_b32_e32 v128, s25, v10
	s_waitcnt lgkmcnt(0)
	v_mad_i64_i32 v[4:5], s[2:3], s27, v4, 0
	v_cmp_le_i32_e32 vcc, s74, v147
	v_cmp_le_i32_e64 s[2:3], s73, v128
	s_or_b64 s[4:5], s[2:3], vcc
	v_lshl_add_u64 v[8:9], v[4:5], 3, s[18:19]
	s_nor_b64 s[22:23], s[14:15], s[4:5]
	v_mov_b64_e32 v[4:5], 0
	v_ashrrev_i32_e32 v129, 31, v128
	v_mov_b64_e32 v[6:7], 0
	s_and_saveexec_b64 s[4:5], s[22:23]
	s_cbranch_execz .LBB150_12
; %bb.11:
	v_lshl_add_u64 v[6:7], v[128:129], 3, v[8:9]
	flat_load_dwordx2 v[6:7], v[6:7]
	s_waitcnt vmcnt(0) lgkmcnt(0)
	v_mul_f64 v[6:7], s[16:17], v[6:7]
.LBB150_12:
	s_or_b64 exec, exec, s[4:5]
	v_or_b32_e32 v11, 64, v128
	v_cmp_le_i32_e64 s[4:5], s73, v11
	s_or_b64 s[22:23], s[4:5], vcc
	s_nor_b64 s[30:31], s[14:15], s[22:23]
	s_and_saveexec_b64 s[22:23], s[30:31]
	s_cbranch_execz .LBB150_14
; %bb.13:
	v_lshl_add_u64 v[4:5], v[128:129], 3, v[8:9]
	flat_load_dwordx2 v[4:5], v[4:5] offset:512
	s_waitcnt vmcnt(0) lgkmcnt(0)
	v_mul_f64 v[4:5], s[16:17], v[4:5]
.LBB150_14:
	s_or_b64 exec, exec, s[22:23]
	v_or_b32_e32 v8, 4, v146
	v_cmp_le_i32_e32 vcc, s74, v8
	v_min_i32_e32 v8, s26, v8
	v_ashrrev_i32_e32 v9, 31, v8
	s_or_b64 s[22:23], vcc, s[6:7]
	v_lshl_add_u64 v[8:9], v[8:9], 3, s[20:21]
	s_nor_b64 s[30:31], s[14:15], s[22:23]
	v_mov_b64_e32 v[130:131], 0
	v_mov_b64_e32 v[132:133], 0
	s_and_saveexec_b64 s[22:23], s[30:31]
	s_cbranch_execz .LBB150_16
; %bb.15:
	v_mad_i64_i32 v[12:13], s[30:31], v138, s29, 0
	v_lshl_add_u64 v[12:13], v[12:13], 3, v[8:9]
	flat_load_dwordx2 v[12:13], v[12:13]
	s_waitcnt vmcnt(0) lgkmcnt(0)
	v_mul_f64 v[132:133], s[16:17], v[12:13]
.LBB150_16:
	s_or_b64 exec, exec, s[22:23]
	s_or_b64 s[22:23], vcc, s[8:9]
	s_nor_b64 s[30:31], s[14:15], s[22:23]
	s_and_saveexec_b64 s[22:23], s[30:31]
	s_cbranch_execz .LBB150_18
; %bb.17:
	v_mad_i64_i32 v[12:13], s[30:31], v140, s29, 0
	v_lshl_add_u64 v[8:9], v[12:13], 3, v[8:9]
	flat_load_dwordx2 v[8:9], v[8:9]
	s_waitcnt vmcnt(0) lgkmcnt(0)
	v_mul_f64 v[130:131], s[16:17], v[8:9]
.LBB150_18:
	s_or_b64 exec, exec, s[22:23]
	v_add_u32_e32 v8, 4, v147
	v_cmp_le_i32_e32 vcc, s74, v8
	v_min_i32_e32 v8, s26, v8
	v_mad_i64_i32 v[8:9], s[22:23], s27, v8, 0
	s_or_b64 s[22:23], s[2:3], vcc
	v_lshl_add_u64 v[8:9], v[8:9], 3, s[18:19]
	s_nor_b64 s[30:31], s[14:15], s[22:23]
	v_mov_b64_e32 v[134:135], 0
	v_mov_b64_e32 v[136:137], 0
	s_and_saveexec_b64 s[22:23], s[30:31]
	s_cbranch_execz .LBB150_20
; %bb.19:
	v_lshl_add_u64 v[12:13], v[128:129], 3, v[8:9]
	flat_load_dwordx2 v[12:13], v[12:13]
	s_waitcnt vmcnt(0) lgkmcnt(0)
	v_mul_f64 v[136:137], s[16:17], v[12:13]
.LBB150_20:
	s_or_b64 exec, exec, s[22:23]
	s_load_dwordx2 s[12:13], s[12:13], 0x0
	s_or_b64 s[22:23], s[4:5], vcc
	s_nor_b64 s[30:31], s[14:15], s[22:23]
	s_and_saveexec_b64 s[22:23], s[30:31]
	s_cbranch_execz .LBB150_22
; %bb.21:
	v_lshl_add_u64 v[8:9], v[128:129], 3, v[8:9]
	flat_load_dwordx2 v[8:9], v[8:9] offset:512
	s_waitcnt vmcnt(0) lgkmcnt(0)
	v_mul_f64 v[134:135], s[16:17], v[8:9]
.LBB150_22:
	s_or_b64 exec, exec, s[22:23]
	v_lshlrev_b32_e32 v8, 5, v139
	v_lshl_or_b32 v149, v146, 3, v8
	ds_write2st64_b64 v149, v[2:3], v[0:1] offset1:4
	v_lshlrev_b32_e32 v0, 3, v147
	v_lshl_add_u32 v142, v10, 5, v0
	v_lshlrev_b32_e32 v141, 5, v145
	v_or_b32_e32 v150, 0x2000, v142
	ds_write2st64_b64 v142, v[6:7], v[4:5] offset0:16 offset1:20
	v_lshlrev_b32_e32 v151, 5, v144
	v_add_u32_e32 v152, 0x2000, v141
	v_mov_b64_e32 v[126:127], 0
	s_mov_b32 s22, 0
	v_mov_b64_e32 v[124:125], 0
	v_mov_b64_e32 v[122:123], 0
	;; [unrolled: 1-line block ×63, first 2 shown]
	s_waitcnt lgkmcnt(0)
	s_barrier
.LBB150_23:                             ; =>This Inner Loop Header: Depth=1
	v_add_u32_e32 v143, s22, v151
	v_add_u32_e32 v148, s22, v152
	ds_read2_b64 v[154:157], v143 offset1:16
	ds_read2_b64 v[158:161], v143 offset0:32 offset1:48
	ds_read2_b64 v[162:165], v143 offset0:64 offset1:80
	;; [unrolled: 1-line block ×7, first 2 shown]
	ds_read2st64_b64 v[186:189], v148 offset1:4
	v_add_u32_e32 v143, 0x800, v143
	ds_read2_b64 v[190:193], v143 offset1:16
	ds_read2_b64 v[194:197], v143 offset0:32 offset1:48
	ds_read2_b64 v[198:201], v143 offset0:64 offset1:80
	;; [unrolled: 1-line block ×7, first 2 shown]
	s_waitcnt lgkmcnt(14)
	v_max_f64 v[154:155], v[154:155], v[154:155]
	v_max_f64 v[156:157], v[156:157], v[156:157]
	;; [unrolled: 1-line block ×6, first 2 shown]
	s_waitcnt lgkmcnt(13)
	v_max_f64 v[166:167], v[166:167], v[166:167]
	v_max_f64 v[168:169], v[168:169], v[168:169]
	s_waitcnt lgkmcnt(12)
	v_max_f64 v[170:171], v[170:171], v[170:171]
	v_max_f64 v[172:173], v[172:173], v[172:173]
	;; [unrolled: 3-line block ×14, first 2 shown]
	v_min_f64 v[222:223], v[154:155], v[186:187]
	v_min_f64 v[224:225], v[156:157], v[186:187]
	v_min_f64 v[226:227], v[158:159], v[186:187]
	v_min_f64 v[228:229], v[160:161], v[186:187]
	v_min_f64 v[230:231], v[162:163], v[186:187]
	v_min_f64 v[232:233], v[164:165], v[186:187]
	v_min_f64 v[234:235], v[166:167], v[186:187]
	v_min_f64 v[236:237], v[168:169], v[186:187]
	v_min_f64 v[238:239], v[170:171], v[186:187]
	v_min_f64 v[240:241], v[172:173], v[186:187]
	v_min_f64 v[242:243], v[174:175], v[186:187]
	v_min_f64 v[244:245], v[176:177], v[186:187]
	v_min_f64 v[246:247], v[178:179], v[186:187]
	v_min_f64 v[248:249], v[180:181], v[186:187]
	v_min_f64 v[250:251], v[182:183], v[186:187]
	v_min_f64 v[252:253], v[184:185], v[186:187]
	v_min_f64 v[154:155], v[154:155], v[188:189]
	v_min_f64 v[156:157], v[156:157], v[188:189]
	v_min_f64 v[158:159], v[158:159], v[188:189]
	v_min_f64 v[160:161], v[160:161], v[188:189]
	v_min_f64 v[162:163], v[162:163], v[188:189]
	v_min_f64 v[164:165], v[164:165], v[188:189]
	v_min_f64 v[166:167], v[166:167], v[188:189]
	v_min_f64 v[168:169], v[168:169], v[188:189]
	v_min_f64 v[170:171], v[170:171], v[188:189]
	v_min_f64 v[172:173], v[172:173], v[188:189]
	v_min_f64 v[174:175], v[174:175], v[188:189]
	v_min_f64 v[176:177], v[176:177], v[188:189]
	v_min_f64 v[178:179], v[178:179], v[188:189]
	v_min_f64 v[180:181], v[180:181], v[188:189]
	v_min_f64 v[182:183], v[182:183], v[188:189]
	v_min_f64 v[184:185], v[184:185], v[188:189]
	s_add_i32 s22, s22, 8
	v_add_f64 v[62:63], v[62:63], v[154:155]
	v_add_f64 v[60:61], v[60:61], v[156:157]
	;; [unrolled: 1-line block ×16, first 2 shown]
	v_min_f64 v[154:155], v[190:191], v[186:187]
	v_min_f64 v[156:157], v[192:193], v[186:187]
	;; [unrolled: 1-line block ×32, first 2 shown]
	s_cmp_eq_u32 s22, 32
	v_add_f64 v[126:127], v[126:127], v[222:223]
	v_add_f64 v[124:125], v[124:125], v[224:225]
	;; [unrolled: 1-line block ×48, first 2 shown]
	s_cbranch_scc0 .LBB150_23
; %bb.24:
	v_lshlrev_b32_e32 v143, 3, v146
	v_lshl_or_b32 v139, v139, 5, v143
	s_cmp_gt_i32 s74, 8
	ds_write2st64_b64 v139, v[132:133], v[130:131] offset0:8 offset1:12
	ds_write2st64_b64 v142, v[136:137], v[134:135] offset0:24 offset1:28
	s_waitcnt lgkmcnt(0)
	s_barrier
	s_cbranch_scc1 .LBB150_26
; %bb.25:
	v_add_u32_e32 v148, 0x3000, v141
	s_cbranch_execz .LBB150_27
	s_branch .LBB150_49
.LBB150_26:
                                        ; implicit-def: $vgpr148
.LBB150_27:
	v_mov_b32_e32 v134, 0x1000
	v_add_u32_e32 v153, 0x1000, v139
	v_or_b32_e32 v154, 0x3000, v142
	s_add_i32 s28, s74, -8
	s_or_b64 s[6:7], s[6:7], s[14:15]
	s_or_b64 s[8:9], s[8:9], s[14:15]
	v_mad_i64_i32 v[130:131], s[22:23], v138, s29, 0
	v_mad_i64_i32 v[132:133], s[22:23], v140, s29, 0
	v_lshl_add_u32 v155, v144, 5, v134
	v_add_u32_e32 v148, 0x3000, v141
	s_mov_b32 s29, 8
	s_mov_b32 s30, 0
.LBB150_28:                             ; =>This Loop Header: Depth=1
                                        ;     Child Loop BB150_37 Depth 2
                                        ;     Child Loop BB150_47 Depth 2
	v_or_b32_e32 v156, s29, v146
	v_min_i32_e32 v134, s26, v156
	v_cmp_le_i32_e32 vcc, s74, v156
	v_ashrrev_i32_e32 v135, 31, v134
	v_lshl_add_u64 v[138:139], v[134:135], 3, s[20:21]
	s_nor_b64 s[34:35], vcc, s[6:7]
	v_mov_b64_e32 v[134:135], 0
	v_mov_b64_e32 v[136:137], 0
	s_and_saveexec_b64 s[22:23], s[34:35]
	s_cbranch_execz .LBB150_30
; %bb.29:                               ;   in Loop: Header=BB150_28 Depth=1
	v_lshl_add_u64 v[136:137], v[130:131], 3, v[138:139]
	flat_load_dwordx2 v[136:137], v[136:137]
	s_waitcnt vmcnt(0) lgkmcnt(0)
	v_mul_f64 v[136:137], s[16:17], v[136:137]
.LBB150_30:                             ;   in Loop: Header=BB150_28 Depth=1
	s_or_b64 exec, exec, s[22:23]
	s_nor_b64 s[34:35], vcc, s[8:9]
	s_and_saveexec_b64 s[22:23], s[34:35]
	s_cbranch_execz .LBB150_32
; %bb.31:                               ;   in Loop: Header=BB150_28 Depth=1
	v_lshl_add_u64 v[134:135], v[132:133], 3, v[138:139]
	flat_load_dwordx2 v[134:135], v[134:135]
	s_waitcnt vmcnt(0) lgkmcnt(0)
	v_mul_f64 v[134:135], s[16:17], v[134:135]
.LBB150_32:                             ;   in Loop: Header=BB150_28 Depth=1
	s_or_b64 exec, exec, s[22:23]
	v_add_u32_e32 v138, s29, v147
	v_cmp_le_i32_e32 vcc, s74, v138
	v_min_i32_e32 v138, s26, v138
	v_mad_i64_i32 v[138:139], s[22:23], v138, s27, 0
	v_lshl_add_u64 v[140:141], v[138:139], 3, s[18:19]
	s_or_b64 s[22:23], s[2:3], vcc
	s_nor_b64 s[34:35], s[14:15], s[22:23]
	v_mov_b64_e32 v[138:139], 0
	v_lshl_add_u64 v[142:143], v[128:129], 3, v[140:141]
	v_mov_b64_e32 v[140:141], 0
	s_and_saveexec_b64 s[22:23], s[34:35]
	s_cbranch_execz .LBB150_34
; %bb.33:                               ;   in Loop: Header=BB150_28 Depth=1
	flat_load_dwordx2 v[140:141], v[142:143]
	s_waitcnt vmcnt(0) lgkmcnt(0)
	v_mul_f64 v[140:141], s[16:17], v[140:141]
.LBB150_34:                             ;   in Loop: Header=BB150_28 Depth=1
	s_or_b64 exec, exec, s[22:23]
	s_or_b64 s[22:23], s[4:5], vcc
	s_nor_b64 s[34:35], s[14:15], s[22:23]
	s_and_saveexec_b64 s[22:23], s[34:35]
	s_cbranch_execz .LBB150_36
; %bb.35:                               ;   in Loop: Header=BB150_28 Depth=1
	flat_load_dwordx2 v[138:139], v[142:143] offset:512
	s_waitcnt vmcnt(0) lgkmcnt(0)
	v_mul_f64 v[138:139], s[16:17], v[138:139]
.LBB150_36:                             ;   in Loop: Header=BB150_28 Depth=1
	s_or_b64 exec, exec, s[22:23]
	s_mov_b32 s22, 0
.LBB150_37:                             ;   Parent Loop BB150_28 Depth=1
                                        ; =>  This Inner Loop Header: Depth=2
	v_add_u32_e32 v142, s22, v155
	ds_read2_b64 v[158:161], v142 offset1:16
	ds_read2_b64 v[162:165], v142 offset0:32 offset1:48
	ds_read2_b64 v[166:169], v142 offset0:64 offset1:80
	;; [unrolled: 1-line block ×7, first 2 shown]
	v_add_u32_e32 v142, 0x800, v142
	ds_read2_b64 v[190:193], v142 offset1:16
	ds_read2_b64 v[194:197], v142 offset0:32 offset1:48
	ds_read2_b64 v[198:201], v142 offset0:64 offset1:80
	;; [unrolled: 1-line block ×7, first 2 shown]
	v_add_u32_e32 v142, s22, v148
	ds_read2st64_b64 v[222:225], v142 offset1:4
	s_waitcnt lgkmcnt(14)
	v_max_f64 v[158:159], v[158:159], v[158:159]
	v_max_f64 v[160:161], v[160:161], v[160:161]
	v_max_f64 v[162:163], v[162:163], v[162:163]
	v_max_f64 v[164:165], v[164:165], v[164:165]
	s_waitcnt lgkmcnt(0)
	v_max_f64 v[142:143], v[222:223], v[222:223]
	v_min_f64 v[222:223], v[158:159], v[142:143]
	v_add_f64 v[126:127], v[126:127], v[222:223]
	v_min_f64 v[222:223], v[160:161], v[142:143]
	v_add_f64 v[124:125], v[124:125], v[222:223]
	;; [unrolled: 2-line block ×3, first 2 shown]
	v_min_f64 v[222:223], v[164:165], v[142:143]
	v_max_f64 v[166:167], v[166:167], v[166:167]
	v_add_f64 v[120:121], v[120:121], v[222:223]
	v_min_f64 v[222:223], v[166:167], v[142:143]
	v_max_f64 v[168:169], v[168:169], v[168:169]
	v_add_f64 v[118:119], v[118:119], v[222:223]
	;; [unrolled: 3-line block ×26, first 2 shown]
	v_min_f64 v[222:223], v[216:217], v[142:143]
	v_max_f64 v[218:219], v[218:219], v[218:219]
	v_max_f64 v[220:221], v[220:221], v[220:221]
	v_add_f64 v[68:69], v[68:69], v[222:223]
	v_min_f64 v[222:223], v[218:219], v[142:143]
	v_min_f64 v[142:143], v[220:221], v[142:143]
	v_add_f64 v[64:65], v[64:65], v[142:143]
	v_max_f64 v[142:143], v[224:225], v[224:225]
	v_min_f64 v[158:159], v[158:159], v[142:143]
	v_add_f64 v[62:63], v[62:63], v[158:159]
	v_min_f64 v[158:159], v[160:161], v[142:143]
	v_add_f64 v[60:61], v[60:61], v[158:159]
	;; [unrolled: 2-line block ×30, first 2 shown]
	v_min_f64 v[158:159], v[218:219], v[142:143]
	v_min_f64 v[142:143], v[220:221], v[142:143]
	s_add_i32 s22, s22, 8
	v_add_f64 v[66:67], v[66:67], v[222:223]
	v_add_f64 v[2:3], v[2:3], v[158:159]
	;; [unrolled: 1-line block ×3, first 2 shown]
	s_cmp_eq_u32 s22, 32
	s_cbranch_scc0 .LBB150_37
; %bb.38:                               ;   in Loop: Header=BB150_28 Depth=1
	ds_write2st64_b64 v149, v[136:137], v[134:135] offset1:4
	ds_write2st64_b64 v150, v[140:141], v[138:139] offset1:4
	v_or_b32_e32 v134, 4, v156
	v_cmp_le_i32_e32 vcc, s74, v134
	v_min_i32_e32 v134, s26, v134
	v_ashrrev_i32_e32 v135, 31, v134
	v_lshl_add_u64 v[138:139], v[134:135], 3, s[20:21]
	s_nor_b64 s[34:35], vcc, s[6:7]
	v_mov_b64_e32 v[134:135], 0
	v_mov_b64_e32 v[136:137], 0
	s_waitcnt lgkmcnt(0)
	s_barrier
	s_and_saveexec_b64 s[22:23], s[34:35]
	s_cbranch_execz .LBB150_40
; %bb.39:                               ;   in Loop: Header=BB150_28 Depth=1
	v_lshl_add_u64 v[136:137], v[130:131], 3, v[138:139]
	flat_load_dwordx2 v[136:137], v[136:137]
	s_waitcnt vmcnt(0) lgkmcnt(0)
	v_mul_f64 v[136:137], s[16:17], v[136:137]
.LBB150_40:                             ;   in Loop: Header=BB150_28 Depth=1
	s_or_b64 exec, exec, s[22:23]
	s_nor_b64 s[34:35], vcc, s[8:9]
	s_and_saveexec_b64 s[22:23], s[34:35]
	s_cbranch_execz .LBB150_42
; %bb.41:                               ;   in Loop: Header=BB150_28 Depth=1
	v_lshl_add_u64 v[134:135], v[132:133], 3, v[138:139]
	flat_load_dwordx2 v[134:135], v[134:135]
	s_waitcnt vmcnt(0) lgkmcnt(0)
	v_mul_f64 v[134:135], s[16:17], v[134:135]
.LBB150_42:                             ;   in Loop: Header=BB150_28 Depth=1
	s_or_b64 exec, exec, s[22:23]
	v_add3_u32 v138, v147, s29, 4
	v_cmp_le_i32_e32 vcc, s74, v138
	v_min_i32_e32 v138, s26, v138
	v_mad_i64_i32 v[138:139], s[22:23], v138, s27, 0
	v_lshl_add_u64 v[140:141], v[138:139], 3, s[18:19]
	s_or_b64 s[22:23], s[2:3], vcc
	s_nor_b64 s[34:35], s[14:15], s[22:23]
	v_mov_b64_e32 v[138:139], 0
	v_lshl_add_u64 v[142:143], v[128:129], 3, v[140:141]
	v_mov_b64_e32 v[140:141], 0
	s_and_saveexec_b64 s[22:23], s[34:35]
	s_cbranch_execz .LBB150_44
; %bb.43:                               ;   in Loop: Header=BB150_28 Depth=1
	flat_load_dwordx2 v[140:141], v[142:143]
	s_waitcnt vmcnt(0) lgkmcnt(0)
	v_mul_f64 v[140:141], s[16:17], v[140:141]
.LBB150_44:                             ;   in Loop: Header=BB150_28 Depth=1
	s_or_b64 exec, exec, s[22:23]
	s_or_b64 s[22:23], s[4:5], vcc
	s_nor_b64 s[34:35], s[14:15], s[22:23]
	s_and_saveexec_b64 s[22:23], s[34:35]
	s_cbranch_execz .LBB150_46
; %bb.45:                               ;   in Loop: Header=BB150_28 Depth=1
	flat_load_dwordx2 v[138:139], v[142:143] offset:512
	s_waitcnt vmcnt(0) lgkmcnt(0)
	v_mul_f64 v[138:139], s[16:17], v[138:139]
.LBB150_46:                             ;   in Loop: Header=BB150_28 Depth=1
	s_or_b64 exec, exec, s[22:23]
	s_mov_b32 s22, 0
.LBB150_47:                             ;   Parent Loop BB150_28 Depth=1
                                        ; =>  This Inner Loop Header: Depth=2
	v_add_u32_e32 v142, s22, v151
	v_add_u32_e32 v143, s22, v152
	ds_read2_b64 v[156:159], v142 offset1:16
	ds_read2_b64 v[160:163], v142 offset0:32 offset1:48
	ds_read2_b64 v[164:167], v142 offset0:64 offset1:80
	;; [unrolled: 1-line block ×7, first 2 shown]
	v_add_u32_e32 v142, 0x800, v142
	ds_read2st64_b64 v[188:191], v143 offset1:4
	ds_read2_b64 v[192:195], v142 offset1:16
	ds_read2_b64 v[196:199], v142 offset0:32 offset1:48
	ds_read2_b64 v[200:203], v142 offset0:64 offset1:80
	;; [unrolled: 1-line block ×7, first 2 shown]
	s_waitcnt lgkmcnt(14)
	v_max_f64 v[156:157], v[156:157], v[156:157]
	v_max_f64 v[158:159], v[158:159], v[158:159]
	;; [unrolled: 1-line block ×3, first 2 shown]
	s_waitcnt lgkmcnt(8)
	v_max_f64 v[142:143], v[188:189], v[188:189]
	v_max_f64 v[162:163], v[162:163], v[162:163]
	;; [unrolled: 1-line block ×15, first 2 shown]
	v_min_f64 v[190:191], v[156:157], v[142:143]
	v_min_f64 v[224:225], v[158:159], v[142:143]
	;; [unrolled: 1-line block ×16, first 2 shown]
	s_waitcnt lgkmcnt(7)
	v_max_f64 v[192:193], v[192:193], v[192:193]
	v_max_f64 v[194:195], v[194:195], v[194:195]
	s_waitcnt lgkmcnt(6)
	v_max_f64 v[196:197], v[196:197], v[196:197]
	v_max_f64 v[198:199], v[198:199], v[198:199]
	;; [unrolled: 3-line block ×8, first 2 shown]
	v_min_f64 v[156:157], v[156:157], v[188:189]
	v_min_f64 v[158:159], v[158:159], v[188:189]
	;; [unrolled: 1-line block ×16, first 2 shown]
	s_add_i32 s22, s22, 8
	v_add_f64 v[126:127], v[126:127], v[190:191]
	v_add_f64 v[124:125], v[124:125], v[224:225]
	;; [unrolled: 1-line block ×15, first 2 shown]
	v_min_f64 v[190:191], v[192:193], v[142:143]
	v_min_f64 v[224:225], v[194:195], v[142:143]
	;; [unrolled: 1-line block ×16, first 2 shown]
	v_add_f64 v[62:63], v[62:63], v[156:157]
	v_add_f64 v[60:61], v[60:61], v[158:159]
	;; [unrolled: 1-line block ×16, first 2 shown]
	v_min_f64 v[156:157], v[192:193], v[188:189]
	v_min_f64 v[158:159], v[194:195], v[188:189]
	;; [unrolled: 1-line block ×16, first 2 shown]
	s_cmp_eq_u32 s22, 32
	v_add_f64 v[96:97], v[96:97], v[252:253]
	v_add_f64 v[94:95], v[94:95], v[190:191]
	;; [unrolled: 1-line block ×33, first 2 shown]
	s_cbranch_scc0 .LBB150_47
; %bb.48:                               ;   in Loop: Header=BB150_28 Depth=1
	s_add_i32 s29, s29, 8
	s_add_i32 s30, s30, 8
	s_cmp_ge_i32 s30, s28
	ds_write2st64_b64 v153, v[136:137], v[134:135] offset1:4
	ds_write2st64_b64 v154, v[140:141], v[138:139] offset1:4
	s_waitcnt lgkmcnt(0)
	s_barrier
	s_cbranch_scc0 .LBB150_28
.LBB150_49:
	v_mov_b32_e32 v128, 0x1000
	v_lshl_add_u32 v128, v144, 5, v128
	s_mov_b32 s2, 0
.LBB150_50:                             ; =>This Inner Loop Header: Depth=1
	v_add_u32_e32 v129, s2, v128
	v_add_u32_e32 v142, s2, v148
	ds_read2_b64 v[130:133], v129 offset1:16
	ds_read2_b64 v[134:137], v129 offset0:32 offset1:48
	ds_read2_b64 v[138:141], v129 offset0:64 offset1:80
	;; [unrolled: 1-line block ×7, first 2 shown]
	v_add_u32_e32 v129, 0x800, v129
	ds_read2st64_b64 v[170:173], v142 offset1:4
	ds_read2_b64 v[174:177], v129 offset1:16
	ds_read2_b64 v[178:181], v129 offset0:32 offset1:48
	ds_read2_b64 v[182:185], v129 offset0:64 offset1:80
	;; [unrolled: 1-line block ×7, first 2 shown]
	s_waitcnt lgkmcnt(14)
	v_max_f64 v[130:131], v[130:131], v[130:131]
	v_max_f64 v[132:133], v[132:133], v[132:133]
	;; [unrolled: 1-line block ×3, first 2 shown]
	s_waitcnt lgkmcnt(8)
	v_max_f64 v[142:143], v[170:171], v[170:171]
	v_max_f64 v[136:137], v[136:137], v[136:137]
	;; [unrolled: 1-line block ×15, first 2 shown]
	v_min_f64 v[170:171], v[130:131], v[142:143]
	v_min_f64 v[172:173], v[132:133], v[142:143]
	;; [unrolled: 1-line block ×16, first 2 shown]
	s_waitcnt lgkmcnt(7)
	v_max_f64 v[174:175], v[174:175], v[174:175]
	v_max_f64 v[176:177], v[176:177], v[176:177]
	s_waitcnt lgkmcnt(6)
	v_max_f64 v[178:179], v[178:179], v[178:179]
	v_max_f64 v[180:181], v[180:181], v[180:181]
	s_waitcnt lgkmcnt(5)
	v_max_f64 v[182:183], v[182:183], v[182:183]
	v_max_f64 v[184:185], v[184:185], v[184:185]
	s_waitcnt lgkmcnt(4)
	v_max_f64 v[186:187], v[186:187], v[186:187]
	v_max_f64 v[188:189], v[188:189], v[188:189]
	s_waitcnt lgkmcnt(3)
	v_max_f64 v[190:191], v[190:191], v[190:191]
	v_max_f64 v[192:193], v[192:193], v[192:193]
	s_waitcnt lgkmcnt(2)
	v_max_f64 v[194:195], v[194:195], v[194:195]
	v_max_f64 v[196:197], v[196:197], v[196:197]
	s_waitcnt lgkmcnt(1)
	v_max_f64 v[198:199], v[198:199], v[198:199]
	v_max_f64 v[200:201], v[200:201], v[200:201]
	s_waitcnt lgkmcnt(0)
	v_max_f64 v[202:203], v[202:203], v[202:203]
	v_max_f64 v[204:205], v[204:205], v[204:205]
	v_min_f64 v[130:131], v[130:131], v[168:169]
	v_min_f64 v[132:133], v[132:133], v[168:169]
	;; [unrolled: 1-line block ×16, first 2 shown]
	s_add_i32 s2, s2, 8
	v_add_f64 v[126:127], v[126:127], v[170:171]
	v_add_f64 v[124:125], v[124:125], v[172:173]
	;; [unrolled: 1-line block ×15, first 2 shown]
	v_min_f64 v[170:171], v[174:175], v[142:143]
	v_min_f64 v[172:173], v[176:177], v[142:143]
	;; [unrolled: 1-line block ×16, first 2 shown]
	v_add_f64 v[62:63], v[62:63], v[130:131]
	v_add_f64 v[60:61], v[60:61], v[132:133]
	;; [unrolled: 1-line block ×16, first 2 shown]
	v_min_f64 v[130:131], v[174:175], v[168:169]
	v_min_f64 v[132:133], v[176:177], v[168:169]
	;; [unrolled: 1-line block ×16, first 2 shown]
	s_cmp_eq_u32 s2, 32
	v_add_f64 v[96:97], v[96:97], v[232:233]
	v_add_f64 v[94:95], v[94:95], v[170:171]
	;; [unrolled: 1-line block ×33, first 2 shown]
	s_cbranch_scc0 .LBB150_50
; %bb.51:
	s_load_dwordx2 s[2:3], s[0:1], 0x78
	s_load_dword s78, s[0:1], 0x58
	s_load_dword s33, s[0:1], 0x70
	v_add_u32_e32 v136, s25, v145
	v_add_u32_e32 v128, s24, v144
	s_waitcnt lgkmcnt(0)
	s_lshl_b64 s[0:1], s[2:3], 3
	s_add_u32 s74, s12, s0
	s_addc_u32 s75, s13, s1
	v_mad_i64_i32 v[130:131], s[0:1], v136, s78, 0
	v_cmp_gt_i32_e64 s[24:25], s73, v136
	v_lshl_add_u64 v[132:133], v[130:131], 3, s[76:77]
	v_mad_i64_i32 v[130:131], s[0:1], v136, s33, 0
	v_cmp_gt_i32_e64 s[2:3], s72, v128
	v_cndmask_b32_e64 v134, 0, 1, s[10:11]
	v_lshl_add_u64 v[130:131], v[130:131], 3, s[74:75]
	s_and_b64 s[6:7], s[24:25], s[2:3]
	v_ashrrev_i32_e32 v129, 31, v128
	v_cmp_ne_u32_e64 s[0:1], 1, v134
	s_and_saveexec_b64 s[4:5], s[6:7]
	s_cbranch_execz .LBB150_56
; %bb.52:
	s_and_b64 vcc, exec, s[0:1]
	s_cbranch_vccnz .LBB150_54
; %bb.53:
	v_lshl_add_u64 v[134:135], v[128:129], 3, v[132:133]
	flat_load_dwordx2 v[134:135], v[134:135]
	s_waitcnt vmcnt(0) lgkmcnt(0)
	v_mul_f64 v[134:135], s[70:71], v[134:135]
	s_branch .LBB150_55
.LBB150_54:
	v_mov_b64_e32 v[134:135], 0
.LBB150_55:
	v_add_f64 v[126:127], v[126:127], v[134:135]
	v_lshl_add_u64 v[134:135], v[128:129], 3, v[130:131]
	flat_store_dwordx2 v[134:135], v[126:127]
.LBB150_56:
	s_or_b64 exec, exec, s[4:5]
	v_add_u32_e32 v126, 4, v128
	v_cmp_gt_i32_e64 s[4:5], s72, v126
	s_and_b64 s[8:9], s[24:25], s[4:5]
	v_ashrrev_i32_e32 v127, 31, v126
	s_and_saveexec_b64 s[6:7], s[8:9]
	s_cbranch_execz .LBB150_61
; %bb.57:
	s_and_b64 vcc, exec, s[0:1]
	s_cbranch_vccnz .LBB150_59
; %bb.58:
	v_lshl_add_u64 v[134:135], v[126:127], 3, v[132:133]
	flat_load_dwordx2 v[134:135], v[134:135]
	s_waitcnt vmcnt(0) lgkmcnt(0)
	v_mul_f64 v[134:135], s[70:71], v[134:135]
	s_branch .LBB150_60
.LBB150_59:
	v_mov_b64_e32 v[134:135], 0
.LBB150_60:
	v_add_f64 v[124:125], v[124:125], v[134:135]
	v_lshl_add_u64 v[134:135], v[126:127], 3, v[130:131]
	flat_store_dwordx2 v[134:135], v[124:125]
.LBB150_61:
	s_or_b64 exec, exec, s[6:7]
	v_add_u32_e32 v124, 8, v128
	v_cmp_gt_i32_e64 s[6:7], s72, v124
	s_and_b64 s[10:11], s[24:25], s[6:7]
	v_ashrrev_i32_e32 v125, 31, v124
	;; [unrolled: 23-line block ×31, first 2 shown]
	s_and_saveexec_b64 s[24:25], s[80:81]
	s_cbranch_execz .LBB150_211
; %bb.207:
	s_and_b64 vcc, exec, s[0:1]
	s_cbranch_vccnz .LBB150_209
; %bb.208:
	v_lshl_add_u64 v[132:133], v[66:67], 3, v[132:133]
	flat_load_dwordx2 v[132:133], v[132:133]
	s_waitcnt vmcnt(0) lgkmcnt(0)
	v_mul_f64 v[132:133], s[70:71], v[132:133]
	s_branch .LBB150_210
.LBB150_209:
	v_mov_b64_e32 v[132:133], 0
.LBB150_210:
	v_add_f64 v[64:65], v[64:65], v[132:133]
	v_lshl_add_u64 v[130:131], v[66:67], 3, v[130:131]
	flat_store_dwordx2 v[130:131], v[64:65]
.LBB150_211:
	s_or_b64 exec, exec, s[24:25]
	v_add_u32_e32 v132, 64, v136
	v_cmp_gt_i32_e64 s[24:25], s73, v132
	v_mad_i64_i32 v[64:65], s[72:73], v132, s78, 0
	v_lshl_add_u64 v[130:131], v[64:65], 3, s[76:77]
	v_mad_i64_i32 v[64:65], s[72:73], v132, s33, 0
	v_lshl_add_u64 v[64:65], v[64:65], 3, s[74:75]
	s_and_b64 s[2:3], s[24:25], s[2:3]
	s_and_saveexec_b64 s[72:73], s[2:3]
	s_xor_b64 s[2:3], exec, s[72:73]
	s_cbranch_execnz .LBB150_244
; %bb.212:
	s_or_b64 exec, exec, s[2:3]
	s_and_b64 s[4:5], s[24:25], s[4:5]
	s_and_saveexec_b64 s[2:3], s[4:5]
	s_cbranch_execnz .LBB150_248
.LBB150_213:
	s_or_b64 exec, exec, s[2:3]
	s_and_b64 s[4:5], s[24:25], s[6:7]
	s_and_saveexec_b64 s[2:3], s[4:5]
	s_cbranch_execnz .LBB150_252
.LBB150_214:
	s_or_b64 exec, exec, s[2:3]
	s_and_b64 s[4:5], s[24:25], s[8:9]
	s_and_saveexec_b64 s[2:3], s[4:5]
	s_cbranch_execnz .LBB150_256
.LBB150_215:
	s_or_b64 exec, exec, s[2:3]
	s_and_b64 s[4:5], s[24:25], s[10:11]
	s_and_saveexec_b64 s[2:3], s[4:5]
	s_cbranch_execnz .LBB150_260
.LBB150_216:
	s_or_b64 exec, exec, s[2:3]
	s_and_b64 s[4:5], s[24:25], s[12:13]
	s_and_saveexec_b64 s[2:3], s[4:5]
	s_cbranch_execnz .LBB150_264
.LBB150_217:
	s_or_b64 exec, exec, s[2:3]
	s_and_b64 s[4:5], s[24:25], s[14:15]
	s_and_saveexec_b64 s[2:3], s[4:5]
	s_cbranch_execnz .LBB150_268
.LBB150_218:
	s_or_b64 exec, exec, s[2:3]
	s_and_b64 s[4:5], s[24:25], s[16:17]
	s_and_saveexec_b64 s[2:3], s[4:5]
	s_cbranch_execnz .LBB150_272
.LBB150_219:
	s_or_b64 exec, exec, s[2:3]
	s_and_b64 s[4:5], s[24:25], s[18:19]
	s_and_saveexec_b64 s[2:3], s[4:5]
	s_cbranch_execnz .LBB150_276
.LBB150_220:
	s_or_b64 exec, exec, s[2:3]
	s_and_b64 s[4:5], s[24:25], s[20:21]
	s_and_saveexec_b64 s[2:3], s[4:5]
	s_cbranch_execnz .LBB150_280
.LBB150_221:
	s_or_b64 exec, exec, s[2:3]
	s_and_b64 s[4:5], s[24:25], s[22:23]
	s_and_saveexec_b64 s[2:3], s[4:5]
	s_cbranch_execnz .LBB150_284
.LBB150_222:
	s_or_b64 exec, exec, s[2:3]
	s_and_b64 s[4:5], s[24:25], s[26:27]
	s_and_saveexec_b64 s[2:3], s[4:5]
	s_cbranch_execnz .LBB150_288
.LBB150_223:
	s_or_b64 exec, exec, s[2:3]
	s_and_b64 s[4:5], s[24:25], s[28:29]
	s_and_saveexec_b64 s[2:3], s[4:5]
	s_cbranch_execnz .LBB150_292
.LBB150_224:
	s_or_b64 exec, exec, s[2:3]
	s_and_b64 s[4:5], s[24:25], s[30:31]
	s_and_saveexec_b64 s[2:3], s[4:5]
	s_cbranch_execnz .LBB150_296
.LBB150_225:
	s_or_b64 exec, exec, s[2:3]
	s_and_b64 s[4:5], s[24:25], s[34:35]
	s_and_saveexec_b64 s[2:3], s[4:5]
	s_cbranch_execnz .LBB150_300
.LBB150_226:
	s_or_b64 exec, exec, s[2:3]
	s_and_b64 s[4:5], s[24:25], s[36:37]
	s_and_saveexec_b64 s[2:3], s[4:5]
	s_cbranch_execnz .LBB150_304
.LBB150_227:
	s_or_b64 exec, exec, s[2:3]
	s_and_b64 s[4:5], s[24:25], s[38:39]
	s_and_saveexec_b64 s[2:3], s[4:5]
	s_cbranch_execnz .LBB150_308
.LBB150_228:
	s_or_b64 exec, exec, s[2:3]
	s_and_b64 s[4:5], s[24:25], s[40:41]
	s_and_saveexec_b64 s[2:3], s[4:5]
	s_cbranch_execnz .LBB150_312
.LBB150_229:
	s_or_b64 exec, exec, s[2:3]
	s_and_b64 s[4:5], s[24:25], s[42:43]
	s_and_saveexec_b64 s[2:3], s[4:5]
	s_cbranch_execnz .LBB150_316
.LBB150_230:
	s_or_b64 exec, exec, s[2:3]
	s_and_b64 s[4:5], s[24:25], s[44:45]
	s_and_saveexec_b64 s[2:3], s[4:5]
	s_cbranch_execnz .LBB150_320
.LBB150_231:
	s_or_b64 exec, exec, s[2:3]
	s_and_b64 s[4:5], s[24:25], s[46:47]
	s_and_saveexec_b64 s[2:3], s[4:5]
	s_cbranch_execnz .LBB150_324
.LBB150_232:
	s_or_b64 exec, exec, s[2:3]
	s_and_b64 s[4:5], s[24:25], s[48:49]
	s_and_saveexec_b64 s[2:3], s[4:5]
	s_cbranch_execnz .LBB150_328
.LBB150_233:
	s_or_b64 exec, exec, s[2:3]
	s_and_b64 s[4:5], s[24:25], s[50:51]
	s_and_saveexec_b64 s[2:3], s[4:5]
	s_cbranch_execnz .LBB150_332
.LBB150_234:
	s_or_b64 exec, exec, s[2:3]
	s_and_b64 s[4:5], s[24:25], s[52:53]
	s_and_saveexec_b64 s[2:3], s[4:5]
	s_cbranch_execnz .LBB150_336
.LBB150_235:
	s_or_b64 exec, exec, s[2:3]
	s_and_b64 s[4:5], s[24:25], s[54:55]
	s_and_saveexec_b64 s[2:3], s[4:5]
	s_cbranch_execnz .LBB150_340
.LBB150_236:
	s_or_b64 exec, exec, s[2:3]
	s_and_b64 s[4:5], s[24:25], s[56:57]
	s_and_saveexec_b64 s[2:3], s[4:5]
	s_cbranch_execnz .LBB150_344
.LBB150_237:
	s_or_b64 exec, exec, s[2:3]
	s_and_b64 s[4:5], s[24:25], s[58:59]
	s_and_saveexec_b64 s[2:3], s[4:5]
	s_cbranch_execnz .LBB150_348
.LBB150_238:
	s_or_b64 exec, exec, s[2:3]
	s_and_b64 s[4:5], s[24:25], s[60:61]
	s_and_saveexec_b64 s[2:3], s[4:5]
	s_cbranch_execnz .LBB150_352
.LBB150_239:
	s_or_b64 exec, exec, s[2:3]
	s_and_b64 s[4:5], s[24:25], s[62:63]
	s_and_saveexec_b64 s[2:3], s[4:5]
	s_cbranch_execnz .LBB150_356
.LBB150_240:
	s_or_b64 exec, exec, s[2:3]
	s_and_b64 s[4:5], s[24:25], s[64:65]
	s_and_saveexec_b64 s[2:3], s[4:5]
	s_cbranch_execnz .LBB150_360
.LBB150_241:
	s_or_b64 exec, exec, s[2:3]
	s_and_b64 s[4:5], s[24:25], s[66:67]
	s_and_saveexec_b64 s[2:3], s[4:5]
	s_cbranch_execnz .LBB150_364
.LBB150_242:
	s_or_b64 exec, exec, s[2:3]
	s_and_b64 s[2:3], s[24:25], s[68:69]
	s_and_saveexec_b64 s[4:5], s[2:3]
	s_cbranch_execnz .LBB150_368
.LBB150_243:
	s_endpgm
.LBB150_244:
	s_and_b64 vcc, exec, s[0:1]
	s_cbranch_vccnz .LBB150_246
; %bb.245:
	v_lshl_add_u64 v[132:133], v[128:129], 3, v[130:131]
	flat_load_dwordx2 v[132:133], v[132:133]
	s_waitcnt vmcnt(0) lgkmcnt(0)
	v_mul_f64 v[132:133], s[70:71], v[132:133]
	s_branch .LBB150_247
.LBB150_246:
	v_mov_b64_e32 v[132:133], 0
.LBB150_247:
	v_add_f64 v[62:63], v[62:63], v[132:133]
	v_lshl_add_u64 v[128:129], v[128:129], 3, v[64:65]
	flat_store_dwordx2 v[128:129], v[62:63]
	s_or_b64 exec, exec, s[2:3]
	s_and_b64 s[4:5], s[24:25], s[4:5]
	s_and_saveexec_b64 s[2:3], s[4:5]
	s_cbranch_execz .LBB150_213
.LBB150_248:
	s_and_b64 vcc, exec, s[0:1]
	s_cbranch_vccnz .LBB150_250
; %bb.249:
	v_lshl_add_u64 v[62:63], v[126:127], 3, v[130:131]
	flat_load_dwordx2 v[62:63], v[62:63]
	s_waitcnt vmcnt(0) lgkmcnt(0)
	v_mul_f64 v[62:63], s[70:71], v[62:63]
	s_branch .LBB150_251
.LBB150_250:
	v_mov_b64_e32 v[62:63], 0
.LBB150_251:
	v_add_f64 v[60:61], v[60:61], v[62:63]
	v_lshl_add_u64 v[62:63], v[126:127], 3, v[64:65]
	flat_store_dwordx2 v[62:63], v[60:61]
	s_or_b64 exec, exec, s[2:3]
	s_and_b64 s[4:5], s[24:25], s[6:7]
	s_and_saveexec_b64 s[2:3], s[4:5]
	s_cbranch_execz .LBB150_214
.LBB150_252:
	s_and_b64 vcc, exec, s[0:1]
	s_cbranch_vccnz .LBB150_254
; %bb.253:
	v_lshl_add_u64 v[60:61], v[124:125], 3, v[130:131]
	flat_load_dwordx2 v[60:61], v[60:61]
	s_waitcnt vmcnt(0) lgkmcnt(0)
	v_mul_f64 v[60:61], s[70:71], v[60:61]
	s_branch .LBB150_255
.LBB150_254:
	v_mov_b64_e32 v[60:61], 0
.LBB150_255:
	v_add_f64 v[58:59], v[58:59], v[60:61]
	v_lshl_add_u64 v[60:61], v[124:125], 3, v[64:65]
	flat_store_dwordx2 v[60:61], v[58:59]
	s_or_b64 exec, exec, s[2:3]
	s_and_b64 s[4:5], s[24:25], s[8:9]
	s_and_saveexec_b64 s[2:3], s[4:5]
	s_cbranch_execz .LBB150_215
.LBB150_256:
	s_and_b64 vcc, exec, s[0:1]
	s_cbranch_vccnz .LBB150_258
; %bb.257:
	v_lshl_add_u64 v[58:59], v[122:123], 3, v[130:131]
	flat_load_dwordx2 v[58:59], v[58:59]
	s_waitcnt vmcnt(0) lgkmcnt(0)
	v_mul_f64 v[58:59], s[70:71], v[58:59]
	s_branch .LBB150_259
.LBB150_258:
	v_mov_b64_e32 v[58:59], 0
.LBB150_259:
	v_add_f64 v[56:57], v[56:57], v[58:59]
	v_lshl_add_u64 v[58:59], v[122:123], 3, v[64:65]
	flat_store_dwordx2 v[58:59], v[56:57]
	s_or_b64 exec, exec, s[2:3]
	s_and_b64 s[4:5], s[24:25], s[10:11]
	s_and_saveexec_b64 s[2:3], s[4:5]
	s_cbranch_execz .LBB150_216
.LBB150_260:
	s_and_b64 vcc, exec, s[0:1]
	s_cbranch_vccnz .LBB150_262
; %bb.261:
	v_lshl_add_u64 v[56:57], v[120:121], 3, v[130:131]
	flat_load_dwordx2 v[56:57], v[56:57]
	s_waitcnt vmcnt(0) lgkmcnt(0)
	v_mul_f64 v[56:57], s[70:71], v[56:57]
	s_branch .LBB150_263
.LBB150_262:
	v_mov_b64_e32 v[56:57], 0
.LBB150_263:
	v_add_f64 v[54:55], v[54:55], v[56:57]
	v_lshl_add_u64 v[56:57], v[120:121], 3, v[64:65]
	flat_store_dwordx2 v[56:57], v[54:55]
	s_or_b64 exec, exec, s[2:3]
	s_and_b64 s[4:5], s[24:25], s[12:13]
	s_and_saveexec_b64 s[2:3], s[4:5]
	s_cbranch_execz .LBB150_217
.LBB150_264:
	s_and_b64 vcc, exec, s[0:1]
	s_cbranch_vccnz .LBB150_266
; %bb.265:
	v_lshl_add_u64 v[54:55], v[118:119], 3, v[130:131]
	flat_load_dwordx2 v[54:55], v[54:55]
	s_waitcnt vmcnt(0) lgkmcnt(0)
	v_mul_f64 v[54:55], s[70:71], v[54:55]
	s_branch .LBB150_267
.LBB150_266:
	v_mov_b64_e32 v[54:55], 0
.LBB150_267:
	v_add_f64 v[52:53], v[52:53], v[54:55]
	v_lshl_add_u64 v[54:55], v[118:119], 3, v[64:65]
	flat_store_dwordx2 v[54:55], v[52:53]
	s_or_b64 exec, exec, s[2:3]
	s_and_b64 s[4:5], s[24:25], s[14:15]
	s_and_saveexec_b64 s[2:3], s[4:5]
	s_cbranch_execz .LBB150_218
.LBB150_268:
	s_and_b64 vcc, exec, s[0:1]
	s_cbranch_vccnz .LBB150_270
; %bb.269:
	v_lshl_add_u64 v[52:53], v[116:117], 3, v[130:131]
	flat_load_dwordx2 v[52:53], v[52:53]
	s_waitcnt vmcnt(0) lgkmcnt(0)
	v_mul_f64 v[52:53], s[70:71], v[52:53]
	s_branch .LBB150_271
.LBB150_270:
	v_mov_b64_e32 v[52:53], 0
.LBB150_271:
	v_add_f64 v[50:51], v[50:51], v[52:53]
	v_lshl_add_u64 v[52:53], v[116:117], 3, v[64:65]
	flat_store_dwordx2 v[52:53], v[50:51]
	s_or_b64 exec, exec, s[2:3]
	s_and_b64 s[4:5], s[24:25], s[16:17]
	s_and_saveexec_b64 s[2:3], s[4:5]
	s_cbranch_execz .LBB150_219
.LBB150_272:
	s_and_b64 vcc, exec, s[0:1]
	s_cbranch_vccnz .LBB150_274
; %bb.273:
	v_lshl_add_u64 v[50:51], v[114:115], 3, v[130:131]
	flat_load_dwordx2 v[50:51], v[50:51]
	s_waitcnt vmcnt(0) lgkmcnt(0)
	v_mul_f64 v[50:51], s[70:71], v[50:51]
	s_branch .LBB150_275
.LBB150_274:
	v_mov_b64_e32 v[50:51], 0
.LBB150_275:
	v_add_f64 v[48:49], v[48:49], v[50:51]
	v_lshl_add_u64 v[50:51], v[114:115], 3, v[64:65]
	flat_store_dwordx2 v[50:51], v[48:49]
	s_or_b64 exec, exec, s[2:3]
	s_and_b64 s[4:5], s[24:25], s[18:19]
	s_and_saveexec_b64 s[2:3], s[4:5]
	s_cbranch_execz .LBB150_220
.LBB150_276:
	s_and_b64 vcc, exec, s[0:1]
	s_cbranch_vccnz .LBB150_278
; %bb.277:
	v_lshl_add_u64 v[48:49], v[112:113], 3, v[130:131]
	flat_load_dwordx2 v[48:49], v[48:49]
	s_waitcnt vmcnt(0) lgkmcnt(0)
	v_mul_f64 v[48:49], s[70:71], v[48:49]
	s_branch .LBB150_279
.LBB150_278:
	v_mov_b64_e32 v[48:49], 0
.LBB150_279:
	v_add_f64 v[46:47], v[46:47], v[48:49]
	v_lshl_add_u64 v[48:49], v[112:113], 3, v[64:65]
	flat_store_dwordx2 v[48:49], v[46:47]
	s_or_b64 exec, exec, s[2:3]
	s_and_b64 s[4:5], s[24:25], s[20:21]
	s_and_saveexec_b64 s[2:3], s[4:5]
	s_cbranch_execz .LBB150_221
.LBB150_280:
	s_and_b64 vcc, exec, s[0:1]
	s_cbranch_vccnz .LBB150_282
; %bb.281:
	v_lshl_add_u64 v[46:47], v[110:111], 3, v[130:131]
	flat_load_dwordx2 v[46:47], v[46:47]
	s_waitcnt vmcnt(0) lgkmcnt(0)
	v_mul_f64 v[46:47], s[70:71], v[46:47]
	s_branch .LBB150_283
.LBB150_282:
	v_mov_b64_e32 v[46:47], 0
.LBB150_283:
	v_add_f64 v[44:45], v[44:45], v[46:47]
	v_lshl_add_u64 v[46:47], v[110:111], 3, v[64:65]
	flat_store_dwordx2 v[46:47], v[44:45]
	s_or_b64 exec, exec, s[2:3]
	s_and_b64 s[4:5], s[24:25], s[22:23]
	s_and_saveexec_b64 s[2:3], s[4:5]
	s_cbranch_execz .LBB150_222
.LBB150_284:
	s_and_b64 vcc, exec, s[0:1]
	s_cbranch_vccnz .LBB150_286
; %bb.285:
	v_lshl_add_u64 v[44:45], v[108:109], 3, v[130:131]
	flat_load_dwordx2 v[44:45], v[44:45]
	s_waitcnt vmcnt(0) lgkmcnt(0)
	v_mul_f64 v[44:45], s[70:71], v[44:45]
	s_branch .LBB150_287
.LBB150_286:
	v_mov_b64_e32 v[44:45], 0
.LBB150_287:
	v_add_f64 v[42:43], v[42:43], v[44:45]
	v_lshl_add_u64 v[44:45], v[108:109], 3, v[64:65]
	flat_store_dwordx2 v[44:45], v[42:43]
	s_or_b64 exec, exec, s[2:3]
	s_and_b64 s[4:5], s[24:25], s[26:27]
	s_and_saveexec_b64 s[2:3], s[4:5]
	s_cbranch_execz .LBB150_223
.LBB150_288:
	s_and_b64 vcc, exec, s[0:1]
	s_cbranch_vccnz .LBB150_290
; %bb.289:
	v_lshl_add_u64 v[42:43], v[106:107], 3, v[130:131]
	flat_load_dwordx2 v[42:43], v[42:43]
	s_waitcnt vmcnt(0) lgkmcnt(0)
	v_mul_f64 v[42:43], s[70:71], v[42:43]
	s_branch .LBB150_291
.LBB150_290:
	v_mov_b64_e32 v[42:43], 0
.LBB150_291:
	v_add_f64 v[40:41], v[40:41], v[42:43]
	v_lshl_add_u64 v[42:43], v[106:107], 3, v[64:65]
	flat_store_dwordx2 v[42:43], v[40:41]
	s_or_b64 exec, exec, s[2:3]
	s_and_b64 s[4:5], s[24:25], s[28:29]
	s_and_saveexec_b64 s[2:3], s[4:5]
	s_cbranch_execz .LBB150_224
.LBB150_292:
	s_and_b64 vcc, exec, s[0:1]
	s_cbranch_vccnz .LBB150_294
; %bb.293:
	v_lshl_add_u64 v[40:41], v[104:105], 3, v[130:131]
	flat_load_dwordx2 v[40:41], v[40:41]
	s_waitcnt vmcnt(0) lgkmcnt(0)
	v_mul_f64 v[40:41], s[70:71], v[40:41]
	s_branch .LBB150_295
.LBB150_294:
	v_mov_b64_e32 v[40:41], 0
.LBB150_295:
	v_add_f64 v[38:39], v[38:39], v[40:41]
	v_lshl_add_u64 v[40:41], v[104:105], 3, v[64:65]
	flat_store_dwordx2 v[40:41], v[38:39]
	s_or_b64 exec, exec, s[2:3]
	s_and_b64 s[4:5], s[24:25], s[30:31]
	s_and_saveexec_b64 s[2:3], s[4:5]
	s_cbranch_execz .LBB150_225
.LBB150_296:
	s_and_b64 vcc, exec, s[0:1]
	s_cbranch_vccnz .LBB150_298
; %bb.297:
	v_lshl_add_u64 v[38:39], v[102:103], 3, v[130:131]
	flat_load_dwordx2 v[38:39], v[38:39]
	s_waitcnt vmcnt(0) lgkmcnt(0)
	v_mul_f64 v[38:39], s[70:71], v[38:39]
	s_branch .LBB150_299
.LBB150_298:
	v_mov_b64_e32 v[38:39], 0
.LBB150_299:
	v_add_f64 v[36:37], v[36:37], v[38:39]
	v_lshl_add_u64 v[38:39], v[102:103], 3, v[64:65]
	flat_store_dwordx2 v[38:39], v[36:37]
	s_or_b64 exec, exec, s[2:3]
	s_and_b64 s[4:5], s[24:25], s[34:35]
	s_and_saveexec_b64 s[2:3], s[4:5]
	s_cbranch_execz .LBB150_226
.LBB150_300:
	s_and_b64 vcc, exec, s[0:1]
	s_cbranch_vccnz .LBB150_302
; %bb.301:
	v_lshl_add_u64 v[36:37], v[100:101], 3, v[130:131]
	flat_load_dwordx2 v[36:37], v[36:37]
	s_waitcnt vmcnt(0) lgkmcnt(0)
	v_mul_f64 v[36:37], s[70:71], v[36:37]
	s_branch .LBB150_303
.LBB150_302:
	v_mov_b64_e32 v[36:37], 0
.LBB150_303:
	v_add_f64 v[34:35], v[34:35], v[36:37]
	v_lshl_add_u64 v[36:37], v[100:101], 3, v[64:65]
	flat_store_dwordx2 v[36:37], v[34:35]
	s_or_b64 exec, exec, s[2:3]
	s_and_b64 s[4:5], s[24:25], s[36:37]
	s_and_saveexec_b64 s[2:3], s[4:5]
	s_cbranch_execz .LBB150_227
.LBB150_304:
	s_and_b64 vcc, exec, s[0:1]
	s_cbranch_vccnz .LBB150_306
; %bb.305:
	v_lshl_add_u64 v[34:35], v[98:99], 3, v[130:131]
	flat_load_dwordx2 v[34:35], v[34:35]
	s_waitcnt vmcnt(0) lgkmcnt(0)
	v_mul_f64 v[34:35], s[70:71], v[34:35]
	s_branch .LBB150_307
.LBB150_306:
	v_mov_b64_e32 v[34:35], 0
.LBB150_307:
	v_add_f64 v[32:33], v[32:33], v[34:35]
	v_lshl_add_u64 v[34:35], v[98:99], 3, v[64:65]
	flat_store_dwordx2 v[34:35], v[32:33]
	s_or_b64 exec, exec, s[2:3]
	s_and_b64 s[4:5], s[24:25], s[38:39]
	s_and_saveexec_b64 s[2:3], s[4:5]
	s_cbranch_execz .LBB150_228
.LBB150_308:
	s_and_b64 vcc, exec, s[0:1]
	s_cbranch_vccnz .LBB150_310
; %bb.309:
	v_lshl_add_u64 v[32:33], v[96:97], 3, v[130:131]
	flat_load_dwordx2 v[32:33], v[32:33]
	s_waitcnt vmcnt(0) lgkmcnt(0)
	v_mul_f64 v[32:33], s[70:71], v[32:33]
	s_branch .LBB150_311
.LBB150_310:
	v_mov_b64_e32 v[32:33], 0
.LBB150_311:
	v_add_f64 v[30:31], v[30:31], v[32:33]
	v_lshl_add_u64 v[32:33], v[96:97], 3, v[64:65]
	flat_store_dwordx2 v[32:33], v[30:31]
	s_or_b64 exec, exec, s[2:3]
	s_and_b64 s[4:5], s[24:25], s[40:41]
	s_and_saveexec_b64 s[2:3], s[4:5]
	s_cbranch_execz .LBB150_229
.LBB150_312:
	s_and_b64 vcc, exec, s[0:1]
	s_cbranch_vccnz .LBB150_314
; %bb.313:
	v_lshl_add_u64 v[30:31], v[94:95], 3, v[130:131]
	flat_load_dwordx2 v[30:31], v[30:31]
	s_waitcnt vmcnt(0) lgkmcnt(0)
	v_mul_f64 v[30:31], s[70:71], v[30:31]
	s_branch .LBB150_315
.LBB150_314:
	v_mov_b64_e32 v[30:31], 0
.LBB150_315:
	v_add_f64 v[28:29], v[28:29], v[30:31]
	v_lshl_add_u64 v[30:31], v[94:95], 3, v[64:65]
	flat_store_dwordx2 v[30:31], v[28:29]
	s_or_b64 exec, exec, s[2:3]
	s_and_b64 s[4:5], s[24:25], s[42:43]
	s_and_saveexec_b64 s[2:3], s[4:5]
	s_cbranch_execz .LBB150_230
.LBB150_316:
	s_and_b64 vcc, exec, s[0:1]
	s_cbranch_vccnz .LBB150_318
; %bb.317:
	v_lshl_add_u64 v[28:29], v[92:93], 3, v[130:131]
	flat_load_dwordx2 v[28:29], v[28:29]
	s_waitcnt vmcnt(0) lgkmcnt(0)
	v_mul_f64 v[28:29], s[70:71], v[28:29]
	s_branch .LBB150_319
.LBB150_318:
	v_mov_b64_e32 v[28:29], 0
.LBB150_319:
	v_add_f64 v[26:27], v[26:27], v[28:29]
	v_lshl_add_u64 v[28:29], v[92:93], 3, v[64:65]
	flat_store_dwordx2 v[28:29], v[26:27]
	s_or_b64 exec, exec, s[2:3]
	s_and_b64 s[4:5], s[24:25], s[44:45]
	s_and_saveexec_b64 s[2:3], s[4:5]
	s_cbranch_execz .LBB150_231
.LBB150_320:
	s_and_b64 vcc, exec, s[0:1]
	s_cbranch_vccnz .LBB150_322
; %bb.321:
	v_lshl_add_u64 v[26:27], v[90:91], 3, v[130:131]
	flat_load_dwordx2 v[26:27], v[26:27]
	s_waitcnt vmcnt(0) lgkmcnt(0)
	v_mul_f64 v[26:27], s[70:71], v[26:27]
	s_branch .LBB150_323
.LBB150_322:
	v_mov_b64_e32 v[26:27], 0
.LBB150_323:
	v_add_f64 v[24:25], v[24:25], v[26:27]
	v_lshl_add_u64 v[26:27], v[90:91], 3, v[64:65]
	flat_store_dwordx2 v[26:27], v[24:25]
	s_or_b64 exec, exec, s[2:3]
	s_and_b64 s[4:5], s[24:25], s[46:47]
	s_and_saveexec_b64 s[2:3], s[4:5]
	s_cbranch_execz .LBB150_232
.LBB150_324:
	s_and_b64 vcc, exec, s[0:1]
	s_cbranch_vccnz .LBB150_326
; %bb.325:
	v_lshl_add_u64 v[24:25], v[88:89], 3, v[130:131]
	flat_load_dwordx2 v[24:25], v[24:25]
	s_waitcnt vmcnt(0) lgkmcnt(0)
	v_mul_f64 v[24:25], s[70:71], v[24:25]
	s_branch .LBB150_327
.LBB150_326:
	v_mov_b64_e32 v[24:25], 0
.LBB150_327:
	v_add_f64 v[22:23], v[22:23], v[24:25]
	v_lshl_add_u64 v[24:25], v[88:89], 3, v[64:65]
	flat_store_dwordx2 v[24:25], v[22:23]
	s_or_b64 exec, exec, s[2:3]
	s_and_b64 s[4:5], s[24:25], s[48:49]
	s_and_saveexec_b64 s[2:3], s[4:5]
	s_cbranch_execz .LBB150_233
.LBB150_328:
	s_and_b64 vcc, exec, s[0:1]
	s_cbranch_vccnz .LBB150_330
; %bb.329:
	v_lshl_add_u64 v[22:23], v[86:87], 3, v[130:131]
	flat_load_dwordx2 v[22:23], v[22:23]
	s_waitcnt vmcnt(0) lgkmcnt(0)
	v_mul_f64 v[22:23], s[70:71], v[22:23]
	s_branch .LBB150_331
.LBB150_330:
	v_mov_b64_e32 v[22:23], 0
.LBB150_331:
	v_add_f64 v[20:21], v[20:21], v[22:23]
	v_lshl_add_u64 v[22:23], v[86:87], 3, v[64:65]
	flat_store_dwordx2 v[22:23], v[20:21]
	s_or_b64 exec, exec, s[2:3]
	s_and_b64 s[4:5], s[24:25], s[50:51]
	s_and_saveexec_b64 s[2:3], s[4:5]
	s_cbranch_execz .LBB150_234
.LBB150_332:
	s_and_b64 vcc, exec, s[0:1]
	s_cbranch_vccnz .LBB150_334
; %bb.333:
	v_lshl_add_u64 v[20:21], v[84:85], 3, v[130:131]
	flat_load_dwordx2 v[20:21], v[20:21]
	s_waitcnt vmcnt(0) lgkmcnt(0)
	v_mul_f64 v[20:21], s[70:71], v[20:21]
	s_branch .LBB150_335
.LBB150_334:
	v_mov_b64_e32 v[20:21], 0
.LBB150_335:
	v_add_f64 v[18:19], v[18:19], v[20:21]
	v_lshl_add_u64 v[20:21], v[84:85], 3, v[64:65]
	flat_store_dwordx2 v[20:21], v[18:19]
	s_or_b64 exec, exec, s[2:3]
	s_and_b64 s[4:5], s[24:25], s[52:53]
	s_and_saveexec_b64 s[2:3], s[4:5]
	s_cbranch_execz .LBB150_235
.LBB150_336:
	s_and_b64 vcc, exec, s[0:1]
	s_cbranch_vccnz .LBB150_338
; %bb.337:
	v_lshl_add_u64 v[18:19], v[82:83], 3, v[130:131]
	flat_load_dwordx2 v[18:19], v[18:19]
	s_waitcnt vmcnt(0) lgkmcnt(0)
	v_mul_f64 v[18:19], s[70:71], v[18:19]
	s_branch .LBB150_339
.LBB150_338:
	v_mov_b64_e32 v[18:19], 0
.LBB150_339:
	v_add_f64 v[16:17], v[16:17], v[18:19]
	v_lshl_add_u64 v[18:19], v[82:83], 3, v[64:65]
	flat_store_dwordx2 v[18:19], v[16:17]
	s_or_b64 exec, exec, s[2:3]
	s_and_b64 s[4:5], s[24:25], s[54:55]
	s_and_saveexec_b64 s[2:3], s[4:5]
	s_cbranch_execz .LBB150_236
.LBB150_340:
	s_and_b64 vcc, exec, s[0:1]
	s_cbranch_vccnz .LBB150_342
; %bb.341:
	v_lshl_add_u64 v[16:17], v[80:81], 3, v[130:131]
	flat_load_dwordx2 v[16:17], v[16:17]
	s_waitcnt vmcnt(0) lgkmcnt(0)
	v_mul_f64 v[16:17], s[70:71], v[16:17]
	s_branch .LBB150_343
.LBB150_342:
	v_mov_b64_e32 v[16:17], 0
.LBB150_343:
	v_add_f64 v[14:15], v[14:15], v[16:17]
	v_lshl_add_u64 v[16:17], v[80:81], 3, v[64:65]
	flat_store_dwordx2 v[16:17], v[14:15]
	s_or_b64 exec, exec, s[2:3]
	s_and_b64 s[4:5], s[24:25], s[56:57]
	s_and_saveexec_b64 s[2:3], s[4:5]
	s_cbranch_execz .LBB150_237
.LBB150_344:
	s_and_b64 vcc, exec, s[0:1]
	s_cbranch_vccnz .LBB150_346
; %bb.345:
	v_lshl_add_u64 v[14:15], v[78:79], 3, v[130:131]
	flat_load_dwordx2 v[14:15], v[14:15]
	s_waitcnt vmcnt(0) lgkmcnt(0)
	v_mul_f64 v[14:15], s[70:71], v[14:15]
	s_branch .LBB150_347
.LBB150_346:
	v_mov_b64_e32 v[14:15], 0
.LBB150_347:
	v_add_f64 v[12:13], v[12:13], v[14:15]
	v_lshl_add_u64 v[14:15], v[78:79], 3, v[64:65]
	flat_store_dwordx2 v[14:15], v[12:13]
	s_or_b64 exec, exec, s[2:3]
	s_and_b64 s[4:5], s[24:25], s[58:59]
	s_and_saveexec_b64 s[2:3], s[4:5]
	s_cbranch_execz .LBB150_238
.LBB150_348:
	s_and_b64 vcc, exec, s[0:1]
	s_cbranch_vccnz .LBB150_350
; %bb.349:
	v_lshl_add_u64 v[12:13], v[76:77], 3, v[130:131]
	flat_load_dwordx2 v[12:13], v[12:13]
	s_waitcnt vmcnt(0) lgkmcnt(0)
	v_mul_f64 v[12:13], s[70:71], v[12:13]
	s_branch .LBB150_351
.LBB150_350:
	v_mov_b64_e32 v[12:13], 0
.LBB150_351:
	v_add_f64 v[10:11], v[10:11], v[12:13]
	v_lshl_add_u64 v[12:13], v[76:77], 3, v[64:65]
	flat_store_dwordx2 v[12:13], v[10:11]
	s_or_b64 exec, exec, s[2:3]
	s_and_b64 s[4:5], s[24:25], s[60:61]
	s_and_saveexec_b64 s[2:3], s[4:5]
	s_cbranch_execz .LBB150_239
.LBB150_352:
	s_and_b64 vcc, exec, s[0:1]
	s_cbranch_vccnz .LBB150_354
; %bb.353:
	v_lshl_add_u64 v[10:11], v[74:75], 3, v[130:131]
	flat_load_dwordx2 v[10:11], v[10:11]
	s_waitcnt vmcnt(0) lgkmcnt(0)
	v_mul_f64 v[10:11], s[70:71], v[10:11]
	s_branch .LBB150_355
.LBB150_354:
	v_mov_b64_e32 v[10:11], 0
.LBB150_355:
	v_add_f64 v[8:9], v[8:9], v[10:11]
	v_lshl_add_u64 v[10:11], v[74:75], 3, v[64:65]
	flat_store_dwordx2 v[10:11], v[8:9]
	s_or_b64 exec, exec, s[2:3]
	s_and_b64 s[4:5], s[24:25], s[62:63]
	s_and_saveexec_b64 s[2:3], s[4:5]
	s_cbranch_execz .LBB150_240
.LBB150_356:
	s_and_b64 vcc, exec, s[0:1]
	s_cbranch_vccnz .LBB150_358
; %bb.357:
	v_lshl_add_u64 v[8:9], v[72:73], 3, v[130:131]
	flat_load_dwordx2 v[8:9], v[8:9]
	s_waitcnt vmcnt(0) lgkmcnt(0)
	v_mul_f64 v[8:9], s[70:71], v[8:9]
	s_branch .LBB150_359
.LBB150_358:
	v_mov_b64_e32 v[8:9], 0
.LBB150_359:
	v_add_f64 v[6:7], v[6:7], v[8:9]
	v_lshl_add_u64 v[8:9], v[72:73], 3, v[64:65]
	flat_store_dwordx2 v[8:9], v[6:7]
	s_or_b64 exec, exec, s[2:3]
	s_and_b64 s[4:5], s[24:25], s[64:65]
	s_and_saveexec_b64 s[2:3], s[4:5]
	s_cbranch_execz .LBB150_241
.LBB150_360:
	s_and_b64 vcc, exec, s[0:1]
	s_cbranch_vccnz .LBB150_362
; %bb.361:
	v_lshl_add_u64 v[6:7], v[70:71], 3, v[130:131]
	flat_load_dwordx2 v[6:7], v[6:7]
	s_waitcnt vmcnt(0) lgkmcnt(0)
	v_mul_f64 v[6:7], s[70:71], v[6:7]
	s_branch .LBB150_363
.LBB150_362:
	v_mov_b64_e32 v[6:7], 0
.LBB150_363:
	v_add_f64 v[4:5], v[4:5], v[6:7]
	v_lshl_add_u64 v[6:7], v[70:71], 3, v[64:65]
	flat_store_dwordx2 v[6:7], v[4:5]
	s_or_b64 exec, exec, s[2:3]
	s_and_b64 s[4:5], s[24:25], s[66:67]
	s_and_saveexec_b64 s[2:3], s[4:5]
	s_cbranch_execz .LBB150_242
.LBB150_364:
	s_and_b64 vcc, exec, s[0:1]
	s_cbranch_vccnz .LBB150_366
; %bb.365:
	v_lshl_add_u64 v[4:5], v[68:69], 3, v[130:131]
	flat_load_dwordx2 v[4:5], v[4:5]
	s_waitcnt vmcnt(0) lgkmcnt(0)
	v_mul_f64 v[4:5], s[70:71], v[4:5]
	s_branch .LBB150_367
.LBB150_366:
	v_mov_b64_e32 v[4:5], 0
.LBB150_367:
	v_add_f64 v[2:3], v[2:3], v[4:5]
	v_lshl_add_u64 v[4:5], v[68:69], 3, v[64:65]
	flat_store_dwordx2 v[4:5], v[2:3]
	s_or_b64 exec, exec, s[2:3]
	s_and_b64 s[2:3], s[24:25], s[68:69]
	s_and_saveexec_b64 s[4:5], s[2:3]
	s_cbranch_execz .LBB150_243
.LBB150_368:
	s_and_b64 vcc, exec, s[0:1]
	s_cbranch_vccnz .LBB150_370
; %bb.369:
	v_lshl_add_u64 v[2:3], v[66:67], 3, v[130:131]
	flat_load_dwordx2 v[2:3], v[2:3]
	s_waitcnt vmcnt(0) lgkmcnt(0)
	v_mul_f64 v[2:3], s[70:71], v[2:3]
	v_add_f64 v[0:1], v[0:1], v[2:3]
	v_lshl_add_u64 v[2:3], v[66:67], 3, v[64:65]
	flat_store_dwordx2 v[2:3], v[0:1]
	s_endpgm
.LBB150_370:
	v_mov_b64_e32 v[2:3], 0
	v_add_f64 v[0:1], v[0:1], v[2:3]
	v_lshl_add_u64 v[2:3], v[66:67], 3, v[64:65]
	flat_store_dwordx2 v[2:3], v[0:1]
	s_endpgm
	.section	.rodata,"a",@progbits
	.p2align	6, 0x0
	.amdhsa_kernel _ZN12_GLOBAL__N_120geam_min_plus_kernelIdddLi4ELi64ELi128ELi128ELi4ELi4ELi64ELi64ELi4ELc84ELc84ELb0ELb1ELb0EPKdKS2_KPdEEviiiT16_PT17_ilS8_ilS6_S8_ilPT18_ili26rocblas_geam_ex_operation_
		.amdhsa_group_segment_fixed_size 16384
		.amdhsa_private_segment_fixed_size 0
		.amdhsa_kernarg_size 136
		.amdhsa_user_sgpr_count 2
		.amdhsa_user_sgpr_dispatch_ptr 0
		.amdhsa_user_sgpr_queue_ptr 0
		.amdhsa_user_sgpr_kernarg_segment_ptr 1
		.amdhsa_user_sgpr_dispatch_id 0
		.amdhsa_user_sgpr_kernarg_preload_length 0
		.amdhsa_user_sgpr_kernarg_preload_offset 0
		.amdhsa_user_sgpr_private_segment_size 0
		.amdhsa_uses_dynamic_stack 0
		.amdhsa_enable_private_segment 0
		.amdhsa_system_sgpr_workgroup_id_x 1
		.amdhsa_system_sgpr_workgroup_id_y 0
		.amdhsa_system_sgpr_workgroup_id_z 1
		.amdhsa_system_sgpr_workgroup_info 0
		.amdhsa_system_vgpr_workitem_id 1
		.amdhsa_next_free_vgpr 254
		.amdhsa_next_free_sgpr 82
		.amdhsa_accum_offset 256
		.amdhsa_reserve_vcc 1
		.amdhsa_float_round_mode_32 0
		.amdhsa_float_round_mode_16_64 0
		.amdhsa_float_denorm_mode_32 3
		.amdhsa_float_denorm_mode_16_64 3
		.amdhsa_dx10_clamp 1
		.amdhsa_ieee_mode 1
		.amdhsa_fp16_overflow 0
		.amdhsa_tg_split 0
		.amdhsa_exception_fp_ieee_invalid_op 0
		.amdhsa_exception_fp_denorm_src 0
		.amdhsa_exception_fp_ieee_div_zero 0
		.amdhsa_exception_fp_ieee_overflow 0
		.amdhsa_exception_fp_ieee_underflow 0
		.amdhsa_exception_fp_ieee_inexact 0
		.amdhsa_exception_int_div_zero 0
	.end_amdhsa_kernel
	.section	.text._ZN12_GLOBAL__N_120geam_min_plus_kernelIdddLi4ELi64ELi128ELi128ELi4ELi4ELi64ELi64ELi4ELc84ELc84ELb0ELb1ELb0EPKdKS2_KPdEEviiiT16_PT17_ilS8_ilS6_S8_ilPT18_ili26rocblas_geam_ex_operation_,"axG",@progbits,_ZN12_GLOBAL__N_120geam_min_plus_kernelIdddLi4ELi64ELi128ELi128ELi4ELi4ELi64ELi64ELi4ELc84ELc84ELb0ELb1ELb0EPKdKS2_KPdEEviiiT16_PT17_ilS8_ilS6_S8_ilPT18_ili26rocblas_geam_ex_operation_,comdat
.Lfunc_end150:
	.size	_ZN12_GLOBAL__N_120geam_min_plus_kernelIdddLi4ELi64ELi128ELi128ELi4ELi4ELi64ELi64ELi4ELc84ELc84ELb0ELb1ELb0EPKdKS2_KPdEEviiiT16_PT17_ilS8_ilS6_S8_ilPT18_ili26rocblas_geam_ex_operation_, .Lfunc_end150-_ZN12_GLOBAL__N_120geam_min_plus_kernelIdddLi4ELi64ELi128ELi128ELi4ELi4ELi64ELi64ELi4ELc84ELc84ELb0ELb1ELb0EPKdKS2_KPdEEviiiT16_PT17_ilS8_ilS6_S8_ilPT18_ili26rocblas_geam_ex_operation_
                                        ; -- End function
	.set _ZN12_GLOBAL__N_120geam_min_plus_kernelIdddLi4ELi64ELi128ELi128ELi4ELi4ELi64ELi64ELi4ELc84ELc84ELb0ELb1ELb0EPKdKS2_KPdEEviiiT16_PT17_ilS8_ilS6_S8_ilPT18_ili26rocblas_geam_ex_operation_.num_vgpr, 254
	.set _ZN12_GLOBAL__N_120geam_min_plus_kernelIdddLi4ELi64ELi128ELi128ELi4ELi4ELi64ELi64ELi4ELc84ELc84ELb0ELb1ELb0EPKdKS2_KPdEEviiiT16_PT17_ilS8_ilS6_S8_ilPT18_ili26rocblas_geam_ex_operation_.num_agpr, 0
	.set _ZN12_GLOBAL__N_120geam_min_plus_kernelIdddLi4ELi64ELi128ELi128ELi4ELi4ELi64ELi64ELi4ELc84ELc84ELb0ELb1ELb0EPKdKS2_KPdEEviiiT16_PT17_ilS8_ilS6_S8_ilPT18_ili26rocblas_geam_ex_operation_.numbered_sgpr, 82
	.set _ZN12_GLOBAL__N_120geam_min_plus_kernelIdddLi4ELi64ELi128ELi128ELi4ELi4ELi64ELi64ELi4ELc84ELc84ELb0ELb1ELb0EPKdKS2_KPdEEviiiT16_PT17_ilS8_ilS6_S8_ilPT18_ili26rocblas_geam_ex_operation_.num_named_barrier, 0
	.set _ZN12_GLOBAL__N_120geam_min_plus_kernelIdddLi4ELi64ELi128ELi128ELi4ELi4ELi64ELi64ELi4ELc84ELc84ELb0ELb1ELb0EPKdKS2_KPdEEviiiT16_PT17_ilS8_ilS6_S8_ilPT18_ili26rocblas_geam_ex_operation_.private_seg_size, 0
	.set _ZN12_GLOBAL__N_120geam_min_plus_kernelIdddLi4ELi64ELi128ELi128ELi4ELi4ELi64ELi64ELi4ELc84ELc84ELb0ELb1ELb0EPKdKS2_KPdEEviiiT16_PT17_ilS8_ilS6_S8_ilPT18_ili26rocblas_geam_ex_operation_.uses_vcc, 1
	.set _ZN12_GLOBAL__N_120geam_min_plus_kernelIdddLi4ELi64ELi128ELi128ELi4ELi4ELi64ELi64ELi4ELc84ELc84ELb0ELb1ELb0EPKdKS2_KPdEEviiiT16_PT17_ilS8_ilS6_S8_ilPT18_ili26rocblas_geam_ex_operation_.uses_flat_scratch, 0
	.set _ZN12_GLOBAL__N_120geam_min_plus_kernelIdddLi4ELi64ELi128ELi128ELi4ELi4ELi64ELi64ELi4ELc84ELc84ELb0ELb1ELb0EPKdKS2_KPdEEviiiT16_PT17_ilS8_ilS6_S8_ilPT18_ili26rocblas_geam_ex_operation_.has_dyn_sized_stack, 0
	.set _ZN12_GLOBAL__N_120geam_min_plus_kernelIdddLi4ELi64ELi128ELi128ELi4ELi4ELi64ELi64ELi4ELc84ELc84ELb0ELb1ELb0EPKdKS2_KPdEEviiiT16_PT17_ilS8_ilS6_S8_ilPT18_ili26rocblas_geam_ex_operation_.has_recursion, 0
	.set _ZN12_GLOBAL__N_120geam_min_plus_kernelIdddLi4ELi64ELi128ELi128ELi4ELi4ELi64ELi64ELi4ELc84ELc84ELb0ELb1ELb0EPKdKS2_KPdEEviiiT16_PT17_ilS8_ilS6_S8_ilPT18_ili26rocblas_geam_ex_operation_.has_indirect_call, 0
	.section	.AMDGPU.csdata,"",@progbits
; Kernel info:
; codeLenInByte = 14740
; TotalNumSgprs: 88
; NumVgprs: 254
; NumAgprs: 0
; TotalNumVgprs: 254
; ScratchSize: 0
; MemoryBound: 0
; FloatMode: 240
; IeeeMode: 1
; LDSByteSize: 16384 bytes/workgroup (compile time only)
; SGPRBlocks: 10
; VGPRBlocks: 31
; NumSGPRsForWavesPerEU: 88
; NumVGPRsForWavesPerEU: 254
; AccumOffset: 256
; Occupancy: 2
; WaveLimiterHint : 1
; COMPUTE_PGM_RSRC2:SCRATCH_EN: 0
; COMPUTE_PGM_RSRC2:USER_SGPR: 2
; COMPUTE_PGM_RSRC2:TRAP_HANDLER: 0
; COMPUTE_PGM_RSRC2:TGID_X_EN: 1
; COMPUTE_PGM_RSRC2:TGID_Y_EN: 0
; COMPUTE_PGM_RSRC2:TGID_Z_EN: 1
; COMPUTE_PGM_RSRC2:TIDIG_COMP_CNT: 1
; COMPUTE_PGM_RSRC3_GFX90A:ACCUM_OFFSET: 63
; COMPUTE_PGM_RSRC3_GFX90A:TG_SPLIT: 0
	.section	.text._ZN12_GLOBAL__N_120geam_min_plus_kernelIdddLi4ELi64ELi128ELi128ELi4ELi4ELi64ELi64ELi4ELc84ELc84ELb1ELb1ELb0EdKPKdKPdEEviiiT16_PT17_ilS8_ilS6_S8_ilPT18_ili26rocblas_geam_ex_operation_,"axG",@progbits,_ZN12_GLOBAL__N_120geam_min_plus_kernelIdddLi4ELi64ELi128ELi128ELi4ELi4ELi64ELi64ELi4ELc84ELc84ELb1ELb1ELb0EdKPKdKPdEEviiiT16_PT17_ilS8_ilS6_S8_ilPT18_ili26rocblas_geam_ex_operation_,comdat
	.globl	_ZN12_GLOBAL__N_120geam_min_plus_kernelIdddLi4ELi64ELi128ELi128ELi4ELi4ELi64ELi64ELi4ELc84ELc84ELb1ELb1ELb0EdKPKdKPdEEviiiT16_PT17_ilS8_ilS6_S8_ilPT18_ili26rocblas_geam_ex_operation_ ; -- Begin function _ZN12_GLOBAL__N_120geam_min_plus_kernelIdddLi4ELi64ELi128ELi128ELi4ELi4ELi64ELi64ELi4ELc84ELc84ELb1ELb1ELb0EdKPKdKPdEEviiiT16_PT17_ilS8_ilS6_S8_ilPT18_ili26rocblas_geam_ex_operation_
	.p2align	8
	.type	_ZN12_GLOBAL__N_120geam_min_plus_kernelIdddLi4ELi64ELi128ELi128ELi4ELi4ELi64ELi64ELi4ELc84ELc84ELb1ELb1ELb0EdKPKdKPdEEviiiT16_PT17_ilS8_ilS6_S8_ilPT18_ili26rocblas_geam_ex_operation_,@function
_ZN12_GLOBAL__N_120geam_min_plus_kernelIdddLi4ELi64ELi128ELi128ELi4ELi4ELi64ELi64ELi4ELc84ELc84ELb1ELb1ELb0EdKPKdKPdEEviiiT16_PT17_ilS8_ilS6_S8_ilPT18_ili26rocblas_geam_ex_operation_: ; @_ZN12_GLOBAL__N_120geam_min_plus_kernelIdddLi4ELi64ELi128ELi128ELi4ELi4ELi64ELi64ELi4ELc84ELc84ELb1ELb1ELb0EdKPKdKPdEEviiiT16_PT17_ilS8_ilS6_S8_ilPT18_ili26rocblas_geam_ex_operation_
; %bb.0:
	s_load_dwordx4 s[8:11], s[0:1], 0x10
	s_load_dwordx4 s[4:7], s[0:1], 0x28
	s_mov_b32 s12, s3
	s_mov_b64 s[14:15], 0
	s_waitcnt lgkmcnt(0)
	v_cmp_eq_f64_e64 s[16:17], s[8:9], 0
	s_and_b64 vcc, exec, s[16:17]
	s_cbranch_vccnz .LBB151_2
; %bb.1:
	s_mov_b32 s13, 0
	s_lshl_b64 s[8:9], s[12:13], 3
	s_add_u32 s8, s10, s8
	s_addc_u32 s9, s11, s9
	s_load_dwordx2 s[8:9], s[8:9], 0x0
	s_lshl_b64 s[4:5], s[4:5], 3
	s_waitcnt lgkmcnt(0)
	s_add_u32 s14, s8, s4
	s_addc_u32 s15, s9, s5
.LBB151_2:
	s_load_dwordx4 s[68:71], s[0:1], 0x40
	s_load_dwordx2 s[8:9], s[0:1], 0x50
	s_andn2_b64 vcc, exec, s[16:17]
	s_mov_b32 s13, 0
	s_cbranch_vccnz .LBB151_4
; %bb.3:
	s_mov_b64 s[76:77], 0
	s_mov_b64 s[16:17], 0
	s_cbranch_execz .LBB151_5
	s_branch .LBB151_6
.LBB151_4:
	s_mov_b64 s[76:77], 0
	s_mov_b64 s[16:17], 0
.LBB151_5:
	s_lshl_b64 s[4:5], s[12:13], 3
	s_add_u32 s4, s6, s4
	s_addc_u32 s5, s7, s5
	s_load_dwordx2 s[4:5], s[4:5], 0x0
	s_waitcnt lgkmcnt(0)
	s_lshl_b64 s[6:7], s[68:69], 3
	s_add_u32 s16, s4, s6
	s_addc_u32 s17, s5, s7
.LBB151_6:
	s_load_dwordx4 s[4:7], s[0:1], 0x60
	s_waitcnt lgkmcnt(0)
	v_cmp_eq_f64_e64 s[18:19], s[70:71], 0
	v_cmp_neq_f64_e64 s[10:11], s[70:71], 0
	s_and_b64 vcc, exec, s[18:19]
	s_cbranch_vccnz .LBB151_8
; %bb.7:
	s_lshl_b64 s[18:19], s[12:13], 3
	s_add_u32 s8, s8, s18
	s_addc_u32 s9, s9, s19
	s_load_dwordx2 s[8:9], s[8:9], 0x0
	s_lshl_b64 s[4:5], s[4:5], 3
	s_waitcnt lgkmcnt(0)
	s_add_u32 s76, s8, s4
	s_addc_u32 s77, s9, s5
.LBB151_8:
	s_load_dwordx4 s[72:75], s[0:1], 0x0
	s_load_dword s25, s[0:1], 0x20
	s_lshl_b64 s[4:5], s[12:13], 3
	s_add_u32 s12, s6, s4
	s_addc_u32 s13, s7, s5
	s_waitcnt lgkmcnt(0)
	s_add_i32 s3, s72, -1
	s_ashr_i32 s4, s3, 31
	s_lshr_b32 s4, s4, 25
	s_add_i32 s3, s3, s4
	s_ashr_i32 s3, s3, 7
	s_add_i32 s4, s3, 1
	v_cvt_f32_u32_e32 v1, s4
	v_and_b32_e32 v150, 0x3ff, v0
	v_bfe_u32 v151, v0, 10, 10
	v_and_b32_e32 v152, 3, v0
	v_rcp_iflag_f32_e32 v1, v1
	s_not_b32 s3, s3
	v_lshl_add_u32 v6, v151, 2, v150
	v_lshrrev_b32_e32 v141, 2, v6
	v_mul_f32_e32 v0, 0x4f7ffffe, v1
	v_cvt_u32_f32_e32 v0, v0
	v_cmp_le_i32_e32 vcc, s74, v152
	v_lshlrev_b32_e32 v130, 3, v152
	v_mov_b32_e32 v131, 0
	v_readfirstlane_b32 s5, v0
	s_mul_i32 s3, s3, s5
	s_mul_hi_u32 s3, s5, s3
	s_add_i32 s5, s5, s3
	s_mul_hi_u32 s3, s2, s5
	s_mul_i32 s5, s3, s4
	s_sub_i32 s5, s2, s5
	s_add_i32 s6, s3, 1
	s_sub_i32 s7, s5, s4
	s_cmp_ge_u32 s5, s4
	s_cselect_b32 s3, s6, s3
	s_cselect_b32 s5, s7, s5
	s_add_i32 s6, s3, 1
	s_cmp_ge_u32 s5, s4
	s_cselect_b32 s8, s6, s3
	s_mul_i32 s3, s8, s4
	s_sub_i32 s2, s2, s3
	s_lshl_b32 s20, s2, 7
	v_add_u32_e32 v140, s20, v141
	v_cmp_le_i32_e64 s[2:3], s72, v140
	v_lshl_add_u64 v[4:5], s[14:15], 0, v[130:131]
	s_nor_b64 s[6:7], vcc, s[2:3]
	v_mov_b64_e32 v[0:1], 0
	v_mov_b64_e32 v[2:3], 0
	s_and_saveexec_b64 s[4:5], s[6:7]
	s_cbranch_execz .LBB151_10
; %bb.9:
	v_mad_i64_i32 v[2:3], s[6:7], v140, s25, 0
	v_lshl_add_u64 v[2:3], v[2:3], 3, v[4:5]
	flat_load_dwordx2 v[2:3], v[2:3]
.LBB151_10:
	s_or_b64 exec, exec, s[4:5]
	v_add_u32_e32 v142, 64, v140
	v_cmp_le_i32_e64 s[4:5], s72, v142
	s_nor_b64 s[18:19], vcc, s[4:5]
	s_and_saveexec_b64 s[6:7], s[18:19]
	s_cbranch_execz .LBB151_12
; %bb.11:
	v_mad_i64_i32 v[0:1], s[18:19], v142, s25, 0
	v_lshl_add_u64 v[0:1], v[0:1], 3, v[4:5]
	flat_load_dwordx2 v[0:1], v[0:1]
.LBB151_12:
	s_or_b64 exec, exec, s[6:7]
	s_load_dword s22, s[0:1], 0x38
	v_and_b32_e32 v12, 63, v6
	v_lshrrev_b32_e32 v153, 6, v6
	s_lshl_b32 s21, s8, 7
	v_or_b32_e32 v128, s21, v12
	s_waitcnt lgkmcnt(0)
	v_mad_i64_i32 v[6:7], s[6:7], s22, v153, 0
	v_cmp_le_i32_e32 vcc, s74, v153
	v_cmp_le_i32_e64 s[6:7], s73, v128
	v_lshl_add_u64 v[10:11], v[6:7], 3, s[16:17]
	s_nor_b64 s[18:19], s[6:7], vcc
	v_mov_b64_e32 v[6:7], 0
	v_ashrrev_i32_e32 v129, 31, v128
	v_mov_b64_e32 v[8:9], 0
	s_and_saveexec_b64 s[8:9], s[18:19]
	s_cbranch_execz .LBB151_14
; %bb.13:
	v_lshl_add_u64 v[8:9], v[128:129], 3, v[10:11]
	flat_load_dwordx2 v[8:9], v[8:9]
.LBB151_14:
	s_or_b64 exec, exec, s[8:9]
	v_or_b32_e32 v13, 64, v128
	v_cmp_le_i32_e64 s[8:9], s73, v13
	s_ashr_i32 s23, s22, 31
	s_nor_b64 s[26:27], s[8:9], vcc
	s_and_saveexec_b64 s[18:19], s[26:27]
	s_cbranch_execz .LBB151_16
; %bb.15:
	v_lshl_add_u64 v[6:7], v[128:129], 3, v[10:11]
	flat_load_dwordx2 v[6:7], v[6:7] offset:512
.LBB151_16:
	s_or_b64 exec, exec, s[18:19]
	v_or_b32_e32 v10, 4, v152
	v_cmp_le_i32_e32 vcc, s74, v10
	s_nor_b64 s[26:27], vcc, s[2:3]
	v_mov_b64_e32 v[132:133], 0
	v_mov_b64_e32 v[134:135], 0
	s_and_saveexec_b64 s[18:19], s[26:27]
	s_cbranch_execz .LBB151_18
; %bb.17:
	v_mad_i64_i32 v[10:11], s[26:27], v140, s25, 0
	v_lshl_add_u64 v[10:11], v[10:11], 3, v[4:5]
	flat_load_dwordx2 v[134:135], v[10:11] offset:32
.LBB151_18:
	s_or_b64 exec, exec, s[18:19]
	s_nor_b64 s[26:27], vcc, s[4:5]
	s_and_saveexec_b64 s[18:19], s[26:27]
	s_cbranch_execz .LBB151_20
; %bb.19:
	v_mad_i64_i32 v[10:11], s[26:27], v142, s25, 0
	v_lshl_add_u64 v[4:5], v[10:11], 3, v[4:5]
	flat_load_dwordx2 v[132:133], v[4:5] offset:32
.LBB151_20:
	s_or_b64 exec, exec, s[18:19]
	v_add_u32_e32 v4, 4, v153
	v_cmp_le_i32_e32 vcc, s74, v4
	v_mad_i64_i32 v[4:5], s[18:19], s22, v4, 0
	v_lshl_add_u64 v[4:5], v[4:5], 3, s[16:17]
	s_nor_b64 s[26:27], s[6:7], vcc
	v_mov_b64_e32 v[136:137], 0
	v_mov_b64_e32 v[138:139], 0
	s_and_saveexec_b64 s[18:19], s[26:27]
	s_cbranch_execz .LBB151_22
; %bb.21:
	v_lshl_add_u64 v[10:11], v[128:129], 3, v[4:5]
	flat_load_dwordx2 v[138:139], v[10:11]
.LBB151_22:
	s_or_b64 exec, exec, s[18:19]
	s_load_dwordx2 s[12:13], s[12:13], 0x0
	s_nor_b64 s[26:27], s[8:9], vcc
	s_and_saveexec_b64 s[18:19], s[26:27]
	s_cbranch_execz .LBB151_24
; %bb.23:
	v_lshl_add_u64 v[4:5], v[128:129], 3, v[4:5]
	flat_load_dwordx2 v[136:137], v[4:5] offset:512
.LBB151_24:
	s_or_b64 exec, exec, s[18:19]
	v_lshlrev_b32_e32 v4, 5, v141
	v_lshl_or_b32 v155, v152, 3, v4
	s_waitcnt vmcnt(0)
	ds_write2st64_b64 v155, v[2:3], v[0:1] offset1:4
	v_lshlrev_b32_e32 v0, 3, v153
	v_lshl_add_u32 v131, v12, 5, v0
	v_lshlrev_b32_e32 v143, 5, v151
	v_or_b32_e32 v156, 0x2000, v131
	s_waitcnt lgkmcnt(0)
	ds_write2st64_b64 v131, v[8:9], v[6:7] offset0:16 offset1:20
	v_lshlrev_b32_e32 v157, 5, v150
	v_add_u32_e32 v158, 0x2000, v143
	v_mov_b64_e32 v[126:127], 0
	s_mov_b32 s18, 0
	v_mov_b64_e32 v[124:125], 0
	v_mov_b64_e32 v[122:123], 0
	;; [unrolled: 1-line block ×63, first 2 shown]
	s_waitcnt lgkmcnt(0)
	s_barrier
.LBB151_25:                             ; =>This Inner Loop Header: Depth=1
	v_add_u32_e32 v148, s18, v157
	v_add_u32_e32 v149, s18, v158
	ds_read2_b64 v[144:147], v148 offset1:16
	ds_read2_b64 v[160:163], v148 offset0:32 offset1:48
	ds_read2_b64 v[164:167], v148 offset0:64 offset1:80
	;; [unrolled: 1-line block ×7, first 2 shown]
	ds_read2st64_b64 v[188:191], v149 offset1:4
	v_add_u32_e32 v148, 0x800, v148
	ds_read2_b64 v[192:195], v148 offset1:16
	ds_read2_b64 v[196:199], v148 offset0:32 offset1:48
	ds_read2_b64 v[200:203], v148 offset0:64 offset1:80
	;; [unrolled: 1-line block ×7, first 2 shown]
	s_waitcnt lgkmcnt(14)
	v_max_f64 v[144:145], v[144:145], v[144:145]
	v_max_f64 v[146:147], v[146:147], v[146:147]
	v_max_f64 v[148:149], v[160:161], v[160:161]
	v_max_f64 v[160:161], v[162:163], v[162:163]
	v_max_f64 v[162:163], v[164:165], v[164:165]
	v_max_f64 v[164:165], v[166:167], v[166:167]
	s_waitcnt lgkmcnt(13)
	v_max_f64 v[166:167], v[168:169], v[168:169]
	v_max_f64 v[168:169], v[170:171], v[170:171]
	s_waitcnt lgkmcnt(12)
	v_max_f64 v[170:171], v[172:173], v[172:173]
	v_max_f64 v[172:173], v[174:175], v[174:175]
	;; [unrolled: 3-line block ×14, first 2 shown]
	v_min_f64 v[222:223], v[144:145], v[186:187]
	v_min_f64 v[224:225], v[146:147], v[186:187]
	v_min_f64 v[226:227], v[148:149], v[186:187]
	v_min_f64 v[228:229], v[160:161], v[186:187]
	v_min_f64 v[230:231], v[162:163], v[186:187]
	v_min_f64 v[232:233], v[164:165], v[186:187]
	v_min_f64 v[234:235], v[166:167], v[186:187]
	v_min_f64 v[236:237], v[168:169], v[186:187]
	v_min_f64 v[238:239], v[170:171], v[186:187]
	v_min_f64 v[240:241], v[172:173], v[186:187]
	v_min_f64 v[242:243], v[174:175], v[186:187]
	v_min_f64 v[244:245], v[176:177], v[186:187]
	v_min_f64 v[246:247], v[178:179], v[186:187]
	v_min_f64 v[248:249], v[180:181], v[186:187]
	v_min_f64 v[250:251], v[182:183], v[186:187]
	v_min_f64 v[252:253], v[184:185], v[186:187]
	v_min_f64 v[144:145], v[144:145], v[188:189]
	v_min_f64 v[146:147], v[146:147], v[188:189]
	v_min_f64 v[148:149], v[148:149], v[188:189]
	v_min_f64 v[160:161], v[160:161], v[188:189]
	v_min_f64 v[162:163], v[162:163], v[188:189]
	v_min_f64 v[164:165], v[164:165], v[188:189]
	v_min_f64 v[166:167], v[166:167], v[188:189]
	v_min_f64 v[168:169], v[168:169], v[188:189]
	v_min_f64 v[170:171], v[170:171], v[188:189]
	v_min_f64 v[172:173], v[172:173], v[188:189]
	v_min_f64 v[174:175], v[174:175], v[188:189]
	v_min_f64 v[176:177], v[176:177], v[188:189]
	v_min_f64 v[178:179], v[178:179], v[188:189]
	v_min_f64 v[180:181], v[180:181], v[188:189]
	v_min_f64 v[182:183], v[182:183], v[188:189]
	v_min_f64 v[184:185], v[184:185], v[188:189]
	s_add_i32 s18, s18, 8
	v_add_f64 v[62:63], v[62:63], v[144:145]
	v_add_f64 v[60:61], v[60:61], v[146:147]
	;; [unrolled: 1-line block ×16, first 2 shown]
	v_min_f64 v[144:145], v[190:191], v[186:187]
	v_min_f64 v[146:147], v[192:193], v[186:187]
	;; [unrolled: 1-line block ×32, first 2 shown]
	s_cmp_eq_u32 s18, 32
	v_add_f64 v[126:127], v[126:127], v[222:223]
	v_add_f64 v[124:125], v[124:125], v[224:225]
	;; [unrolled: 1-line block ×48, first 2 shown]
	s_cbranch_scc0 .LBB151_25
; %bb.26:
	v_lshl_or_b32 v130, v141, 5, v130
	s_cmp_gt_i32 s74, 8
	ds_write2st64_b64 v130, v[134:135], v[132:133] offset0:8 offset1:12
	ds_write2st64_b64 v131, v[138:139], v[136:137] offset0:24 offset1:28
	s_waitcnt lgkmcnt(0)
	s_barrier
	s_cbranch_scc1 .LBB151_28
; %bb.27:
	v_add_u32_e32 v154, 0x3000, v143
	s_cbranch_execz .LBB151_29
	s_branch .LBB151_51
.LBB151_28:
                                        ; implicit-def: $vgpr154
.LBB151_29:
	v_mov_b32_e32 v134, 0x1000
	v_add_u32_e32 v159, 0x1000, v130
	v_or_b32_e32 v160, 0x3000, v131
	s_add_i32 s24, s74, -8
	v_mad_i64_i32 v[130:131], s[18:19], v140, s25, 0
	v_mad_i64_i32 v[132:133], s[18:19], v142, s25, 0
	v_lshl_add_u32 v161, v150, 5, v134
	v_add_u32_e32 v154, 0x3000, v143
	s_mov_b32 s25, 8
	s_mov_b32 s26, 0
	v_mov_b32_e32 v135, 0
.LBB151_30:                             ; =>This Loop Header: Depth=1
                                        ;     Child Loop BB151_39 Depth 2
                                        ;     Child Loop BB151_49 Depth 2
	v_or_b32_e32 v134, s25, v152
	v_cmp_le_i32_e32 vcc, s74, v134
	v_lshl_add_u64 v[138:139], v[134:135], 3, s[14:15]
	s_nor_b64 s[28:29], s[2:3], vcc
	v_mov_b64_e32 v[140:141], 0
	v_lshl_add_u64 v[136:137], v[130:131], 3, v[138:139]
	v_mov_b64_e32 v[142:143], 0
	s_and_saveexec_b64 s[18:19], s[28:29]
	s_cbranch_execz .LBB151_32
; %bb.31:                               ;   in Loop: Header=BB151_30 Depth=1
	flat_load_dwordx2 v[142:143], v[136:137]
.LBB151_32:                             ;   in Loop: Header=BB151_30 Depth=1
	s_or_b64 exec, exec, s[18:19]
	s_nor_b64 s[28:29], s[4:5], vcc
	v_lshl_add_u64 v[138:139], v[132:133], 3, v[138:139]
	s_and_saveexec_b64 s[18:19], s[28:29]
	s_cbranch_execz .LBB151_34
; %bb.33:                               ;   in Loop: Header=BB151_30 Depth=1
	flat_load_dwordx2 v[140:141], v[138:139]
.LBB151_34:                             ;   in Loop: Header=BB151_30 Depth=1
	s_or_b64 exec, exec, s[18:19]
	v_add_u32_e32 v147, s25, v153
	v_mad_u64_u32 v[144:145], s[18:19], v147, s22, 0
	v_mov_b32_e32 v146, v145
	v_cmp_le_i32_e32 vcc, s74, v147
	v_mad_u64_u32 v[146:147], s[18:19], v147, s23, v[146:147]
	v_mov_b32_e32 v145, v146
	v_lshl_add_u64 v[146:147], v[144:145], 3, s[16:17]
	s_nor_b64 s[28:29], s[6:7], vcc
	v_mov_b64_e32 v[144:145], 0
	v_lshl_add_u64 v[148:149], v[128:129], 3, v[146:147]
	v_mov_b64_e32 v[146:147], 0
	s_and_saveexec_b64 s[18:19], s[28:29]
	s_cbranch_execz .LBB151_36
; %bb.35:                               ;   in Loop: Header=BB151_30 Depth=1
	flat_load_dwordx2 v[146:147], v[148:149]
.LBB151_36:                             ;   in Loop: Header=BB151_30 Depth=1
	s_or_b64 exec, exec, s[18:19]
	s_nor_b64 s[28:29], s[8:9], vcc
	s_and_saveexec_b64 s[18:19], s[28:29]
	s_cbranch_execz .LBB151_38
; %bb.37:                               ;   in Loop: Header=BB151_30 Depth=1
	flat_load_dwordx2 v[144:145], v[148:149] offset:512
.LBB151_38:                             ;   in Loop: Header=BB151_30 Depth=1
	s_or_b64 exec, exec, s[18:19]
	s_mov_b32 s18, 0
.LBB151_39:                             ;   Parent Loop BB151_30 Depth=1
                                        ; =>  This Inner Loop Header: Depth=2
	v_add_u32_e32 v148, s18, v161
	ds_read2_b64 v[162:165], v148 offset1:16
	ds_read2_b64 v[166:169], v148 offset0:32 offset1:48
	ds_read2_b64 v[170:173], v148 offset0:64 offset1:80
	;; [unrolled: 1-line block ×7, first 2 shown]
	v_add_u32_e32 v148, 0x800, v148
	ds_read2_b64 v[194:197], v148 offset1:16
	ds_read2_b64 v[198:201], v148 offset0:32 offset1:48
	ds_read2_b64 v[202:205], v148 offset0:64 offset1:80
	;; [unrolled: 1-line block ×7, first 2 shown]
	v_add_u32_e32 v148, s18, v154
	ds_read2st64_b64 v[226:229], v148 offset1:4
	s_waitcnt lgkmcnt(0)
	v_max_f64 v[162:163], v[162:163], v[162:163]
	v_max_f64 v[164:165], v[164:165], v[164:165]
	;; [unrolled: 1-line block ×5, first 2 shown]
	v_min_f64 v[226:227], v[162:163], v[148:149]
	v_add_f64 v[126:127], v[126:127], v[226:227]
	v_min_f64 v[226:227], v[164:165], v[148:149]
	v_add_f64 v[124:125], v[124:125], v[226:227]
	;; [unrolled: 2-line block ×3, first 2 shown]
	v_min_f64 v[226:227], v[168:169], v[148:149]
	v_max_f64 v[170:171], v[170:171], v[170:171]
	v_add_f64 v[120:121], v[120:121], v[226:227]
	v_min_f64 v[226:227], v[170:171], v[148:149]
	v_max_f64 v[172:173], v[172:173], v[172:173]
	v_add_f64 v[118:119], v[118:119], v[226:227]
	;; [unrolled: 3-line block ×26, first 2 shown]
	v_min_f64 v[226:227], v[220:221], v[148:149]
	v_max_f64 v[222:223], v[222:223], v[222:223]
	v_max_f64 v[224:225], v[224:225], v[224:225]
	v_add_f64 v[68:69], v[68:69], v[226:227]
	v_min_f64 v[226:227], v[222:223], v[148:149]
	v_min_f64 v[148:149], v[224:225], v[148:149]
	v_add_f64 v[64:65], v[64:65], v[148:149]
	v_max_f64 v[148:149], v[228:229], v[228:229]
	v_min_f64 v[162:163], v[162:163], v[148:149]
	v_add_f64 v[62:63], v[62:63], v[162:163]
	v_min_f64 v[162:163], v[164:165], v[148:149]
	v_add_f64 v[60:61], v[60:61], v[162:163]
	;; [unrolled: 2-line block ×30, first 2 shown]
	v_min_f64 v[162:163], v[222:223], v[148:149]
	v_min_f64 v[148:149], v[224:225], v[148:149]
	s_add_i32 s18, s18, 8
	v_add_f64 v[66:67], v[66:67], v[226:227]
	v_add_f64 v[2:3], v[2:3], v[162:163]
	;; [unrolled: 1-line block ×3, first 2 shown]
	s_cmp_eq_u32 s18, 32
	s_cbranch_scc0 .LBB151_39
; %bb.40:                               ;   in Loop: Header=BB151_30 Depth=1
	v_or_b32_e32 v134, 4, v134
	v_cmp_le_i32_e32 vcc, s74, v134
	s_waitcnt vmcnt(0)
	ds_write2st64_b64 v155, v[142:143], v[140:141] offset1:4
	ds_write2st64_b64 v156, v[146:147], v[144:145] offset1:4
	s_nor_b64 s[28:29], s[2:3], vcc
	v_mov_b64_e32 v[140:141], 0
	v_mov_b64_e32 v[142:143], 0
	s_waitcnt lgkmcnt(0)
	s_barrier
	s_and_saveexec_b64 s[18:19], s[28:29]
	s_cbranch_execz .LBB151_42
; %bb.41:                               ;   in Loop: Header=BB151_30 Depth=1
	flat_load_dwordx2 v[142:143], v[136:137] offset:32
.LBB151_42:                             ;   in Loop: Header=BB151_30 Depth=1
	s_or_b64 exec, exec, s[18:19]
	s_nor_b64 s[28:29], s[4:5], vcc
	s_and_saveexec_b64 s[18:19], s[28:29]
	s_cbranch_execz .LBB151_44
; %bb.43:                               ;   in Loop: Header=BB151_30 Depth=1
	flat_load_dwordx2 v[140:141], v[138:139] offset:32
.LBB151_44:                             ;   in Loop: Header=BB151_30 Depth=1
	s_or_b64 exec, exec, s[18:19]
	v_add3_u32 v138, v153, s25, 4
	v_mad_u64_u32 v[136:137], s[18:19], v138, s22, 0
	v_mov_b32_e32 v134, v137
	v_cmp_le_i32_e32 vcc, s74, v138
	v_mad_u64_u32 v[138:139], s[18:19], v138, s23, v[134:135]
	v_mov_b32_e32 v137, v138
	v_lshl_add_u64 v[138:139], v[136:137], 3, s[16:17]
	s_nor_b64 s[28:29], s[6:7], vcc
	v_mov_b64_e32 v[136:137], 0
	v_lshl_add_u64 v[144:145], v[128:129], 3, v[138:139]
	v_mov_b64_e32 v[138:139], 0
	s_and_saveexec_b64 s[18:19], s[28:29]
	s_cbranch_execz .LBB151_46
; %bb.45:                               ;   in Loop: Header=BB151_30 Depth=1
	flat_load_dwordx2 v[138:139], v[144:145]
.LBB151_46:                             ;   in Loop: Header=BB151_30 Depth=1
	s_or_b64 exec, exec, s[18:19]
	s_nor_b64 s[28:29], s[8:9], vcc
	s_and_saveexec_b64 s[18:19], s[28:29]
	s_cbranch_execz .LBB151_48
; %bb.47:                               ;   in Loop: Header=BB151_30 Depth=1
	flat_load_dwordx2 v[136:137], v[144:145] offset:512
.LBB151_48:                             ;   in Loop: Header=BB151_30 Depth=1
	s_or_b64 exec, exec, s[18:19]
	s_mov_b32 s18, 0
.LBB151_49:                             ;   Parent Loop BB151_30 Depth=1
                                        ; =>  This Inner Loop Header: Depth=2
	v_add_u32_e32 v134, s18, v157
	ds_read2_b64 v[144:147], v134 offset1:16
	ds_read2_b64 v[162:165], v134 offset0:32 offset1:48
	ds_read2_b64 v[166:169], v134 offset0:64 offset1:80
	;; [unrolled: 1-line block ×7, first 2 shown]
	v_add_u32_e32 v134, 0x800, v134
	ds_read2_b64 v[190:193], v134 offset1:16
	ds_read2_b64 v[194:197], v134 offset0:32 offset1:48
	ds_read2_b64 v[198:201], v134 offset0:64 offset1:80
	;; [unrolled: 1-line block ×7, first 2 shown]
	v_add_u32_e32 v134, s18, v158
	ds_read2st64_b64 v[222:225], v134 offset1:4
	s_waitcnt lgkmcnt(0)
	v_max_f64 v[144:145], v[144:145], v[144:145]
	v_max_f64 v[146:147], v[146:147], v[146:147]
	;; [unrolled: 1-line block ×5, first 2 shown]
	v_min_f64 v[222:223], v[144:145], v[148:149]
	v_add_f64 v[126:127], v[126:127], v[222:223]
	v_min_f64 v[222:223], v[146:147], v[148:149]
	v_add_f64 v[124:125], v[124:125], v[222:223]
	;; [unrolled: 2-line block ×3, first 2 shown]
	v_min_f64 v[222:223], v[164:165], v[148:149]
	v_max_f64 v[166:167], v[166:167], v[166:167]
	v_add_f64 v[120:121], v[120:121], v[222:223]
	v_min_f64 v[222:223], v[166:167], v[148:149]
	v_max_f64 v[168:169], v[168:169], v[168:169]
	v_add_f64 v[118:119], v[118:119], v[222:223]
	;; [unrolled: 3-line block ×26, first 2 shown]
	v_min_f64 v[222:223], v[216:217], v[148:149]
	v_max_f64 v[218:219], v[218:219], v[218:219]
	v_max_f64 v[220:221], v[220:221], v[220:221]
	v_add_f64 v[68:69], v[68:69], v[222:223]
	v_min_f64 v[222:223], v[218:219], v[148:149]
	v_min_f64 v[148:149], v[220:221], v[148:149]
	v_add_f64 v[64:65], v[64:65], v[148:149]
	v_max_f64 v[148:149], v[224:225], v[224:225]
	v_min_f64 v[144:145], v[144:145], v[148:149]
	v_add_f64 v[62:63], v[62:63], v[144:145]
	v_min_f64 v[144:145], v[146:147], v[148:149]
	v_add_f64 v[60:61], v[60:61], v[144:145]
	;; [unrolled: 2-line block ×31, first 2 shown]
	v_min_f64 v[144:145], v[220:221], v[148:149]
	s_add_i32 s18, s18, 8
	v_add_f64 v[66:67], v[66:67], v[222:223]
	v_add_f64 v[0:1], v[0:1], v[144:145]
	s_cmp_eq_u32 s18, 32
	s_cbranch_scc0 .LBB151_49
; %bb.50:                               ;   in Loop: Header=BB151_30 Depth=1
	s_add_i32 s25, s25, 8
	s_add_i32 s26, s26, 8
	s_cmp_ge_i32 s26, s24
	s_waitcnt vmcnt(0)
	ds_write2st64_b64 v159, v[142:143], v[140:141] offset1:4
	ds_write2st64_b64 v160, v[138:139], v[136:137] offset1:4
	s_waitcnt lgkmcnt(0)
	s_barrier
	s_cbranch_scc0 .LBB151_30
.LBB151_51:
	v_mov_b32_e32 v128, 0x1000
	v_lshl_add_u32 v128, v150, 5, v128
	s_mov_b32 s2, 0
.LBB151_52:                             ; =>This Inner Loop Header: Depth=1
	v_add_u32_e32 v129, s2, v128
	v_add_u32_e32 v152, s2, v154
	ds_read2_b64 v[130:133], v129 offset1:16
	ds_read2_b64 v[134:137], v129 offset0:32 offset1:48
	ds_read2_b64 v[138:141], v129 offset0:64 offset1:80
	;; [unrolled: 1-line block ×7, first 2 shown]
	v_add_u32_e32 v129, 0x800, v129
	ds_read2st64_b64 v[168:171], v152 offset1:4
	ds_read2_b64 v[172:175], v129 offset1:16
	ds_read2_b64 v[176:179], v129 offset0:32 offset1:48
	ds_read2_b64 v[180:183], v129 offset0:64 offset1:80
	;; [unrolled: 1-line block ×7, first 2 shown]
	s_waitcnt lgkmcnt(14)
	v_max_f64 v[130:131], v[130:131], v[130:131]
	v_max_f64 v[132:133], v[132:133], v[132:133]
	;; [unrolled: 1-line block ×3, first 2 shown]
	s_waitcnt lgkmcnt(8)
	v_max_f64 v[152:153], v[168:169], v[168:169]
	v_max_f64 v[136:137], v[136:137], v[136:137]
	;; [unrolled: 1-line block ×15, first 2 shown]
	v_min_f64 v[170:171], v[130:131], v[152:153]
	v_min_f64 v[204:205], v[132:133], v[152:153]
	;; [unrolled: 1-line block ×16, first 2 shown]
	s_waitcnt lgkmcnt(7)
	v_max_f64 v[172:173], v[172:173], v[172:173]
	v_max_f64 v[174:175], v[174:175], v[174:175]
	s_waitcnt lgkmcnt(6)
	v_max_f64 v[176:177], v[176:177], v[176:177]
	v_max_f64 v[178:179], v[178:179], v[178:179]
	;; [unrolled: 3-line block ×8, first 2 shown]
	v_min_f64 v[130:131], v[130:131], v[168:169]
	v_min_f64 v[132:133], v[132:133], v[168:169]
	;; [unrolled: 1-line block ×16, first 2 shown]
	s_add_i32 s2, s2, 8
	v_add_f64 v[126:127], v[126:127], v[170:171]
	v_add_f64 v[124:125], v[124:125], v[204:205]
	;; [unrolled: 1-line block ×15, first 2 shown]
	v_min_f64 v[170:171], v[172:173], v[152:153]
	v_min_f64 v[204:205], v[174:175], v[152:153]
	;; [unrolled: 1-line block ×16, first 2 shown]
	v_add_f64 v[62:63], v[62:63], v[130:131]
	v_add_f64 v[60:61], v[60:61], v[132:133]
	;; [unrolled: 1-line block ×16, first 2 shown]
	v_min_f64 v[130:131], v[172:173], v[168:169]
	v_min_f64 v[132:133], v[174:175], v[168:169]
	;; [unrolled: 1-line block ×16, first 2 shown]
	s_cmp_eq_u32 s2, 32
	v_add_f64 v[96:97], v[96:97], v[232:233]
	v_add_f64 v[94:95], v[94:95], v[170:171]
	;; [unrolled: 1-line block ×33, first 2 shown]
	s_cbranch_scc0 .LBB151_52
; %bb.53:
	s_load_dwordx2 s[2:3], s[0:1], 0x78
	s_load_dword s78, s[0:1], 0x58
	s_load_dword s33, s[0:1], 0x70
	v_add_u32_e32 v136, s21, v151
	v_add_u32_e32 v128, s20, v150
	s_waitcnt lgkmcnt(0)
	s_lshl_b64 s[0:1], s[2:3], 3
	s_add_u32 s74, s12, s0
	s_addc_u32 s75, s13, s1
	v_mad_i64_i32 v[130:131], s[0:1], v136, s78, 0
	v_cmp_gt_i32_e64 s[24:25], s73, v136
	v_lshl_add_u64 v[132:133], v[130:131], 3, s[76:77]
	v_mad_i64_i32 v[130:131], s[0:1], v136, s33, 0
	v_cmp_gt_i32_e64 s[2:3], s72, v128
	v_cndmask_b32_e64 v134, 0, 1, s[10:11]
	v_lshl_add_u64 v[130:131], v[130:131], 3, s[74:75]
	s_and_b64 s[6:7], s[24:25], s[2:3]
	v_ashrrev_i32_e32 v129, 31, v128
	v_cmp_ne_u32_e64 s[0:1], 1, v134
	s_and_saveexec_b64 s[4:5], s[6:7]
	s_cbranch_execz .LBB151_58
; %bb.54:
	s_and_b64 vcc, exec, s[0:1]
	s_cbranch_vccnz .LBB151_56
; %bb.55:
	v_lshl_add_u64 v[134:135], v[128:129], 3, v[132:133]
	flat_load_dwordx2 v[134:135], v[134:135]
	s_waitcnt vmcnt(0) lgkmcnt(0)
	v_mul_f64 v[134:135], s[70:71], v[134:135]
	s_branch .LBB151_57
.LBB151_56:
	v_mov_b64_e32 v[134:135], 0
.LBB151_57:
	v_add_f64 v[126:127], v[126:127], v[134:135]
	v_lshl_add_u64 v[134:135], v[128:129], 3, v[130:131]
	flat_store_dwordx2 v[134:135], v[126:127]
.LBB151_58:
	s_or_b64 exec, exec, s[4:5]
	v_add_u32_e32 v126, 4, v128
	v_cmp_gt_i32_e64 s[4:5], s72, v126
	s_and_b64 s[8:9], s[24:25], s[4:5]
	v_ashrrev_i32_e32 v127, 31, v126
	s_and_saveexec_b64 s[6:7], s[8:9]
	s_cbranch_execz .LBB151_63
; %bb.59:
	s_and_b64 vcc, exec, s[0:1]
	s_cbranch_vccnz .LBB151_61
; %bb.60:
	v_lshl_add_u64 v[134:135], v[126:127], 3, v[132:133]
	flat_load_dwordx2 v[134:135], v[134:135]
	s_waitcnt vmcnt(0) lgkmcnt(0)
	v_mul_f64 v[134:135], s[70:71], v[134:135]
	s_branch .LBB151_62
.LBB151_61:
	v_mov_b64_e32 v[134:135], 0
.LBB151_62:
	v_add_f64 v[124:125], v[124:125], v[134:135]
	v_lshl_add_u64 v[134:135], v[126:127], 3, v[130:131]
	flat_store_dwordx2 v[134:135], v[124:125]
.LBB151_63:
	s_or_b64 exec, exec, s[6:7]
	v_add_u32_e32 v124, 8, v128
	v_cmp_gt_i32_e64 s[6:7], s72, v124
	s_and_b64 s[10:11], s[24:25], s[6:7]
	v_ashrrev_i32_e32 v125, 31, v124
	;; [unrolled: 23-line block ×31, first 2 shown]
	s_and_saveexec_b64 s[24:25], s[80:81]
	s_cbranch_execz .LBB151_213
; %bb.209:
	s_and_b64 vcc, exec, s[0:1]
	s_cbranch_vccnz .LBB151_211
; %bb.210:
	v_lshl_add_u64 v[132:133], v[66:67], 3, v[132:133]
	flat_load_dwordx2 v[132:133], v[132:133]
	s_waitcnt vmcnt(0) lgkmcnt(0)
	v_mul_f64 v[132:133], s[70:71], v[132:133]
	s_branch .LBB151_212
.LBB151_211:
	v_mov_b64_e32 v[132:133], 0
.LBB151_212:
	v_add_f64 v[64:65], v[64:65], v[132:133]
	v_lshl_add_u64 v[130:131], v[66:67], 3, v[130:131]
	flat_store_dwordx2 v[130:131], v[64:65]
.LBB151_213:
	s_or_b64 exec, exec, s[24:25]
	v_add_u32_e32 v132, 64, v136
	v_cmp_gt_i32_e64 s[24:25], s73, v132
	v_mad_i64_i32 v[64:65], s[72:73], v132, s78, 0
	v_lshl_add_u64 v[130:131], v[64:65], 3, s[76:77]
	v_mad_i64_i32 v[64:65], s[72:73], v132, s33, 0
	v_lshl_add_u64 v[64:65], v[64:65], 3, s[74:75]
	s_and_b64 s[2:3], s[24:25], s[2:3]
	s_and_saveexec_b64 s[72:73], s[2:3]
	s_xor_b64 s[2:3], exec, s[72:73]
	s_cbranch_execnz .LBB151_246
; %bb.214:
	s_or_b64 exec, exec, s[2:3]
	s_and_b64 s[4:5], s[24:25], s[4:5]
	s_and_saveexec_b64 s[2:3], s[4:5]
	s_cbranch_execnz .LBB151_250
.LBB151_215:
	s_or_b64 exec, exec, s[2:3]
	s_and_b64 s[4:5], s[24:25], s[6:7]
	s_and_saveexec_b64 s[2:3], s[4:5]
	s_cbranch_execnz .LBB151_254
.LBB151_216:
	s_or_b64 exec, exec, s[2:3]
	s_and_b64 s[4:5], s[24:25], s[8:9]
	s_and_saveexec_b64 s[2:3], s[4:5]
	s_cbranch_execnz .LBB151_258
.LBB151_217:
	s_or_b64 exec, exec, s[2:3]
	s_and_b64 s[4:5], s[24:25], s[10:11]
	s_and_saveexec_b64 s[2:3], s[4:5]
	s_cbranch_execnz .LBB151_262
.LBB151_218:
	s_or_b64 exec, exec, s[2:3]
	s_and_b64 s[4:5], s[24:25], s[12:13]
	s_and_saveexec_b64 s[2:3], s[4:5]
	s_cbranch_execnz .LBB151_266
.LBB151_219:
	s_or_b64 exec, exec, s[2:3]
	s_and_b64 s[4:5], s[24:25], s[14:15]
	s_and_saveexec_b64 s[2:3], s[4:5]
	s_cbranch_execnz .LBB151_270
.LBB151_220:
	s_or_b64 exec, exec, s[2:3]
	s_and_b64 s[4:5], s[24:25], s[16:17]
	s_and_saveexec_b64 s[2:3], s[4:5]
	s_cbranch_execnz .LBB151_274
.LBB151_221:
	s_or_b64 exec, exec, s[2:3]
	s_and_b64 s[4:5], s[24:25], s[18:19]
	s_and_saveexec_b64 s[2:3], s[4:5]
	s_cbranch_execnz .LBB151_278
.LBB151_222:
	s_or_b64 exec, exec, s[2:3]
	s_and_b64 s[4:5], s[24:25], s[20:21]
	s_and_saveexec_b64 s[2:3], s[4:5]
	s_cbranch_execnz .LBB151_282
.LBB151_223:
	s_or_b64 exec, exec, s[2:3]
	s_and_b64 s[4:5], s[24:25], s[22:23]
	s_and_saveexec_b64 s[2:3], s[4:5]
	s_cbranch_execnz .LBB151_286
.LBB151_224:
	s_or_b64 exec, exec, s[2:3]
	s_and_b64 s[4:5], s[24:25], s[26:27]
	s_and_saveexec_b64 s[2:3], s[4:5]
	s_cbranch_execnz .LBB151_290
.LBB151_225:
	s_or_b64 exec, exec, s[2:3]
	s_and_b64 s[4:5], s[24:25], s[28:29]
	s_and_saveexec_b64 s[2:3], s[4:5]
	s_cbranch_execnz .LBB151_294
.LBB151_226:
	s_or_b64 exec, exec, s[2:3]
	s_and_b64 s[4:5], s[24:25], s[30:31]
	s_and_saveexec_b64 s[2:3], s[4:5]
	s_cbranch_execnz .LBB151_298
.LBB151_227:
	s_or_b64 exec, exec, s[2:3]
	s_and_b64 s[4:5], s[24:25], s[34:35]
	s_and_saveexec_b64 s[2:3], s[4:5]
	s_cbranch_execnz .LBB151_302
.LBB151_228:
	s_or_b64 exec, exec, s[2:3]
	s_and_b64 s[4:5], s[24:25], s[36:37]
	s_and_saveexec_b64 s[2:3], s[4:5]
	s_cbranch_execnz .LBB151_306
.LBB151_229:
	s_or_b64 exec, exec, s[2:3]
	s_and_b64 s[4:5], s[24:25], s[38:39]
	s_and_saveexec_b64 s[2:3], s[4:5]
	s_cbranch_execnz .LBB151_310
.LBB151_230:
	s_or_b64 exec, exec, s[2:3]
	s_and_b64 s[4:5], s[24:25], s[40:41]
	s_and_saveexec_b64 s[2:3], s[4:5]
	s_cbranch_execnz .LBB151_314
.LBB151_231:
	s_or_b64 exec, exec, s[2:3]
	s_and_b64 s[4:5], s[24:25], s[42:43]
	s_and_saveexec_b64 s[2:3], s[4:5]
	s_cbranch_execnz .LBB151_318
.LBB151_232:
	s_or_b64 exec, exec, s[2:3]
	s_and_b64 s[4:5], s[24:25], s[44:45]
	s_and_saveexec_b64 s[2:3], s[4:5]
	s_cbranch_execnz .LBB151_322
.LBB151_233:
	s_or_b64 exec, exec, s[2:3]
	s_and_b64 s[4:5], s[24:25], s[46:47]
	s_and_saveexec_b64 s[2:3], s[4:5]
	s_cbranch_execnz .LBB151_326
.LBB151_234:
	s_or_b64 exec, exec, s[2:3]
	s_and_b64 s[4:5], s[24:25], s[48:49]
	s_and_saveexec_b64 s[2:3], s[4:5]
	s_cbranch_execnz .LBB151_330
.LBB151_235:
	s_or_b64 exec, exec, s[2:3]
	s_and_b64 s[4:5], s[24:25], s[50:51]
	s_and_saveexec_b64 s[2:3], s[4:5]
	s_cbranch_execnz .LBB151_334
.LBB151_236:
	s_or_b64 exec, exec, s[2:3]
	s_and_b64 s[4:5], s[24:25], s[52:53]
	s_and_saveexec_b64 s[2:3], s[4:5]
	s_cbranch_execnz .LBB151_338
.LBB151_237:
	s_or_b64 exec, exec, s[2:3]
	s_and_b64 s[4:5], s[24:25], s[54:55]
	s_and_saveexec_b64 s[2:3], s[4:5]
	s_cbranch_execnz .LBB151_342
.LBB151_238:
	s_or_b64 exec, exec, s[2:3]
	s_and_b64 s[4:5], s[24:25], s[56:57]
	s_and_saveexec_b64 s[2:3], s[4:5]
	s_cbranch_execnz .LBB151_346
.LBB151_239:
	s_or_b64 exec, exec, s[2:3]
	s_and_b64 s[4:5], s[24:25], s[58:59]
	s_and_saveexec_b64 s[2:3], s[4:5]
	s_cbranch_execnz .LBB151_350
.LBB151_240:
	s_or_b64 exec, exec, s[2:3]
	s_and_b64 s[4:5], s[24:25], s[60:61]
	s_and_saveexec_b64 s[2:3], s[4:5]
	s_cbranch_execnz .LBB151_354
.LBB151_241:
	s_or_b64 exec, exec, s[2:3]
	s_and_b64 s[4:5], s[24:25], s[62:63]
	s_and_saveexec_b64 s[2:3], s[4:5]
	s_cbranch_execnz .LBB151_358
.LBB151_242:
	s_or_b64 exec, exec, s[2:3]
	s_and_b64 s[4:5], s[24:25], s[64:65]
	s_and_saveexec_b64 s[2:3], s[4:5]
	s_cbranch_execnz .LBB151_362
.LBB151_243:
	s_or_b64 exec, exec, s[2:3]
	s_and_b64 s[4:5], s[24:25], s[66:67]
	s_and_saveexec_b64 s[2:3], s[4:5]
	s_cbranch_execnz .LBB151_366
.LBB151_244:
	s_or_b64 exec, exec, s[2:3]
	s_and_b64 s[2:3], s[24:25], s[68:69]
	s_and_saveexec_b64 s[4:5], s[2:3]
	s_cbranch_execnz .LBB151_370
.LBB151_245:
	s_endpgm
.LBB151_246:
	s_and_b64 vcc, exec, s[0:1]
	s_cbranch_vccnz .LBB151_248
; %bb.247:
	v_lshl_add_u64 v[132:133], v[128:129], 3, v[130:131]
	flat_load_dwordx2 v[132:133], v[132:133]
	s_waitcnt vmcnt(0) lgkmcnt(0)
	v_mul_f64 v[132:133], s[70:71], v[132:133]
	s_branch .LBB151_249
.LBB151_248:
	v_mov_b64_e32 v[132:133], 0
.LBB151_249:
	v_add_f64 v[62:63], v[62:63], v[132:133]
	v_lshl_add_u64 v[128:129], v[128:129], 3, v[64:65]
	flat_store_dwordx2 v[128:129], v[62:63]
	s_or_b64 exec, exec, s[2:3]
	s_and_b64 s[4:5], s[24:25], s[4:5]
	s_and_saveexec_b64 s[2:3], s[4:5]
	s_cbranch_execz .LBB151_215
.LBB151_250:
	s_and_b64 vcc, exec, s[0:1]
	s_cbranch_vccnz .LBB151_252
; %bb.251:
	v_lshl_add_u64 v[62:63], v[126:127], 3, v[130:131]
	flat_load_dwordx2 v[62:63], v[62:63]
	s_waitcnt vmcnt(0) lgkmcnt(0)
	v_mul_f64 v[62:63], s[70:71], v[62:63]
	s_branch .LBB151_253
.LBB151_252:
	v_mov_b64_e32 v[62:63], 0
.LBB151_253:
	v_add_f64 v[60:61], v[60:61], v[62:63]
	v_lshl_add_u64 v[62:63], v[126:127], 3, v[64:65]
	flat_store_dwordx2 v[62:63], v[60:61]
	s_or_b64 exec, exec, s[2:3]
	s_and_b64 s[4:5], s[24:25], s[6:7]
	s_and_saveexec_b64 s[2:3], s[4:5]
	s_cbranch_execz .LBB151_216
.LBB151_254:
	s_and_b64 vcc, exec, s[0:1]
	s_cbranch_vccnz .LBB151_256
; %bb.255:
	v_lshl_add_u64 v[60:61], v[124:125], 3, v[130:131]
	flat_load_dwordx2 v[60:61], v[60:61]
	s_waitcnt vmcnt(0) lgkmcnt(0)
	v_mul_f64 v[60:61], s[70:71], v[60:61]
	s_branch .LBB151_257
.LBB151_256:
	v_mov_b64_e32 v[60:61], 0
.LBB151_257:
	v_add_f64 v[58:59], v[58:59], v[60:61]
	v_lshl_add_u64 v[60:61], v[124:125], 3, v[64:65]
	flat_store_dwordx2 v[60:61], v[58:59]
	s_or_b64 exec, exec, s[2:3]
	s_and_b64 s[4:5], s[24:25], s[8:9]
	s_and_saveexec_b64 s[2:3], s[4:5]
	s_cbranch_execz .LBB151_217
.LBB151_258:
	s_and_b64 vcc, exec, s[0:1]
	s_cbranch_vccnz .LBB151_260
; %bb.259:
	v_lshl_add_u64 v[58:59], v[122:123], 3, v[130:131]
	flat_load_dwordx2 v[58:59], v[58:59]
	s_waitcnt vmcnt(0) lgkmcnt(0)
	v_mul_f64 v[58:59], s[70:71], v[58:59]
	s_branch .LBB151_261
.LBB151_260:
	v_mov_b64_e32 v[58:59], 0
.LBB151_261:
	v_add_f64 v[56:57], v[56:57], v[58:59]
	v_lshl_add_u64 v[58:59], v[122:123], 3, v[64:65]
	flat_store_dwordx2 v[58:59], v[56:57]
	s_or_b64 exec, exec, s[2:3]
	s_and_b64 s[4:5], s[24:25], s[10:11]
	s_and_saveexec_b64 s[2:3], s[4:5]
	s_cbranch_execz .LBB151_218
.LBB151_262:
	s_and_b64 vcc, exec, s[0:1]
	s_cbranch_vccnz .LBB151_264
; %bb.263:
	v_lshl_add_u64 v[56:57], v[120:121], 3, v[130:131]
	flat_load_dwordx2 v[56:57], v[56:57]
	s_waitcnt vmcnt(0) lgkmcnt(0)
	v_mul_f64 v[56:57], s[70:71], v[56:57]
	s_branch .LBB151_265
.LBB151_264:
	v_mov_b64_e32 v[56:57], 0
.LBB151_265:
	v_add_f64 v[54:55], v[54:55], v[56:57]
	v_lshl_add_u64 v[56:57], v[120:121], 3, v[64:65]
	flat_store_dwordx2 v[56:57], v[54:55]
	s_or_b64 exec, exec, s[2:3]
	s_and_b64 s[4:5], s[24:25], s[12:13]
	s_and_saveexec_b64 s[2:3], s[4:5]
	s_cbranch_execz .LBB151_219
.LBB151_266:
	s_and_b64 vcc, exec, s[0:1]
	s_cbranch_vccnz .LBB151_268
; %bb.267:
	v_lshl_add_u64 v[54:55], v[118:119], 3, v[130:131]
	flat_load_dwordx2 v[54:55], v[54:55]
	s_waitcnt vmcnt(0) lgkmcnt(0)
	v_mul_f64 v[54:55], s[70:71], v[54:55]
	s_branch .LBB151_269
.LBB151_268:
	v_mov_b64_e32 v[54:55], 0
.LBB151_269:
	v_add_f64 v[52:53], v[52:53], v[54:55]
	v_lshl_add_u64 v[54:55], v[118:119], 3, v[64:65]
	flat_store_dwordx2 v[54:55], v[52:53]
	s_or_b64 exec, exec, s[2:3]
	s_and_b64 s[4:5], s[24:25], s[14:15]
	s_and_saveexec_b64 s[2:3], s[4:5]
	s_cbranch_execz .LBB151_220
.LBB151_270:
	s_and_b64 vcc, exec, s[0:1]
	s_cbranch_vccnz .LBB151_272
; %bb.271:
	v_lshl_add_u64 v[52:53], v[116:117], 3, v[130:131]
	flat_load_dwordx2 v[52:53], v[52:53]
	s_waitcnt vmcnt(0) lgkmcnt(0)
	v_mul_f64 v[52:53], s[70:71], v[52:53]
	s_branch .LBB151_273
.LBB151_272:
	v_mov_b64_e32 v[52:53], 0
.LBB151_273:
	v_add_f64 v[50:51], v[50:51], v[52:53]
	v_lshl_add_u64 v[52:53], v[116:117], 3, v[64:65]
	flat_store_dwordx2 v[52:53], v[50:51]
	s_or_b64 exec, exec, s[2:3]
	s_and_b64 s[4:5], s[24:25], s[16:17]
	s_and_saveexec_b64 s[2:3], s[4:5]
	s_cbranch_execz .LBB151_221
.LBB151_274:
	s_and_b64 vcc, exec, s[0:1]
	s_cbranch_vccnz .LBB151_276
; %bb.275:
	v_lshl_add_u64 v[50:51], v[114:115], 3, v[130:131]
	flat_load_dwordx2 v[50:51], v[50:51]
	s_waitcnt vmcnt(0) lgkmcnt(0)
	v_mul_f64 v[50:51], s[70:71], v[50:51]
	s_branch .LBB151_277
.LBB151_276:
	v_mov_b64_e32 v[50:51], 0
.LBB151_277:
	v_add_f64 v[48:49], v[48:49], v[50:51]
	v_lshl_add_u64 v[50:51], v[114:115], 3, v[64:65]
	flat_store_dwordx2 v[50:51], v[48:49]
	s_or_b64 exec, exec, s[2:3]
	s_and_b64 s[4:5], s[24:25], s[18:19]
	s_and_saveexec_b64 s[2:3], s[4:5]
	s_cbranch_execz .LBB151_222
.LBB151_278:
	s_and_b64 vcc, exec, s[0:1]
	s_cbranch_vccnz .LBB151_280
; %bb.279:
	v_lshl_add_u64 v[48:49], v[112:113], 3, v[130:131]
	flat_load_dwordx2 v[48:49], v[48:49]
	s_waitcnt vmcnt(0) lgkmcnt(0)
	v_mul_f64 v[48:49], s[70:71], v[48:49]
	s_branch .LBB151_281
.LBB151_280:
	v_mov_b64_e32 v[48:49], 0
.LBB151_281:
	v_add_f64 v[46:47], v[46:47], v[48:49]
	v_lshl_add_u64 v[48:49], v[112:113], 3, v[64:65]
	flat_store_dwordx2 v[48:49], v[46:47]
	s_or_b64 exec, exec, s[2:3]
	s_and_b64 s[4:5], s[24:25], s[20:21]
	s_and_saveexec_b64 s[2:3], s[4:5]
	s_cbranch_execz .LBB151_223
.LBB151_282:
	s_and_b64 vcc, exec, s[0:1]
	s_cbranch_vccnz .LBB151_284
; %bb.283:
	v_lshl_add_u64 v[46:47], v[110:111], 3, v[130:131]
	flat_load_dwordx2 v[46:47], v[46:47]
	s_waitcnt vmcnt(0) lgkmcnt(0)
	v_mul_f64 v[46:47], s[70:71], v[46:47]
	s_branch .LBB151_285
.LBB151_284:
	v_mov_b64_e32 v[46:47], 0
.LBB151_285:
	v_add_f64 v[44:45], v[44:45], v[46:47]
	v_lshl_add_u64 v[46:47], v[110:111], 3, v[64:65]
	flat_store_dwordx2 v[46:47], v[44:45]
	s_or_b64 exec, exec, s[2:3]
	s_and_b64 s[4:5], s[24:25], s[22:23]
	s_and_saveexec_b64 s[2:3], s[4:5]
	s_cbranch_execz .LBB151_224
.LBB151_286:
	s_and_b64 vcc, exec, s[0:1]
	s_cbranch_vccnz .LBB151_288
; %bb.287:
	v_lshl_add_u64 v[44:45], v[108:109], 3, v[130:131]
	flat_load_dwordx2 v[44:45], v[44:45]
	s_waitcnt vmcnt(0) lgkmcnt(0)
	v_mul_f64 v[44:45], s[70:71], v[44:45]
	s_branch .LBB151_289
.LBB151_288:
	v_mov_b64_e32 v[44:45], 0
.LBB151_289:
	v_add_f64 v[42:43], v[42:43], v[44:45]
	v_lshl_add_u64 v[44:45], v[108:109], 3, v[64:65]
	flat_store_dwordx2 v[44:45], v[42:43]
	s_or_b64 exec, exec, s[2:3]
	s_and_b64 s[4:5], s[24:25], s[26:27]
	s_and_saveexec_b64 s[2:3], s[4:5]
	s_cbranch_execz .LBB151_225
.LBB151_290:
	s_and_b64 vcc, exec, s[0:1]
	s_cbranch_vccnz .LBB151_292
; %bb.291:
	v_lshl_add_u64 v[42:43], v[106:107], 3, v[130:131]
	flat_load_dwordx2 v[42:43], v[42:43]
	s_waitcnt vmcnt(0) lgkmcnt(0)
	v_mul_f64 v[42:43], s[70:71], v[42:43]
	s_branch .LBB151_293
.LBB151_292:
	v_mov_b64_e32 v[42:43], 0
.LBB151_293:
	v_add_f64 v[40:41], v[40:41], v[42:43]
	v_lshl_add_u64 v[42:43], v[106:107], 3, v[64:65]
	flat_store_dwordx2 v[42:43], v[40:41]
	s_or_b64 exec, exec, s[2:3]
	s_and_b64 s[4:5], s[24:25], s[28:29]
	s_and_saveexec_b64 s[2:3], s[4:5]
	s_cbranch_execz .LBB151_226
.LBB151_294:
	s_and_b64 vcc, exec, s[0:1]
	s_cbranch_vccnz .LBB151_296
; %bb.295:
	v_lshl_add_u64 v[40:41], v[104:105], 3, v[130:131]
	flat_load_dwordx2 v[40:41], v[40:41]
	s_waitcnt vmcnt(0) lgkmcnt(0)
	v_mul_f64 v[40:41], s[70:71], v[40:41]
	s_branch .LBB151_297
.LBB151_296:
	v_mov_b64_e32 v[40:41], 0
.LBB151_297:
	v_add_f64 v[38:39], v[38:39], v[40:41]
	v_lshl_add_u64 v[40:41], v[104:105], 3, v[64:65]
	flat_store_dwordx2 v[40:41], v[38:39]
	s_or_b64 exec, exec, s[2:3]
	s_and_b64 s[4:5], s[24:25], s[30:31]
	s_and_saveexec_b64 s[2:3], s[4:5]
	s_cbranch_execz .LBB151_227
.LBB151_298:
	s_and_b64 vcc, exec, s[0:1]
	s_cbranch_vccnz .LBB151_300
; %bb.299:
	v_lshl_add_u64 v[38:39], v[102:103], 3, v[130:131]
	flat_load_dwordx2 v[38:39], v[38:39]
	s_waitcnt vmcnt(0) lgkmcnt(0)
	v_mul_f64 v[38:39], s[70:71], v[38:39]
	s_branch .LBB151_301
.LBB151_300:
	v_mov_b64_e32 v[38:39], 0
.LBB151_301:
	v_add_f64 v[36:37], v[36:37], v[38:39]
	v_lshl_add_u64 v[38:39], v[102:103], 3, v[64:65]
	flat_store_dwordx2 v[38:39], v[36:37]
	s_or_b64 exec, exec, s[2:3]
	s_and_b64 s[4:5], s[24:25], s[34:35]
	s_and_saveexec_b64 s[2:3], s[4:5]
	s_cbranch_execz .LBB151_228
.LBB151_302:
	s_and_b64 vcc, exec, s[0:1]
	s_cbranch_vccnz .LBB151_304
; %bb.303:
	v_lshl_add_u64 v[36:37], v[100:101], 3, v[130:131]
	flat_load_dwordx2 v[36:37], v[36:37]
	s_waitcnt vmcnt(0) lgkmcnt(0)
	v_mul_f64 v[36:37], s[70:71], v[36:37]
	s_branch .LBB151_305
.LBB151_304:
	v_mov_b64_e32 v[36:37], 0
.LBB151_305:
	v_add_f64 v[34:35], v[34:35], v[36:37]
	v_lshl_add_u64 v[36:37], v[100:101], 3, v[64:65]
	flat_store_dwordx2 v[36:37], v[34:35]
	s_or_b64 exec, exec, s[2:3]
	s_and_b64 s[4:5], s[24:25], s[36:37]
	s_and_saveexec_b64 s[2:3], s[4:5]
	s_cbranch_execz .LBB151_229
.LBB151_306:
	s_and_b64 vcc, exec, s[0:1]
	s_cbranch_vccnz .LBB151_308
; %bb.307:
	v_lshl_add_u64 v[34:35], v[98:99], 3, v[130:131]
	flat_load_dwordx2 v[34:35], v[34:35]
	s_waitcnt vmcnt(0) lgkmcnt(0)
	v_mul_f64 v[34:35], s[70:71], v[34:35]
	s_branch .LBB151_309
.LBB151_308:
	v_mov_b64_e32 v[34:35], 0
.LBB151_309:
	v_add_f64 v[32:33], v[32:33], v[34:35]
	v_lshl_add_u64 v[34:35], v[98:99], 3, v[64:65]
	flat_store_dwordx2 v[34:35], v[32:33]
	s_or_b64 exec, exec, s[2:3]
	s_and_b64 s[4:5], s[24:25], s[38:39]
	s_and_saveexec_b64 s[2:3], s[4:5]
	s_cbranch_execz .LBB151_230
.LBB151_310:
	s_and_b64 vcc, exec, s[0:1]
	s_cbranch_vccnz .LBB151_312
; %bb.311:
	v_lshl_add_u64 v[32:33], v[96:97], 3, v[130:131]
	flat_load_dwordx2 v[32:33], v[32:33]
	s_waitcnt vmcnt(0) lgkmcnt(0)
	v_mul_f64 v[32:33], s[70:71], v[32:33]
	s_branch .LBB151_313
.LBB151_312:
	v_mov_b64_e32 v[32:33], 0
.LBB151_313:
	v_add_f64 v[30:31], v[30:31], v[32:33]
	v_lshl_add_u64 v[32:33], v[96:97], 3, v[64:65]
	flat_store_dwordx2 v[32:33], v[30:31]
	s_or_b64 exec, exec, s[2:3]
	s_and_b64 s[4:5], s[24:25], s[40:41]
	s_and_saveexec_b64 s[2:3], s[4:5]
	s_cbranch_execz .LBB151_231
.LBB151_314:
	s_and_b64 vcc, exec, s[0:1]
	s_cbranch_vccnz .LBB151_316
; %bb.315:
	v_lshl_add_u64 v[30:31], v[94:95], 3, v[130:131]
	flat_load_dwordx2 v[30:31], v[30:31]
	s_waitcnt vmcnt(0) lgkmcnt(0)
	v_mul_f64 v[30:31], s[70:71], v[30:31]
	s_branch .LBB151_317
.LBB151_316:
	v_mov_b64_e32 v[30:31], 0
.LBB151_317:
	v_add_f64 v[28:29], v[28:29], v[30:31]
	v_lshl_add_u64 v[30:31], v[94:95], 3, v[64:65]
	flat_store_dwordx2 v[30:31], v[28:29]
	s_or_b64 exec, exec, s[2:3]
	s_and_b64 s[4:5], s[24:25], s[42:43]
	s_and_saveexec_b64 s[2:3], s[4:5]
	s_cbranch_execz .LBB151_232
.LBB151_318:
	s_and_b64 vcc, exec, s[0:1]
	s_cbranch_vccnz .LBB151_320
; %bb.319:
	v_lshl_add_u64 v[28:29], v[92:93], 3, v[130:131]
	flat_load_dwordx2 v[28:29], v[28:29]
	s_waitcnt vmcnt(0) lgkmcnt(0)
	v_mul_f64 v[28:29], s[70:71], v[28:29]
	s_branch .LBB151_321
.LBB151_320:
	v_mov_b64_e32 v[28:29], 0
.LBB151_321:
	v_add_f64 v[26:27], v[26:27], v[28:29]
	v_lshl_add_u64 v[28:29], v[92:93], 3, v[64:65]
	flat_store_dwordx2 v[28:29], v[26:27]
	s_or_b64 exec, exec, s[2:3]
	s_and_b64 s[4:5], s[24:25], s[44:45]
	s_and_saveexec_b64 s[2:3], s[4:5]
	s_cbranch_execz .LBB151_233
.LBB151_322:
	s_and_b64 vcc, exec, s[0:1]
	s_cbranch_vccnz .LBB151_324
; %bb.323:
	v_lshl_add_u64 v[26:27], v[90:91], 3, v[130:131]
	flat_load_dwordx2 v[26:27], v[26:27]
	s_waitcnt vmcnt(0) lgkmcnt(0)
	v_mul_f64 v[26:27], s[70:71], v[26:27]
	s_branch .LBB151_325
.LBB151_324:
	v_mov_b64_e32 v[26:27], 0
.LBB151_325:
	v_add_f64 v[24:25], v[24:25], v[26:27]
	v_lshl_add_u64 v[26:27], v[90:91], 3, v[64:65]
	flat_store_dwordx2 v[26:27], v[24:25]
	s_or_b64 exec, exec, s[2:3]
	s_and_b64 s[4:5], s[24:25], s[46:47]
	s_and_saveexec_b64 s[2:3], s[4:5]
	s_cbranch_execz .LBB151_234
.LBB151_326:
	s_and_b64 vcc, exec, s[0:1]
	s_cbranch_vccnz .LBB151_328
; %bb.327:
	v_lshl_add_u64 v[24:25], v[88:89], 3, v[130:131]
	flat_load_dwordx2 v[24:25], v[24:25]
	s_waitcnt vmcnt(0) lgkmcnt(0)
	v_mul_f64 v[24:25], s[70:71], v[24:25]
	s_branch .LBB151_329
.LBB151_328:
	v_mov_b64_e32 v[24:25], 0
.LBB151_329:
	v_add_f64 v[22:23], v[22:23], v[24:25]
	v_lshl_add_u64 v[24:25], v[88:89], 3, v[64:65]
	flat_store_dwordx2 v[24:25], v[22:23]
	s_or_b64 exec, exec, s[2:3]
	s_and_b64 s[4:5], s[24:25], s[48:49]
	s_and_saveexec_b64 s[2:3], s[4:5]
	s_cbranch_execz .LBB151_235
.LBB151_330:
	s_and_b64 vcc, exec, s[0:1]
	s_cbranch_vccnz .LBB151_332
; %bb.331:
	v_lshl_add_u64 v[22:23], v[86:87], 3, v[130:131]
	flat_load_dwordx2 v[22:23], v[22:23]
	s_waitcnt vmcnt(0) lgkmcnt(0)
	v_mul_f64 v[22:23], s[70:71], v[22:23]
	s_branch .LBB151_333
.LBB151_332:
	v_mov_b64_e32 v[22:23], 0
.LBB151_333:
	v_add_f64 v[20:21], v[20:21], v[22:23]
	v_lshl_add_u64 v[22:23], v[86:87], 3, v[64:65]
	flat_store_dwordx2 v[22:23], v[20:21]
	s_or_b64 exec, exec, s[2:3]
	s_and_b64 s[4:5], s[24:25], s[50:51]
	s_and_saveexec_b64 s[2:3], s[4:5]
	s_cbranch_execz .LBB151_236
.LBB151_334:
	s_and_b64 vcc, exec, s[0:1]
	s_cbranch_vccnz .LBB151_336
; %bb.335:
	v_lshl_add_u64 v[20:21], v[84:85], 3, v[130:131]
	flat_load_dwordx2 v[20:21], v[20:21]
	s_waitcnt vmcnt(0) lgkmcnt(0)
	v_mul_f64 v[20:21], s[70:71], v[20:21]
	s_branch .LBB151_337
.LBB151_336:
	v_mov_b64_e32 v[20:21], 0
.LBB151_337:
	v_add_f64 v[18:19], v[18:19], v[20:21]
	v_lshl_add_u64 v[20:21], v[84:85], 3, v[64:65]
	flat_store_dwordx2 v[20:21], v[18:19]
	s_or_b64 exec, exec, s[2:3]
	s_and_b64 s[4:5], s[24:25], s[52:53]
	s_and_saveexec_b64 s[2:3], s[4:5]
	s_cbranch_execz .LBB151_237
.LBB151_338:
	s_and_b64 vcc, exec, s[0:1]
	s_cbranch_vccnz .LBB151_340
; %bb.339:
	v_lshl_add_u64 v[18:19], v[82:83], 3, v[130:131]
	flat_load_dwordx2 v[18:19], v[18:19]
	s_waitcnt vmcnt(0) lgkmcnt(0)
	v_mul_f64 v[18:19], s[70:71], v[18:19]
	s_branch .LBB151_341
.LBB151_340:
	v_mov_b64_e32 v[18:19], 0
.LBB151_341:
	v_add_f64 v[16:17], v[16:17], v[18:19]
	v_lshl_add_u64 v[18:19], v[82:83], 3, v[64:65]
	flat_store_dwordx2 v[18:19], v[16:17]
	s_or_b64 exec, exec, s[2:3]
	s_and_b64 s[4:5], s[24:25], s[54:55]
	s_and_saveexec_b64 s[2:3], s[4:5]
	s_cbranch_execz .LBB151_238
.LBB151_342:
	s_and_b64 vcc, exec, s[0:1]
	s_cbranch_vccnz .LBB151_344
; %bb.343:
	v_lshl_add_u64 v[16:17], v[80:81], 3, v[130:131]
	flat_load_dwordx2 v[16:17], v[16:17]
	s_waitcnt vmcnt(0) lgkmcnt(0)
	v_mul_f64 v[16:17], s[70:71], v[16:17]
	s_branch .LBB151_345
.LBB151_344:
	v_mov_b64_e32 v[16:17], 0
.LBB151_345:
	v_add_f64 v[14:15], v[14:15], v[16:17]
	v_lshl_add_u64 v[16:17], v[80:81], 3, v[64:65]
	flat_store_dwordx2 v[16:17], v[14:15]
	s_or_b64 exec, exec, s[2:3]
	s_and_b64 s[4:5], s[24:25], s[56:57]
	s_and_saveexec_b64 s[2:3], s[4:5]
	s_cbranch_execz .LBB151_239
.LBB151_346:
	s_and_b64 vcc, exec, s[0:1]
	s_cbranch_vccnz .LBB151_348
; %bb.347:
	v_lshl_add_u64 v[14:15], v[78:79], 3, v[130:131]
	flat_load_dwordx2 v[14:15], v[14:15]
	s_waitcnt vmcnt(0) lgkmcnt(0)
	v_mul_f64 v[14:15], s[70:71], v[14:15]
	s_branch .LBB151_349
.LBB151_348:
	v_mov_b64_e32 v[14:15], 0
.LBB151_349:
	v_add_f64 v[12:13], v[12:13], v[14:15]
	v_lshl_add_u64 v[14:15], v[78:79], 3, v[64:65]
	flat_store_dwordx2 v[14:15], v[12:13]
	s_or_b64 exec, exec, s[2:3]
	s_and_b64 s[4:5], s[24:25], s[58:59]
	s_and_saveexec_b64 s[2:3], s[4:5]
	s_cbranch_execz .LBB151_240
.LBB151_350:
	s_and_b64 vcc, exec, s[0:1]
	s_cbranch_vccnz .LBB151_352
; %bb.351:
	v_lshl_add_u64 v[12:13], v[76:77], 3, v[130:131]
	flat_load_dwordx2 v[12:13], v[12:13]
	s_waitcnt vmcnt(0) lgkmcnt(0)
	v_mul_f64 v[12:13], s[70:71], v[12:13]
	s_branch .LBB151_353
.LBB151_352:
	v_mov_b64_e32 v[12:13], 0
.LBB151_353:
	v_add_f64 v[10:11], v[10:11], v[12:13]
	v_lshl_add_u64 v[12:13], v[76:77], 3, v[64:65]
	flat_store_dwordx2 v[12:13], v[10:11]
	s_or_b64 exec, exec, s[2:3]
	s_and_b64 s[4:5], s[24:25], s[60:61]
	s_and_saveexec_b64 s[2:3], s[4:5]
	s_cbranch_execz .LBB151_241
.LBB151_354:
	s_and_b64 vcc, exec, s[0:1]
	s_cbranch_vccnz .LBB151_356
; %bb.355:
	v_lshl_add_u64 v[10:11], v[74:75], 3, v[130:131]
	flat_load_dwordx2 v[10:11], v[10:11]
	s_waitcnt vmcnt(0) lgkmcnt(0)
	v_mul_f64 v[10:11], s[70:71], v[10:11]
	s_branch .LBB151_357
.LBB151_356:
	v_mov_b64_e32 v[10:11], 0
.LBB151_357:
	v_add_f64 v[8:9], v[8:9], v[10:11]
	v_lshl_add_u64 v[10:11], v[74:75], 3, v[64:65]
	flat_store_dwordx2 v[10:11], v[8:9]
	s_or_b64 exec, exec, s[2:3]
	s_and_b64 s[4:5], s[24:25], s[62:63]
	s_and_saveexec_b64 s[2:3], s[4:5]
	s_cbranch_execz .LBB151_242
.LBB151_358:
	s_and_b64 vcc, exec, s[0:1]
	s_cbranch_vccnz .LBB151_360
; %bb.359:
	v_lshl_add_u64 v[8:9], v[72:73], 3, v[130:131]
	flat_load_dwordx2 v[8:9], v[8:9]
	s_waitcnt vmcnt(0) lgkmcnt(0)
	v_mul_f64 v[8:9], s[70:71], v[8:9]
	s_branch .LBB151_361
.LBB151_360:
	v_mov_b64_e32 v[8:9], 0
.LBB151_361:
	v_add_f64 v[6:7], v[6:7], v[8:9]
	v_lshl_add_u64 v[8:9], v[72:73], 3, v[64:65]
	flat_store_dwordx2 v[8:9], v[6:7]
	s_or_b64 exec, exec, s[2:3]
	s_and_b64 s[4:5], s[24:25], s[64:65]
	s_and_saveexec_b64 s[2:3], s[4:5]
	s_cbranch_execz .LBB151_243
.LBB151_362:
	s_and_b64 vcc, exec, s[0:1]
	s_cbranch_vccnz .LBB151_364
; %bb.363:
	v_lshl_add_u64 v[6:7], v[70:71], 3, v[130:131]
	flat_load_dwordx2 v[6:7], v[6:7]
	s_waitcnt vmcnt(0) lgkmcnt(0)
	v_mul_f64 v[6:7], s[70:71], v[6:7]
	s_branch .LBB151_365
.LBB151_364:
	v_mov_b64_e32 v[6:7], 0
.LBB151_365:
	v_add_f64 v[4:5], v[4:5], v[6:7]
	v_lshl_add_u64 v[6:7], v[70:71], 3, v[64:65]
	flat_store_dwordx2 v[6:7], v[4:5]
	s_or_b64 exec, exec, s[2:3]
	s_and_b64 s[4:5], s[24:25], s[66:67]
	s_and_saveexec_b64 s[2:3], s[4:5]
	s_cbranch_execz .LBB151_244
.LBB151_366:
	s_and_b64 vcc, exec, s[0:1]
	s_cbranch_vccnz .LBB151_368
; %bb.367:
	v_lshl_add_u64 v[4:5], v[68:69], 3, v[130:131]
	flat_load_dwordx2 v[4:5], v[4:5]
	s_waitcnt vmcnt(0) lgkmcnt(0)
	v_mul_f64 v[4:5], s[70:71], v[4:5]
	s_branch .LBB151_369
.LBB151_368:
	v_mov_b64_e32 v[4:5], 0
.LBB151_369:
	v_add_f64 v[2:3], v[2:3], v[4:5]
	v_lshl_add_u64 v[4:5], v[68:69], 3, v[64:65]
	flat_store_dwordx2 v[4:5], v[2:3]
	s_or_b64 exec, exec, s[2:3]
	s_and_b64 s[2:3], s[24:25], s[68:69]
	s_and_saveexec_b64 s[4:5], s[2:3]
	s_cbranch_execz .LBB151_245
.LBB151_370:
	s_and_b64 vcc, exec, s[0:1]
	s_cbranch_vccnz .LBB151_372
; %bb.371:
	v_lshl_add_u64 v[2:3], v[66:67], 3, v[130:131]
	flat_load_dwordx2 v[2:3], v[2:3]
	s_waitcnt vmcnt(0) lgkmcnt(0)
	v_mul_f64 v[2:3], s[70:71], v[2:3]
	v_add_f64 v[0:1], v[0:1], v[2:3]
	v_lshl_add_u64 v[2:3], v[66:67], 3, v[64:65]
	flat_store_dwordx2 v[2:3], v[0:1]
	s_endpgm
.LBB151_372:
	v_mov_b64_e32 v[2:3], 0
	v_add_f64 v[0:1], v[0:1], v[2:3]
	v_lshl_add_u64 v[2:3], v[66:67], 3, v[64:65]
	flat_store_dwordx2 v[2:3], v[0:1]
	s_endpgm
	.section	.rodata,"a",@progbits
	.p2align	6, 0x0
	.amdhsa_kernel _ZN12_GLOBAL__N_120geam_min_plus_kernelIdddLi4ELi64ELi128ELi128ELi4ELi4ELi64ELi64ELi4ELc84ELc84ELb1ELb1ELb0EdKPKdKPdEEviiiT16_PT17_ilS8_ilS6_S8_ilPT18_ili26rocblas_geam_ex_operation_
		.amdhsa_group_segment_fixed_size 16384
		.amdhsa_private_segment_fixed_size 0
		.amdhsa_kernarg_size 136
		.amdhsa_user_sgpr_count 2
		.amdhsa_user_sgpr_dispatch_ptr 0
		.amdhsa_user_sgpr_queue_ptr 0
		.amdhsa_user_sgpr_kernarg_segment_ptr 1
		.amdhsa_user_sgpr_dispatch_id 0
		.amdhsa_user_sgpr_kernarg_preload_length 0
		.amdhsa_user_sgpr_kernarg_preload_offset 0
		.amdhsa_user_sgpr_private_segment_size 0
		.amdhsa_uses_dynamic_stack 0
		.amdhsa_enable_private_segment 0
		.amdhsa_system_sgpr_workgroup_id_x 1
		.amdhsa_system_sgpr_workgroup_id_y 0
		.amdhsa_system_sgpr_workgroup_id_z 1
		.amdhsa_system_sgpr_workgroup_info 0
		.amdhsa_system_vgpr_workitem_id 1
		.amdhsa_next_free_vgpr 254
		.amdhsa_next_free_sgpr 82
		.amdhsa_accum_offset 256
		.amdhsa_reserve_vcc 1
		.amdhsa_float_round_mode_32 0
		.amdhsa_float_round_mode_16_64 0
		.amdhsa_float_denorm_mode_32 3
		.amdhsa_float_denorm_mode_16_64 3
		.amdhsa_dx10_clamp 1
		.amdhsa_ieee_mode 1
		.amdhsa_fp16_overflow 0
		.amdhsa_tg_split 0
		.amdhsa_exception_fp_ieee_invalid_op 0
		.amdhsa_exception_fp_denorm_src 0
		.amdhsa_exception_fp_ieee_div_zero 0
		.amdhsa_exception_fp_ieee_overflow 0
		.amdhsa_exception_fp_ieee_underflow 0
		.amdhsa_exception_fp_ieee_inexact 0
		.amdhsa_exception_int_div_zero 0
	.end_amdhsa_kernel
	.section	.text._ZN12_GLOBAL__N_120geam_min_plus_kernelIdddLi4ELi64ELi128ELi128ELi4ELi4ELi64ELi64ELi4ELc84ELc84ELb1ELb1ELb0EdKPKdKPdEEviiiT16_PT17_ilS8_ilS6_S8_ilPT18_ili26rocblas_geam_ex_operation_,"axG",@progbits,_ZN12_GLOBAL__N_120geam_min_plus_kernelIdddLi4ELi64ELi128ELi128ELi4ELi4ELi64ELi64ELi4ELc84ELc84ELb1ELb1ELb0EdKPKdKPdEEviiiT16_PT17_ilS8_ilS6_S8_ilPT18_ili26rocblas_geam_ex_operation_,comdat
.Lfunc_end151:
	.size	_ZN12_GLOBAL__N_120geam_min_plus_kernelIdddLi4ELi64ELi128ELi128ELi4ELi4ELi64ELi64ELi4ELc84ELc84ELb1ELb1ELb0EdKPKdKPdEEviiiT16_PT17_ilS8_ilS6_S8_ilPT18_ili26rocblas_geam_ex_operation_, .Lfunc_end151-_ZN12_GLOBAL__N_120geam_min_plus_kernelIdddLi4ELi64ELi128ELi128ELi4ELi4ELi64ELi64ELi4ELc84ELc84ELb1ELb1ELb0EdKPKdKPdEEviiiT16_PT17_ilS8_ilS6_S8_ilPT18_ili26rocblas_geam_ex_operation_
                                        ; -- End function
	.set _ZN12_GLOBAL__N_120geam_min_plus_kernelIdddLi4ELi64ELi128ELi128ELi4ELi4ELi64ELi64ELi4ELc84ELc84ELb1ELb1ELb0EdKPKdKPdEEviiiT16_PT17_ilS8_ilS6_S8_ilPT18_ili26rocblas_geam_ex_operation_.num_vgpr, 254
	.set _ZN12_GLOBAL__N_120geam_min_plus_kernelIdddLi4ELi64ELi128ELi128ELi4ELi4ELi64ELi64ELi4ELc84ELc84ELb1ELb1ELb0EdKPKdKPdEEviiiT16_PT17_ilS8_ilS6_S8_ilPT18_ili26rocblas_geam_ex_operation_.num_agpr, 0
	.set _ZN12_GLOBAL__N_120geam_min_plus_kernelIdddLi4ELi64ELi128ELi128ELi4ELi4ELi64ELi64ELi4ELc84ELc84ELb1ELb1ELb0EdKPKdKPdEEviiiT16_PT17_ilS8_ilS6_S8_ilPT18_ili26rocblas_geam_ex_operation_.numbered_sgpr, 82
	.set _ZN12_GLOBAL__N_120geam_min_plus_kernelIdddLi4ELi64ELi128ELi128ELi4ELi4ELi64ELi64ELi4ELc84ELc84ELb1ELb1ELb0EdKPKdKPdEEviiiT16_PT17_ilS8_ilS6_S8_ilPT18_ili26rocblas_geam_ex_operation_.num_named_barrier, 0
	.set _ZN12_GLOBAL__N_120geam_min_plus_kernelIdddLi4ELi64ELi128ELi128ELi4ELi4ELi64ELi64ELi4ELc84ELc84ELb1ELb1ELb0EdKPKdKPdEEviiiT16_PT17_ilS8_ilS6_S8_ilPT18_ili26rocblas_geam_ex_operation_.private_seg_size, 0
	.set _ZN12_GLOBAL__N_120geam_min_plus_kernelIdddLi4ELi64ELi128ELi128ELi4ELi4ELi64ELi64ELi4ELc84ELc84ELb1ELb1ELb0EdKPKdKPdEEviiiT16_PT17_ilS8_ilS6_S8_ilPT18_ili26rocblas_geam_ex_operation_.uses_vcc, 1
	.set _ZN12_GLOBAL__N_120geam_min_plus_kernelIdddLi4ELi64ELi128ELi128ELi4ELi4ELi64ELi64ELi4ELc84ELc84ELb1ELb1ELb0EdKPKdKPdEEviiiT16_PT17_ilS8_ilS6_S8_ilPT18_ili26rocblas_geam_ex_operation_.uses_flat_scratch, 0
	.set _ZN12_GLOBAL__N_120geam_min_plus_kernelIdddLi4ELi64ELi128ELi128ELi4ELi4ELi64ELi64ELi4ELc84ELc84ELb1ELb1ELb0EdKPKdKPdEEviiiT16_PT17_ilS8_ilS6_S8_ilPT18_ili26rocblas_geam_ex_operation_.has_dyn_sized_stack, 0
	.set _ZN12_GLOBAL__N_120geam_min_plus_kernelIdddLi4ELi64ELi128ELi128ELi4ELi4ELi64ELi64ELi4ELc84ELc84ELb1ELb1ELb0EdKPKdKPdEEviiiT16_PT17_ilS8_ilS6_S8_ilPT18_ili26rocblas_geam_ex_operation_.has_recursion, 0
	.set _ZN12_GLOBAL__N_120geam_min_plus_kernelIdddLi4ELi64ELi128ELi128ELi4ELi4ELi64ELi64ELi4ELc84ELc84ELb1ELb1ELb0EdKPKdKPdEEviiiT16_PT17_ilS8_ilS6_S8_ilPT18_ili26rocblas_geam_ex_operation_.has_indirect_call, 0
	.section	.AMDGPU.csdata,"",@progbits
; Kernel info:
; codeLenInByte = 14408
; TotalNumSgprs: 88
; NumVgprs: 254
; NumAgprs: 0
; TotalNumVgprs: 254
; ScratchSize: 0
; MemoryBound: 0
; FloatMode: 240
; IeeeMode: 1
; LDSByteSize: 16384 bytes/workgroup (compile time only)
; SGPRBlocks: 10
; VGPRBlocks: 31
; NumSGPRsForWavesPerEU: 88
; NumVGPRsForWavesPerEU: 254
; AccumOffset: 256
; Occupancy: 2
; WaveLimiterHint : 1
; COMPUTE_PGM_RSRC2:SCRATCH_EN: 0
; COMPUTE_PGM_RSRC2:USER_SGPR: 2
; COMPUTE_PGM_RSRC2:TRAP_HANDLER: 0
; COMPUTE_PGM_RSRC2:TGID_X_EN: 1
; COMPUTE_PGM_RSRC2:TGID_Y_EN: 0
; COMPUTE_PGM_RSRC2:TGID_Z_EN: 1
; COMPUTE_PGM_RSRC2:TIDIG_COMP_CNT: 1
; COMPUTE_PGM_RSRC3_GFX90A:ACCUM_OFFSET: 63
; COMPUTE_PGM_RSRC3_GFX90A:TG_SPLIT: 0
	.section	.text._ZN12_GLOBAL__N_120geam_min_plus_kernelIdddLi4ELi64ELi128ELi128ELi4ELi4ELi64ELi64ELi4ELc84ELc84ELb0ELb1ELb0EdKPKdKPdEEviiiT16_PT17_ilS8_ilS6_S8_ilPT18_ili26rocblas_geam_ex_operation_,"axG",@progbits,_ZN12_GLOBAL__N_120geam_min_plus_kernelIdddLi4ELi64ELi128ELi128ELi4ELi4ELi64ELi64ELi4ELc84ELc84ELb0ELb1ELb0EdKPKdKPdEEviiiT16_PT17_ilS8_ilS6_S8_ilPT18_ili26rocblas_geam_ex_operation_,comdat
	.globl	_ZN12_GLOBAL__N_120geam_min_plus_kernelIdddLi4ELi64ELi128ELi128ELi4ELi4ELi64ELi64ELi4ELc84ELc84ELb0ELb1ELb0EdKPKdKPdEEviiiT16_PT17_ilS8_ilS6_S8_ilPT18_ili26rocblas_geam_ex_operation_ ; -- Begin function _ZN12_GLOBAL__N_120geam_min_plus_kernelIdddLi4ELi64ELi128ELi128ELi4ELi4ELi64ELi64ELi4ELc84ELc84ELb0ELb1ELb0EdKPKdKPdEEviiiT16_PT17_ilS8_ilS6_S8_ilPT18_ili26rocblas_geam_ex_operation_
	.p2align	8
	.type	_ZN12_GLOBAL__N_120geam_min_plus_kernelIdddLi4ELi64ELi128ELi128ELi4ELi4ELi64ELi64ELi4ELc84ELc84ELb0ELb1ELb0EdKPKdKPdEEviiiT16_PT17_ilS8_ilS6_S8_ilPT18_ili26rocblas_geam_ex_operation_,@function
_ZN12_GLOBAL__N_120geam_min_plus_kernelIdddLi4ELi64ELi128ELi128ELi4ELi4ELi64ELi64ELi4ELc84ELc84ELb0ELb1ELb0EdKPKdKPdEEviiiT16_PT17_ilS8_ilS6_S8_ilPT18_ili26rocblas_geam_ex_operation_: ; @_ZN12_GLOBAL__N_120geam_min_plus_kernelIdddLi4ELi64ELi128ELi128ELi4ELi4ELi64ELi64ELi4ELc84ELc84ELb0ELb1ELb0EdKPKdKPdEEviiiT16_PT17_ilS8_ilS6_S8_ilPT18_ili26rocblas_geam_ex_operation_
; %bb.0:
	s_load_dwordx4 s[12:15], s[0:1], 0x10
	s_load_dwordx4 s[4:7], s[0:1], 0x28
	s_mov_b32 s8, s3
	s_mov_b64 s[16:17], 0
	s_waitcnt lgkmcnt(0)
	v_cmp_eq_f64_e64 s[10:11], s[12:13], 0
	s_and_b64 vcc, exec, s[10:11]
	s_cbranch_vccnz .LBB152_2
; %bb.1:
	s_mov_b32 s9, 0
	s_lshl_b64 s[16:17], s[8:9], 3
	s_add_u32 s14, s14, s16
	s_addc_u32 s15, s15, s17
	s_load_dwordx2 s[14:15], s[14:15], 0x0
	s_lshl_b64 s[4:5], s[4:5], 3
	s_waitcnt lgkmcnt(0)
	s_add_u32 s16, s14, s4
	s_addc_u32 s17, s15, s5
.LBB152_2:
	s_load_dwordx4 s[68:71], s[0:1], 0x40
	s_load_dwordx2 s[14:15], s[0:1], 0x50
	s_andn2_b64 vcc, exec, s[10:11]
	s_mov_b32 s9, 0
	s_cbranch_vccnz .LBB152_4
; %bb.3:
	s_mov_b64 s[76:77], 0
	s_mov_b64 s[18:19], 0
	s_cbranch_execz .LBB152_5
	s_branch .LBB152_6
.LBB152_4:
	s_mov_b64 s[76:77], 0
	s_mov_b64 s[18:19], 0
.LBB152_5:
	s_lshl_b64 s[4:5], s[8:9], 3
	s_add_u32 s4, s6, s4
	s_addc_u32 s5, s7, s5
	s_load_dwordx2 s[4:5], s[4:5], 0x0
	s_waitcnt lgkmcnt(0)
	s_lshl_b64 s[6:7], s[68:69], 3
	s_add_u32 s18, s4, s6
	s_addc_u32 s19, s5, s7
.LBB152_6:
	s_load_dwordx4 s[4:7], s[0:1], 0x60
	s_waitcnt lgkmcnt(0)
	v_cmp_eq_f64_e64 s[20:21], s[70:71], 0
	v_cmp_neq_f64_e64 s[10:11], s[70:71], 0
	s_and_b64 vcc, exec, s[20:21]
	s_cbranch_vccnz .LBB152_8
; %bb.7:
	s_lshl_b64 s[20:21], s[8:9], 3
	s_add_u32 s14, s14, s20
	s_addc_u32 s15, s15, s21
	s_load_dwordx2 s[14:15], s[14:15], 0x0
	s_lshl_b64 s[4:5], s[4:5], 3
	s_waitcnt lgkmcnt(0)
	s_add_u32 s76, s14, s4
	s_addc_u32 s77, s15, s5
.LBB152_8:
	s_load_dwordx4 s[72:75], s[0:1], 0x0
	s_load_dword s29, s[0:1], 0x20
	s_lshl_b64 s[4:5], s[8:9], 3
	s_add_u32 s14, s6, s4
	s_addc_u32 s15, s7, s5
	s_waitcnt lgkmcnt(0)
	s_add_i32 s3, s72, -1
	s_ashr_i32 s4, s3, 31
	s_lshr_b32 s4, s4, 25
	s_add_i32 s3, s3, s4
	s_ashr_i32 s3, s3, 7
	s_add_i32 s5, s3, 1
	v_cvt_f32_u32_e32 v1, s5
	v_and_b32_e32 v144, 0x3ff, v0
	v_bfe_u32 v145, v0, 10, 10
	v_and_b32_e32 v146, 3, v0
	v_rcp_iflag_f32_e32 v1, v1
	s_not_b32 s3, s3
	v_lshl_add_u32 v6, v145, 2, v144
	v_lshrrev_b32_e32 v139, 2, v6
	v_mul_f32_e32 v0, 0x4f7ffffe, v1
	v_cvt_u32_f32_e32 v0, v0
	v_cmp_le_i32_e32 vcc, s74, v146
	v_cmp_eq_f64_e64 s[20:21], s[12:13], 0
	v_readfirstlane_b32 s4, v0
	s_mul_i32 s3, s3, s4
	s_mul_hi_u32 s3, s4, s3
	s_add_i32 s4, s4, s3
	s_mul_hi_u32 s3, s2, s4
	s_mul_i32 s4, s3, s5
	s_sub_i32 s4, s2, s4
	s_add_i32 s6, s3, 1
	s_sub_i32 s7, s4, s5
	s_cmp_ge_u32 s4, s5
	s_cselect_b32 s3, s6, s3
	s_cselect_b32 s4, s7, s4
	s_add_i32 s6, s3, 1
	s_cmp_ge_u32 s4, s5
	s_cselect_b32 s4, s6, s3
	s_mul_i32 s3, s4, s5
	s_sub_i32 s2, s2, s3
	s_lshl_b32 s24, s2, 7
	v_add_u32_e32 v138, s24, v139
	s_add_i32 s26, s74, -1
	v_min_i32_e32 v2, s26, v146
	v_cmp_le_i32_e64 s[6:7], s72, v138
	v_ashrrev_i32_e32 v3, 31, v2
	s_or_b64 s[2:3], vcc, s[6:7]
	v_mov_b64_e32 v[0:1], 0
	v_lshl_add_u64 v[4:5], v[2:3], 3, s[16:17]
	s_nor_b64 s[8:9], s[20:21], s[2:3]
	v_mov_b64_e32 v[2:3], 0
	s_and_saveexec_b64 s[2:3], s[8:9]
	s_cbranch_execz .LBB152_10
; %bb.9:
	v_mad_i64_i32 v[2:3], s[8:9], v138, s29, 0
	v_lshl_add_u64 v[2:3], v[2:3], 3, v[4:5]
	flat_load_dwordx2 v[2:3], v[2:3]
	s_waitcnt vmcnt(0) lgkmcnt(0)
	v_mul_f64 v[2:3], s[12:13], v[2:3]
.LBB152_10:
	s_or_b64 exec, exec, s[2:3]
	v_add_u32_e32 v140, 64, v138
	v_cmp_le_i32_e64 s[8:9], s72, v140
	s_or_b64 s[2:3], vcc, s[8:9]
	s_nor_b64 s[22:23], s[20:21], s[2:3]
	s_and_saveexec_b64 s[2:3], s[22:23]
	s_cbranch_execz .LBB152_12
; %bb.11:
	v_mad_i64_i32 v[0:1], s[22:23], v140, s29, 0
	v_lshl_add_u64 v[0:1], v[0:1], 3, v[4:5]
	flat_load_dwordx2 v[0:1], v[0:1]
	s_waitcnt vmcnt(0) lgkmcnt(0)
	v_mul_f64 v[0:1], s[12:13], v[0:1]
.LBB152_12:
	s_or_b64 exec, exec, s[2:3]
	s_load_dword s27, s[0:1], 0x38
	v_lshrrev_b32_e32 v147, 6, v6
	v_and_b32_e32 v10, 63, v6
	s_lshl_b32 s25, s4, 7
	v_min_i32_e32 v4, s26, v147
	v_or_b32_e32 v128, s25, v10
	s_waitcnt lgkmcnt(0)
	v_mad_i64_i32 v[4:5], s[2:3], s27, v4, 0
	v_cmp_le_i32_e32 vcc, s74, v147
	v_cmp_le_i32_e64 s[2:3], s73, v128
	s_or_b64 s[4:5], s[2:3], vcc
	v_lshl_add_u64 v[8:9], v[4:5], 3, s[18:19]
	s_nor_b64 s[22:23], s[20:21], s[4:5]
	v_mov_b64_e32 v[4:5], 0
	v_ashrrev_i32_e32 v129, 31, v128
	v_mov_b64_e32 v[6:7], 0
	s_and_saveexec_b64 s[4:5], s[22:23]
	s_cbranch_execz .LBB152_14
; %bb.13:
	v_lshl_add_u64 v[6:7], v[128:129], 3, v[8:9]
	flat_load_dwordx2 v[6:7], v[6:7]
	s_waitcnt vmcnt(0) lgkmcnt(0)
	v_mul_f64 v[6:7], s[12:13], v[6:7]
.LBB152_14:
	s_or_b64 exec, exec, s[4:5]
	v_or_b32_e32 v11, 64, v128
	v_cmp_le_i32_e64 s[4:5], s73, v11
	s_or_b64 s[22:23], s[4:5], vcc
	s_nor_b64 s[30:31], s[20:21], s[22:23]
	s_and_saveexec_b64 s[22:23], s[30:31]
	s_cbranch_execz .LBB152_16
; %bb.15:
	v_lshl_add_u64 v[4:5], v[128:129], 3, v[8:9]
	flat_load_dwordx2 v[4:5], v[4:5] offset:512
	s_waitcnt vmcnt(0) lgkmcnt(0)
	v_mul_f64 v[4:5], s[12:13], v[4:5]
.LBB152_16:
	s_or_b64 exec, exec, s[22:23]
	v_or_b32_e32 v8, 4, v146
	v_cmp_le_i32_e32 vcc, s74, v8
	v_min_i32_e32 v8, s26, v8
	v_ashrrev_i32_e32 v9, 31, v8
	s_or_b64 s[22:23], vcc, s[6:7]
	v_lshl_add_u64 v[8:9], v[8:9], 3, s[16:17]
	s_nor_b64 s[30:31], s[20:21], s[22:23]
	v_mov_b64_e32 v[130:131], 0
	v_mov_b64_e32 v[132:133], 0
	s_and_saveexec_b64 s[22:23], s[30:31]
	s_cbranch_execz .LBB152_18
; %bb.17:
	v_mad_i64_i32 v[12:13], s[30:31], v138, s29, 0
	v_lshl_add_u64 v[12:13], v[12:13], 3, v[8:9]
	flat_load_dwordx2 v[12:13], v[12:13]
	s_waitcnt vmcnt(0) lgkmcnt(0)
	v_mul_f64 v[132:133], s[12:13], v[12:13]
.LBB152_18:
	s_or_b64 exec, exec, s[22:23]
	s_or_b64 s[22:23], vcc, s[8:9]
	s_nor_b64 s[30:31], s[20:21], s[22:23]
	s_and_saveexec_b64 s[22:23], s[30:31]
	s_cbranch_execz .LBB152_20
; %bb.19:
	v_mad_i64_i32 v[12:13], s[30:31], v140, s29, 0
	v_lshl_add_u64 v[8:9], v[12:13], 3, v[8:9]
	flat_load_dwordx2 v[8:9], v[8:9]
	s_waitcnt vmcnt(0) lgkmcnt(0)
	v_mul_f64 v[130:131], s[12:13], v[8:9]
.LBB152_20:
	s_or_b64 exec, exec, s[22:23]
	v_add_u32_e32 v8, 4, v147
	v_cmp_le_i32_e32 vcc, s74, v8
	v_min_i32_e32 v8, s26, v8
	v_mad_i64_i32 v[8:9], s[22:23], s27, v8, 0
	s_or_b64 s[22:23], s[2:3], vcc
	v_lshl_add_u64 v[8:9], v[8:9], 3, s[18:19]
	s_nor_b64 s[30:31], s[20:21], s[22:23]
	v_mov_b64_e32 v[134:135], 0
	v_mov_b64_e32 v[136:137], 0
	s_and_saveexec_b64 s[22:23], s[30:31]
	s_cbranch_execz .LBB152_22
; %bb.21:
	v_lshl_add_u64 v[12:13], v[128:129], 3, v[8:9]
	flat_load_dwordx2 v[12:13], v[12:13]
	s_waitcnt vmcnt(0) lgkmcnt(0)
	v_mul_f64 v[136:137], s[12:13], v[12:13]
.LBB152_22:
	s_or_b64 exec, exec, s[22:23]
	s_load_dwordx2 s[14:15], s[14:15], 0x0
	s_or_b64 s[22:23], s[4:5], vcc
	s_nor_b64 s[30:31], s[20:21], s[22:23]
	s_and_saveexec_b64 s[22:23], s[30:31]
	s_cbranch_execz .LBB152_24
; %bb.23:
	v_lshl_add_u64 v[8:9], v[128:129], 3, v[8:9]
	flat_load_dwordx2 v[8:9], v[8:9] offset:512
	s_waitcnt vmcnt(0) lgkmcnt(0)
	v_mul_f64 v[134:135], s[12:13], v[8:9]
.LBB152_24:
	s_or_b64 exec, exec, s[22:23]
	v_lshlrev_b32_e32 v8, 5, v139
	v_lshl_or_b32 v149, v146, 3, v8
	ds_write2st64_b64 v149, v[2:3], v[0:1] offset1:4
	v_lshlrev_b32_e32 v0, 3, v147
	v_lshl_add_u32 v142, v10, 5, v0
	v_lshlrev_b32_e32 v141, 5, v145
	v_or_b32_e32 v150, 0x2000, v142
	ds_write2st64_b64 v142, v[6:7], v[4:5] offset0:16 offset1:20
	v_lshlrev_b32_e32 v151, 5, v144
	v_add_u32_e32 v152, 0x2000, v141
	v_mov_b64_e32 v[126:127], 0
	s_mov_b32 s22, 0
	v_mov_b64_e32 v[124:125], 0
	v_mov_b64_e32 v[122:123], 0
	;; [unrolled: 1-line block ×63, first 2 shown]
	s_waitcnt lgkmcnt(0)
	s_barrier
.LBB152_25:                             ; =>This Inner Loop Header: Depth=1
	v_add_u32_e32 v143, s22, v151
	v_add_u32_e32 v148, s22, v152
	ds_read2_b64 v[154:157], v143 offset1:16
	ds_read2_b64 v[158:161], v143 offset0:32 offset1:48
	ds_read2_b64 v[162:165], v143 offset0:64 offset1:80
	ds_read2_b64 v[166:169], v143 offset0:96 offset1:112
	ds_read2_b64 v[170:173], v143 offset0:128 offset1:144
	ds_read2_b64 v[174:177], v143 offset0:160 offset1:176
	ds_read2_b64 v[178:181], v143 offset0:192 offset1:208
	ds_read2_b64 v[182:185], v143 offset0:224 offset1:240
	ds_read2st64_b64 v[186:189], v148 offset1:4
	v_add_u32_e32 v143, 0x800, v143
	ds_read2_b64 v[190:193], v143 offset1:16
	ds_read2_b64 v[194:197], v143 offset0:32 offset1:48
	ds_read2_b64 v[198:201], v143 offset0:64 offset1:80
	;; [unrolled: 1-line block ×7, first 2 shown]
	s_waitcnt lgkmcnt(14)
	v_max_f64 v[154:155], v[154:155], v[154:155]
	v_max_f64 v[156:157], v[156:157], v[156:157]
	;; [unrolled: 1-line block ×6, first 2 shown]
	s_waitcnt lgkmcnt(13)
	v_max_f64 v[166:167], v[166:167], v[166:167]
	v_max_f64 v[168:169], v[168:169], v[168:169]
	s_waitcnt lgkmcnt(12)
	v_max_f64 v[170:171], v[170:171], v[170:171]
	v_max_f64 v[172:173], v[172:173], v[172:173]
	s_waitcnt lgkmcnt(11)
	v_max_f64 v[174:175], v[174:175], v[174:175]
	v_max_f64 v[176:177], v[176:177], v[176:177]
	s_waitcnt lgkmcnt(10)
	v_max_f64 v[178:179], v[178:179], v[178:179]
	v_max_f64 v[180:181], v[180:181], v[180:181]
	s_waitcnt lgkmcnt(9)
	v_max_f64 v[182:183], v[182:183], v[182:183]
	v_max_f64 v[184:185], v[184:185], v[184:185]
	s_waitcnt lgkmcnt(8)
	v_max_f64 v[186:187], v[186:187], v[186:187]
	v_max_f64 v[188:189], v[188:189], v[188:189]
	s_waitcnt lgkmcnt(7)
	v_max_f64 v[190:191], v[190:191], v[190:191]
	v_max_f64 v[192:193], v[192:193], v[192:193]
	s_waitcnt lgkmcnt(6)
	v_max_f64 v[194:195], v[194:195], v[194:195]
	v_max_f64 v[196:197], v[196:197], v[196:197]
	s_waitcnt lgkmcnt(5)
	v_max_f64 v[198:199], v[198:199], v[198:199]
	v_max_f64 v[200:201], v[200:201], v[200:201]
	s_waitcnt lgkmcnt(4)
	v_max_f64 v[202:203], v[202:203], v[202:203]
	v_max_f64 v[204:205], v[204:205], v[204:205]
	s_waitcnt lgkmcnt(3)
	v_max_f64 v[206:207], v[206:207], v[206:207]
	v_max_f64 v[208:209], v[208:209], v[208:209]
	s_waitcnt lgkmcnt(2)
	v_max_f64 v[210:211], v[210:211], v[210:211]
	v_max_f64 v[212:213], v[212:213], v[212:213]
	s_waitcnt lgkmcnt(1)
	v_max_f64 v[214:215], v[214:215], v[214:215]
	v_max_f64 v[216:217], v[216:217], v[216:217]
	s_waitcnt lgkmcnt(0)
	v_max_f64 v[218:219], v[218:219], v[218:219]
	v_max_f64 v[220:221], v[220:221], v[220:221]
	v_min_f64 v[222:223], v[154:155], v[186:187]
	v_min_f64 v[224:225], v[156:157], v[186:187]
	;; [unrolled: 1-line block ×32, first 2 shown]
	s_add_i32 s22, s22, 8
	v_add_f64 v[62:63], v[62:63], v[154:155]
	v_add_f64 v[60:61], v[60:61], v[156:157]
	;; [unrolled: 1-line block ×16, first 2 shown]
	v_min_f64 v[154:155], v[190:191], v[186:187]
	v_min_f64 v[156:157], v[192:193], v[186:187]
	;; [unrolled: 1-line block ×32, first 2 shown]
	s_cmp_eq_u32 s22, 32
	v_add_f64 v[126:127], v[126:127], v[222:223]
	v_add_f64 v[124:125], v[124:125], v[224:225]
	;; [unrolled: 1-line block ×48, first 2 shown]
	s_cbranch_scc0 .LBB152_25
; %bb.26:
	v_lshlrev_b32_e32 v143, 3, v146
	v_lshl_or_b32 v139, v139, 5, v143
	s_cmp_gt_i32 s74, 8
	ds_write2st64_b64 v139, v[132:133], v[130:131] offset0:8 offset1:12
	ds_write2st64_b64 v142, v[136:137], v[134:135] offset0:24 offset1:28
	s_waitcnt lgkmcnt(0)
	s_barrier
	s_cbranch_scc1 .LBB152_28
; %bb.27:
	v_add_u32_e32 v148, 0x3000, v141
	s_cbranch_execz .LBB152_29
	s_branch .LBB152_51
.LBB152_28:
                                        ; implicit-def: $vgpr148
.LBB152_29:
	v_mov_b32_e32 v134, 0x1000
	v_add_u32_e32 v153, 0x1000, v139
	v_or_b32_e32 v154, 0x3000, v142
	s_add_i32 s28, s74, -8
	s_or_b64 s[6:7], s[6:7], s[20:21]
	s_or_b64 s[8:9], s[8:9], s[20:21]
	v_mad_i64_i32 v[130:131], s[22:23], v138, s29, 0
	v_mad_i64_i32 v[132:133], s[22:23], v140, s29, 0
	v_lshl_add_u32 v155, v144, 5, v134
	v_add_u32_e32 v148, 0x3000, v141
	s_mov_b32 s29, 8
	s_mov_b32 s30, 0
.LBB152_30:                             ; =>This Loop Header: Depth=1
                                        ;     Child Loop BB152_39 Depth 2
                                        ;     Child Loop BB152_49 Depth 2
	v_or_b32_e32 v156, s29, v146
	v_min_i32_e32 v134, s26, v156
	v_cmp_le_i32_e32 vcc, s74, v156
	v_ashrrev_i32_e32 v135, 31, v134
	v_lshl_add_u64 v[138:139], v[134:135], 3, s[16:17]
	s_nor_b64 s[34:35], vcc, s[6:7]
	v_mov_b64_e32 v[134:135], 0
	v_mov_b64_e32 v[136:137], 0
	s_and_saveexec_b64 s[22:23], s[34:35]
	s_cbranch_execz .LBB152_32
; %bb.31:                               ;   in Loop: Header=BB152_30 Depth=1
	v_lshl_add_u64 v[136:137], v[130:131], 3, v[138:139]
	flat_load_dwordx2 v[136:137], v[136:137]
	s_waitcnt vmcnt(0) lgkmcnt(0)
	v_mul_f64 v[136:137], s[12:13], v[136:137]
.LBB152_32:                             ;   in Loop: Header=BB152_30 Depth=1
	s_or_b64 exec, exec, s[22:23]
	s_nor_b64 s[34:35], vcc, s[8:9]
	s_and_saveexec_b64 s[22:23], s[34:35]
	s_cbranch_execz .LBB152_34
; %bb.33:                               ;   in Loop: Header=BB152_30 Depth=1
	v_lshl_add_u64 v[134:135], v[132:133], 3, v[138:139]
	flat_load_dwordx2 v[134:135], v[134:135]
	s_waitcnt vmcnt(0) lgkmcnt(0)
	v_mul_f64 v[134:135], s[12:13], v[134:135]
.LBB152_34:                             ;   in Loop: Header=BB152_30 Depth=1
	s_or_b64 exec, exec, s[22:23]
	v_add_u32_e32 v138, s29, v147
	v_cmp_le_i32_e32 vcc, s74, v138
	v_min_i32_e32 v138, s26, v138
	v_mad_i64_i32 v[138:139], s[22:23], v138, s27, 0
	v_lshl_add_u64 v[140:141], v[138:139], 3, s[18:19]
	s_or_b64 s[22:23], s[2:3], vcc
	s_nor_b64 s[34:35], s[20:21], s[22:23]
	v_mov_b64_e32 v[138:139], 0
	v_lshl_add_u64 v[142:143], v[128:129], 3, v[140:141]
	v_mov_b64_e32 v[140:141], 0
	s_and_saveexec_b64 s[22:23], s[34:35]
	s_cbranch_execz .LBB152_36
; %bb.35:                               ;   in Loop: Header=BB152_30 Depth=1
	flat_load_dwordx2 v[140:141], v[142:143]
	s_waitcnt vmcnt(0) lgkmcnt(0)
	v_mul_f64 v[140:141], s[12:13], v[140:141]
.LBB152_36:                             ;   in Loop: Header=BB152_30 Depth=1
	s_or_b64 exec, exec, s[22:23]
	s_or_b64 s[22:23], s[4:5], vcc
	s_nor_b64 s[34:35], s[20:21], s[22:23]
	s_and_saveexec_b64 s[22:23], s[34:35]
	s_cbranch_execz .LBB152_38
; %bb.37:                               ;   in Loop: Header=BB152_30 Depth=1
	flat_load_dwordx2 v[138:139], v[142:143] offset:512
	s_waitcnt vmcnt(0) lgkmcnt(0)
	v_mul_f64 v[138:139], s[12:13], v[138:139]
.LBB152_38:                             ;   in Loop: Header=BB152_30 Depth=1
	s_or_b64 exec, exec, s[22:23]
	s_mov_b32 s22, 0
.LBB152_39:                             ;   Parent Loop BB152_30 Depth=1
                                        ; =>  This Inner Loop Header: Depth=2
	v_add_u32_e32 v142, s22, v155
	ds_read2_b64 v[158:161], v142 offset1:16
	ds_read2_b64 v[162:165], v142 offset0:32 offset1:48
	ds_read2_b64 v[166:169], v142 offset0:64 offset1:80
	;; [unrolled: 1-line block ×7, first 2 shown]
	v_add_u32_e32 v142, 0x800, v142
	ds_read2_b64 v[190:193], v142 offset1:16
	ds_read2_b64 v[194:197], v142 offset0:32 offset1:48
	ds_read2_b64 v[198:201], v142 offset0:64 offset1:80
	;; [unrolled: 1-line block ×7, first 2 shown]
	v_add_u32_e32 v142, s22, v148
	ds_read2st64_b64 v[222:225], v142 offset1:4
	s_waitcnt lgkmcnt(14)
	v_max_f64 v[158:159], v[158:159], v[158:159]
	v_max_f64 v[160:161], v[160:161], v[160:161]
	;; [unrolled: 1-line block ×4, first 2 shown]
	s_waitcnt lgkmcnt(0)
	v_max_f64 v[142:143], v[222:223], v[222:223]
	v_min_f64 v[222:223], v[158:159], v[142:143]
	v_add_f64 v[126:127], v[126:127], v[222:223]
	v_min_f64 v[222:223], v[160:161], v[142:143]
	v_add_f64 v[124:125], v[124:125], v[222:223]
	;; [unrolled: 2-line block ×3, first 2 shown]
	v_min_f64 v[222:223], v[164:165], v[142:143]
	v_max_f64 v[166:167], v[166:167], v[166:167]
	v_add_f64 v[120:121], v[120:121], v[222:223]
	v_min_f64 v[222:223], v[166:167], v[142:143]
	v_max_f64 v[168:169], v[168:169], v[168:169]
	v_add_f64 v[118:119], v[118:119], v[222:223]
	;; [unrolled: 3-line block ×26, first 2 shown]
	v_min_f64 v[222:223], v[216:217], v[142:143]
	v_max_f64 v[218:219], v[218:219], v[218:219]
	v_max_f64 v[220:221], v[220:221], v[220:221]
	v_add_f64 v[68:69], v[68:69], v[222:223]
	v_min_f64 v[222:223], v[218:219], v[142:143]
	v_min_f64 v[142:143], v[220:221], v[142:143]
	v_add_f64 v[64:65], v[64:65], v[142:143]
	v_max_f64 v[142:143], v[224:225], v[224:225]
	v_min_f64 v[158:159], v[158:159], v[142:143]
	v_add_f64 v[62:63], v[62:63], v[158:159]
	v_min_f64 v[158:159], v[160:161], v[142:143]
	v_add_f64 v[60:61], v[60:61], v[158:159]
	;; [unrolled: 2-line block ×30, first 2 shown]
	v_min_f64 v[158:159], v[218:219], v[142:143]
	v_min_f64 v[142:143], v[220:221], v[142:143]
	s_add_i32 s22, s22, 8
	v_add_f64 v[66:67], v[66:67], v[222:223]
	v_add_f64 v[2:3], v[2:3], v[158:159]
	;; [unrolled: 1-line block ×3, first 2 shown]
	s_cmp_eq_u32 s22, 32
	s_cbranch_scc0 .LBB152_39
; %bb.40:                               ;   in Loop: Header=BB152_30 Depth=1
	ds_write2st64_b64 v149, v[136:137], v[134:135] offset1:4
	ds_write2st64_b64 v150, v[140:141], v[138:139] offset1:4
	v_or_b32_e32 v134, 4, v156
	v_cmp_le_i32_e32 vcc, s74, v134
	v_min_i32_e32 v134, s26, v134
	v_ashrrev_i32_e32 v135, 31, v134
	v_lshl_add_u64 v[138:139], v[134:135], 3, s[16:17]
	s_nor_b64 s[34:35], vcc, s[6:7]
	v_mov_b64_e32 v[134:135], 0
	v_mov_b64_e32 v[136:137], 0
	s_waitcnt lgkmcnt(0)
	s_barrier
	s_and_saveexec_b64 s[22:23], s[34:35]
	s_cbranch_execz .LBB152_42
; %bb.41:                               ;   in Loop: Header=BB152_30 Depth=1
	v_lshl_add_u64 v[136:137], v[130:131], 3, v[138:139]
	flat_load_dwordx2 v[136:137], v[136:137]
	s_waitcnt vmcnt(0) lgkmcnt(0)
	v_mul_f64 v[136:137], s[12:13], v[136:137]
.LBB152_42:                             ;   in Loop: Header=BB152_30 Depth=1
	s_or_b64 exec, exec, s[22:23]
	s_nor_b64 s[34:35], vcc, s[8:9]
	s_and_saveexec_b64 s[22:23], s[34:35]
	s_cbranch_execz .LBB152_44
; %bb.43:                               ;   in Loop: Header=BB152_30 Depth=1
	v_lshl_add_u64 v[134:135], v[132:133], 3, v[138:139]
	flat_load_dwordx2 v[134:135], v[134:135]
	s_waitcnt vmcnt(0) lgkmcnt(0)
	v_mul_f64 v[134:135], s[12:13], v[134:135]
.LBB152_44:                             ;   in Loop: Header=BB152_30 Depth=1
	s_or_b64 exec, exec, s[22:23]
	v_add3_u32 v138, v147, s29, 4
	v_cmp_le_i32_e32 vcc, s74, v138
	v_min_i32_e32 v138, s26, v138
	v_mad_i64_i32 v[138:139], s[22:23], v138, s27, 0
	v_lshl_add_u64 v[140:141], v[138:139], 3, s[18:19]
	s_or_b64 s[22:23], s[2:3], vcc
	s_nor_b64 s[34:35], s[20:21], s[22:23]
	v_mov_b64_e32 v[138:139], 0
	v_lshl_add_u64 v[142:143], v[128:129], 3, v[140:141]
	v_mov_b64_e32 v[140:141], 0
	s_and_saveexec_b64 s[22:23], s[34:35]
	s_cbranch_execz .LBB152_46
; %bb.45:                               ;   in Loop: Header=BB152_30 Depth=1
	flat_load_dwordx2 v[140:141], v[142:143]
	s_waitcnt vmcnt(0) lgkmcnt(0)
	v_mul_f64 v[140:141], s[12:13], v[140:141]
.LBB152_46:                             ;   in Loop: Header=BB152_30 Depth=1
	s_or_b64 exec, exec, s[22:23]
	s_or_b64 s[22:23], s[4:5], vcc
	s_nor_b64 s[34:35], s[20:21], s[22:23]
	s_and_saveexec_b64 s[22:23], s[34:35]
	s_cbranch_execz .LBB152_48
; %bb.47:                               ;   in Loop: Header=BB152_30 Depth=1
	flat_load_dwordx2 v[138:139], v[142:143] offset:512
	s_waitcnt vmcnt(0) lgkmcnt(0)
	v_mul_f64 v[138:139], s[12:13], v[138:139]
.LBB152_48:                             ;   in Loop: Header=BB152_30 Depth=1
	s_or_b64 exec, exec, s[22:23]
	s_mov_b32 s22, 0
.LBB152_49:                             ;   Parent Loop BB152_30 Depth=1
                                        ; =>  This Inner Loop Header: Depth=2
	v_add_u32_e32 v142, s22, v151
	v_add_u32_e32 v143, s22, v152
	ds_read2_b64 v[156:159], v142 offset1:16
	ds_read2_b64 v[160:163], v142 offset0:32 offset1:48
	ds_read2_b64 v[164:167], v142 offset0:64 offset1:80
	;; [unrolled: 1-line block ×7, first 2 shown]
	v_add_u32_e32 v142, 0x800, v142
	ds_read2st64_b64 v[188:191], v143 offset1:4
	ds_read2_b64 v[192:195], v142 offset1:16
	ds_read2_b64 v[196:199], v142 offset0:32 offset1:48
	ds_read2_b64 v[200:203], v142 offset0:64 offset1:80
	;; [unrolled: 1-line block ×7, first 2 shown]
	s_waitcnt lgkmcnt(14)
	v_max_f64 v[156:157], v[156:157], v[156:157]
	v_max_f64 v[158:159], v[158:159], v[158:159]
	;; [unrolled: 1-line block ×3, first 2 shown]
	s_waitcnt lgkmcnt(8)
	v_max_f64 v[142:143], v[188:189], v[188:189]
	v_max_f64 v[162:163], v[162:163], v[162:163]
	v_max_f64 v[164:165], v[164:165], v[164:165]
	v_max_f64 v[166:167], v[166:167], v[166:167]
	v_max_f64 v[168:169], v[168:169], v[168:169]
	v_max_f64 v[170:171], v[170:171], v[170:171]
	v_max_f64 v[172:173], v[172:173], v[172:173]
	v_max_f64 v[174:175], v[174:175], v[174:175]
	v_max_f64 v[176:177], v[176:177], v[176:177]
	v_max_f64 v[178:179], v[178:179], v[178:179]
	v_max_f64 v[180:181], v[180:181], v[180:181]
	v_max_f64 v[182:183], v[182:183], v[182:183]
	v_max_f64 v[184:185], v[184:185], v[184:185]
	v_max_f64 v[186:187], v[186:187], v[186:187]
	v_max_f64 v[188:189], v[190:191], v[190:191]
	v_min_f64 v[190:191], v[156:157], v[142:143]
	v_min_f64 v[224:225], v[158:159], v[142:143]
	;; [unrolled: 1-line block ×16, first 2 shown]
	s_waitcnt lgkmcnt(7)
	v_max_f64 v[192:193], v[192:193], v[192:193]
	v_max_f64 v[194:195], v[194:195], v[194:195]
	s_waitcnt lgkmcnt(6)
	v_max_f64 v[196:197], v[196:197], v[196:197]
	v_max_f64 v[198:199], v[198:199], v[198:199]
	;; [unrolled: 3-line block ×8, first 2 shown]
	v_min_f64 v[156:157], v[156:157], v[188:189]
	v_min_f64 v[158:159], v[158:159], v[188:189]
	;; [unrolled: 1-line block ×16, first 2 shown]
	s_add_i32 s22, s22, 8
	v_add_f64 v[126:127], v[126:127], v[190:191]
	v_add_f64 v[124:125], v[124:125], v[224:225]
	v_add_f64 v[122:123], v[122:123], v[226:227]
	v_add_f64 v[120:121], v[120:121], v[228:229]
	v_add_f64 v[118:119], v[118:119], v[230:231]
	v_add_f64 v[116:117], v[116:117], v[232:233]
	v_add_f64 v[114:115], v[114:115], v[234:235]
	v_add_f64 v[112:113], v[112:113], v[236:237]
	v_add_f64 v[110:111], v[110:111], v[238:239]
	v_add_f64 v[108:109], v[108:109], v[240:241]
	v_add_f64 v[106:107], v[106:107], v[242:243]
	v_add_f64 v[104:105], v[104:105], v[244:245]
	v_add_f64 v[102:103], v[102:103], v[246:247]
	v_add_f64 v[100:101], v[100:101], v[248:249]
	v_add_f64 v[98:99], v[98:99], v[250:251]
	v_min_f64 v[190:191], v[192:193], v[142:143]
	v_min_f64 v[224:225], v[194:195], v[142:143]
	;; [unrolled: 1-line block ×16, first 2 shown]
	v_add_f64 v[62:63], v[62:63], v[156:157]
	v_add_f64 v[60:61], v[60:61], v[158:159]
	;; [unrolled: 1-line block ×16, first 2 shown]
	v_min_f64 v[156:157], v[192:193], v[188:189]
	v_min_f64 v[158:159], v[194:195], v[188:189]
	;; [unrolled: 1-line block ×16, first 2 shown]
	s_cmp_eq_u32 s22, 32
	v_add_f64 v[96:97], v[96:97], v[252:253]
	v_add_f64 v[94:95], v[94:95], v[190:191]
	;; [unrolled: 1-line block ×33, first 2 shown]
	s_cbranch_scc0 .LBB152_49
; %bb.50:                               ;   in Loop: Header=BB152_30 Depth=1
	s_add_i32 s29, s29, 8
	s_add_i32 s30, s30, 8
	s_cmp_ge_i32 s30, s28
	ds_write2st64_b64 v153, v[136:137], v[134:135] offset1:4
	ds_write2st64_b64 v154, v[140:141], v[138:139] offset1:4
	s_waitcnt lgkmcnt(0)
	s_barrier
	s_cbranch_scc0 .LBB152_30
.LBB152_51:
	v_mov_b32_e32 v128, 0x1000
	v_lshl_add_u32 v128, v144, 5, v128
	s_mov_b32 s2, 0
.LBB152_52:                             ; =>This Inner Loop Header: Depth=1
	v_add_u32_e32 v129, s2, v128
	v_add_u32_e32 v142, s2, v148
	ds_read2_b64 v[130:133], v129 offset1:16
	ds_read2_b64 v[134:137], v129 offset0:32 offset1:48
	ds_read2_b64 v[138:141], v129 offset0:64 offset1:80
	;; [unrolled: 1-line block ×7, first 2 shown]
	v_add_u32_e32 v129, 0x800, v129
	ds_read2st64_b64 v[170:173], v142 offset1:4
	ds_read2_b64 v[174:177], v129 offset1:16
	ds_read2_b64 v[178:181], v129 offset0:32 offset1:48
	ds_read2_b64 v[182:185], v129 offset0:64 offset1:80
	;; [unrolled: 1-line block ×7, first 2 shown]
	s_waitcnt lgkmcnt(14)
	v_max_f64 v[130:131], v[130:131], v[130:131]
	v_max_f64 v[132:133], v[132:133], v[132:133]
	;; [unrolled: 1-line block ×3, first 2 shown]
	s_waitcnt lgkmcnt(8)
	v_max_f64 v[142:143], v[170:171], v[170:171]
	v_max_f64 v[136:137], v[136:137], v[136:137]
	;; [unrolled: 1-line block ×15, first 2 shown]
	v_min_f64 v[170:171], v[130:131], v[142:143]
	v_min_f64 v[172:173], v[132:133], v[142:143]
	;; [unrolled: 1-line block ×16, first 2 shown]
	s_waitcnt lgkmcnt(7)
	v_max_f64 v[174:175], v[174:175], v[174:175]
	v_max_f64 v[176:177], v[176:177], v[176:177]
	s_waitcnt lgkmcnt(6)
	v_max_f64 v[178:179], v[178:179], v[178:179]
	v_max_f64 v[180:181], v[180:181], v[180:181]
	;; [unrolled: 3-line block ×8, first 2 shown]
	v_min_f64 v[130:131], v[130:131], v[168:169]
	v_min_f64 v[132:133], v[132:133], v[168:169]
	;; [unrolled: 1-line block ×16, first 2 shown]
	s_add_i32 s2, s2, 8
	v_add_f64 v[126:127], v[126:127], v[170:171]
	v_add_f64 v[124:125], v[124:125], v[172:173]
	;; [unrolled: 1-line block ×15, first 2 shown]
	v_min_f64 v[170:171], v[174:175], v[142:143]
	v_min_f64 v[172:173], v[176:177], v[142:143]
	;; [unrolled: 1-line block ×16, first 2 shown]
	v_add_f64 v[62:63], v[62:63], v[130:131]
	v_add_f64 v[60:61], v[60:61], v[132:133]
	;; [unrolled: 1-line block ×16, first 2 shown]
	v_min_f64 v[130:131], v[174:175], v[168:169]
	v_min_f64 v[132:133], v[176:177], v[168:169]
	v_min_f64 v[134:135], v[178:179], v[168:169]
	v_min_f64 v[136:137], v[180:181], v[168:169]
	v_min_f64 v[138:139], v[182:183], v[168:169]
	v_min_f64 v[140:141], v[184:185], v[168:169]
	v_min_f64 v[146:147], v[186:187], v[168:169]
	v_min_f64 v[150:151], v[188:189], v[168:169]
	v_min_f64 v[152:153], v[190:191], v[168:169]
	v_min_f64 v[154:155], v[192:193], v[168:169]
	v_min_f64 v[156:157], v[194:195], v[168:169]
	v_min_f64 v[158:159], v[196:197], v[168:169]
	v_min_f64 v[160:161], v[198:199], v[168:169]
	v_min_f64 v[162:163], v[200:201], v[168:169]
	v_min_f64 v[164:165], v[202:203], v[168:169]
	v_min_f64 v[166:167], v[204:205], v[168:169]
	s_cmp_eq_u32 s2, 32
	v_add_f64 v[96:97], v[96:97], v[232:233]
	v_add_f64 v[94:95], v[94:95], v[170:171]
	;; [unrolled: 1-line block ×33, first 2 shown]
	s_cbranch_scc0 .LBB152_52
; %bb.53:
	s_load_dwordx2 s[2:3], s[0:1], 0x78
	s_load_dword s78, s[0:1], 0x58
	s_load_dword s33, s[0:1], 0x70
	v_add_u32_e32 v136, s25, v145
	v_add_u32_e32 v128, s24, v144
	s_waitcnt lgkmcnt(0)
	s_lshl_b64 s[0:1], s[2:3], 3
	s_add_u32 s74, s14, s0
	s_addc_u32 s75, s15, s1
	v_mad_i64_i32 v[130:131], s[0:1], v136, s78, 0
	v_cmp_gt_i32_e64 s[24:25], s73, v136
	v_lshl_add_u64 v[132:133], v[130:131], 3, s[76:77]
	v_mad_i64_i32 v[130:131], s[0:1], v136, s33, 0
	v_cmp_gt_i32_e64 s[2:3], s72, v128
	v_cndmask_b32_e64 v134, 0, 1, s[10:11]
	v_lshl_add_u64 v[130:131], v[130:131], 3, s[74:75]
	s_and_b64 s[6:7], s[24:25], s[2:3]
	v_ashrrev_i32_e32 v129, 31, v128
	v_cmp_ne_u32_e64 s[0:1], 1, v134
	s_and_saveexec_b64 s[4:5], s[6:7]
	s_cbranch_execz .LBB152_58
; %bb.54:
	s_and_b64 vcc, exec, s[0:1]
	s_cbranch_vccnz .LBB152_56
; %bb.55:
	v_lshl_add_u64 v[134:135], v[128:129], 3, v[132:133]
	flat_load_dwordx2 v[134:135], v[134:135]
	s_waitcnt vmcnt(0) lgkmcnt(0)
	v_mul_f64 v[134:135], s[70:71], v[134:135]
	s_branch .LBB152_57
.LBB152_56:
	v_mov_b64_e32 v[134:135], 0
.LBB152_57:
	v_add_f64 v[126:127], v[126:127], v[134:135]
	v_lshl_add_u64 v[134:135], v[128:129], 3, v[130:131]
	flat_store_dwordx2 v[134:135], v[126:127]
.LBB152_58:
	s_or_b64 exec, exec, s[4:5]
	v_add_u32_e32 v126, 4, v128
	v_cmp_gt_i32_e64 s[4:5], s72, v126
	s_and_b64 s[8:9], s[24:25], s[4:5]
	v_ashrrev_i32_e32 v127, 31, v126
	s_and_saveexec_b64 s[6:7], s[8:9]
	s_cbranch_execz .LBB152_63
; %bb.59:
	s_and_b64 vcc, exec, s[0:1]
	s_cbranch_vccnz .LBB152_61
; %bb.60:
	v_lshl_add_u64 v[134:135], v[126:127], 3, v[132:133]
	flat_load_dwordx2 v[134:135], v[134:135]
	s_waitcnt vmcnt(0) lgkmcnt(0)
	v_mul_f64 v[134:135], s[70:71], v[134:135]
	s_branch .LBB152_62
.LBB152_61:
	v_mov_b64_e32 v[134:135], 0
.LBB152_62:
	v_add_f64 v[124:125], v[124:125], v[134:135]
	v_lshl_add_u64 v[134:135], v[126:127], 3, v[130:131]
	flat_store_dwordx2 v[134:135], v[124:125]
.LBB152_63:
	s_or_b64 exec, exec, s[6:7]
	v_add_u32_e32 v124, 8, v128
	v_cmp_gt_i32_e64 s[6:7], s72, v124
	s_and_b64 s[10:11], s[24:25], s[6:7]
	v_ashrrev_i32_e32 v125, 31, v124
	;; [unrolled: 23-line block ×31, first 2 shown]
	s_and_saveexec_b64 s[24:25], s[80:81]
	s_cbranch_execz .LBB152_213
; %bb.209:
	s_and_b64 vcc, exec, s[0:1]
	s_cbranch_vccnz .LBB152_211
; %bb.210:
	v_lshl_add_u64 v[132:133], v[66:67], 3, v[132:133]
	flat_load_dwordx2 v[132:133], v[132:133]
	s_waitcnt vmcnt(0) lgkmcnt(0)
	v_mul_f64 v[132:133], s[70:71], v[132:133]
	s_branch .LBB152_212
.LBB152_211:
	v_mov_b64_e32 v[132:133], 0
.LBB152_212:
	v_add_f64 v[64:65], v[64:65], v[132:133]
	v_lshl_add_u64 v[130:131], v[66:67], 3, v[130:131]
	flat_store_dwordx2 v[130:131], v[64:65]
.LBB152_213:
	s_or_b64 exec, exec, s[24:25]
	v_add_u32_e32 v132, 64, v136
	v_cmp_gt_i32_e64 s[24:25], s73, v132
	v_mad_i64_i32 v[64:65], s[72:73], v132, s78, 0
	v_lshl_add_u64 v[130:131], v[64:65], 3, s[76:77]
	v_mad_i64_i32 v[64:65], s[72:73], v132, s33, 0
	v_lshl_add_u64 v[64:65], v[64:65], 3, s[74:75]
	s_and_b64 s[2:3], s[24:25], s[2:3]
	s_and_saveexec_b64 s[72:73], s[2:3]
	s_xor_b64 s[2:3], exec, s[72:73]
	s_cbranch_execnz .LBB152_246
; %bb.214:
	s_or_b64 exec, exec, s[2:3]
	s_and_b64 s[4:5], s[24:25], s[4:5]
	s_and_saveexec_b64 s[2:3], s[4:5]
	s_cbranch_execnz .LBB152_250
.LBB152_215:
	s_or_b64 exec, exec, s[2:3]
	s_and_b64 s[4:5], s[24:25], s[6:7]
	s_and_saveexec_b64 s[2:3], s[4:5]
	s_cbranch_execnz .LBB152_254
.LBB152_216:
	s_or_b64 exec, exec, s[2:3]
	s_and_b64 s[4:5], s[24:25], s[8:9]
	s_and_saveexec_b64 s[2:3], s[4:5]
	s_cbranch_execnz .LBB152_258
.LBB152_217:
	s_or_b64 exec, exec, s[2:3]
	s_and_b64 s[4:5], s[24:25], s[10:11]
	s_and_saveexec_b64 s[2:3], s[4:5]
	s_cbranch_execnz .LBB152_262
.LBB152_218:
	s_or_b64 exec, exec, s[2:3]
	s_and_b64 s[4:5], s[24:25], s[12:13]
	s_and_saveexec_b64 s[2:3], s[4:5]
	s_cbranch_execnz .LBB152_266
.LBB152_219:
	s_or_b64 exec, exec, s[2:3]
	s_and_b64 s[4:5], s[24:25], s[14:15]
	s_and_saveexec_b64 s[2:3], s[4:5]
	s_cbranch_execnz .LBB152_270
.LBB152_220:
	s_or_b64 exec, exec, s[2:3]
	s_and_b64 s[4:5], s[24:25], s[16:17]
	s_and_saveexec_b64 s[2:3], s[4:5]
	s_cbranch_execnz .LBB152_274
.LBB152_221:
	s_or_b64 exec, exec, s[2:3]
	s_and_b64 s[4:5], s[24:25], s[18:19]
	s_and_saveexec_b64 s[2:3], s[4:5]
	s_cbranch_execnz .LBB152_278
.LBB152_222:
	s_or_b64 exec, exec, s[2:3]
	s_and_b64 s[4:5], s[24:25], s[20:21]
	s_and_saveexec_b64 s[2:3], s[4:5]
	s_cbranch_execnz .LBB152_282
.LBB152_223:
	s_or_b64 exec, exec, s[2:3]
	s_and_b64 s[4:5], s[24:25], s[22:23]
	s_and_saveexec_b64 s[2:3], s[4:5]
	s_cbranch_execnz .LBB152_286
.LBB152_224:
	s_or_b64 exec, exec, s[2:3]
	s_and_b64 s[4:5], s[24:25], s[26:27]
	s_and_saveexec_b64 s[2:3], s[4:5]
	s_cbranch_execnz .LBB152_290
.LBB152_225:
	s_or_b64 exec, exec, s[2:3]
	s_and_b64 s[4:5], s[24:25], s[28:29]
	s_and_saveexec_b64 s[2:3], s[4:5]
	s_cbranch_execnz .LBB152_294
.LBB152_226:
	s_or_b64 exec, exec, s[2:3]
	s_and_b64 s[4:5], s[24:25], s[30:31]
	s_and_saveexec_b64 s[2:3], s[4:5]
	s_cbranch_execnz .LBB152_298
.LBB152_227:
	s_or_b64 exec, exec, s[2:3]
	s_and_b64 s[4:5], s[24:25], s[34:35]
	s_and_saveexec_b64 s[2:3], s[4:5]
	s_cbranch_execnz .LBB152_302
.LBB152_228:
	s_or_b64 exec, exec, s[2:3]
	s_and_b64 s[4:5], s[24:25], s[36:37]
	s_and_saveexec_b64 s[2:3], s[4:5]
	s_cbranch_execnz .LBB152_306
.LBB152_229:
	s_or_b64 exec, exec, s[2:3]
	s_and_b64 s[4:5], s[24:25], s[38:39]
	s_and_saveexec_b64 s[2:3], s[4:5]
	s_cbranch_execnz .LBB152_310
.LBB152_230:
	s_or_b64 exec, exec, s[2:3]
	s_and_b64 s[4:5], s[24:25], s[40:41]
	s_and_saveexec_b64 s[2:3], s[4:5]
	s_cbranch_execnz .LBB152_314
.LBB152_231:
	s_or_b64 exec, exec, s[2:3]
	s_and_b64 s[4:5], s[24:25], s[42:43]
	s_and_saveexec_b64 s[2:3], s[4:5]
	s_cbranch_execnz .LBB152_318
.LBB152_232:
	s_or_b64 exec, exec, s[2:3]
	s_and_b64 s[4:5], s[24:25], s[44:45]
	s_and_saveexec_b64 s[2:3], s[4:5]
	s_cbranch_execnz .LBB152_322
.LBB152_233:
	s_or_b64 exec, exec, s[2:3]
	s_and_b64 s[4:5], s[24:25], s[46:47]
	s_and_saveexec_b64 s[2:3], s[4:5]
	s_cbranch_execnz .LBB152_326
.LBB152_234:
	s_or_b64 exec, exec, s[2:3]
	s_and_b64 s[4:5], s[24:25], s[48:49]
	s_and_saveexec_b64 s[2:3], s[4:5]
	s_cbranch_execnz .LBB152_330
.LBB152_235:
	s_or_b64 exec, exec, s[2:3]
	s_and_b64 s[4:5], s[24:25], s[50:51]
	s_and_saveexec_b64 s[2:3], s[4:5]
	s_cbranch_execnz .LBB152_334
.LBB152_236:
	s_or_b64 exec, exec, s[2:3]
	s_and_b64 s[4:5], s[24:25], s[52:53]
	s_and_saveexec_b64 s[2:3], s[4:5]
	s_cbranch_execnz .LBB152_338
.LBB152_237:
	s_or_b64 exec, exec, s[2:3]
	s_and_b64 s[4:5], s[24:25], s[54:55]
	s_and_saveexec_b64 s[2:3], s[4:5]
	s_cbranch_execnz .LBB152_342
.LBB152_238:
	s_or_b64 exec, exec, s[2:3]
	s_and_b64 s[4:5], s[24:25], s[56:57]
	s_and_saveexec_b64 s[2:3], s[4:5]
	s_cbranch_execnz .LBB152_346
.LBB152_239:
	s_or_b64 exec, exec, s[2:3]
	s_and_b64 s[4:5], s[24:25], s[58:59]
	s_and_saveexec_b64 s[2:3], s[4:5]
	s_cbranch_execnz .LBB152_350
.LBB152_240:
	s_or_b64 exec, exec, s[2:3]
	s_and_b64 s[4:5], s[24:25], s[60:61]
	s_and_saveexec_b64 s[2:3], s[4:5]
	s_cbranch_execnz .LBB152_354
.LBB152_241:
	s_or_b64 exec, exec, s[2:3]
	s_and_b64 s[4:5], s[24:25], s[62:63]
	s_and_saveexec_b64 s[2:3], s[4:5]
	s_cbranch_execnz .LBB152_358
.LBB152_242:
	s_or_b64 exec, exec, s[2:3]
	s_and_b64 s[4:5], s[24:25], s[64:65]
	s_and_saveexec_b64 s[2:3], s[4:5]
	s_cbranch_execnz .LBB152_362
.LBB152_243:
	s_or_b64 exec, exec, s[2:3]
	s_and_b64 s[4:5], s[24:25], s[66:67]
	s_and_saveexec_b64 s[2:3], s[4:5]
	s_cbranch_execnz .LBB152_366
.LBB152_244:
	s_or_b64 exec, exec, s[2:3]
	s_and_b64 s[2:3], s[24:25], s[68:69]
	s_and_saveexec_b64 s[4:5], s[2:3]
	s_cbranch_execnz .LBB152_370
.LBB152_245:
	s_endpgm
.LBB152_246:
	s_and_b64 vcc, exec, s[0:1]
	s_cbranch_vccnz .LBB152_248
; %bb.247:
	v_lshl_add_u64 v[132:133], v[128:129], 3, v[130:131]
	flat_load_dwordx2 v[132:133], v[132:133]
	s_waitcnt vmcnt(0) lgkmcnt(0)
	v_mul_f64 v[132:133], s[70:71], v[132:133]
	s_branch .LBB152_249
.LBB152_248:
	v_mov_b64_e32 v[132:133], 0
.LBB152_249:
	v_add_f64 v[62:63], v[62:63], v[132:133]
	v_lshl_add_u64 v[128:129], v[128:129], 3, v[64:65]
	flat_store_dwordx2 v[128:129], v[62:63]
	s_or_b64 exec, exec, s[2:3]
	s_and_b64 s[4:5], s[24:25], s[4:5]
	s_and_saveexec_b64 s[2:3], s[4:5]
	s_cbranch_execz .LBB152_215
.LBB152_250:
	s_and_b64 vcc, exec, s[0:1]
	s_cbranch_vccnz .LBB152_252
; %bb.251:
	v_lshl_add_u64 v[62:63], v[126:127], 3, v[130:131]
	flat_load_dwordx2 v[62:63], v[62:63]
	s_waitcnt vmcnt(0) lgkmcnt(0)
	v_mul_f64 v[62:63], s[70:71], v[62:63]
	s_branch .LBB152_253
.LBB152_252:
	v_mov_b64_e32 v[62:63], 0
.LBB152_253:
	v_add_f64 v[60:61], v[60:61], v[62:63]
	v_lshl_add_u64 v[62:63], v[126:127], 3, v[64:65]
	flat_store_dwordx2 v[62:63], v[60:61]
	s_or_b64 exec, exec, s[2:3]
	s_and_b64 s[4:5], s[24:25], s[6:7]
	s_and_saveexec_b64 s[2:3], s[4:5]
	s_cbranch_execz .LBB152_216
.LBB152_254:
	s_and_b64 vcc, exec, s[0:1]
	s_cbranch_vccnz .LBB152_256
; %bb.255:
	v_lshl_add_u64 v[60:61], v[124:125], 3, v[130:131]
	flat_load_dwordx2 v[60:61], v[60:61]
	s_waitcnt vmcnt(0) lgkmcnt(0)
	v_mul_f64 v[60:61], s[70:71], v[60:61]
	s_branch .LBB152_257
.LBB152_256:
	v_mov_b64_e32 v[60:61], 0
.LBB152_257:
	v_add_f64 v[58:59], v[58:59], v[60:61]
	v_lshl_add_u64 v[60:61], v[124:125], 3, v[64:65]
	flat_store_dwordx2 v[60:61], v[58:59]
	s_or_b64 exec, exec, s[2:3]
	s_and_b64 s[4:5], s[24:25], s[8:9]
	s_and_saveexec_b64 s[2:3], s[4:5]
	s_cbranch_execz .LBB152_217
.LBB152_258:
	s_and_b64 vcc, exec, s[0:1]
	s_cbranch_vccnz .LBB152_260
; %bb.259:
	v_lshl_add_u64 v[58:59], v[122:123], 3, v[130:131]
	flat_load_dwordx2 v[58:59], v[58:59]
	s_waitcnt vmcnt(0) lgkmcnt(0)
	v_mul_f64 v[58:59], s[70:71], v[58:59]
	s_branch .LBB152_261
.LBB152_260:
	v_mov_b64_e32 v[58:59], 0
.LBB152_261:
	v_add_f64 v[56:57], v[56:57], v[58:59]
	v_lshl_add_u64 v[58:59], v[122:123], 3, v[64:65]
	flat_store_dwordx2 v[58:59], v[56:57]
	s_or_b64 exec, exec, s[2:3]
	s_and_b64 s[4:5], s[24:25], s[10:11]
	s_and_saveexec_b64 s[2:3], s[4:5]
	s_cbranch_execz .LBB152_218
.LBB152_262:
	s_and_b64 vcc, exec, s[0:1]
	s_cbranch_vccnz .LBB152_264
; %bb.263:
	v_lshl_add_u64 v[56:57], v[120:121], 3, v[130:131]
	flat_load_dwordx2 v[56:57], v[56:57]
	s_waitcnt vmcnt(0) lgkmcnt(0)
	v_mul_f64 v[56:57], s[70:71], v[56:57]
	s_branch .LBB152_265
.LBB152_264:
	v_mov_b64_e32 v[56:57], 0
.LBB152_265:
	v_add_f64 v[54:55], v[54:55], v[56:57]
	v_lshl_add_u64 v[56:57], v[120:121], 3, v[64:65]
	flat_store_dwordx2 v[56:57], v[54:55]
	s_or_b64 exec, exec, s[2:3]
	s_and_b64 s[4:5], s[24:25], s[12:13]
	s_and_saveexec_b64 s[2:3], s[4:5]
	s_cbranch_execz .LBB152_219
.LBB152_266:
	s_and_b64 vcc, exec, s[0:1]
	s_cbranch_vccnz .LBB152_268
; %bb.267:
	v_lshl_add_u64 v[54:55], v[118:119], 3, v[130:131]
	flat_load_dwordx2 v[54:55], v[54:55]
	s_waitcnt vmcnt(0) lgkmcnt(0)
	v_mul_f64 v[54:55], s[70:71], v[54:55]
	s_branch .LBB152_269
.LBB152_268:
	v_mov_b64_e32 v[54:55], 0
.LBB152_269:
	v_add_f64 v[52:53], v[52:53], v[54:55]
	v_lshl_add_u64 v[54:55], v[118:119], 3, v[64:65]
	flat_store_dwordx2 v[54:55], v[52:53]
	s_or_b64 exec, exec, s[2:3]
	s_and_b64 s[4:5], s[24:25], s[14:15]
	s_and_saveexec_b64 s[2:3], s[4:5]
	s_cbranch_execz .LBB152_220
.LBB152_270:
	s_and_b64 vcc, exec, s[0:1]
	s_cbranch_vccnz .LBB152_272
; %bb.271:
	v_lshl_add_u64 v[52:53], v[116:117], 3, v[130:131]
	flat_load_dwordx2 v[52:53], v[52:53]
	s_waitcnt vmcnt(0) lgkmcnt(0)
	v_mul_f64 v[52:53], s[70:71], v[52:53]
	s_branch .LBB152_273
.LBB152_272:
	v_mov_b64_e32 v[52:53], 0
.LBB152_273:
	v_add_f64 v[50:51], v[50:51], v[52:53]
	v_lshl_add_u64 v[52:53], v[116:117], 3, v[64:65]
	flat_store_dwordx2 v[52:53], v[50:51]
	s_or_b64 exec, exec, s[2:3]
	s_and_b64 s[4:5], s[24:25], s[16:17]
	s_and_saveexec_b64 s[2:3], s[4:5]
	s_cbranch_execz .LBB152_221
.LBB152_274:
	s_and_b64 vcc, exec, s[0:1]
	s_cbranch_vccnz .LBB152_276
; %bb.275:
	v_lshl_add_u64 v[50:51], v[114:115], 3, v[130:131]
	flat_load_dwordx2 v[50:51], v[50:51]
	s_waitcnt vmcnt(0) lgkmcnt(0)
	v_mul_f64 v[50:51], s[70:71], v[50:51]
	s_branch .LBB152_277
.LBB152_276:
	v_mov_b64_e32 v[50:51], 0
.LBB152_277:
	v_add_f64 v[48:49], v[48:49], v[50:51]
	v_lshl_add_u64 v[50:51], v[114:115], 3, v[64:65]
	flat_store_dwordx2 v[50:51], v[48:49]
	s_or_b64 exec, exec, s[2:3]
	s_and_b64 s[4:5], s[24:25], s[18:19]
	s_and_saveexec_b64 s[2:3], s[4:5]
	s_cbranch_execz .LBB152_222
.LBB152_278:
	s_and_b64 vcc, exec, s[0:1]
	s_cbranch_vccnz .LBB152_280
; %bb.279:
	v_lshl_add_u64 v[48:49], v[112:113], 3, v[130:131]
	flat_load_dwordx2 v[48:49], v[48:49]
	s_waitcnt vmcnt(0) lgkmcnt(0)
	v_mul_f64 v[48:49], s[70:71], v[48:49]
	s_branch .LBB152_281
.LBB152_280:
	v_mov_b64_e32 v[48:49], 0
.LBB152_281:
	v_add_f64 v[46:47], v[46:47], v[48:49]
	v_lshl_add_u64 v[48:49], v[112:113], 3, v[64:65]
	flat_store_dwordx2 v[48:49], v[46:47]
	s_or_b64 exec, exec, s[2:3]
	s_and_b64 s[4:5], s[24:25], s[20:21]
	s_and_saveexec_b64 s[2:3], s[4:5]
	s_cbranch_execz .LBB152_223
.LBB152_282:
	s_and_b64 vcc, exec, s[0:1]
	s_cbranch_vccnz .LBB152_284
; %bb.283:
	v_lshl_add_u64 v[46:47], v[110:111], 3, v[130:131]
	flat_load_dwordx2 v[46:47], v[46:47]
	s_waitcnt vmcnt(0) lgkmcnt(0)
	v_mul_f64 v[46:47], s[70:71], v[46:47]
	s_branch .LBB152_285
.LBB152_284:
	v_mov_b64_e32 v[46:47], 0
.LBB152_285:
	v_add_f64 v[44:45], v[44:45], v[46:47]
	v_lshl_add_u64 v[46:47], v[110:111], 3, v[64:65]
	flat_store_dwordx2 v[46:47], v[44:45]
	s_or_b64 exec, exec, s[2:3]
	s_and_b64 s[4:5], s[24:25], s[22:23]
	s_and_saveexec_b64 s[2:3], s[4:5]
	s_cbranch_execz .LBB152_224
.LBB152_286:
	s_and_b64 vcc, exec, s[0:1]
	s_cbranch_vccnz .LBB152_288
; %bb.287:
	v_lshl_add_u64 v[44:45], v[108:109], 3, v[130:131]
	flat_load_dwordx2 v[44:45], v[44:45]
	s_waitcnt vmcnt(0) lgkmcnt(0)
	v_mul_f64 v[44:45], s[70:71], v[44:45]
	s_branch .LBB152_289
.LBB152_288:
	v_mov_b64_e32 v[44:45], 0
.LBB152_289:
	v_add_f64 v[42:43], v[42:43], v[44:45]
	v_lshl_add_u64 v[44:45], v[108:109], 3, v[64:65]
	flat_store_dwordx2 v[44:45], v[42:43]
	s_or_b64 exec, exec, s[2:3]
	s_and_b64 s[4:5], s[24:25], s[26:27]
	s_and_saveexec_b64 s[2:3], s[4:5]
	s_cbranch_execz .LBB152_225
.LBB152_290:
	s_and_b64 vcc, exec, s[0:1]
	s_cbranch_vccnz .LBB152_292
; %bb.291:
	v_lshl_add_u64 v[42:43], v[106:107], 3, v[130:131]
	flat_load_dwordx2 v[42:43], v[42:43]
	s_waitcnt vmcnt(0) lgkmcnt(0)
	v_mul_f64 v[42:43], s[70:71], v[42:43]
	s_branch .LBB152_293
.LBB152_292:
	v_mov_b64_e32 v[42:43], 0
.LBB152_293:
	v_add_f64 v[40:41], v[40:41], v[42:43]
	v_lshl_add_u64 v[42:43], v[106:107], 3, v[64:65]
	flat_store_dwordx2 v[42:43], v[40:41]
	s_or_b64 exec, exec, s[2:3]
	s_and_b64 s[4:5], s[24:25], s[28:29]
	s_and_saveexec_b64 s[2:3], s[4:5]
	s_cbranch_execz .LBB152_226
.LBB152_294:
	s_and_b64 vcc, exec, s[0:1]
	s_cbranch_vccnz .LBB152_296
; %bb.295:
	v_lshl_add_u64 v[40:41], v[104:105], 3, v[130:131]
	flat_load_dwordx2 v[40:41], v[40:41]
	s_waitcnt vmcnt(0) lgkmcnt(0)
	v_mul_f64 v[40:41], s[70:71], v[40:41]
	s_branch .LBB152_297
.LBB152_296:
	v_mov_b64_e32 v[40:41], 0
.LBB152_297:
	v_add_f64 v[38:39], v[38:39], v[40:41]
	v_lshl_add_u64 v[40:41], v[104:105], 3, v[64:65]
	flat_store_dwordx2 v[40:41], v[38:39]
	s_or_b64 exec, exec, s[2:3]
	s_and_b64 s[4:5], s[24:25], s[30:31]
	s_and_saveexec_b64 s[2:3], s[4:5]
	s_cbranch_execz .LBB152_227
.LBB152_298:
	s_and_b64 vcc, exec, s[0:1]
	s_cbranch_vccnz .LBB152_300
; %bb.299:
	v_lshl_add_u64 v[38:39], v[102:103], 3, v[130:131]
	flat_load_dwordx2 v[38:39], v[38:39]
	s_waitcnt vmcnt(0) lgkmcnt(0)
	v_mul_f64 v[38:39], s[70:71], v[38:39]
	s_branch .LBB152_301
.LBB152_300:
	v_mov_b64_e32 v[38:39], 0
.LBB152_301:
	v_add_f64 v[36:37], v[36:37], v[38:39]
	v_lshl_add_u64 v[38:39], v[102:103], 3, v[64:65]
	flat_store_dwordx2 v[38:39], v[36:37]
	s_or_b64 exec, exec, s[2:3]
	s_and_b64 s[4:5], s[24:25], s[34:35]
	s_and_saveexec_b64 s[2:3], s[4:5]
	s_cbranch_execz .LBB152_228
.LBB152_302:
	s_and_b64 vcc, exec, s[0:1]
	s_cbranch_vccnz .LBB152_304
; %bb.303:
	v_lshl_add_u64 v[36:37], v[100:101], 3, v[130:131]
	flat_load_dwordx2 v[36:37], v[36:37]
	s_waitcnt vmcnt(0) lgkmcnt(0)
	v_mul_f64 v[36:37], s[70:71], v[36:37]
	s_branch .LBB152_305
.LBB152_304:
	v_mov_b64_e32 v[36:37], 0
.LBB152_305:
	v_add_f64 v[34:35], v[34:35], v[36:37]
	v_lshl_add_u64 v[36:37], v[100:101], 3, v[64:65]
	flat_store_dwordx2 v[36:37], v[34:35]
	s_or_b64 exec, exec, s[2:3]
	s_and_b64 s[4:5], s[24:25], s[36:37]
	s_and_saveexec_b64 s[2:3], s[4:5]
	s_cbranch_execz .LBB152_229
.LBB152_306:
	s_and_b64 vcc, exec, s[0:1]
	s_cbranch_vccnz .LBB152_308
; %bb.307:
	v_lshl_add_u64 v[34:35], v[98:99], 3, v[130:131]
	flat_load_dwordx2 v[34:35], v[34:35]
	s_waitcnt vmcnt(0) lgkmcnt(0)
	v_mul_f64 v[34:35], s[70:71], v[34:35]
	s_branch .LBB152_309
.LBB152_308:
	v_mov_b64_e32 v[34:35], 0
.LBB152_309:
	v_add_f64 v[32:33], v[32:33], v[34:35]
	v_lshl_add_u64 v[34:35], v[98:99], 3, v[64:65]
	flat_store_dwordx2 v[34:35], v[32:33]
	s_or_b64 exec, exec, s[2:3]
	s_and_b64 s[4:5], s[24:25], s[38:39]
	s_and_saveexec_b64 s[2:3], s[4:5]
	s_cbranch_execz .LBB152_230
.LBB152_310:
	s_and_b64 vcc, exec, s[0:1]
	s_cbranch_vccnz .LBB152_312
; %bb.311:
	v_lshl_add_u64 v[32:33], v[96:97], 3, v[130:131]
	flat_load_dwordx2 v[32:33], v[32:33]
	s_waitcnt vmcnt(0) lgkmcnt(0)
	v_mul_f64 v[32:33], s[70:71], v[32:33]
	s_branch .LBB152_313
.LBB152_312:
	v_mov_b64_e32 v[32:33], 0
.LBB152_313:
	v_add_f64 v[30:31], v[30:31], v[32:33]
	v_lshl_add_u64 v[32:33], v[96:97], 3, v[64:65]
	flat_store_dwordx2 v[32:33], v[30:31]
	s_or_b64 exec, exec, s[2:3]
	s_and_b64 s[4:5], s[24:25], s[40:41]
	s_and_saveexec_b64 s[2:3], s[4:5]
	s_cbranch_execz .LBB152_231
.LBB152_314:
	s_and_b64 vcc, exec, s[0:1]
	s_cbranch_vccnz .LBB152_316
; %bb.315:
	v_lshl_add_u64 v[30:31], v[94:95], 3, v[130:131]
	flat_load_dwordx2 v[30:31], v[30:31]
	s_waitcnt vmcnt(0) lgkmcnt(0)
	v_mul_f64 v[30:31], s[70:71], v[30:31]
	s_branch .LBB152_317
.LBB152_316:
	v_mov_b64_e32 v[30:31], 0
.LBB152_317:
	v_add_f64 v[28:29], v[28:29], v[30:31]
	v_lshl_add_u64 v[30:31], v[94:95], 3, v[64:65]
	flat_store_dwordx2 v[30:31], v[28:29]
	s_or_b64 exec, exec, s[2:3]
	s_and_b64 s[4:5], s[24:25], s[42:43]
	s_and_saveexec_b64 s[2:3], s[4:5]
	s_cbranch_execz .LBB152_232
.LBB152_318:
	s_and_b64 vcc, exec, s[0:1]
	s_cbranch_vccnz .LBB152_320
; %bb.319:
	v_lshl_add_u64 v[28:29], v[92:93], 3, v[130:131]
	flat_load_dwordx2 v[28:29], v[28:29]
	s_waitcnt vmcnt(0) lgkmcnt(0)
	v_mul_f64 v[28:29], s[70:71], v[28:29]
	s_branch .LBB152_321
.LBB152_320:
	v_mov_b64_e32 v[28:29], 0
.LBB152_321:
	v_add_f64 v[26:27], v[26:27], v[28:29]
	v_lshl_add_u64 v[28:29], v[92:93], 3, v[64:65]
	flat_store_dwordx2 v[28:29], v[26:27]
	s_or_b64 exec, exec, s[2:3]
	s_and_b64 s[4:5], s[24:25], s[44:45]
	s_and_saveexec_b64 s[2:3], s[4:5]
	s_cbranch_execz .LBB152_233
.LBB152_322:
	s_and_b64 vcc, exec, s[0:1]
	s_cbranch_vccnz .LBB152_324
; %bb.323:
	v_lshl_add_u64 v[26:27], v[90:91], 3, v[130:131]
	flat_load_dwordx2 v[26:27], v[26:27]
	s_waitcnt vmcnt(0) lgkmcnt(0)
	v_mul_f64 v[26:27], s[70:71], v[26:27]
	s_branch .LBB152_325
.LBB152_324:
	v_mov_b64_e32 v[26:27], 0
.LBB152_325:
	v_add_f64 v[24:25], v[24:25], v[26:27]
	v_lshl_add_u64 v[26:27], v[90:91], 3, v[64:65]
	flat_store_dwordx2 v[26:27], v[24:25]
	s_or_b64 exec, exec, s[2:3]
	s_and_b64 s[4:5], s[24:25], s[46:47]
	s_and_saveexec_b64 s[2:3], s[4:5]
	s_cbranch_execz .LBB152_234
.LBB152_326:
	s_and_b64 vcc, exec, s[0:1]
	s_cbranch_vccnz .LBB152_328
; %bb.327:
	v_lshl_add_u64 v[24:25], v[88:89], 3, v[130:131]
	flat_load_dwordx2 v[24:25], v[24:25]
	s_waitcnt vmcnt(0) lgkmcnt(0)
	v_mul_f64 v[24:25], s[70:71], v[24:25]
	s_branch .LBB152_329
.LBB152_328:
	v_mov_b64_e32 v[24:25], 0
.LBB152_329:
	v_add_f64 v[22:23], v[22:23], v[24:25]
	v_lshl_add_u64 v[24:25], v[88:89], 3, v[64:65]
	flat_store_dwordx2 v[24:25], v[22:23]
	s_or_b64 exec, exec, s[2:3]
	s_and_b64 s[4:5], s[24:25], s[48:49]
	s_and_saveexec_b64 s[2:3], s[4:5]
	s_cbranch_execz .LBB152_235
.LBB152_330:
	s_and_b64 vcc, exec, s[0:1]
	s_cbranch_vccnz .LBB152_332
; %bb.331:
	v_lshl_add_u64 v[22:23], v[86:87], 3, v[130:131]
	flat_load_dwordx2 v[22:23], v[22:23]
	s_waitcnt vmcnt(0) lgkmcnt(0)
	v_mul_f64 v[22:23], s[70:71], v[22:23]
	s_branch .LBB152_333
.LBB152_332:
	v_mov_b64_e32 v[22:23], 0
.LBB152_333:
	v_add_f64 v[20:21], v[20:21], v[22:23]
	v_lshl_add_u64 v[22:23], v[86:87], 3, v[64:65]
	flat_store_dwordx2 v[22:23], v[20:21]
	s_or_b64 exec, exec, s[2:3]
	s_and_b64 s[4:5], s[24:25], s[50:51]
	s_and_saveexec_b64 s[2:3], s[4:5]
	s_cbranch_execz .LBB152_236
.LBB152_334:
	s_and_b64 vcc, exec, s[0:1]
	s_cbranch_vccnz .LBB152_336
; %bb.335:
	v_lshl_add_u64 v[20:21], v[84:85], 3, v[130:131]
	flat_load_dwordx2 v[20:21], v[20:21]
	s_waitcnt vmcnt(0) lgkmcnt(0)
	v_mul_f64 v[20:21], s[70:71], v[20:21]
	s_branch .LBB152_337
.LBB152_336:
	v_mov_b64_e32 v[20:21], 0
.LBB152_337:
	v_add_f64 v[18:19], v[18:19], v[20:21]
	v_lshl_add_u64 v[20:21], v[84:85], 3, v[64:65]
	flat_store_dwordx2 v[20:21], v[18:19]
	s_or_b64 exec, exec, s[2:3]
	s_and_b64 s[4:5], s[24:25], s[52:53]
	s_and_saveexec_b64 s[2:3], s[4:5]
	s_cbranch_execz .LBB152_237
.LBB152_338:
	s_and_b64 vcc, exec, s[0:1]
	s_cbranch_vccnz .LBB152_340
; %bb.339:
	v_lshl_add_u64 v[18:19], v[82:83], 3, v[130:131]
	flat_load_dwordx2 v[18:19], v[18:19]
	s_waitcnt vmcnt(0) lgkmcnt(0)
	v_mul_f64 v[18:19], s[70:71], v[18:19]
	s_branch .LBB152_341
.LBB152_340:
	v_mov_b64_e32 v[18:19], 0
.LBB152_341:
	v_add_f64 v[16:17], v[16:17], v[18:19]
	v_lshl_add_u64 v[18:19], v[82:83], 3, v[64:65]
	flat_store_dwordx2 v[18:19], v[16:17]
	s_or_b64 exec, exec, s[2:3]
	s_and_b64 s[4:5], s[24:25], s[54:55]
	s_and_saveexec_b64 s[2:3], s[4:5]
	s_cbranch_execz .LBB152_238
.LBB152_342:
	s_and_b64 vcc, exec, s[0:1]
	s_cbranch_vccnz .LBB152_344
; %bb.343:
	v_lshl_add_u64 v[16:17], v[80:81], 3, v[130:131]
	flat_load_dwordx2 v[16:17], v[16:17]
	s_waitcnt vmcnt(0) lgkmcnt(0)
	v_mul_f64 v[16:17], s[70:71], v[16:17]
	s_branch .LBB152_345
.LBB152_344:
	v_mov_b64_e32 v[16:17], 0
.LBB152_345:
	v_add_f64 v[14:15], v[14:15], v[16:17]
	v_lshl_add_u64 v[16:17], v[80:81], 3, v[64:65]
	flat_store_dwordx2 v[16:17], v[14:15]
	s_or_b64 exec, exec, s[2:3]
	s_and_b64 s[4:5], s[24:25], s[56:57]
	s_and_saveexec_b64 s[2:3], s[4:5]
	s_cbranch_execz .LBB152_239
.LBB152_346:
	s_and_b64 vcc, exec, s[0:1]
	s_cbranch_vccnz .LBB152_348
; %bb.347:
	v_lshl_add_u64 v[14:15], v[78:79], 3, v[130:131]
	flat_load_dwordx2 v[14:15], v[14:15]
	s_waitcnt vmcnt(0) lgkmcnt(0)
	v_mul_f64 v[14:15], s[70:71], v[14:15]
	s_branch .LBB152_349
.LBB152_348:
	v_mov_b64_e32 v[14:15], 0
.LBB152_349:
	v_add_f64 v[12:13], v[12:13], v[14:15]
	v_lshl_add_u64 v[14:15], v[78:79], 3, v[64:65]
	flat_store_dwordx2 v[14:15], v[12:13]
	s_or_b64 exec, exec, s[2:3]
	s_and_b64 s[4:5], s[24:25], s[58:59]
	s_and_saveexec_b64 s[2:3], s[4:5]
	s_cbranch_execz .LBB152_240
.LBB152_350:
	s_and_b64 vcc, exec, s[0:1]
	s_cbranch_vccnz .LBB152_352
; %bb.351:
	v_lshl_add_u64 v[12:13], v[76:77], 3, v[130:131]
	flat_load_dwordx2 v[12:13], v[12:13]
	s_waitcnt vmcnt(0) lgkmcnt(0)
	v_mul_f64 v[12:13], s[70:71], v[12:13]
	s_branch .LBB152_353
.LBB152_352:
	v_mov_b64_e32 v[12:13], 0
.LBB152_353:
	v_add_f64 v[10:11], v[10:11], v[12:13]
	v_lshl_add_u64 v[12:13], v[76:77], 3, v[64:65]
	flat_store_dwordx2 v[12:13], v[10:11]
	s_or_b64 exec, exec, s[2:3]
	s_and_b64 s[4:5], s[24:25], s[60:61]
	s_and_saveexec_b64 s[2:3], s[4:5]
	s_cbranch_execz .LBB152_241
.LBB152_354:
	s_and_b64 vcc, exec, s[0:1]
	s_cbranch_vccnz .LBB152_356
; %bb.355:
	v_lshl_add_u64 v[10:11], v[74:75], 3, v[130:131]
	flat_load_dwordx2 v[10:11], v[10:11]
	s_waitcnt vmcnt(0) lgkmcnt(0)
	v_mul_f64 v[10:11], s[70:71], v[10:11]
	s_branch .LBB152_357
.LBB152_356:
	v_mov_b64_e32 v[10:11], 0
.LBB152_357:
	v_add_f64 v[8:9], v[8:9], v[10:11]
	v_lshl_add_u64 v[10:11], v[74:75], 3, v[64:65]
	flat_store_dwordx2 v[10:11], v[8:9]
	s_or_b64 exec, exec, s[2:3]
	s_and_b64 s[4:5], s[24:25], s[62:63]
	s_and_saveexec_b64 s[2:3], s[4:5]
	s_cbranch_execz .LBB152_242
.LBB152_358:
	s_and_b64 vcc, exec, s[0:1]
	s_cbranch_vccnz .LBB152_360
; %bb.359:
	v_lshl_add_u64 v[8:9], v[72:73], 3, v[130:131]
	flat_load_dwordx2 v[8:9], v[8:9]
	s_waitcnt vmcnt(0) lgkmcnt(0)
	v_mul_f64 v[8:9], s[70:71], v[8:9]
	s_branch .LBB152_361
.LBB152_360:
	v_mov_b64_e32 v[8:9], 0
.LBB152_361:
	v_add_f64 v[6:7], v[6:7], v[8:9]
	v_lshl_add_u64 v[8:9], v[72:73], 3, v[64:65]
	flat_store_dwordx2 v[8:9], v[6:7]
	s_or_b64 exec, exec, s[2:3]
	s_and_b64 s[4:5], s[24:25], s[64:65]
	s_and_saveexec_b64 s[2:3], s[4:5]
	s_cbranch_execz .LBB152_243
.LBB152_362:
	s_and_b64 vcc, exec, s[0:1]
	s_cbranch_vccnz .LBB152_364
; %bb.363:
	v_lshl_add_u64 v[6:7], v[70:71], 3, v[130:131]
	flat_load_dwordx2 v[6:7], v[6:7]
	s_waitcnt vmcnt(0) lgkmcnt(0)
	v_mul_f64 v[6:7], s[70:71], v[6:7]
	s_branch .LBB152_365
.LBB152_364:
	v_mov_b64_e32 v[6:7], 0
.LBB152_365:
	v_add_f64 v[4:5], v[4:5], v[6:7]
	v_lshl_add_u64 v[6:7], v[70:71], 3, v[64:65]
	flat_store_dwordx2 v[6:7], v[4:5]
	s_or_b64 exec, exec, s[2:3]
	s_and_b64 s[4:5], s[24:25], s[66:67]
	s_and_saveexec_b64 s[2:3], s[4:5]
	s_cbranch_execz .LBB152_244
.LBB152_366:
	s_and_b64 vcc, exec, s[0:1]
	s_cbranch_vccnz .LBB152_368
; %bb.367:
	v_lshl_add_u64 v[4:5], v[68:69], 3, v[130:131]
	flat_load_dwordx2 v[4:5], v[4:5]
	s_waitcnt vmcnt(0) lgkmcnt(0)
	v_mul_f64 v[4:5], s[70:71], v[4:5]
	s_branch .LBB152_369
.LBB152_368:
	v_mov_b64_e32 v[4:5], 0
.LBB152_369:
	v_add_f64 v[2:3], v[2:3], v[4:5]
	v_lshl_add_u64 v[4:5], v[68:69], 3, v[64:65]
	flat_store_dwordx2 v[4:5], v[2:3]
	s_or_b64 exec, exec, s[2:3]
	s_and_b64 s[2:3], s[24:25], s[68:69]
	s_and_saveexec_b64 s[4:5], s[2:3]
	s_cbranch_execz .LBB152_245
.LBB152_370:
	s_and_b64 vcc, exec, s[0:1]
	s_cbranch_vccnz .LBB152_372
; %bb.371:
	v_lshl_add_u64 v[2:3], v[66:67], 3, v[130:131]
	flat_load_dwordx2 v[2:3], v[2:3]
	s_waitcnt vmcnt(0) lgkmcnt(0)
	v_mul_f64 v[2:3], s[70:71], v[2:3]
	v_add_f64 v[0:1], v[0:1], v[2:3]
	v_lshl_add_u64 v[2:3], v[66:67], 3, v[64:65]
	flat_store_dwordx2 v[2:3], v[0:1]
	s_endpgm
.LBB152_372:
	v_mov_b64_e32 v[2:3], 0
	v_add_f64 v[0:1], v[0:1], v[2:3]
	v_lshl_add_u64 v[2:3], v[66:67], 3, v[64:65]
	flat_store_dwordx2 v[2:3], v[0:1]
	s_endpgm
	.section	.rodata,"a",@progbits
	.p2align	6, 0x0
	.amdhsa_kernel _ZN12_GLOBAL__N_120geam_min_plus_kernelIdddLi4ELi64ELi128ELi128ELi4ELi4ELi64ELi64ELi4ELc84ELc84ELb0ELb1ELb0EdKPKdKPdEEviiiT16_PT17_ilS8_ilS6_S8_ilPT18_ili26rocblas_geam_ex_operation_
		.amdhsa_group_segment_fixed_size 16384
		.amdhsa_private_segment_fixed_size 0
		.amdhsa_kernarg_size 136
		.amdhsa_user_sgpr_count 2
		.amdhsa_user_sgpr_dispatch_ptr 0
		.amdhsa_user_sgpr_queue_ptr 0
		.amdhsa_user_sgpr_kernarg_segment_ptr 1
		.amdhsa_user_sgpr_dispatch_id 0
		.amdhsa_user_sgpr_kernarg_preload_length 0
		.amdhsa_user_sgpr_kernarg_preload_offset 0
		.amdhsa_user_sgpr_private_segment_size 0
		.amdhsa_uses_dynamic_stack 0
		.amdhsa_enable_private_segment 0
		.amdhsa_system_sgpr_workgroup_id_x 1
		.amdhsa_system_sgpr_workgroup_id_y 0
		.amdhsa_system_sgpr_workgroup_id_z 1
		.amdhsa_system_sgpr_workgroup_info 0
		.amdhsa_system_vgpr_workitem_id 1
		.amdhsa_next_free_vgpr 254
		.amdhsa_next_free_sgpr 82
		.amdhsa_accum_offset 256
		.amdhsa_reserve_vcc 1
		.amdhsa_float_round_mode_32 0
		.amdhsa_float_round_mode_16_64 0
		.amdhsa_float_denorm_mode_32 3
		.amdhsa_float_denorm_mode_16_64 3
		.amdhsa_dx10_clamp 1
		.amdhsa_ieee_mode 1
		.amdhsa_fp16_overflow 0
		.amdhsa_tg_split 0
		.amdhsa_exception_fp_ieee_invalid_op 0
		.amdhsa_exception_fp_denorm_src 0
		.amdhsa_exception_fp_ieee_div_zero 0
		.amdhsa_exception_fp_ieee_overflow 0
		.amdhsa_exception_fp_ieee_underflow 0
		.amdhsa_exception_fp_ieee_inexact 0
		.amdhsa_exception_int_div_zero 0
	.end_amdhsa_kernel
	.section	.text._ZN12_GLOBAL__N_120geam_min_plus_kernelIdddLi4ELi64ELi128ELi128ELi4ELi4ELi64ELi64ELi4ELc84ELc84ELb0ELb1ELb0EdKPKdKPdEEviiiT16_PT17_ilS8_ilS6_S8_ilPT18_ili26rocblas_geam_ex_operation_,"axG",@progbits,_ZN12_GLOBAL__N_120geam_min_plus_kernelIdddLi4ELi64ELi128ELi128ELi4ELi4ELi64ELi64ELi4ELc84ELc84ELb0ELb1ELb0EdKPKdKPdEEviiiT16_PT17_ilS8_ilS6_S8_ilPT18_ili26rocblas_geam_ex_operation_,comdat
.Lfunc_end152:
	.size	_ZN12_GLOBAL__N_120geam_min_plus_kernelIdddLi4ELi64ELi128ELi128ELi4ELi4ELi64ELi64ELi4ELc84ELc84ELb0ELb1ELb0EdKPKdKPdEEviiiT16_PT17_ilS8_ilS6_S8_ilPT18_ili26rocblas_geam_ex_operation_, .Lfunc_end152-_ZN12_GLOBAL__N_120geam_min_plus_kernelIdddLi4ELi64ELi128ELi128ELi4ELi4ELi64ELi64ELi4ELc84ELc84ELb0ELb1ELb0EdKPKdKPdEEviiiT16_PT17_ilS8_ilS6_S8_ilPT18_ili26rocblas_geam_ex_operation_
                                        ; -- End function
	.set _ZN12_GLOBAL__N_120geam_min_plus_kernelIdddLi4ELi64ELi128ELi128ELi4ELi4ELi64ELi64ELi4ELc84ELc84ELb0ELb1ELb0EdKPKdKPdEEviiiT16_PT17_ilS8_ilS6_S8_ilPT18_ili26rocblas_geam_ex_operation_.num_vgpr, 254
	.set _ZN12_GLOBAL__N_120geam_min_plus_kernelIdddLi4ELi64ELi128ELi128ELi4ELi4ELi64ELi64ELi4ELc84ELc84ELb0ELb1ELb0EdKPKdKPdEEviiiT16_PT17_ilS8_ilS6_S8_ilPT18_ili26rocblas_geam_ex_operation_.num_agpr, 0
	.set _ZN12_GLOBAL__N_120geam_min_plus_kernelIdddLi4ELi64ELi128ELi128ELi4ELi4ELi64ELi64ELi4ELc84ELc84ELb0ELb1ELb0EdKPKdKPdEEviiiT16_PT17_ilS8_ilS6_S8_ilPT18_ili26rocblas_geam_ex_operation_.numbered_sgpr, 82
	.set _ZN12_GLOBAL__N_120geam_min_plus_kernelIdddLi4ELi64ELi128ELi128ELi4ELi4ELi64ELi64ELi4ELc84ELc84ELb0ELb1ELb0EdKPKdKPdEEviiiT16_PT17_ilS8_ilS6_S8_ilPT18_ili26rocblas_geam_ex_operation_.num_named_barrier, 0
	.set _ZN12_GLOBAL__N_120geam_min_plus_kernelIdddLi4ELi64ELi128ELi128ELi4ELi4ELi64ELi64ELi4ELc84ELc84ELb0ELb1ELb0EdKPKdKPdEEviiiT16_PT17_ilS8_ilS6_S8_ilPT18_ili26rocblas_geam_ex_operation_.private_seg_size, 0
	.set _ZN12_GLOBAL__N_120geam_min_plus_kernelIdddLi4ELi64ELi128ELi128ELi4ELi4ELi64ELi64ELi4ELc84ELc84ELb0ELb1ELb0EdKPKdKPdEEviiiT16_PT17_ilS8_ilS6_S8_ilPT18_ili26rocblas_geam_ex_operation_.uses_vcc, 1
	.set _ZN12_GLOBAL__N_120geam_min_plus_kernelIdddLi4ELi64ELi128ELi128ELi4ELi4ELi64ELi64ELi4ELc84ELc84ELb0ELb1ELb0EdKPKdKPdEEviiiT16_PT17_ilS8_ilS6_S8_ilPT18_ili26rocblas_geam_ex_operation_.uses_flat_scratch, 0
	.set _ZN12_GLOBAL__N_120geam_min_plus_kernelIdddLi4ELi64ELi128ELi128ELi4ELi4ELi64ELi64ELi4ELc84ELc84ELb0ELb1ELb0EdKPKdKPdEEviiiT16_PT17_ilS8_ilS6_S8_ilPT18_ili26rocblas_geam_ex_operation_.has_dyn_sized_stack, 0
	.set _ZN12_GLOBAL__N_120geam_min_plus_kernelIdddLi4ELi64ELi128ELi128ELi4ELi4ELi64ELi64ELi4ELc84ELc84ELb0ELb1ELb0EdKPKdKPdEEviiiT16_PT17_ilS8_ilS6_S8_ilPT18_ili26rocblas_geam_ex_operation_.has_recursion, 0
	.set _ZN12_GLOBAL__N_120geam_min_plus_kernelIdddLi4ELi64ELi128ELi128ELi4ELi4ELi64ELi64ELi4ELc84ELc84ELb0ELb1ELb0EdKPKdKPdEEviiiT16_PT17_ilS8_ilS6_S8_ilPT18_ili26rocblas_geam_ex_operation_.has_indirect_call, 0
	.section	.AMDGPU.csdata,"",@progbits
; Kernel info:
; codeLenInByte = 14728
; TotalNumSgprs: 88
; NumVgprs: 254
; NumAgprs: 0
; TotalNumVgprs: 254
; ScratchSize: 0
; MemoryBound: 0
; FloatMode: 240
; IeeeMode: 1
; LDSByteSize: 16384 bytes/workgroup (compile time only)
; SGPRBlocks: 10
; VGPRBlocks: 31
; NumSGPRsForWavesPerEU: 88
; NumVGPRsForWavesPerEU: 254
; AccumOffset: 256
; Occupancy: 2
; WaveLimiterHint : 1
; COMPUTE_PGM_RSRC2:SCRATCH_EN: 0
; COMPUTE_PGM_RSRC2:USER_SGPR: 2
; COMPUTE_PGM_RSRC2:TRAP_HANDLER: 0
; COMPUTE_PGM_RSRC2:TGID_X_EN: 1
; COMPUTE_PGM_RSRC2:TGID_Y_EN: 0
; COMPUTE_PGM_RSRC2:TGID_Z_EN: 1
; COMPUTE_PGM_RSRC2:TIDIG_COMP_CNT: 1
; COMPUTE_PGM_RSRC3_GFX90A:ACCUM_OFFSET: 63
; COMPUTE_PGM_RSRC3_GFX90A:TG_SPLIT: 0
	.section	.text._ZN12_GLOBAL__N_120geam_ex_scale_kernelILi32ELi32EddPKdPdEEviiT2_T3_lilT4_lil,"axG",@progbits,_ZN12_GLOBAL__N_120geam_ex_scale_kernelILi32ELi32EddPKdPdEEviiT2_T3_lilT4_lil,comdat
	.globl	_ZN12_GLOBAL__N_120geam_ex_scale_kernelILi32ELi32EddPKdPdEEviiT2_T3_lilT4_lil ; -- Begin function _ZN12_GLOBAL__N_120geam_ex_scale_kernelILi32ELi32EddPKdPdEEviiT2_T3_lilT4_lil
	.p2align	8
	.type	_ZN12_GLOBAL__N_120geam_ex_scale_kernelILi32ELi32EddPKdPdEEviiT2_T3_lilT4_lil,@function
_ZN12_GLOBAL__N_120geam_ex_scale_kernelILi32ELi32EddPKdPdEEviiT2_T3_lilT4_lil: ; @_ZN12_GLOBAL__N_120geam_ex_scale_kernelILi32ELi32EddPKdPdEEviiT2_T3_lilT4_lil
; %bb.0:
	s_load_dwordx4 s[8:11], s[0:1], 0x8
	s_load_dwordx4 s[4:7], s[0:1], 0x28
	s_load_dwordx2 s[12:13], s[0:1], 0x38
	s_mov_b64 s[14:15], 0
	s_waitcnt lgkmcnt(0)
	v_cmp_eq_f64_e64 s[16:17], s[8:9], 0
	s_and_b64 vcc, exec, s[16:17]
	s_cbranch_vccnz .LBB153_2
; %bb.1:
	s_load_dwordx2 s[14:15], s[0:1], 0x18
	s_mul_i32 s5, s5, s3
	s_mul_hi_u32 s18, s4, s3
	s_add_i32 s5, s18, s5
	s_mul_i32 s4, s4, s3
	s_lshl_b64 s[4:5], s[4:5], 3
	s_add_u32 s10, s10, s4
	s_addc_u32 s11, s11, s5
	s_waitcnt lgkmcnt(0)
	s_lshl_b64 s[4:5], s[14:15], 3
	s_add_u32 s14, s10, s4
	s_addc_u32 s15, s11, s5
.LBB153_2:
	s_load_dwordx2 s[4:5], s[0:1], 0x0
	v_and_b32_e32 v2, 0x3ff, v0
	v_bfe_u32 v0, v0, 10, 10
	s_waitcnt lgkmcnt(0)
	s_add_i32 s10, s4, -1
	s_ashr_i32 s11, s10, 31
	s_lshr_b32 s11, s11, 27
	s_add_i32 s10, s10, s11
	s_ashr_i32 s10, s10, 5
	s_add_i32 s11, s10, 1
	v_cvt_f32_u32_e32 v1, s11
	s_not_b32 s10, s10
	v_rcp_iflag_f32_e32 v1, v1
	s_nop 0
	v_mul_f32_e32 v1, 0x4f7ffffe, v1
	v_cvt_u32_f32_e32 v1, v1
	s_nop 0
	v_readfirstlane_b32 s18, v1
	s_mul_i32 s10, s10, s18
	s_mul_hi_u32 s10, s18, s10
	s_add_i32 s18, s18, s10
	s_mul_hi_u32 s10, s2, s18
	s_mul_i32 s18, s10, s11
	s_sub_i32 s18, s2, s18
	s_add_i32 s19, s10, 1
	s_sub_i32 s20, s18, s11
	s_cmp_ge_u32 s18, s11
	s_cselect_b32 s10, s19, s10
	s_cselect_b32 s18, s20, s18
	s_add_i32 s19, s10, 1
	s_cmp_ge_u32 s18, s11
	s_cselect_b32 s10, s19, s10
	s_mul_i32 s11, s10, s11
	s_sub_i32 s2, s2, s11
	v_lshl_add_u32 v4, s10, 5, v0
	v_lshl_add_u32 v0, s2, 5, v2
	v_cmp_gt_u32_e32 vcc, s4, v0
	v_cmp_gt_u32_e64 s[4:5], s5, v4
	s_and_b64 s[4:5], vcc, s[4:5]
	s_and_saveexec_b64 s[10:11], s[4:5]
	s_cbranch_execz .LBB153_8
; %bb.3:
	s_andn2_b64 vcc, exec, s[16:17]
	v_mov_b32_e32 v1, 0
	s_cbranch_vccnz .LBB153_5
; %bb.4:
	v_mov_b64_e32 v[2:3], 0
	s_cbranch_execz .LBB153_6
	s_branch .LBB153_7
.LBB153_5:
	v_mov_b64_e32 v[2:3], 0
.LBB153_6:
	s_load_dword s2, s[0:1], 0x20
	s_waitcnt lgkmcnt(0)
	v_mad_u64_u32 v[2:3], s[4:5], v4, s2, 0
	s_ashr_i32 s10, s2, 31
	v_mov_b32_e32 v6, v3
	v_mad_u64_u32 v[6:7], s[4:5], v4, s10, v[6:7]
	v_mov_b32_e32 v3, v6
	v_lshl_add_u64 v[2:3], v[2:3], 3, s[14:15]
	v_lshl_add_u64 v[2:3], v[0:1], 3, v[2:3]
	global_load_dwordx2 v[2:3], v[2:3], off
	s_waitcnt vmcnt(0)
	v_mul_f64 v[2:3], s[8:9], v[2:3]
.LBB153_7:
	s_load_dwordx2 s[4:5], s[0:1], 0x48
	s_load_dword s2, s[0:1], 0x40
	s_waitcnt lgkmcnt(0)
	s_mul_i32 s1, s5, s3
	s_mul_hi_u32 s5, s4, s3
	s_mul_i32 s0, s4, s3
	s_add_i32 s1, s5, s1
	s_lshl_b64 s[0:1], s[0:1], 3
	s_add_u32 s3, s6, s0
	s_addc_u32 s4, s7, s1
	s_lshl_b64 s[0:1], s[12:13], 3
	s_add_u32 s0, s3, s0
	s_addc_u32 s1, s4, s1
	s_ashr_i32 s4, s2, 31
	v_mad_u64_u32 v[6:7], s[2:3], v4, s2, 0
	v_mov_b32_e32 v8, v7
	v_mad_u64_u32 v[4:5], s[2:3], v4, s4, v[8:9]
	v_mov_b32_e32 v7, v4
	v_lshl_add_u64 v[4:5], v[6:7], 3, s[0:1]
	v_lshl_add_u64 v[0:1], v[0:1], 3, v[4:5]
	global_store_dwordx2 v[0:1], v[2:3], off
.LBB153_8:
	s_endpgm
	.section	.rodata,"a",@progbits
	.p2align	6, 0x0
	.amdhsa_kernel _ZN12_GLOBAL__N_120geam_ex_scale_kernelILi32ELi32EddPKdPdEEviiT2_T3_lilT4_lil
		.amdhsa_group_segment_fixed_size 0
		.amdhsa_private_segment_fixed_size 0
		.amdhsa_kernarg_size 80
		.amdhsa_user_sgpr_count 2
		.amdhsa_user_sgpr_dispatch_ptr 0
		.amdhsa_user_sgpr_queue_ptr 0
		.amdhsa_user_sgpr_kernarg_segment_ptr 1
		.amdhsa_user_sgpr_dispatch_id 0
		.amdhsa_user_sgpr_kernarg_preload_length 0
		.amdhsa_user_sgpr_kernarg_preload_offset 0
		.amdhsa_user_sgpr_private_segment_size 0
		.amdhsa_uses_dynamic_stack 0
		.amdhsa_enable_private_segment 0
		.amdhsa_system_sgpr_workgroup_id_x 1
		.amdhsa_system_sgpr_workgroup_id_y 0
		.amdhsa_system_sgpr_workgroup_id_z 1
		.amdhsa_system_sgpr_workgroup_info 0
		.amdhsa_system_vgpr_workitem_id 1
		.amdhsa_next_free_vgpr 10
		.amdhsa_next_free_sgpr 21
		.amdhsa_accum_offset 12
		.amdhsa_reserve_vcc 1
		.amdhsa_float_round_mode_32 0
		.amdhsa_float_round_mode_16_64 0
		.amdhsa_float_denorm_mode_32 3
		.amdhsa_float_denorm_mode_16_64 3
		.amdhsa_dx10_clamp 1
		.amdhsa_ieee_mode 1
		.amdhsa_fp16_overflow 0
		.amdhsa_tg_split 0
		.amdhsa_exception_fp_ieee_invalid_op 0
		.amdhsa_exception_fp_denorm_src 0
		.amdhsa_exception_fp_ieee_div_zero 0
		.amdhsa_exception_fp_ieee_overflow 0
		.amdhsa_exception_fp_ieee_underflow 0
		.amdhsa_exception_fp_ieee_inexact 0
		.amdhsa_exception_int_div_zero 0
	.end_amdhsa_kernel
	.section	.text._ZN12_GLOBAL__N_120geam_ex_scale_kernelILi32ELi32EddPKdPdEEviiT2_T3_lilT4_lil,"axG",@progbits,_ZN12_GLOBAL__N_120geam_ex_scale_kernelILi32ELi32EddPKdPdEEviiT2_T3_lilT4_lil,comdat
.Lfunc_end153:
	.size	_ZN12_GLOBAL__N_120geam_ex_scale_kernelILi32ELi32EddPKdPdEEviiT2_T3_lilT4_lil, .Lfunc_end153-_ZN12_GLOBAL__N_120geam_ex_scale_kernelILi32ELi32EddPKdPdEEviiT2_T3_lilT4_lil
                                        ; -- End function
	.set _ZN12_GLOBAL__N_120geam_ex_scale_kernelILi32ELi32EddPKdPdEEviiT2_T3_lilT4_lil.num_vgpr, 10
	.set _ZN12_GLOBAL__N_120geam_ex_scale_kernelILi32ELi32EddPKdPdEEviiT2_T3_lilT4_lil.num_agpr, 0
	.set _ZN12_GLOBAL__N_120geam_ex_scale_kernelILi32ELi32EddPKdPdEEviiT2_T3_lilT4_lil.numbered_sgpr, 21
	.set _ZN12_GLOBAL__N_120geam_ex_scale_kernelILi32ELi32EddPKdPdEEviiT2_T3_lilT4_lil.num_named_barrier, 0
	.set _ZN12_GLOBAL__N_120geam_ex_scale_kernelILi32ELi32EddPKdPdEEviiT2_T3_lilT4_lil.private_seg_size, 0
	.set _ZN12_GLOBAL__N_120geam_ex_scale_kernelILi32ELi32EddPKdPdEEviiT2_T3_lilT4_lil.uses_vcc, 1
	.set _ZN12_GLOBAL__N_120geam_ex_scale_kernelILi32ELi32EddPKdPdEEviiT2_T3_lilT4_lil.uses_flat_scratch, 0
	.set _ZN12_GLOBAL__N_120geam_ex_scale_kernelILi32ELi32EddPKdPdEEviiT2_T3_lilT4_lil.has_dyn_sized_stack, 0
	.set _ZN12_GLOBAL__N_120geam_ex_scale_kernelILi32ELi32EddPKdPdEEviiT2_T3_lilT4_lil.has_recursion, 0
	.set _ZN12_GLOBAL__N_120geam_ex_scale_kernelILi32ELi32EddPKdPdEEviiT2_T3_lilT4_lil.has_indirect_call, 0
	.section	.AMDGPU.csdata,"",@progbits
; Kernel info:
; codeLenInByte = 512
; TotalNumSgprs: 27
; NumVgprs: 10
; NumAgprs: 0
; TotalNumVgprs: 10
; ScratchSize: 0
; MemoryBound: 0
; FloatMode: 240
; IeeeMode: 1
; LDSByteSize: 0 bytes/workgroup (compile time only)
; SGPRBlocks: 3
; VGPRBlocks: 1
; NumSGPRsForWavesPerEU: 27
; NumVGPRsForWavesPerEU: 10
; AccumOffset: 12
; Occupancy: 8
; WaveLimiterHint : 0
; COMPUTE_PGM_RSRC2:SCRATCH_EN: 0
; COMPUTE_PGM_RSRC2:USER_SGPR: 2
; COMPUTE_PGM_RSRC2:TRAP_HANDLER: 0
; COMPUTE_PGM_RSRC2:TGID_X_EN: 1
; COMPUTE_PGM_RSRC2:TGID_Y_EN: 0
; COMPUTE_PGM_RSRC2:TGID_Z_EN: 1
; COMPUTE_PGM_RSRC2:TIDIG_COMP_CNT: 1
; COMPUTE_PGM_RSRC3_GFX90A:ACCUM_OFFSET: 2
; COMPUTE_PGM_RSRC3_GFX90A:TG_SPLIT: 0
	.section	.text._ZN12_GLOBAL__N_120geam_ex_scale_kernelILi32ELi32EdPKdS2_PdEEviiT2_T3_lilT4_lil,"axG",@progbits,_ZN12_GLOBAL__N_120geam_ex_scale_kernelILi32ELi32EdPKdS2_PdEEviiT2_T3_lilT4_lil,comdat
	.globl	_ZN12_GLOBAL__N_120geam_ex_scale_kernelILi32ELi32EdPKdS2_PdEEviiT2_T3_lilT4_lil ; -- Begin function _ZN12_GLOBAL__N_120geam_ex_scale_kernelILi32ELi32EdPKdS2_PdEEviiT2_T3_lilT4_lil
	.p2align	8
	.type	_ZN12_GLOBAL__N_120geam_ex_scale_kernelILi32ELi32EdPKdS2_PdEEviiT2_T3_lilT4_lil,@function
_ZN12_GLOBAL__N_120geam_ex_scale_kernelILi32ELi32EdPKdS2_PdEEviiT2_T3_lilT4_lil: ; @_ZN12_GLOBAL__N_120geam_ex_scale_kernelILi32ELi32EdPKdS2_PdEEviiT2_T3_lilT4_lil
; %bb.0:
	s_load_dwordx4 s[8:11], s[0:1], 0x8
	s_load_dwordx4 s[4:7], s[0:1], 0x28
	s_waitcnt lgkmcnt(0)
	s_load_dwordx2 s[14:15], s[8:9], 0x0
	s_load_dwordx2 s[12:13], s[0:1], 0x38
	s_mov_b64 s[8:9], 0
	s_waitcnt lgkmcnt(0)
	v_cmp_eq_f64_e64 s[16:17], s[14:15], 0
	s_and_b64 vcc, exec, s[16:17]
	s_cbranch_vccnz .LBB154_2
; %bb.1:
	s_load_dwordx2 s[8:9], s[0:1], 0x18
	s_mul_i32 s5, s5, s3
	s_mul_hi_u32 s18, s4, s3
	s_add_i32 s5, s18, s5
	s_mul_i32 s4, s4, s3
	s_lshl_b64 s[4:5], s[4:5], 3
	s_add_u32 s10, s10, s4
	s_addc_u32 s11, s11, s5
	s_waitcnt lgkmcnt(0)
	s_lshl_b64 s[4:5], s[8:9], 3
	s_add_u32 s8, s10, s4
	s_addc_u32 s9, s11, s5
.LBB154_2:
	s_load_dwordx2 s[4:5], s[0:1], 0x0
	v_and_b32_e32 v2, 0x3ff, v0
	v_bfe_u32 v0, v0, 10, 10
	s_waitcnt lgkmcnt(0)
	s_add_i32 s10, s4, -1
	s_ashr_i32 s11, s10, 31
	s_lshr_b32 s11, s11, 27
	s_add_i32 s10, s10, s11
	s_ashr_i32 s10, s10, 5
	s_add_i32 s11, s10, 1
	v_cvt_f32_u32_e32 v1, s11
	s_not_b32 s10, s10
	v_rcp_iflag_f32_e32 v1, v1
	s_nop 0
	v_mul_f32_e32 v1, 0x4f7ffffe, v1
	v_cvt_u32_f32_e32 v1, v1
	s_nop 0
	v_readfirstlane_b32 s18, v1
	s_mul_i32 s10, s10, s18
	s_mul_hi_u32 s10, s18, s10
	s_add_i32 s18, s18, s10
	s_mul_hi_u32 s10, s2, s18
	s_mul_i32 s18, s10, s11
	s_sub_i32 s18, s2, s18
	s_add_i32 s19, s10, 1
	s_sub_i32 s20, s18, s11
	s_cmp_ge_u32 s18, s11
	s_cselect_b32 s10, s19, s10
	s_cselect_b32 s18, s20, s18
	s_add_i32 s19, s10, 1
	s_cmp_ge_u32 s18, s11
	s_cselect_b32 s10, s19, s10
	s_mul_i32 s11, s10, s11
	s_sub_i32 s2, s2, s11
	v_lshl_add_u32 v4, s10, 5, v0
	v_lshl_add_u32 v0, s2, 5, v2
	v_cmp_gt_u32_e32 vcc, s4, v0
	v_cmp_gt_u32_e64 s[4:5], s5, v4
	s_and_b64 s[4:5], vcc, s[4:5]
	s_and_saveexec_b64 s[10:11], s[4:5]
	s_cbranch_execz .LBB154_8
; %bb.3:
	s_andn2_b64 vcc, exec, s[16:17]
	v_mov_b32_e32 v1, 0
	s_cbranch_vccnz .LBB154_5
; %bb.4:
	v_mov_b64_e32 v[2:3], 0
	s_cbranch_execz .LBB154_6
	s_branch .LBB154_7
.LBB154_5:
	v_mov_b64_e32 v[2:3], 0
.LBB154_6:
	s_load_dword s2, s[0:1], 0x20
	s_waitcnt lgkmcnt(0)
	v_mad_u64_u32 v[2:3], s[4:5], v4, s2, 0
	s_ashr_i32 s10, s2, 31
	v_mov_b32_e32 v6, v3
	v_mad_u64_u32 v[6:7], s[4:5], v4, s10, v[6:7]
	v_mov_b32_e32 v3, v6
	v_lshl_add_u64 v[2:3], v[2:3], 3, s[8:9]
	v_lshl_add_u64 v[2:3], v[0:1], 3, v[2:3]
	global_load_dwordx2 v[2:3], v[2:3], off
	s_waitcnt vmcnt(0)
	v_mul_f64 v[2:3], s[14:15], v[2:3]
.LBB154_7:
	s_load_dwordx2 s[4:5], s[0:1], 0x48
	s_load_dword s2, s[0:1], 0x40
	s_waitcnt lgkmcnt(0)
	s_mul_i32 s1, s5, s3
	s_mul_hi_u32 s5, s4, s3
	s_mul_i32 s0, s4, s3
	s_add_i32 s1, s5, s1
	s_lshl_b64 s[0:1], s[0:1], 3
	s_add_u32 s3, s6, s0
	s_addc_u32 s4, s7, s1
	s_lshl_b64 s[0:1], s[12:13], 3
	s_add_u32 s0, s3, s0
	s_addc_u32 s1, s4, s1
	s_ashr_i32 s4, s2, 31
	v_mad_u64_u32 v[6:7], s[2:3], v4, s2, 0
	v_mov_b32_e32 v8, v7
	v_mad_u64_u32 v[4:5], s[2:3], v4, s4, v[8:9]
	v_mov_b32_e32 v7, v4
	v_lshl_add_u64 v[4:5], v[6:7], 3, s[0:1]
	v_lshl_add_u64 v[0:1], v[0:1], 3, v[4:5]
	global_store_dwordx2 v[0:1], v[2:3], off
.LBB154_8:
	s_endpgm
	.section	.rodata,"a",@progbits
	.p2align	6, 0x0
	.amdhsa_kernel _ZN12_GLOBAL__N_120geam_ex_scale_kernelILi32ELi32EdPKdS2_PdEEviiT2_T3_lilT4_lil
		.amdhsa_group_segment_fixed_size 0
		.amdhsa_private_segment_fixed_size 0
		.amdhsa_kernarg_size 80
		.amdhsa_user_sgpr_count 2
		.amdhsa_user_sgpr_dispatch_ptr 0
		.amdhsa_user_sgpr_queue_ptr 0
		.amdhsa_user_sgpr_kernarg_segment_ptr 1
		.amdhsa_user_sgpr_dispatch_id 0
		.amdhsa_user_sgpr_kernarg_preload_length 0
		.amdhsa_user_sgpr_kernarg_preload_offset 0
		.amdhsa_user_sgpr_private_segment_size 0
		.amdhsa_uses_dynamic_stack 0
		.amdhsa_enable_private_segment 0
		.amdhsa_system_sgpr_workgroup_id_x 1
		.amdhsa_system_sgpr_workgroup_id_y 0
		.amdhsa_system_sgpr_workgroup_id_z 1
		.amdhsa_system_sgpr_workgroup_info 0
		.amdhsa_system_vgpr_workitem_id 1
		.amdhsa_next_free_vgpr 10
		.amdhsa_next_free_sgpr 21
		.amdhsa_accum_offset 12
		.amdhsa_reserve_vcc 1
		.amdhsa_float_round_mode_32 0
		.amdhsa_float_round_mode_16_64 0
		.amdhsa_float_denorm_mode_32 3
		.amdhsa_float_denorm_mode_16_64 3
		.amdhsa_dx10_clamp 1
		.amdhsa_ieee_mode 1
		.amdhsa_fp16_overflow 0
		.amdhsa_tg_split 0
		.amdhsa_exception_fp_ieee_invalid_op 0
		.amdhsa_exception_fp_denorm_src 0
		.amdhsa_exception_fp_ieee_div_zero 0
		.amdhsa_exception_fp_ieee_overflow 0
		.amdhsa_exception_fp_ieee_underflow 0
		.amdhsa_exception_fp_ieee_inexact 0
		.amdhsa_exception_int_div_zero 0
	.end_amdhsa_kernel
	.section	.text._ZN12_GLOBAL__N_120geam_ex_scale_kernelILi32ELi32EdPKdS2_PdEEviiT2_T3_lilT4_lil,"axG",@progbits,_ZN12_GLOBAL__N_120geam_ex_scale_kernelILi32ELi32EdPKdS2_PdEEviiT2_T3_lilT4_lil,comdat
.Lfunc_end154:
	.size	_ZN12_GLOBAL__N_120geam_ex_scale_kernelILi32ELi32EdPKdS2_PdEEviiT2_T3_lilT4_lil, .Lfunc_end154-_ZN12_GLOBAL__N_120geam_ex_scale_kernelILi32ELi32EdPKdS2_PdEEviiT2_T3_lilT4_lil
                                        ; -- End function
	.set _ZN12_GLOBAL__N_120geam_ex_scale_kernelILi32ELi32EdPKdS2_PdEEviiT2_T3_lilT4_lil.num_vgpr, 10
	.set _ZN12_GLOBAL__N_120geam_ex_scale_kernelILi32ELi32EdPKdS2_PdEEviiT2_T3_lilT4_lil.num_agpr, 0
	.set _ZN12_GLOBAL__N_120geam_ex_scale_kernelILi32ELi32EdPKdS2_PdEEviiT2_T3_lilT4_lil.numbered_sgpr, 21
	.set _ZN12_GLOBAL__N_120geam_ex_scale_kernelILi32ELi32EdPKdS2_PdEEviiT2_T3_lilT4_lil.num_named_barrier, 0
	.set _ZN12_GLOBAL__N_120geam_ex_scale_kernelILi32ELi32EdPKdS2_PdEEviiT2_T3_lilT4_lil.private_seg_size, 0
	.set _ZN12_GLOBAL__N_120geam_ex_scale_kernelILi32ELi32EdPKdS2_PdEEviiT2_T3_lilT4_lil.uses_vcc, 1
	.set _ZN12_GLOBAL__N_120geam_ex_scale_kernelILi32ELi32EdPKdS2_PdEEviiT2_T3_lilT4_lil.uses_flat_scratch, 0
	.set _ZN12_GLOBAL__N_120geam_ex_scale_kernelILi32ELi32EdPKdS2_PdEEviiT2_T3_lilT4_lil.has_dyn_sized_stack, 0
	.set _ZN12_GLOBAL__N_120geam_ex_scale_kernelILi32ELi32EdPKdS2_PdEEviiT2_T3_lilT4_lil.has_recursion, 0
	.set _ZN12_GLOBAL__N_120geam_ex_scale_kernelILi32ELi32EdPKdS2_PdEEviiT2_T3_lilT4_lil.has_indirect_call, 0
	.section	.AMDGPU.csdata,"",@progbits
; Kernel info:
; codeLenInByte = 524
; TotalNumSgprs: 27
; NumVgprs: 10
; NumAgprs: 0
; TotalNumVgprs: 10
; ScratchSize: 0
; MemoryBound: 0
; FloatMode: 240
; IeeeMode: 1
; LDSByteSize: 0 bytes/workgroup (compile time only)
; SGPRBlocks: 3
; VGPRBlocks: 1
; NumSGPRsForWavesPerEU: 27
; NumVGPRsForWavesPerEU: 10
; AccumOffset: 12
; Occupancy: 8
; WaveLimiterHint : 0
; COMPUTE_PGM_RSRC2:SCRATCH_EN: 0
; COMPUTE_PGM_RSRC2:USER_SGPR: 2
; COMPUTE_PGM_RSRC2:TRAP_HANDLER: 0
; COMPUTE_PGM_RSRC2:TGID_X_EN: 1
; COMPUTE_PGM_RSRC2:TGID_Y_EN: 0
; COMPUTE_PGM_RSRC2:TGID_Z_EN: 1
; COMPUTE_PGM_RSRC2:TIDIG_COMP_CNT: 1
; COMPUTE_PGM_RSRC3_GFX90A:ACCUM_OFFSET: 2
; COMPUTE_PGM_RSRC3_GFX90A:TG_SPLIT: 0
	.section	.text._ZN12_GLOBAL__N_120geam_ex_round_kernelILi32ELi32EddPKdPdEEviiT2_T3_lilT4_lil,"axG",@progbits,_ZN12_GLOBAL__N_120geam_ex_round_kernelILi32ELi32EddPKdPdEEviiT2_T3_lilT4_lil,comdat
	.globl	_ZN12_GLOBAL__N_120geam_ex_round_kernelILi32ELi32EddPKdPdEEviiT2_T3_lilT4_lil ; -- Begin function _ZN12_GLOBAL__N_120geam_ex_round_kernelILi32ELi32EddPKdPdEEviiT2_T3_lilT4_lil
	.p2align	8
	.type	_ZN12_GLOBAL__N_120geam_ex_round_kernelILi32ELi32EddPKdPdEEviiT2_T3_lilT4_lil,@function
_ZN12_GLOBAL__N_120geam_ex_round_kernelILi32ELi32EddPKdPdEEviiT2_T3_lilT4_lil: ; @_ZN12_GLOBAL__N_120geam_ex_round_kernelILi32ELi32EddPKdPdEEviiT2_T3_lilT4_lil
; %bb.0:
	s_load_dwordx4 s[8:11], s[0:1], 0x8
	s_load_dwordx4 s[4:7], s[0:1], 0x28
	s_load_dwordx2 s[12:13], s[0:1], 0x38
	s_mov_b64 s[14:15], 0
	s_waitcnt lgkmcnt(0)
	v_cmp_eq_f64_e64 s[16:17], s[8:9], 0
	s_and_b64 vcc, exec, s[16:17]
	s_cbranch_vccnz .LBB155_2
; %bb.1:
	s_load_dwordx2 s[14:15], s[0:1], 0x18
	s_mul_i32 s5, s5, s3
	s_mul_hi_u32 s18, s4, s3
	s_add_i32 s5, s18, s5
	s_mul_i32 s4, s4, s3
	s_lshl_b64 s[4:5], s[4:5], 3
	s_add_u32 s10, s10, s4
	s_addc_u32 s11, s11, s5
	s_waitcnt lgkmcnt(0)
	s_lshl_b64 s[4:5], s[14:15], 3
	s_add_u32 s14, s10, s4
	s_addc_u32 s15, s11, s5
.LBB155_2:
	s_load_dwordx2 s[4:5], s[0:1], 0x0
	v_and_b32_e32 v3, 0x3ff, v0
	v_bfe_u32 v0, v0, 10, 10
	s_waitcnt lgkmcnt(0)
	s_add_i32 s10, s4, -1
	s_ashr_i32 s11, s10, 31
	s_lshr_b32 s11, s11, 27
	s_add_i32 s10, s10, s11
	s_ashr_i32 s10, s10, 5
	s_add_i32 s11, s10, 1
	v_cvt_f32_u32_e32 v1, s11
	s_not_b32 s10, s10
	v_rcp_iflag_f32_e32 v1, v1
	s_nop 0
	v_mul_f32_e32 v1, 0x4f7ffffe, v1
	v_cvt_u32_f32_e32 v1, v1
	s_nop 0
	v_readfirstlane_b32 s18, v1
	s_mul_i32 s10, s10, s18
	s_mul_hi_u32 s10, s18, s10
	s_add_i32 s18, s18, s10
	s_mul_hi_u32 s10, s2, s18
	s_mul_i32 s18, s10, s11
	s_sub_i32 s18, s2, s18
	s_add_i32 s19, s10, 1
	s_sub_i32 s20, s18, s11
	s_cmp_ge_u32 s18, s11
	s_cselect_b32 s10, s19, s10
	s_cselect_b32 s18, s20, s18
	s_add_i32 s19, s10, 1
	s_cmp_ge_u32 s18, s11
	s_cselect_b32 s10, s19, s10
	s_mul_i32 s11, s10, s11
	s_sub_i32 s2, s2, s11
	v_lshl_add_u32 v2, s10, 5, v0
	v_lshl_add_u32 v0, s2, 5, v3
	v_cmp_gt_u32_e32 vcc, s4, v0
	v_cmp_gt_u32_e64 s[4:5], s5, v2
	s_and_b64 s[4:5], vcc, s[4:5]
	s_and_saveexec_b64 s[10:11], s[4:5]
	s_cbranch_execz .LBB155_8
; %bb.3:
	s_andn2_b64 vcc, exec, s[16:17]
	v_mov_b32_e32 v1, 0
	s_cbranch_vccnz .LBB155_5
; %bb.4:
	v_mov_b64_e32 v[4:5], 0
	s_cbranch_execz .LBB155_6
	s_branch .LBB155_7
.LBB155_5:
	v_mov_b64_e32 v[4:5], 0
.LBB155_6:
	s_load_dword s2, s[0:1], 0x20
	s_waitcnt lgkmcnt(0)
	v_mad_u64_u32 v[4:5], s[4:5], v2, s2, 0
	s_ashr_i32 s10, s2, 31
	v_mov_b32_e32 v6, v5
	v_mad_u64_u32 v[6:7], s[4:5], v2, s10, v[6:7]
	v_mov_b32_e32 v5, v6
	v_lshl_add_u64 v[4:5], v[4:5], 3, s[14:15]
	v_lshl_add_u64 v[4:5], v[0:1], 3, v[4:5]
	global_load_dwordx2 v[4:5], v[4:5], off
	s_waitcnt vmcnt(0)
	v_mul_f64 v[4:5], s[8:9], v[4:5]
.LBB155_7:
	s_load_dwordx2 s[4:5], s[0:1], 0x48
	s_load_dword s2, s[0:1], 0x40
	v_cmp_nlt_f64_e32 vcc, 0, v[4:5]
	s_waitcnt lgkmcnt(0)
	s_mul_i32 s1, s5, s3
	s_mul_hi_u32 s5, s4, s3
	s_mul_i32 s0, s4, s3
	s_add_i32 s1, s5, s1
	s_lshl_b64 s[0:1], s[0:1], 3
	s_add_u32 s3, s6, s0
	s_addc_u32 s4, s7, s1
	s_lshl_b64 s[0:1], s[12:13], 3
	s_add_u32 s0, s3, s0
	s_addc_u32 s1, s4, s1
	s_ashr_i32 s4, s2, 31
	v_mad_u64_u32 v[6:7], s[2:3], v2, s2, 0
	v_mov_b32_e32 v8, v7
	v_mad_u64_u32 v[2:3], s[2:3], v2, s4, v[8:9]
	v_mov_b32_e32 v7, v2
	v_lshl_add_u64 v[2:3], v[6:7], 3, s[0:1]
	v_lshl_add_u64 v[0:1], v[0:1], 3, v[2:3]
	v_cndmask_b32_e32 v3, 0, v5, vcc
	v_cndmask_b32_e32 v2, 0, v4, vcc
	global_store_dwordx2 v[0:1], v[2:3], off
.LBB155_8:
	s_endpgm
	.section	.rodata,"a",@progbits
	.p2align	6, 0x0
	.amdhsa_kernel _ZN12_GLOBAL__N_120geam_ex_round_kernelILi32ELi32EddPKdPdEEviiT2_T3_lilT4_lil
		.amdhsa_group_segment_fixed_size 0
		.amdhsa_private_segment_fixed_size 0
		.amdhsa_kernarg_size 80
		.amdhsa_user_sgpr_count 2
		.amdhsa_user_sgpr_dispatch_ptr 0
		.amdhsa_user_sgpr_queue_ptr 0
		.amdhsa_user_sgpr_kernarg_segment_ptr 1
		.amdhsa_user_sgpr_dispatch_id 0
		.amdhsa_user_sgpr_kernarg_preload_length 0
		.amdhsa_user_sgpr_kernarg_preload_offset 0
		.amdhsa_user_sgpr_private_segment_size 0
		.amdhsa_uses_dynamic_stack 0
		.amdhsa_enable_private_segment 0
		.amdhsa_system_sgpr_workgroup_id_x 1
		.amdhsa_system_sgpr_workgroup_id_y 0
		.amdhsa_system_sgpr_workgroup_id_z 1
		.amdhsa_system_sgpr_workgroup_info 0
		.amdhsa_system_vgpr_workitem_id 1
		.amdhsa_next_free_vgpr 10
		.amdhsa_next_free_sgpr 21
		.amdhsa_accum_offset 12
		.amdhsa_reserve_vcc 1
		.amdhsa_float_round_mode_32 0
		.amdhsa_float_round_mode_16_64 0
		.amdhsa_float_denorm_mode_32 3
		.amdhsa_float_denorm_mode_16_64 3
		.amdhsa_dx10_clamp 1
		.amdhsa_ieee_mode 1
		.amdhsa_fp16_overflow 0
		.amdhsa_tg_split 0
		.amdhsa_exception_fp_ieee_invalid_op 0
		.amdhsa_exception_fp_denorm_src 0
		.amdhsa_exception_fp_ieee_div_zero 0
		.amdhsa_exception_fp_ieee_overflow 0
		.amdhsa_exception_fp_ieee_underflow 0
		.amdhsa_exception_fp_ieee_inexact 0
		.amdhsa_exception_int_div_zero 0
	.end_amdhsa_kernel
	.section	.text._ZN12_GLOBAL__N_120geam_ex_round_kernelILi32ELi32EddPKdPdEEviiT2_T3_lilT4_lil,"axG",@progbits,_ZN12_GLOBAL__N_120geam_ex_round_kernelILi32ELi32EddPKdPdEEviiT2_T3_lilT4_lil,comdat
.Lfunc_end155:
	.size	_ZN12_GLOBAL__N_120geam_ex_round_kernelILi32ELi32EddPKdPdEEviiT2_T3_lilT4_lil, .Lfunc_end155-_ZN12_GLOBAL__N_120geam_ex_round_kernelILi32ELi32EddPKdPdEEviiT2_T3_lilT4_lil
                                        ; -- End function
	.set _ZN12_GLOBAL__N_120geam_ex_round_kernelILi32ELi32EddPKdPdEEviiT2_T3_lilT4_lil.num_vgpr, 10
	.set _ZN12_GLOBAL__N_120geam_ex_round_kernelILi32ELi32EddPKdPdEEviiT2_T3_lilT4_lil.num_agpr, 0
	.set _ZN12_GLOBAL__N_120geam_ex_round_kernelILi32ELi32EddPKdPdEEviiT2_T3_lilT4_lil.numbered_sgpr, 21
	.set _ZN12_GLOBAL__N_120geam_ex_round_kernelILi32ELi32EddPKdPdEEviiT2_T3_lilT4_lil.num_named_barrier, 0
	.set _ZN12_GLOBAL__N_120geam_ex_round_kernelILi32ELi32EddPKdPdEEviiT2_T3_lilT4_lil.private_seg_size, 0
	.set _ZN12_GLOBAL__N_120geam_ex_round_kernelILi32ELi32EddPKdPdEEviiT2_T3_lilT4_lil.uses_vcc, 1
	.set _ZN12_GLOBAL__N_120geam_ex_round_kernelILi32ELi32EddPKdPdEEviiT2_T3_lilT4_lil.uses_flat_scratch, 0
	.set _ZN12_GLOBAL__N_120geam_ex_round_kernelILi32ELi32EddPKdPdEEviiT2_T3_lilT4_lil.has_dyn_sized_stack, 0
	.set _ZN12_GLOBAL__N_120geam_ex_round_kernelILi32ELi32EddPKdPdEEviiT2_T3_lilT4_lil.has_recursion, 0
	.set _ZN12_GLOBAL__N_120geam_ex_round_kernelILi32ELi32EddPKdPdEEviiT2_T3_lilT4_lil.has_indirect_call, 0
	.section	.AMDGPU.csdata,"",@progbits
; Kernel info:
; codeLenInByte = 524
; TotalNumSgprs: 27
; NumVgprs: 10
; NumAgprs: 0
; TotalNumVgprs: 10
; ScratchSize: 0
; MemoryBound: 0
; FloatMode: 240
; IeeeMode: 1
; LDSByteSize: 0 bytes/workgroup (compile time only)
; SGPRBlocks: 3
; VGPRBlocks: 1
; NumSGPRsForWavesPerEU: 27
; NumVGPRsForWavesPerEU: 10
; AccumOffset: 12
; Occupancy: 8
; WaveLimiterHint : 0
; COMPUTE_PGM_RSRC2:SCRATCH_EN: 0
; COMPUTE_PGM_RSRC2:USER_SGPR: 2
; COMPUTE_PGM_RSRC2:TRAP_HANDLER: 0
; COMPUTE_PGM_RSRC2:TGID_X_EN: 1
; COMPUTE_PGM_RSRC2:TGID_Y_EN: 0
; COMPUTE_PGM_RSRC2:TGID_Z_EN: 1
; COMPUTE_PGM_RSRC2:TIDIG_COMP_CNT: 1
; COMPUTE_PGM_RSRC3_GFX90A:ACCUM_OFFSET: 2
; COMPUTE_PGM_RSRC3_GFX90A:TG_SPLIT: 0
	.section	.text._ZN12_GLOBAL__N_120geam_min_plus_kernelId15HIP_vector_typeIdLj2EEdLi32ELi8ELi256ELi64ELi4ELi64ELi4ELi4ELi64ELc78ELc78ELb0ELb0ELb1EPKdS3_dEEviiiT16_PT17_ilS7_ilS5_S7_ilPT18_ili26rocblas_geam_ex_operation_,"axG",@progbits,_ZN12_GLOBAL__N_120geam_min_plus_kernelId15HIP_vector_typeIdLj2EEdLi32ELi8ELi256ELi64ELi4ELi64ELi4ELi4ELi64ELc78ELc78ELb0ELb0ELb1EPKdS3_dEEviiiT16_PT17_ilS7_ilS5_S7_ilPT18_ili26rocblas_geam_ex_operation_,comdat
	.globl	_ZN12_GLOBAL__N_120geam_min_plus_kernelId15HIP_vector_typeIdLj2EEdLi32ELi8ELi256ELi64ELi4ELi64ELi4ELi4ELi64ELc78ELc78ELb0ELb0ELb1EPKdS3_dEEviiiT16_PT17_ilS7_ilS5_S7_ilPT18_ili26rocblas_geam_ex_operation_ ; -- Begin function _ZN12_GLOBAL__N_120geam_min_plus_kernelId15HIP_vector_typeIdLj2EEdLi32ELi8ELi256ELi64ELi4ELi64ELi4ELi4ELi64ELc78ELc78ELb0ELb0ELb1EPKdS3_dEEviiiT16_PT17_ilS7_ilS5_S7_ilPT18_ili26rocblas_geam_ex_operation_
	.p2align	8
	.type	_ZN12_GLOBAL__N_120geam_min_plus_kernelId15HIP_vector_typeIdLj2EEdLi32ELi8ELi256ELi64ELi4ELi64ELi4ELi4ELi64ELc78ELc78ELb0ELb0ELb1EPKdS3_dEEviiiT16_PT17_ilS7_ilS5_S7_ilPT18_ili26rocblas_geam_ex_operation_,@function
_ZN12_GLOBAL__N_120geam_min_plus_kernelId15HIP_vector_typeIdLj2EEdLi32ELi8ELi256ELi64ELi4ELi64ELi4ELi4ELi64ELc78ELc78ELb0ELb0ELb1EPKdS3_dEEviiiT16_PT17_ilS7_ilS5_S7_ilPT18_ili26rocblas_geam_ex_operation_: ; @_ZN12_GLOBAL__N_120geam_min_plus_kernelId15HIP_vector_typeIdLj2EEdLi32ELi8ELi256ELi64ELi4ELi64ELi4ELi4ELi64ELc78ELc78ELb0ELb0ELb1EPKdS3_dEEviiiT16_PT17_ilS7_ilS5_S7_ilPT18_ili26rocblas_geam_ex_operation_
; %bb.0:
	s_load_dwordx4 s[4:7], s[0:1], 0x10
	s_load_dwordx4 s[8:11], s[0:1], 0x28
	s_load_dwordx4 s[12:15], s[0:1], 0x40
	s_mov_b32 s18, s3
	s_mov_b32 s19, 0
	s_lshl_b64 s[16:17], s[18:19], 3
	s_waitcnt lgkmcnt(0)
	s_add_u32 s4, s4, s16
	s_addc_u32 s5, s5, s17
	s_load_dwordx2 s[20:21], s[4:5], 0x0
	s_load_dwordx2 s[26:27], s[0:1], 0x50
	s_add_u32 s14, s14, s16
	s_addc_u32 s15, s15, s17
	s_mov_b64 s[24:25], 0
	s_waitcnt lgkmcnt(0)
	v_cmp_eq_f64_e64 s[4:5], s[20:21], 0
	s_and_b64 s[4:5], exec, s[4:5]
	v_cmp_neq_f64_e64 s[28:29], s[20:21], 0
	s_mov_b64 s[22:23], 0
	s_mov_b64 vcc, s[4:5]
	s_cbranch_vccnz .LBB156_2
; %bb.1:
	s_mul_i32 s3, s9, s18
	s_mul_hi_u32 s9, s8, s18
	s_add_i32 s9, s9, s3
	s_mul_i32 s8, s8, s18
	s_lshl_b64 s[8:9], s[8:9], 3
	s_add_u32 s22, s6, s8
	s_addc_u32 s23, s7, s9
.LBB156_2:
	s_load_dwordx2 s[16:17], s[14:15], 0x0
	v_cndmask_b32_e64 v1, 0, 1, s[28:29]
	v_cmp_ne_u32_e64 s[6:7], 1, v1
	s_andn2_b64 vcc, exec, s[28:29]
	s_cbranch_vccnz .LBB156_4
; %bb.3:
	s_mul_i32 s3, s13, s18
	s_mul_hi_u32 s8, s12, s18
	s_add_i32 s9, s8, s3
	s_mul_i32 s8, s12, s18
	s_lshl_b64 s[8:9], s[8:9], 3
	s_add_u32 s24, s10, s8
	s_addc_u32 s25, s11, s9
.LBB156_4:
	s_load_dwordx4 s[12:15], s[0:1], 0x60
	s_waitcnt lgkmcnt(0)
	v_cmp_eq_f64_e64 s[8:9], s[16:17], 0
	s_and_b64 s[8:9], exec, s[8:9]
	s_mov_b64 s[10:11], 0
	s_mov_b64 vcc, s[8:9]
	s_cbranch_vccnz .LBB156_6
; %bb.5:
	s_mul_i32 s3, s13, s18
	s_mul_hi_u32 s10, s12, s18
	s_add_i32 s11, s10, s3
	s_mul_i32 s10, s12, s18
	s_lshl_b64 s[10:11], s[10:11], 3
	s_add_u32 s10, s26, s10
	s_addc_u32 s11, s27, s11
.LBB156_6:
	s_load_dword s3, s[0:1], 0x0
	s_load_dword s12, s[0:1], 0x20
	v_and_b32_e32 v152, 0x3ff, v0
	v_bfe_u32 v153, v0, 10, 10
	v_lshl_add_u32 v14, v153, 5, v152
	s_waitcnt lgkmcnt(0)
	s_add_i32 s3, s3, -1
	s_ashr_i32 s13, s3, 31
	s_lshr_b32 s13, s13, 24
	s_add_i32 s3, s3, s13
	s_ashr_i32 s3, s3, 8
	s_add_i32 s13, s3, 1
	v_cvt_f32_u32_e32 v1, s13
	s_not_b32 s3, s3
	v_lshrrev_b32_e32 v112, 6, v14
	v_and_b32_e32 v113, 63, v14
	v_rcp_iflag_f32_e32 v0, v1
	s_nop 0
	v_mul_f32_e32 v0, 0x4f7ffffe, v0
	v_cvt_u32_f32_e32 v2, v0
	v_mad_i64_i32 v[0:1], s[26:27], s12, v112, 0
	v_lshl_add_u64 v[12:13], v[0:1], 3, s[22:23]
	v_readfirstlane_b32 s19, v2
	s_mul_i32 s3, s3, s19
	s_mul_hi_u32 s3, s19, s3
	s_add_i32 s19, s19, s3
	s_mul_hi_u32 s3, s2, s19
	s_mul_i32 s19, s3, s13
	s_sub_i32 s19, s2, s19
	s_add_i32 s26, s3, 1
	s_sub_i32 s27, s19, s13
	s_cmp_ge_u32 s19, s13
	s_cselect_b32 s3, s26, s3
	s_cselect_b32 s19, s27, s19
	s_add_i32 s26, s3, 1
	s_cmp_ge_u32 s19, s13
	s_cselect_b32 s28, s26, s3
	s_mul_i32 s3, s28, s13
	s_sub_i32 s13, s2, s3
	s_lshl_b32 s19, s13, 8
	v_or_b32_e32 v4, s19, v113
	s_and_b64 vcc, exec, s[6:7]
	v_ashrrev_i32_e32 v5, 31, v4
	s_cbranch_vccnz .LBB156_9
; %bb.7:
	v_lshl_add_u64 v[0:1], v[4:5], 3, v[12:13]
	global_load_dwordx2 v[2:3], v[0:1], off
	global_load_dwordx2 v[6:7], v[0:1], off offset:512
	s_waitcnt vmcnt(1)
	v_mul_f64 v[2:3], s[20:21], v[2:3]
	s_waitcnt vmcnt(0)
	v_mul_f64 v[0:1], s[20:21], v[6:7]
	s_ashr_i32 s13, s12, 31
	s_mov_b64 vcc, s[4:5]
	s_cbranch_vccz .LBB156_10
.LBB156_8:
	s_mov_b32 s26, 0
	v_mov_b32_e32 v6, s26
	v_mov_b32_e32 v7, s26
	v_mov_b64_e32 v[8:9], 0
	v_mov_b64_e32 v[10:11], 0
	s_cbranch_execz .LBB156_11
	s_branch .LBB156_12
.LBB156_9:
	v_mov_b64_e32 v[0:1], 0
	v_mov_b64_e32 v[2:3], v[0:1]
	s_ashr_i32 s13, s12, 31
	s_mov_b64 vcc, s[4:5]
	s_cbranch_vccnz .LBB156_8
.LBB156_10:
                                        ; implicit-def: $vgpr6_vgpr7
	v_mov_b64_e32 v[8:9], 0
	v_mov_b64_e32 v[10:11], 0
.LBB156_11:
	v_lshl_add_u64 v[6:7], v[4:5], 3, v[12:13]
	global_load_dwordx2 v[10:11], v[6:7], off offset:1024
	global_load_dwordx2 v[12:13], v[6:7], off offset:1536
	s_waitcnt vmcnt(1)
	v_mul_f64 v[6:7], s[20:21], v[10:11]
	s_waitcnt vmcnt(0)
	v_mul_f64 v[10:11], s[20:21], v[12:13]
.LBB156_12:
	s_load_dword s29, s[0:1], 0x38
	v_and_b32_e32 v12, 3, v152
	v_lshrrev_b32_e32 v14, 2, v14
	s_lshl_b32 s28, s28, 6
	s_and_b64 vcc, exec, s[6:7]
	v_add_u32_e32 v114, s28, v14
	v_lshlrev_b32_e32 v100, 3, v12
	s_cbranch_vccnz .LBB156_14
; %bb.13:
	s_waitcnt lgkmcnt(0)
	v_mad_i64_i32 v[8:9], s[26:27], v114, s29, 0
	v_lshl_add_u64 v[8:9], v[8:9], 3, s[24:25]
	v_mov_b32_e32 v101, 0
	v_lshl_add_u64 v[8:9], v[8:9], 0, v[100:101]
	global_load_dwordx2 v[8:9], v[8:9], off
	s_waitcnt vmcnt(0)
	v_mul_f64 v[8:9], s[20:21], v[8:9]
.LBB156_14:
	v_add_u32_e32 v12, 4, v112
	v_mad_i64_i32 v[12:13], s[26:27], s12, v12, 0
	s_and_b64 vcc, exec, s[6:7]
	v_lshl_add_u64 v[12:13], v[12:13], 3, s[22:23]
	s_cbranch_vccnz .LBB156_17
; %bb.15:
	v_lshl_add_u64 v[16:17], v[4:5], 3, v[12:13]
	global_load_dwordx2 v[18:19], v[16:17], off
	global_load_dwordx2 v[20:21], v[16:17], off offset:512
	s_waitcnt vmcnt(1)
	v_mul_f64 v[106:107], s[20:21], v[18:19]
	s_waitcnt vmcnt(0)
	v_mul_f64 v[104:105], s[20:21], v[20:21]
	s_mov_b64 vcc, s[4:5]
	s_cbranch_vccz .LBB156_18
.LBB156_16:
	s_mov_b32 s26, 0
	v_mov_b32_e32 v108, s26
	v_mov_b32_e32 v109, s26
	v_mov_b64_e32 v[102:103], 0
	v_mov_b64_e32 v[110:111], 0
	s_cbranch_execz .LBB156_19
	s_branch .LBB156_20
.LBB156_17:
	v_mov_b64_e32 v[104:105], 0
	v_mov_b64_e32 v[106:107], v[104:105]
	s_mov_b64 vcc, s[4:5]
	s_cbranch_vccnz .LBB156_16
.LBB156_18:
                                        ; implicit-def: $vgpr108_vgpr109
	v_mov_b64_e32 v[102:103], 0
	v_mov_b64_e32 v[110:111], 0
.LBB156_19:
	v_lshl_add_u64 v[4:5], v[4:5], 3, v[12:13]
	global_load_dwordx2 v[12:13], v[4:5], off offset:1024
	global_load_dwordx2 v[16:17], v[4:5], off offset:1536
	s_waitcnt vmcnt(1)
	v_mul_f64 v[108:109], s[20:21], v[12:13]
	s_waitcnt vmcnt(0)
	v_mul_f64 v[110:111], s[20:21], v[16:17]
.LBB156_20:
	s_and_b64 vcc, exec, s[6:7]
	s_cbranch_vccnz .LBB156_22
; %bb.21:
	s_waitcnt lgkmcnt(0)
	v_mad_i64_i32 v[4:5], s[26:27], v114, s29, 0
	v_lshl_add_u64 v[4:5], v[4:5], 3, s[24:25]
	v_mov_b32_e32 v101, 0
	v_lshl_add_u64 v[4:5], v[4:5], 0, v[100:101]
	global_load_dwordx2 v[4:5], v[4:5], off offset:32
	s_waitcnt vmcnt(0)
	v_mul_f64 v[102:103], s[20:21], v[4:5]
.LBB156_22:
	v_lshlrev_b32_e32 v4, 5, v113
	v_lshl_add_u32 v154, v112, 3, v4
	v_lshl_or_b32 v101, v14, 5, v100
	v_lshlrev_b32_e32 v157, 5, v152
	ds_write2st64_b64 v154, v[2:3], v[0:1] offset1:4
	ds_write2st64_b64 v154, v[6:7], v[10:11] offset0:8 offset1:12
	ds_write_b64 v101, v[8:9] offset:16384
	s_waitcnt lgkmcnt(0)
	s_barrier
	v_lshlrev_b32_e32 v156, 5, v153
	ds_read_b128 v[32:35], v157 offset:1024
	ds_read_b128 v[28:31], v157 offset:2048
	;; [unrolled: 1-line block ×12, first 2 shown]
	ds_read_b128 v[40:43], v157
	ds_read_b128 v[96:99], v156 offset:16384
	ds_read_b128 v[44:47], v156 offset:17920
	;; [unrolled: 1-line block ×5, first 2 shown]
	s_waitcnt lgkmcnt(5)
	v_add_f64 v[116:117], v[42:43], v[94:95]
	v_add_f64 v[118:119], v[40:41], v[92:93]
	s_mov_b32 s27, 0x7f800000
	v_cvt_f32_f64_e32 v118, v[118:119]
	v_cvt_f32_f64_e32 v116, v[116:117]
	v_min3_f32 v176, v118, v116, s27
	v_add_f64 v[116:117], v[34:35], v[94:95]
	v_add_f64 v[118:119], v[32:33], v[92:93]
	v_cvt_f32_f64_e32 v118, v[118:119]
	v_cvt_f32_f64_e32 v116, v[116:117]
	v_min3_f32 v177, v118, v116, s27
	v_add_f64 v[116:117], v[30:31], v[94:95]
	v_add_f64 v[118:119], v[28:29], v[92:93]
	;; [unrolled: 5-line block ×34, first 2 shown]
	v_cvt_f32_f64_e32 v118, v[118:119]
	v_cvt_f32_f64_e32 v116, v[116:117]
	v_min3_f32 v122, v118, v116, s27
	s_waitcnt lgkmcnt(3)
	v_add_f64 v[116:117], v[42:43], v[46:47]
	v_add_f64 v[118:119], v[40:41], v[44:45]
	v_cvt_f32_f64_e32 v118, v[118:119]
	v_cvt_f32_f64_e32 v116, v[116:117]
	v_min3_f32 v128, v118, v116, s27
	v_add_f64 v[116:117], v[34:35], v[46:47]
	v_add_f64 v[118:119], v[32:33], v[44:45]
	v_cvt_f32_f64_e32 v118, v[118:119]
	v_cvt_f32_f64_e32 v116, v[116:117]
	v_min3_f32 v125, v118, v116, s27
	;; [unrolled: 5-line block ×3, first 2 shown]
	v_add_f64 v[116:117], v[26:27], v[46:47]
	v_add_f64 v[118:119], v[24:25], v[44:45]
	v_cvt_f32_f64_e32 v118, v[118:119]
	v_cvt_f32_f64_e32 v116, v[116:117]
	v_add_f64 v[56:57], v[42:43], v[98:99]
	v_add_f64 v[58:59], v[40:41], v[96:97]
	v_min3_f32 v121, v118, v116, s27
	v_add_f64 v[116:117], v[22:23], v[46:47]
	v_add_f64 v[118:119], v[20:21], v[44:45]
	v_cvt_f32_f64_e32 v58, v[58:59]
	v_cvt_f32_f64_e32 v56, v[56:57]
	;; [unrolled: 1-line block ×4, first 2 shown]
	v_min3_f32 v115, v58, v56, s27
	ds_read_b128 v[56:59], v157 offset:1040
	v_add_f64 v[60:61], v[34:35], v[98:99]
	v_add_f64 v[62:63], v[32:33], v[96:97]
	v_min3_f32 v119, v118, v116, s27
	v_add_f64 v[116:117], v[18:19], v[46:47]
	v_add_f64 v[168:169], v[16:17], v[44:45]
	v_cvt_f32_f64_e32 v62, v[62:63]
	v_cvt_f32_f64_e32 v60, v[60:61]
	;; [unrolled: 1-line block ×4, first 2 shown]
	v_min3_f32 v167, v62, v60, s27
	ds_read_b128 v[60:63], v157 offset:2064
	v_add_f64 v[64:65], v[30:31], v[98:99]
	v_add_f64 v[66:67], v[28:29], v[96:97]
	;; [unrolled: 1-line block ×22, first 2 shown]
	v_min3_f32 v118, v118, v116, s27
	v_add_f64 v[116:117], v[14:15], v[46:47]
	v_add_f64 v[168:169], v[12:13], v[44:45]
	;; [unrolled: 1-line block ×4, first 2 shown]
	s_waitcnt lgkmcnt(4)
	v_add_f64 v[14:15], v[14:15], v[38:39]
	v_add_f64 v[12:13], v[12:13], v[36:37]
	v_add_f64 v[10:11], v[10:11], v[38:39]
	v_add_f64 v[8:9], v[8:9], v[36:37]
	v_cvt_f32_f64_e32 v66, v[66:67]
	v_cvt_f32_f64_e32 v64, v[64:65]
	v_cvt_f32_f64_e32 v12, v[12:13]
	v_cvt_f32_f64_e32 v13, v[14:15]
	v_cvt_f32_f64_e32 v8, v[8:9]
	v_cvt_f32_f64_e32 v9, v[10:11]
	s_waitcnt lgkmcnt(2)
	v_add_f64 v[10:11], v[2:3], v[6:7]
	v_add_f64 v[14:15], v[0:1], v[4:5]
	v_min3_f32 v170, v66, v64, s27
	ds_read_b128 v[64:67], v157 offset:3088
	v_cvt_f32_f64_e32 v168, v[168:169]
	v_cvt_f32_f64_e32 v116, v[116:117]
	;; [unrolled: 1-line block ×4, first 2 shown]
	v_min3_f32 v8, v8, v9, s27
	v_cvt_f32_f64_e32 v9, v[14:15]
	v_cvt_f32_f64_e32 v10, v[10:11]
	;; [unrolled: 1-line block ×4, first 2 shown]
	v_min3_f32 v117, v168, v116, s27
	v_min3_f32 v116, v44, v45, s27
	ds_read_b128 v[44:47], v156 offset:18192
	v_min3_f32 v226, v9, v10, v115
	s_waitcnt lgkmcnt(3)
	v_add_f64 v[10:11], v[58:59], v[6:7]
	v_add_f64 v[14:15], v[56:57], v[4:5]
	v_min3_f32 v171, v70, v68, s27
	ds_read_b128 v[68:71], v157 offset:4112
	v_cvt_f32_f64_e32 v9, v[14:15]
	v_cvt_f32_f64_e32 v10, v[10:11]
	;; [unrolled: 1-line block ×4, first 2 shown]
	v_min3_f32 v224, v9, v10, v167
	s_waitcnt lgkmcnt(3)
	v_add_f64 v[10:11], v[62:63], v[6:7]
	v_add_f64 v[14:15], v[60:61], v[4:5]
	v_min3_f32 v172, v74, v72, s27
	ds_read_b128 v[72:75], v157 offset:5136
	v_cvt_f32_f64_e32 v9, v[14:15]
	v_cvt_f32_f64_e32 v10, v[10:11]
	v_cvt_f32_f64_e32 v78, v[78:79]
	v_cvt_f32_f64_e32 v76, v[76:77]
	v_cvt_f32_f64_e32 v82, v[82:83]
	v_cvt_f32_f64_e32 v80, v[80:81]
	v_min3_f32 v225, v9, v10, v170
	s_waitcnt lgkmcnt(3)
	v_add_f64 v[10:11], v[66:67], v[6:7]
	v_add_f64 v[14:15], v[64:65], v[4:5]
	v_min3_f32 v173, v78, v76, s27
	ds_read_b128 v[76:79], v157 offset:6160
	v_min3_f32 v174, v82, v80, s27
	ds_read_b128 v[80:83], v157 offset:7184
	v_cvt_f32_f64_e32 v9, v[14:15]
	v_cvt_f32_f64_e32 v10, v[10:11]
	;; [unrolled: 1-line block ×4, first 2 shown]
	v_min3_f32 v222, v9, v10, v171
	s_waitcnt lgkmcnt(3)
	v_add_f64 v[10:11], v[70:71], v[6:7]
	v_add_f64 v[14:15], v[68:69], v[4:5]
	v_min3_f32 v175, v96, v97, s27
	ds_read_b128 v[96:99], v156 offset:16656
	v_cvt_f32_f64_e32 v9, v[14:15]
	v_cvt_f32_f64_e32 v10, v[10:11]
	v_min3_f32 v223, v9, v10, v172
	s_waitcnt lgkmcnt(3)
	v_add_f64 v[10:11], v[74:75], v[6:7]
	v_add_f64 v[14:15], v[72:73], v[4:5]
	v_cvt_f32_f64_e32 v9, v[14:15]
	v_cvt_f32_f64_e32 v10, v[10:11]
	v_min3_f32 v220, v9, v10, v173
	s_waitcnt lgkmcnt(2)
	v_add_f64 v[10:11], v[78:79], v[6:7]
	v_add_f64 v[14:15], v[76:77], v[4:5]
	s_waitcnt lgkmcnt(1)
	v_add_f64 v[6:7], v[82:83], v[6:7]
	v_add_f64 v[4:5], v[80:81], v[4:5]
	v_cvt_f32_f64_e32 v92, v[92:93]
	v_cvt_f32_f64_e32 v93, v[94:95]
	;; [unrolled: 1-line block ×4, first 2 shown]
	v_min3_f32 v151, v92, v93, s27
	ds_read_b128 v[92:95], v156 offset:16912
	v_min3_f32 v215, v4, v5, v175
	s_waitcnt lgkmcnt(1)
	v_add_f64 v[4:5], v[2:3], v[98:99]
	v_add_f64 v[6:7], v[0:1], v[96:97]
	v_cvt_f32_f64_e32 v6, v[6:7]
	v_cvt_f32_f64_e32 v4, v[4:5]
	v_min3_f32 v214, v6, v4, v176
	v_add_f64 v[4:5], v[58:59], v[98:99]
	v_add_f64 v[6:7], v[56:57], v[96:97]
	v_cvt_f32_f64_e32 v6, v[6:7]
	v_cvt_f32_f64_e32 v4, v[4:5]
	v_min3_f32 v213, v6, v4, v177
	;; [unrolled: 5-line block ×8, first 2 shown]
	s_waitcnt lgkmcnt(0)
	v_add_f64 v[4:5], v[2:3], v[94:95]
	v_add_f64 v[6:7], v[0:1], v[92:93]
	v_cvt_f32_f64_e32 v6, v[6:7]
	v_cvt_f32_f64_e32 v4, v[4:5]
	v_min3_f32 v206, v6, v4, v164
	v_add_f64 v[4:5], v[58:59], v[94:95]
	v_add_f64 v[6:7], v[56:57], v[92:93]
	v_cvt_f32_f64_e32 v6, v[6:7]
	v_cvt_f32_f64_e32 v4, v[4:5]
	v_min3_f32 v204, v6, v4, v162
	;; [unrolled: 5-line block ×4, first 2 shown]
	v_add_f64 v[4:5], v[70:71], v[94:95]
	v_add_f64 v[6:7], v[68:69], v[92:93]
	v_cvt_f32_f64_e32 v6, v[6:7]
	v_cvt_f32_f64_e32 v4, v[4:5]
	;; [unrolled: 1-line block ×4, first 2 shown]
	v_min3_f32 v201, v6, v4, v150
	v_add_f64 v[4:5], v[74:75], v[94:95]
	v_add_f64 v[6:7], v[72:73], v[92:93]
	v_min3_f32 v143, v88, v89, s27
	ds_read_b128 v[88:91], v156 offset:17168
	v_cvt_f32_f64_e32 v6, v[6:7]
	v_cvt_f32_f64_e32 v4, v[4:5]
	v_min3_f32 v200, v6, v4, v148
	v_add_f64 v[4:5], v[78:79], v[94:95]
	v_add_f64 v[6:7], v[76:77], v[92:93]
	v_cvt_f32_f64_e32 v6, v[6:7]
	v_cvt_f32_f64_e32 v4, v[4:5]
	v_min3_f32 v199, v6, v4, v146
	v_add_f64 v[4:5], v[82:83], v[94:95]
	v_add_f64 v[6:7], v[80:81], v[92:93]
	v_cvt_f32_f64_e32 v84, v[84:85]
	v_cvt_f32_f64_e32 v85, v[86:87]
	;; [unrolled: 1-line block ×4, first 2 shown]
	v_min3_f32 v135, v84, v85, s27
	ds_read_b128 v[84:87], v156 offset:17424
	v_min3_f32 v198, v6, v4, v143
	s_waitcnt lgkmcnt(1)
	v_add_f64 v[4:5], v[2:3], v[90:91]
	v_add_f64 v[6:7], v[0:1], v[88:89]
	v_cvt_f32_f64_e32 v6, v[6:7]
	v_cvt_f32_f64_e32 v4, v[4:5]
	v_min3_f32 v197, v6, v4, v155
	v_add_f64 v[4:5], v[58:59], v[90:91]
	v_add_f64 v[6:7], v[56:57], v[88:89]
	v_cvt_f32_f64_e32 v6, v[6:7]
	v_cvt_f32_f64_e32 v4, v[4:5]
	v_min3_f32 v196, v6, v4, v149
	;; [unrolled: 5-line block ×8, first 2 shown]
	s_waitcnt lgkmcnt(0)
	v_add_f64 v[4:5], v[2:3], v[86:87]
	v_add_f64 v[6:7], v[0:1], v[84:85]
	v_cvt_f32_f64_e32 v6, v[6:7]
	v_cvt_f32_f64_e32 v4, v[4:5]
	v_min3_f32 v189, v6, v4, v144
	v_add_f64 v[4:5], v[58:59], v[86:87]
	v_add_f64 v[6:7], v[56:57], v[84:85]
	v_cvt_f32_f64_e32 v6, v[6:7]
	v_cvt_f32_f64_e32 v4, v[4:5]
	v_min3_f32 v188, v6, v4, v141
	;; [unrolled: 5-line block ×4, first 2 shown]
	v_add_f64 v[4:5], v[70:71], v[86:87]
	v_add_f64 v[6:7], v[68:69], v[84:85]
	v_cvt_f32_f64_e32 v6, v[6:7]
	v_cvt_f32_f64_e32 v4, v[4:5]
	;; [unrolled: 1-line block ×4, first 2 shown]
	v_min3_f32 v185, v6, v4, v134
	v_add_f64 v[4:5], v[74:75], v[86:87]
	v_add_f64 v[6:7], v[72:73], v[84:85]
	v_min3_f32 v127, v52, v53, s27
	ds_read_b128 v[52:55], v156 offset:17680
	v_cvt_f32_f64_e32 v6, v[6:7]
	v_cvt_f32_f64_e32 v4, v[4:5]
	v_min3_f32 v184, v6, v4, v132
	v_add_f64 v[4:5], v[78:79], v[86:87]
	v_add_f64 v[6:7], v[76:77], v[84:85]
	v_cvt_f32_f64_e32 v6, v[6:7]
	v_cvt_f32_f64_e32 v4, v[4:5]
	v_min3_f32 v183, v6, v4, v130
	v_add_f64 v[4:5], v[82:83], v[86:87]
	v_add_f64 v[6:7], v[80:81], v[84:85]
	v_cvt_f32_f64_e32 v48, v[48:49]
	v_cvt_f32_f64_e32 v49, v[50:51]
	;; [unrolled: 1-line block ×4, first 2 shown]
	v_min3_f32 v120, v48, v49, s27
	ds_read_b128 v[48:51], v156 offset:17936
	v_min3_f32 v182, v6, v4, v127
	s_waitcnt lgkmcnt(1)
	v_add_f64 v[4:5], v[2:3], v[54:55]
	v_add_f64 v[6:7], v[0:1], v[52:53]
	v_cvt_f32_f64_e32 v6, v[6:7]
	v_cvt_f32_f64_e32 v4, v[4:5]
	v_min3_f32 v181, v6, v4, v136
	v_add_f64 v[4:5], v[58:59], v[54:55]
	v_add_f64 v[6:7], v[56:57], v[52:53]
	v_cvt_f32_f64_e32 v6, v[6:7]
	v_cvt_f32_f64_e32 v4, v[4:5]
	v_min3_f32 v180, v6, v4, v133
	;; [unrolled: 5-line block ×7, first 2 shown]
	v_add_f64 v[4:5], v[82:83], v[54:55]
	v_add_f64 v[6:7], v[80:81], v[52:53]
	;; [unrolled: 1-line block ×4, first 2 shown]
	v_cvt_f32_f64_e32 v9, v[14:15]
	v_cvt_f32_f64_e32 v10, v[10:11]
	;; [unrolled: 1-line block ×6, first 2 shown]
	v_min3_f32 v221, v9, v10, v174
	v_min3_f32 v174, v6, v4, v120
	s_waitcnt lgkmcnt(0)
	v_add_f64 v[4:5], v[2:3], v[50:51]
	v_add_f64 v[6:7], v[0:1], v[48:49]
	;; [unrolled: 1-line block ×4, first 2 shown]
	v_min3_f32 v40, v40, v41, s27
	v_add_f64 v[34:35], v[34:35], v[38:39]
	v_add_f64 v[32:33], v[32:33], v[36:37]
	v_cvt_f32_f64_e32 v6, v[6:7]
	v_cvt_f32_f64_e32 v4, v[4:5]
	v_cvt_f32_f64_e32 v0, v[0:1]
	v_cvt_f32_f64_e32 v1, v[2:3]
	v_cvt_f32_f64_e32 v32, v[32:33]
	v_cvt_f32_f64_e32 v33, v[34:35]
	v_min3_f32 v173, v6, v4, v128
	v_add_f64 v[4:5], v[58:59], v[50:51]
	v_add_f64 v[6:7], v[56:57], v[48:49]
	v_min3_f32 v165, v0, v1, v40
	v_add_f64 v[0:1], v[58:59], v[46:47]
	v_add_f64 v[2:3], v[56:57], v[44:45]
	v_min3_f32 v32, v32, v33, s27
	v_add_f64 v[30:31], v[30:31], v[38:39]
	v_add_f64 v[28:29], v[28:29], v[36:37]
	v_cvt_f32_f64_e32 v6, v[6:7]
	v_cvt_f32_f64_e32 v4, v[4:5]
	v_cvt_f32_f64_e32 v2, v[2:3]
	v_cvt_f32_f64_e32 v0, v[0:1]
	v_cvt_f32_f64_e32 v28, v[28:29]
	v_cvt_f32_f64_e32 v29, v[30:31]
	v_min3_f32 v172, v6, v4, v125
	v_add_f64 v[4:5], v[62:63], v[50:51]
	v_add_f64 v[6:7], v[60:61], v[48:49]
	v_min3_f32 v164, v2, v0, v32
	v_add_f64 v[0:1], v[62:63], v[46:47]
	v_add_f64 v[2:3], v[60:61], v[44:45]
	;; [unrolled: 15-line block ×5, first 2 shown]
	s_load_dword s26, s[0:1], 0x8
	v_min3_f32 v16, v16, v17, s27
	v_cvt_f32_f64_e32 v6, v[6:7]
	v_cvt_f32_f64_e32 v4, v[4:5]
	;; [unrolled: 1-line block ×4, first 2 shown]
	v_min3_f32 v168, v6, v4, v118
	v_add_f64 v[4:5], v[78:79], v[50:51]
	v_add_f64 v[6:7], v[76:77], v[48:49]
	v_min3_f32 v160, v2, v0, v16
	v_add_f64 v[0:1], v[78:79], v[46:47]
	v_add_f64 v[2:3], v[76:77], v[44:45]
	v_min3_f32 v12, v12, v13, s27
	v_cvt_f32_f64_e32 v6, v[6:7]
	v_cvt_f32_f64_e32 v4, v[4:5]
	;; [unrolled: 1-line block ×4, first 2 shown]
	v_min3_f32 v167, v6, v4, v117
	v_add_f64 v[4:5], v[82:83], v[50:51]
	v_add_f64 v[6:7], v[80:81], v[48:49]
	v_min3_f32 v159, v2, v0, v12
	v_add_f64 v[0:1], v[82:83], v[46:47]
	v_add_f64 v[2:3], v[80:81], v[44:45]
	v_cvt_f32_f64_e32 v6, v[6:7]
	v_cvt_f32_f64_e32 v4, v[4:5]
	v_cvt_f32_f64_e32 v2, v[2:3]
	v_cvt_f32_f64_e32 v0, v[0:1]
	v_min3_f32 v166, v6, v4, v116
	v_min3_f32 v158, v2, v0, v8
	s_waitcnt lgkmcnt(0)
	s_cmp_lt_i32 s26, 9
	ds_write2st64_b64 v154, v[106:107], v[104:105] offset0:16 offset1:20
	ds_write2st64_b64 v154, v[108:109], v[110:111] offset0:24 offset1:28
	ds_write_b64 v101, v[102:103] offset:18432
	s_waitcnt lgkmcnt(0)
	s_barrier
	s_cbranch_scc1 .LBB156_45
; %bb.23:
	v_mov_b32_e32 v0, 0x2000
	v_lshl_add_u32 v218, v152, 5, v0
	v_mov_b32_e32 v0, 0x4800
	v_add_u32_e32 v155, 0x4000, v101
	v_add_u32_e32 v217, 0x4800, v101
	v_lshl_add_u32 v219, v153, 5, v0
	v_mad_i64_i32 v[0:1], s[30:31], s29, v114, 0
	v_mov_b32_e32 v101, 0
	v_lshl_add_u64 v[0:1], v[0:1], 3, v[100:101]
	v_lshl_add_u64 v[0:1], s[24:25], 0, v[0:1]
	;; [unrolled: 1-line block ×3, first 2 shown]
	v_lshl_or_b32 v0, s2, 8, v113
	s_lshl_b32 s2, s3, 8
	v_subrev_u32_e32 v0, s2, v0
	v_ashrrev_i32_e32 v1, 31, v0
	v_lshlrev_b64 v[138:139], 3, v[0:1]
	v_add_u32_e32 v0, 12, v112
	v_mad_i64_i32 v[0:1], s[2:3], v0, s12, 0
	v_lshl_add_u64 v[140:141], v[0:1], 3, s[22:23]
	v_add_u32_e32 v0, 8, v112
	s_lshl_b64 s[2:3], s[12:13], 6
	v_mad_i64_i32 v[0:1], s[12:13], v0, s12, 0
	v_add_u32_e32 v205, 0x4000, v156
	v_add_u32_e32 v216, 0x2000, v154
	s_add_i32 s26, s26, -8
	v_lshl_add_u64 v[142:143], v[0:1], 3, s[22:23]
	s_mov_b32 s22, 0
	s_mov_b32 s23, 0
	s_branch .LBB156_25
.LBB156_24:                             ;   in Loop: Header=BB156_25 Depth=1
	v_add_f64 v[2:3], v[106:107], v[134:135]
	v_add_f64 v[4:5], v[104:105], v[132:133]
	v_cvt_f32_f64_e32 v4, v[4:5]
	v_cvt_f32_f64_e32 v2, v[2:3]
	v_min3_f32 v6, v4, v2, v226
	v_add_f64 v[2:3], v[102:103], v[134:135]
	v_add_f64 v[4:5], v[100:101], v[132:133]
	v_cvt_f32_f64_e32 v4, v[4:5]
	v_cvt_f32_f64_e32 v2, v[2:3]
	v_min3_f32 v7, v4, v2, v224
	;; [unrolled: 5-line block ×128, first 2 shown]
	ds_read_b128 v[38:41], v157 offset:1024
	ds_read_b128 v[34:37], v157 offset:2048
	ds_read_b128 v[30:33], v157 offset:3072
	ds_read_b128 v[22:25], v157 offset:4096
	ds_read_b128 v[18:21], v157 offset:5120
	ds_read_b128 v[14:17], v157 offset:6144
	ds_read_b128 v[10:13], v157 offset:7168
	ds_read_b128 v[94:97], v205 offset:256
	ds_read_b128 v[90:93], v205 offset:512
	ds_read_b128 v[86:89], v205 offset:768
	ds_read_b128 v[82:85], v205 offset:1024
	ds_read_b128 v[78:81], v205 offset:1280
	ds_read_b128 v[98:101], v205
	ds_read_b128 v[50:53], v157
	ds_read_b128 v[74:77], v205 offset:1536
	ds_read_b128 v[26:29], v205 offset:1792
	;; [unrolled: 1-line block ×4, first 2 shown]
	s_waitcnt lgkmcnt(5)
	v_add_f64 v[46:47], v[40:41], v[100:101]
	v_add_f64 v[48:49], v[38:39], v[98:99]
	v_add_f64 v[54:55], v[36:37], v[100:101]
	v_add_f64 v[56:57], v[34:35], v[98:99]
	v_cvt_f32_f64_e32 v48, v[48:49]
	v_cvt_f32_f64_e32 v46, v[46:47]
	;; [unrolled: 1-line block ×4, first 2 shown]
	v_min3_f32 v186, v48, v46, v72
	v_min3_f32 v187, v56, v54, v73
	v_add_f64 v[58:59], v[32:33], v[100:101]
	v_add_f64 v[60:61], v[30:31], v[98:99]
	;; [unrolled: 1-line block ×8, first 2 shown]
	v_cvt_f32_f64_e32 v60, v[60:61]
	v_cvt_f32_f64_e32 v58, v[58:59]
	;; [unrolled: 1-line block ×8, first 2 shown]
	v_min3_f32 v188, v60, v58, v102
	v_min3_f32 v189, v64, v62, v103
	;; [unrolled: 1-line block ×4, first 2 shown]
	s_waitcnt lgkmcnt(4)
	v_add_f64 v[102:103], v[52:53], v[96:97]
	v_add_f64 v[104:105], v[50:51], v[94:95]
	v_cvt_f32_f64_e32 v104, v[104:105]
	v_cvt_f32_f64_e32 v102, v[102:103]
	v_min3_f32 v107, v104, v102, v107
	v_add_f64 v[102:103], v[40:41], v[96:97]
	v_add_f64 v[104:105], v[38:39], v[94:95]
	v_cvt_f32_f64_e32 v104, v[104:105]
	v_cvt_f32_f64_e32 v102, v[102:103]
	v_min3_f32 v108, v104, v102, v108
	;; [unrolled: 5-line block ×35, first 2 shown]
	s_waitcnt lgkmcnt(3)
	v_add_f64 v[102:103], v[52:53], v[76:77]
	v_add_f64 v[104:105], v[50:51], v[74:75]
	v_cvt_f32_f64_e32 v104, v[104:105]
	v_cvt_f32_f64_e32 v102, v[102:103]
	v_min3_f32 v169, v104, v102, v169
	v_add_f64 v[102:103], v[40:41], v[76:77]
	v_add_f64 v[104:105], v[38:39], v[74:75]
	v_cvt_f32_f64_e32 v104, v[104:105]
	v_cvt_f32_f64_e32 v102, v[102:103]
	v_min3_f32 v170, v104, v102, v170
	;; [unrolled: 5-line block ×4, first 2 shown]
	v_add_f64 v[102:103], v[24:25], v[76:77]
	v_add_f64 v[104:105], v[22:23], v[74:75]
	;; [unrolled: 1-line block ×4, first 2 shown]
	v_cvt_f32_f64_e32 v104, v[104:105]
	v_cvt_f32_f64_e32 v102, v[102:103]
	;; [unrolled: 1-line block ×4, first 2 shown]
	v_min3_f32 v228, v104, v102, v173
	v_add_f64 v[102:103], v[20:21], v[76:77]
	v_add_f64 v[104:105], v[18:19], v[74:75]
	v_min3_f32 v185, v44, v42, v206
	ds_read_b128 v[42:45], v157 offset:1040
	ds_read_b128 v[46:49], v157 offset:2064
	v_cvt_f32_f64_e32 v104, v[104:105]
	v_cvt_f32_f64_e32 v102, v[102:103]
	v_add_f64 v[100:101], v[12:13], v[100:101]
	v_add_f64 v[98:99], v[10:11], v[98:99]
	;; [unrolled: 1-line block ×12, first 2 shown]
	v_min3_f32 v229, v104, v102, v174
	v_add_f64 v[102:103], v[16:17], v[76:77]
	v_add_f64 v[104:105], v[14:15], v[74:75]
	v_add_f64 v[76:77], v[12:13], v[76:77]
	v_add_f64 v[74:75], v[10:11], v[74:75]
	s_waitcnt lgkmcnt(4)
	v_add_f64 v[16:17], v[16:17], v[28:29]
	v_add_f64 v[14:15], v[14:15], v[26:27]
	;; [unrolled: 1-line block ×4, first 2 shown]
	v_cvt_f32_f64_e32 v14, v[14:15]
	v_cvt_f32_f64_e32 v15, v[16:17]
	;; [unrolled: 1-line block ×4, first 2 shown]
	v_min3_f32 v14, v14, v15, v183
	v_min3_f32 v15, v10, v11, v184
	s_waitcnt lgkmcnt(2)
	v_add_f64 v[10:11], v[4:5], v[8:9]
	v_add_f64 v[12:13], v[2:3], v[6:7]
	ds_read_b128 v[54:57], v157 offset:3088
	ds_read_b128 v[58:61], v157 offset:4112
	v_cvt_f32_f64_e32 v12, v[12:13]
	v_cvt_f32_f64_e32 v10, v[10:11]
	v_min3_f32 v226, v12, v10, v185
	s_waitcnt lgkmcnt(3)
	v_add_f64 v[10:11], v[44:45], v[8:9]
	v_add_f64 v[12:13], v[42:43], v[6:7]
	v_cvt_f32_f64_e32 v12, v[12:13]
	v_cvt_f32_f64_e32 v10, v[10:11]
	v_min3_f32 v224, v12, v10, v186
	s_waitcnt lgkmcnt(2)
	v_add_f64 v[10:11], v[48:49], v[8:9]
	v_add_f64 v[12:13], v[46:47], v[6:7]
	ds_read_b128 v[62:65], v157 offset:5136
	ds_read_b128 v[66:69], v157 offset:6160
	v_cvt_f32_f64_e32 v12, v[12:13]
	v_cvt_f32_f64_e32 v10, v[10:11]
	v_min3_f32 v225, v12, v10, v187
	s_waitcnt lgkmcnt(3)
	v_add_f64 v[10:11], v[56:57], v[8:9]
	v_add_f64 v[12:13], v[54:55], v[6:7]
	ds_read_b128 v[70:73], v157 offset:7184
	v_cvt_f32_f64_e32 v12, v[12:13]
	v_cvt_f32_f64_e32 v10, v[10:11]
	;; [unrolled: 1-line block ×4, first 2 shown]
	v_min3_f32 v222, v12, v10, v188
	s_waitcnt lgkmcnt(3)
	v_add_f64 v[10:11], v[60:61], v[8:9]
	v_add_f64 v[12:13], v[58:59], v[6:7]
	v_min3_f32 v106, v98, v99, v106
	ds_read_b128 v[98:101], v205 offset:272
	v_cvt_f32_f64_e32 v12, v[12:13]
	v_cvt_f32_f64_e32 v10, v[10:11]
	v_min3_f32 v223, v12, v10, v189
	s_waitcnt lgkmcnt(3)
	v_add_f64 v[10:11], v[64:65], v[8:9]
	v_add_f64 v[12:13], v[62:63], v[6:7]
	v_cvt_f32_f64_e32 v12, v[12:13]
	v_cvt_f32_f64_e32 v10, v[10:11]
	v_min3_f32 v220, v12, v10, v190
	s_waitcnt lgkmcnt(2)
	v_add_f64 v[10:11], v[68:69], v[8:9]
	v_add_f64 v[12:13], v[66:67], v[6:7]
	s_waitcnt lgkmcnt(1)
	v_add_f64 v[8:9], v[72:73], v[8:9]
	v_add_f64 v[6:7], v[70:71], v[6:7]
	v_cvt_f32_f64_e32 v6, v[6:7]
	v_cvt_f32_f64_e32 v7, v[8:9]
	v_min3_f32 v215, v6, v7, v106
	s_waitcnt lgkmcnt(0)
	v_add_f64 v[6:7], v[4:5], v[100:101]
	v_add_f64 v[8:9], v[2:3], v[98:99]
	v_cvt_f32_f64_e32 v8, v[8:9]
	v_cvt_f32_f64_e32 v6, v[6:7]
	v_min3_f32 v214, v8, v6, v107
	v_add_f64 v[6:7], v[44:45], v[100:101]
	v_add_f64 v[8:9], v[42:43], v[98:99]
	v_cvt_f32_f64_e32 v8, v[8:9]
	v_cvt_f32_f64_e32 v6, v[6:7]
	v_min3_f32 v213, v8, v6, v108
	;; [unrolled: 5-line block ×4, first 2 shown]
	v_add_f64 v[6:7], v[60:61], v[100:101]
	v_add_f64 v[8:9], v[58:59], v[98:99]
	v_cvt_f32_f64_e32 v8, v[8:9]
	v_cvt_f32_f64_e32 v6, v[6:7]
	;; [unrolled: 1-line block ×4, first 2 shown]
	v_min3_f32 v210, v8, v6, v111
	v_add_f64 v[6:7], v[64:65], v[100:101]
	v_add_f64 v[8:9], v[62:63], v[98:99]
	v_min3_f32 v114, v94, v95, v114
	ds_read_b128 v[94:97], v205 offset:528
	v_cvt_f32_f64_e32 v8, v[8:9]
	v_cvt_f32_f64_e32 v6, v[6:7]
	v_min3_f32 v209, v8, v6, v112
	v_add_f64 v[6:7], v[68:69], v[100:101]
	v_add_f64 v[8:9], v[66:67], v[98:99]
	v_cvt_f32_f64_e32 v8, v[8:9]
	v_cvt_f32_f64_e32 v6, v[6:7]
	v_min3_f32 v208, v8, v6, v113
	v_add_f64 v[6:7], v[72:73], v[100:101]
	v_add_f64 v[8:9], v[70:71], v[98:99]
	v_cvt_f32_f64_e32 v90, v[90:91]
	v_cvt_f32_f64_e32 v91, v[92:93]
	;; [unrolled: 1-line block ×4, first 2 shown]
	v_min3_f32 v122, v90, v91, v122
	ds_read_b128 v[90:93], v205 offset:784
	v_min3_f32 v207, v8, v6, v114
	s_waitcnt lgkmcnt(1)
	v_add_f64 v[6:7], v[4:5], v[96:97]
	v_add_f64 v[8:9], v[2:3], v[94:95]
	v_cvt_f32_f64_e32 v8, v[8:9]
	v_cvt_f32_f64_e32 v6, v[6:7]
	v_min3_f32 v206, v8, v6, v115
	v_add_f64 v[6:7], v[44:45], v[96:97]
	v_add_f64 v[8:9], v[42:43], v[94:95]
	v_cvt_f32_f64_e32 v8, v[8:9]
	v_cvt_f32_f64_e32 v6, v[6:7]
	v_min3_f32 v204, v8, v6, v116
	;; [unrolled: 5-line block ×8, first 2 shown]
	s_waitcnt lgkmcnt(0)
	v_add_f64 v[6:7], v[4:5], v[92:93]
	v_add_f64 v[8:9], v[2:3], v[90:91]
	v_cvt_f32_f64_e32 v8, v[8:9]
	v_cvt_f32_f64_e32 v6, v[6:7]
	v_min3_f32 v197, v8, v6, v123
	v_add_f64 v[6:7], v[44:45], v[92:93]
	v_add_f64 v[8:9], v[42:43], v[90:91]
	v_cvt_f32_f64_e32 v8, v[8:9]
	v_cvt_f32_f64_e32 v6, v[6:7]
	v_min3_f32 v196, v8, v6, v124
	v_add_f64 v[6:7], v[48:49], v[92:93]
	v_add_f64 v[8:9], v[46:47], v[90:91]
	v_cvt_f32_f64_e32 v8, v[8:9]
	v_cvt_f32_f64_e32 v6, v[6:7]
	v_min3_f32 v195, v8, v6, v125
	v_add_f64 v[6:7], v[56:57], v[92:93]
	v_add_f64 v[8:9], v[54:55], v[90:91]
	v_cvt_f32_f64_e32 v8, v[8:9]
	v_cvt_f32_f64_e32 v6, v[6:7]
	v_min3_f32 v194, v8, v6, v126
	v_add_f64 v[6:7], v[60:61], v[92:93]
	v_add_f64 v[8:9], v[58:59], v[90:91]
	v_cvt_f32_f64_e32 v8, v[8:9]
	v_cvt_f32_f64_e32 v6, v[6:7]
	;; [unrolled: 1-line block ×4, first 2 shown]
	v_min3_f32 v193, v8, v6, v127
	v_add_f64 v[6:7], v[64:65], v[92:93]
	v_add_f64 v[8:9], v[62:63], v[90:91]
	v_min3_f32 v130, v86, v87, v130
	ds_read_b128 v[86:89], v205 offset:1040
	v_cvt_f32_f64_e32 v8, v[8:9]
	v_cvt_f32_f64_e32 v6, v[6:7]
	v_min3_f32 v192, v8, v6, v128
	v_add_f64 v[6:7], v[68:69], v[92:93]
	v_add_f64 v[8:9], v[66:67], v[90:91]
	v_cvt_f32_f64_e32 v12, v[12:13]
	v_cvt_f32_f64_e32 v10, v[10:11]
	;; [unrolled: 1-line block ×4, first 2 shown]
	v_min3_f32 v221, v12, v10, v191
	v_min3_f32 v191, v8, v6, v129
	v_add_f64 v[6:7], v[72:73], v[92:93]
	v_add_f64 v[8:9], v[70:71], v[90:91]
	v_cvt_f32_f64_e32 v82, v[82:83]
	v_cvt_f32_f64_e32 v83, v[84:85]
	;; [unrolled: 1-line block ×4, first 2 shown]
	v_min3_f32 v160, v82, v83, v160
	ds_read_b128 v[82:85], v205 offset:1296
	v_min3_f32 v190, v8, v6, v130
	s_waitcnt lgkmcnt(1)
	v_add_f64 v[6:7], v[4:5], v[88:89]
	v_add_f64 v[8:9], v[2:3], v[86:87]
	v_cvt_f32_f64_e32 v8, v[8:9]
	v_cvt_f32_f64_e32 v6, v[6:7]
	v_min3_f32 v189, v8, v6, v131
	v_add_f64 v[6:7], v[44:45], v[88:89]
	v_add_f64 v[8:9], v[42:43], v[86:87]
	v_cvt_f32_f64_e32 v8, v[8:9]
	v_cvt_f32_f64_e32 v6, v[6:7]
	v_min3_f32 v188, v8, v6, v132
	;; [unrolled: 5-line block ×6, first 2 shown]
	v_add_f64 v[6:7], v[68:69], v[88:89]
	v_add_f64 v[8:9], v[66:67], v[86:87]
	v_cvt_f32_f64_e32 v8, v[8:9]
	v_cvt_f32_f64_e32 v6, v[6:7]
	v_add_f64 v[20:21], v[20:21], v[28:29]
	v_add_f64 v[18:19], v[18:19], v[26:27]
	v_min3_f32 v183, v8, v6, v159
	v_add_f64 v[6:7], v[72:73], v[88:89]
	v_add_f64 v[8:9], v[70:71], v[86:87]
	v_cvt_f32_f64_e32 v18, v[18:19]
	v_cvt_f32_f64_e32 v19, v[20:21]
	;; [unrolled: 1-line block ×4, first 2 shown]
	v_add_f64 v[24:25], v[24:25], v[28:29]
	v_add_f64 v[22:23], v[22:23], v[26:27]
	v_min3_f32 v18, v18, v19, v182
	v_min3_f32 v182, v8, v6, v160
	s_waitcnt lgkmcnt(0)
	v_add_f64 v[6:7], v[4:5], v[84:85]
	v_add_f64 v[8:9], v[2:3], v[82:83]
	v_cvt_f32_f64_e32 v22, v[22:23]
	v_cvt_f32_f64_e32 v23, v[24:25]
	v_cvt_f32_f64_e32 v8, v[8:9]
	v_cvt_f32_f64_e32 v6, v[6:7]
	v_add_f64 v[32:33], v[32:33], v[28:29]
	v_add_f64 v[30:31], v[30:31], v[26:27]
	v_min3_f32 v22, v22, v23, v181
	v_min3_f32 v181, v8, v6, v161
	v_add_f64 v[6:7], v[44:45], v[84:85]
	v_add_f64 v[8:9], v[42:43], v[82:83]
	v_cvt_f32_f64_e32 v30, v[30:31]
	v_cvt_f32_f64_e32 v31, v[32:33]
	v_cvt_f32_f64_e32 v8, v[8:9]
	v_cvt_f32_f64_e32 v6, v[6:7]
	v_add_f64 v[36:37], v[36:37], v[28:29]
	v_add_f64 v[34:35], v[34:35], v[26:27]
	v_min3_f32 v30, v30, v31, v180
	v_min3_f32 v180, v8, v6, v162
	;; [unrolled: 10-line block ×4, first 2 shown]
	v_add_f64 v[6:7], v[60:61], v[84:85]
	v_add_f64 v[8:9], v[58:59], v[82:83]
	v_cvt_f32_f64_e32 v50, v[50:51]
	v_cvt_f32_f64_e32 v51, v[52:53]
	;; [unrolled: 1-line block ×8, first 2 shown]
	v_min3_f32 v50, v50, v51, v177
	v_min3_f32 v177, v8, v6, v165
	v_add_f64 v[6:7], v[64:65], v[84:85]
	v_add_f64 v[8:9], v[62:63], v[82:83]
	v_min3_f32 v168, v78, v79, v168
	ds_read_b128 v[78:81], v205 offset:1552
	v_cvt_f32_f64_e32 v102, v[102:103]
	v_min3_f32 v103, v74, v75, v176
	ds_read_b128 v[74:77], v205 offset:1808
	v_cvt_f32_f64_e32 v8, v[8:9]
	v_cvt_f32_f64_e32 v6, v[6:7]
	v_min3_f32 v176, v8, v6, v166
	v_add_f64 v[6:7], v[68:69], v[84:85]
	v_add_f64 v[8:9], v[66:67], v[82:83]
	v_cvt_f32_f64_e32 v104, v[104:105]
	v_cvt_f32_f64_e32 v8, v[8:9]
	;; [unrolled: 1-line block ×3, first 2 shown]
	v_min3_f32 v102, v104, v102, v175
	v_min3_f32 v175, v8, v6, v167
	v_add_f64 v[6:7], v[72:73], v[84:85]
	v_add_f64 v[8:9], v[70:71], v[82:83]
	v_cvt_f32_f64_e32 v8, v[8:9]
	v_cvt_f32_f64_e32 v6, v[6:7]
	v_min3_f32 v174, v8, v6, v168
	s_waitcnt lgkmcnt(1)
	v_add_f64 v[6:7], v[4:5], v[80:81]
	v_add_f64 v[8:9], v[2:3], v[78:79]
	s_waitcnt lgkmcnt(0)
	v_add_f64 v[4:5], v[4:5], v[76:77]
	v_add_f64 v[2:3], v[2:3], v[74:75]
	v_cvt_f32_f64_e32 v8, v[8:9]
	v_cvt_f32_f64_e32 v6, v[6:7]
	v_cvt_f32_f64_e32 v2, v[2:3]
	v_cvt_f32_f64_e32 v3, v[4:5]
	v_min3_f32 v173, v8, v6, v169
	v_add_f64 v[6:7], v[44:45], v[80:81]
	v_add_f64 v[8:9], v[42:43], v[78:79]
	v_min3_f32 v165, v2, v3, v50
	v_add_f64 v[2:3], v[44:45], v[76:77]
	v_add_f64 v[4:5], v[42:43], v[74:75]
	v_cvt_f32_f64_e32 v8, v[8:9]
	v_cvt_f32_f64_e32 v6, v[6:7]
	v_cvt_f32_f64_e32 v4, v[4:5]
	v_cvt_f32_f64_e32 v2, v[2:3]
	v_min3_f32 v172, v8, v6, v170
	v_add_f64 v[6:7], v[48:49], v[80:81]
	v_add_f64 v[8:9], v[46:47], v[78:79]
	v_min3_f32 v164, v4, v2, v38
	v_add_f64 v[2:3], v[48:49], v[76:77]
	v_add_f64 v[4:5], v[46:47], v[74:75]
	v_cvt_f32_f64_e32 v8, v[8:9]
	v_cvt_f32_f64_e32 v6, v[6:7]
	v_cvt_f32_f64_e32 v4, v[4:5]
	v_cvt_f32_f64_e32 v2, v[2:3]
	v_min3_f32 v171, v8, v6, v171
	v_add_f64 v[6:7], v[56:57], v[80:81]
	v_add_f64 v[8:9], v[54:55], v[78:79]
	v_min3_f32 v163, v4, v2, v34
	v_add_f64 v[2:3], v[56:57], v[76:77]
	v_add_f64 v[4:5], v[54:55], v[74:75]
	v_cvt_f32_f64_e32 v8, v[8:9]
	v_cvt_f32_f64_e32 v6, v[6:7]
	v_cvt_f32_f64_e32 v4, v[4:5]
	v_cvt_f32_f64_e32 v2, v[2:3]
	v_min3_f32 v170, v8, v6, v227
	v_add_f64 v[6:7], v[60:61], v[80:81]
	v_add_f64 v[8:9], v[58:59], v[78:79]
	v_min3_f32 v162, v4, v2, v30
	v_add_f64 v[2:3], v[60:61], v[76:77]
	v_add_f64 v[4:5], v[58:59], v[74:75]
	v_cvt_f32_f64_e32 v8, v[8:9]
	v_cvt_f32_f64_e32 v6, v[6:7]
	v_cvt_f32_f64_e32 v4, v[4:5]
	v_cvt_f32_f64_e32 v2, v[2:3]
	v_min3_f32 v169, v8, v6, v228
	v_add_f64 v[6:7], v[64:65], v[80:81]
	v_add_f64 v[8:9], v[62:63], v[78:79]
	v_min3_f32 v161, v4, v2, v22
	v_add_f64 v[2:3], v[64:65], v[76:77]
	v_add_f64 v[4:5], v[62:63], v[74:75]
	v_cvt_f32_f64_e32 v8, v[8:9]
	v_cvt_f32_f64_e32 v6, v[6:7]
	v_cvt_f32_f64_e32 v4, v[4:5]
	v_cvt_f32_f64_e32 v2, v[2:3]
	v_min3_f32 v168, v8, v6, v229
	v_add_f64 v[6:7], v[68:69], v[80:81]
	v_add_f64 v[8:9], v[66:67], v[78:79]
	v_min3_f32 v160, v4, v2, v18
	v_add_f64 v[2:3], v[68:69], v[76:77]
	v_add_f64 v[4:5], v[66:67], v[74:75]
	v_cvt_f32_f64_e32 v8, v[8:9]
	v_cvt_f32_f64_e32 v6, v[6:7]
	v_cvt_f32_f64_e32 v4, v[4:5]
	v_cvt_f32_f64_e32 v2, v[2:3]
	v_min3_f32 v167, v8, v6, v102
	v_add_f64 v[6:7], v[72:73], v[80:81]
	v_add_f64 v[8:9], v[70:71], v[78:79]
	v_min3_f32 v159, v4, v2, v14
	v_add_f64 v[2:3], v[72:73], v[76:77]
	v_add_f64 v[4:5], v[70:71], v[74:75]
	v_cvt_f32_f64_e32 v8, v[8:9]
	v_cvt_f32_f64_e32 v6, v[6:7]
	;; [unrolled: 1-line block ×4, first 2 shown]
	s_add_i32 s23, s23, 8
	v_min3_f32 v166, v8, v6, v103
	v_min3_f32 v158, v4, v2, v15
	v_lshl_add_u64 v[136:137], v[136:137], 0, 64
	v_lshl_add_u64 v[140:141], v[140:141], 0, s[2:3]
	s_cmp_ge_i32 s23, s26
	v_lshl_add_u64 v[142:143], v[142:143], 0, s[2:3]
	ds_write2st64_b64 v216, v[0:1], v[144:145] offset1:4
	ds_write2st64_b64 v216, v[146:147], v[150:151] offset0:8 offset1:12
	ds_write_b64 v217, v[148:149]
	s_waitcnt lgkmcnt(0)
	s_barrier
	s_cbranch_scc1 .LBB156_45
.LBB156_25:                             ; =>This Inner Loop Header: Depth=1
	s_mov_b64 s[12:13], -1
	s_mov_b64 vcc, s[4:5]
                                        ; implicit-def: $vgpr0_vgpr1_vgpr2_vgpr3_vgpr4_vgpr5_vgpr6_vgpr7
	s_cbranch_vccnz .LBB156_36
; %bb.26:                               ;   in Loop: Header=BB156_25 Depth=1
	v_mov_b64_e32 v[2:3], 0
	s_andn2_b64 vcc, exec, s[12:13]
	v_lshl_add_u64 v[8:9], v[142:143], 0, v[138:139]
	s_cbranch_vccz .LBB156_37
.LBB156_27:                             ;   in Loop: Header=BB156_25 Depth=1
	s_mov_b64 s[12:13], -1
	s_mov_b64 vcc, s[4:5]
                                        ; implicit-def: $vgpr4_vgpr5
	s_cbranch_vccnz .LBB156_38
.LBB156_28:                             ;   in Loop: Header=BB156_25 Depth=1
	v_mov_b64_e32 v[6:7], 0
	s_andn2_b64 vcc, exec, s[12:13]
	v_mov_b64_e32 v[144:145], 0
	s_cbranch_vccz .LBB156_39
.LBB156_29:                             ;   in Loop: Header=BB156_25 Depth=1
	s_and_b64 vcc, exec, s[6:7]
	s_cbranch_vccnz .LBB156_31
.LBB156_30:                             ;   in Loop: Header=BB156_25 Depth=1
	global_load_dwordx2 v[6:7], v[136:137], off
	s_waitcnt vmcnt(0)
	v_mul_f64 v[6:7], s[20:21], v[6:7]
.LBB156_31:                             ;   in Loop: Header=BB156_25 Depth=1
	ds_read_b128 v[132:135], v219
	ds_read_b128 v[68:71], v219 offset:16
	ds_read_b128 v[104:107], v218
	ds_read_b128 v[40:43], v218 offset:16
	ds_read_b128 v[100:103], v218 offset:1024
	;; [unrolled: 1-line block ×29, first 2 shown]
	s_mov_b64 s[12:13], -1
	s_mov_b64 vcc, s[4:5]
	ds_write2st64_b64 v154, v[0:1], v[2:3] offset1:4
	ds_write2st64_b64 v154, v[4:5], v[144:145] offset0:8 offset1:12
	ds_write_b64 v155, v[6:7]
	s_waitcnt lgkmcnt(0)
	s_barrier
                                        ; implicit-def: $vgpr0_vgpr1_vgpr2_vgpr3_vgpr4_vgpr5_vgpr6_vgpr7
	s_cbranch_vccnz .LBB156_40
; %bb.32:                               ;   in Loop: Header=BB156_25 Depth=1
	v_mov_b64_e32 v[144:145], 0
	s_andn2_b64 vcc, exec, s[12:13]
	v_lshl_add_u64 v[2:3], v[140:141], 0, v[138:139]
	s_cbranch_vccz .LBB156_41
.LBB156_33:                             ;   in Loop: Header=BB156_25 Depth=1
	s_mov_b64 s[12:13], -1
	s_mov_b64 vcc, s[4:5]
                                        ; implicit-def: $vgpr146_vgpr147
	s_cbranch_vccnz .LBB156_42
.LBB156_34:                             ;   in Loop: Header=BB156_25 Depth=1
	v_mov_b64_e32 v[148:149], 0
	s_andn2_b64 vcc, exec, s[12:13]
	v_mov_b64_e32 v[150:151], 0
	s_cbranch_vccz .LBB156_43
.LBB156_35:                             ;   in Loop: Header=BB156_25 Depth=1
	s_and_b64 vcc, exec, s[6:7]
	s_cbranch_vccz .LBB156_44
	s_branch .LBB156_24
.LBB156_36:                             ;   in Loop: Header=BB156_25 Depth=1
	v_mov_b32_e32 v0, s22
	v_mov_b32_e32 v1, s22
	v_mov_b64_e32 v[2:3], 0
	v_lshl_add_u64 v[8:9], v[142:143], 0, v[138:139]
	s_cbranch_execnz .LBB156_27
.LBB156_37:                             ;   in Loop: Header=BB156_25 Depth=1
	global_load_dwordx2 v[0:1], v[8:9], off
	global_load_dwordx2 v[2:3], v[8:9], off offset:512
	s_waitcnt vmcnt(1)
	v_mul_f64 v[0:1], s[20:21], v[0:1]
	s_waitcnt vmcnt(0)
	v_mul_f64 v[2:3], s[20:21], v[2:3]
	s_mov_b64 s[12:13], -1
	s_mov_b64 vcc, s[4:5]
                                        ; implicit-def: $vgpr4_vgpr5
	s_cbranch_vccz .LBB156_28
.LBB156_38:                             ;   in Loop: Header=BB156_25 Depth=1
	v_mov_b32_e32 v4, s22
	v_mov_b32_e32 v5, s22
	v_mov_b64_e32 v[6:7], 0
	v_mov_b64_e32 v[144:145], 0
	s_cbranch_execnz .LBB156_29
.LBB156_39:                             ;   in Loop: Header=BB156_25 Depth=1
	global_load_dwordx2 v[4:5], v[8:9], off offset:1024
	global_load_dwordx2 v[10:11], v[8:9], off offset:1536
	s_waitcnt vmcnt(1)
	v_mul_f64 v[4:5], s[20:21], v[4:5]
	s_waitcnt vmcnt(0)
	v_mul_f64 v[144:145], s[20:21], v[10:11]
	s_and_b64 vcc, exec, s[6:7]
	s_cbranch_vccz .LBB156_30
	s_branch .LBB156_31
.LBB156_40:                             ;   in Loop: Header=BB156_25 Depth=1
	v_mov_b32_e32 v0, s22
	v_mov_b32_e32 v1, s22
	v_mov_b64_e32 v[144:145], 0
	v_lshl_add_u64 v[2:3], v[140:141], 0, v[138:139]
	s_cbranch_execnz .LBB156_33
.LBB156_41:                             ;   in Loop: Header=BB156_25 Depth=1
	global_load_dwordx2 v[0:1], v[2:3], off
	global_load_dwordx2 v[4:5], v[2:3], off offset:512
	s_waitcnt vmcnt(1)
	v_mul_f64 v[0:1], s[20:21], v[0:1]
	s_waitcnt vmcnt(0)
	v_mul_f64 v[144:145], s[20:21], v[4:5]
	s_mov_b64 s[12:13], -1
	s_mov_b64 vcc, s[4:5]
                                        ; implicit-def: $vgpr146_vgpr147
	s_cbranch_vccz .LBB156_34
.LBB156_42:                             ;   in Loop: Header=BB156_25 Depth=1
	v_mov_b32_e32 v146, s22
	v_mov_b32_e32 v147, s22
	v_mov_b64_e32 v[148:149], 0
	v_mov_b64_e32 v[150:151], 0
	s_cbranch_execnz .LBB156_35
.LBB156_43:                             ;   in Loop: Header=BB156_25 Depth=1
	global_load_dwordx2 v[4:5], v[2:3], off offset:1024
	s_nop 0
	global_load_dwordx2 v[2:3], v[2:3], off offset:1536
	s_waitcnt vmcnt(1)
	v_mul_f64 v[146:147], s[20:21], v[4:5]
	s_waitcnt vmcnt(0)
	v_mul_f64 v[150:151], s[20:21], v[2:3]
	s_and_b64 vcc, exec, s[6:7]
	s_cbranch_vccnz .LBB156_24
.LBB156_44:                             ;   in Loop: Header=BB156_25 Depth=1
	global_load_dwordx2 v[2:3], v[136:137], off offset:32
	s_waitcnt vmcnt(0)
	v_mul_f64 v[148:149], s[20:21], v[2:3]
	s_branch .LBB156_24
.LBB156_45:
	s_load_dwordx2 s[2:3], s[0:1], 0x78
	s_load_dword s4, s[0:1], 0x58
	s_load_dword s5, s[0:1], 0x70
	ds_read_b128 v[68:71], v157 offset:8192
	ds_read_b128 v[124:127], v156 offset:18432
	;; [unrolled: 1-line block ×4, first 2 shown]
	s_waitcnt lgkmcnt(0)
	s_mul_i32 s1, s3, s18
	s_mul_hi_u32 s3, s2, s18
	s_mul_i32 s0, s2, s18
	v_add_f64 v[0:1], v[70:71], v[126:127]
	v_add_f64 v[2:3], v[68:69], v[124:125]
	s_add_i32 s1, s3, s1
	v_cvt_f32_f64_e32 v2, v[2:3]
	v_cvt_f32_f64_e32 v0, v[0:1]
	s_lshl_b64 s[0:1], s[0:1], 3
	v_min3_f32 v4, v2, v0, v226
	v_add_f64 v[0:1], v[66:67], v[122:123]
	v_add_f64 v[2:3], v[64:65], v[120:121]
	s_add_u32 s0, s14, s0
	v_cvt_f32_f64_e32 v2, v[2:3]
	v_cvt_f32_f64_e32 v0, v[0:1]
	v_add_u32_e32 v205, s28, v153
	s_addc_u32 s1, s15, s1
	v_min3_f32 v2, v2, v0, v4
	v_add_u32_e32 v134, s19, v152
	v_mad_i64_i32 v[0:1], s[2:3], v205, s5, 0
	v_add_u32_e32 v128, 32, v134
	v_lshl_add_u64 v[152:153], v[0:1], 3, s[0:1]
	v_mad_i64_i32 v[0:1], s[2:3], v205, s4, 0
	v_ashrrev_i32_e32 v135, 31, v134
	v_ashrrev_i32_e32 v129, 31, v128
	s_mov_b64 s[2:3], -1
	v_max_f32_e32 v2, v2, v2
	s_mov_b64 vcc, s[8:9]
	s_cbranch_vccz .LBB156_47
; %bb.46:
	v_min_f32_e32 v3, 0, v2
	v_cvt_f64_f32_e32 v[4:5], v3
	v_lshl_add_u64 v[6:7], v[134:135], 3, v[152:153]
	global_store_dwordx2 v[6:7], v[4:5], off
	s_mov_b64 s[2:3], 0
.LBB156_47:
	ds_read_b128 v[60:63], v157 offset:9216
	ds_read_b128 v[52:55], v157 offset:9232
	;; [unrolled: 1-line block ×4, first 2 shown]
	v_lshl_add_u64 v[154:155], v[0:1], 3, s[10:11]
	v_mov_b32_e32 v132, 0
	s_andn2_b64 vcc, exec, s[2:3]
	v_lshlrev_b64 v[138:139], 3, v[134:135]
	s_cbranch_vccnz .LBB156_49
; %bb.48:
	v_lshl_add_u64 v[0:1], v[154:155], 0, v[138:139]
	global_load_dwordx2 v[0:1], v[0:1], off
	v_lshl_add_u64 v[4:5], v[152:153], 0, v[138:139]
	s_waitcnt vmcnt(0)
	v_mul_f64 v[0:1], s[16:17], v[0:1]
	v_cvt_f32_f64_e32 v0, v[0:1]
	v_min_f32_e32 v0, v0, v2
	v_cvt_f64_f32_e32 v[0:1], v0
	global_store_dwordx2 v[4:5], v[0:1], off
	v_lshl_add_u64 v[0:1], v[128:129], 3, v[154:155]
	global_load_dwordx2 v[0:1], v[0:1], off
	s_waitcnt vmcnt(0)
	v_mul_f64 v[0:1], s[16:17], v[0:1]
	v_cvt_f32_f64_e32 v132, v[0:1]
.LBB156_49:
	ds_read_b128 v[40:43], v157 offset:11264
	ds_read_b128 v[36:39], v157 offset:11280
	;; [unrolled: 1-line block ×24, first 2 shown]
	s_waitcnt lgkmcnt(14)
	v_add_f64 v[130:131], v[62:63], v[126:127]
	v_add_f64 v[136:137], v[60:61], v[124:125]
	v_cvt_f32_f64_e32 v133, v[136:137]
	v_cvt_f32_f64_e32 v130, v[130:131]
	v_min3_f32 v133, v133, v130, v224
	v_add_f64 v[130:131], v[58:59], v[126:127]
	v_add_f64 v[136:137], v[56:57], v[124:125]
	v_cvt_f32_f64_e32 v136, v[136:137]
	v_cvt_f32_f64_e32 v130, v[130:131]
	v_min3_f32 v140, v136, v130, v225
	v_add_f64 v[130:131], v[54:55], v[122:123]
	v_add_f64 v[136:137], v[52:53], v[120:121]
	v_cvt_f32_f64_e32 v136, v[136:137]
	v_cvt_f32_f64_e32 v130, v[130:131]
	v_min_f32_e32 v142, v136, v130
	v_add_f64 v[130:131], v[50:51], v[122:123]
	v_add_f64 v[136:137], v[48:49], v[120:121]
	v_cvt_f32_f64_e32 v136, v[136:137]
	v_cvt_f32_f64_e32 v130, v[130:131]
	v_min3_f32 v132, v132, v142, v133
	v_min3_f32 v143, v136, v130, v140
	v_add_u32_e32 v140, 64, v134
	v_add_u32_e32 v130, 0x60, v134
	v_cvt_f64_f32_e32 v[132:133], v132
	v_lshl_add_u64 v[136:137], v[128:129], 3, v[152:153]
	v_ashrrev_i32_e32 v141, 31, v140
	v_ashrrev_i32_e32 v131, 31, v130
	global_store_dwordx2 v[136:137], v[132:133], off
	s_mov_b64 s[2:3], -1
	v_max_f32_e32 v132, v143, v143
	s_mov_b64 vcc, s[8:9]
	s_cbranch_vccz .LBB156_51
; %bb.50:
	v_min_f32_e32 v133, 0, v132
	v_cvt_f64_f32_e32 v[136:137], v133
	v_lshl_add_u64 v[142:143], v[140:141], 3, v[152:153]
	global_store_dwordx2 v[142:143], v[136:137], off
	s_mov_b64 s[2:3], 0
.LBB156_51:
	v_mov_b32_e32 v136, 0
	s_andn2_b64 vcc, exec, s[2:3]
	v_lshlrev_b64 v[144:145], 3, v[140:141]
	s_cbranch_vccnz .LBB156_53
; %bb.52:
	v_lshl_add_u64 v[136:137], v[154:155], 0, v[144:145]
	global_load_dwordx2 v[136:137], v[136:137], off
	v_lshl_add_u64 v[142:143], v[152:153], 0, v[144:145]
	s_waitcnt vmcnt(0)
	v_mul_f64 v[136:137], s[16:17], v[136:137]
	v_cvt_f32_f64_e32 v133, v[136:137]
	v_min_f32_e32 v132, v133, v132
	v_cvt_f64_f32_e32 v[132:133], v132
	global_store_dwordx2 v[142:143], v[132:133], off
	v_lshl_add_u64 v[132:133], v[130:131], 3, v[154:155]
	global_load_dwordx2 v[132:133], v[132:133], off
	s_waitcnt vmcnt(0)
	v_mul_f64 v[132:133], s[16:17], v[132:133]
	v_cvt_f32_f64_e32 v136, v[132:133]
.LBB156_53:
	v_add_f64 v[132:133], v[42:43], v[126:127]
	v_add_f64 v[142:143], v[40:41], v[124:125]
	v_cvt_f32_f64_e32 v137, v[142:143]
	v_cvt_f32_f64_e32 v132, v[132:133]
	v_min3_f32 v137, v137, v132, v222
	v_add_f64 v[132:133], v[46:47], v[126:127]
	v_add_f64 v[142:143], v[44:45], v[124:125]
	v_cvt_f32_f64_e32 v142, v[142:143]
	v_cvt_f32_f64_e32 v132, v[132:133]
	v_min3_f32 v146, v142, v132, v223
	v_add_f64 v[132:133], v[38:39], v[122:123]
	v_add_f64 v[142:143], v[36:37], v[120:121]
	v_cvt_f32_f64_e32 v142, v[142:143]
	v_cvt_f32_f64_e32 v132, v[132:133]
	v_min_f32_e32 v147, v142, v132
	v_add_f64 v[132:133], v[34:35], v[122:123]
	v_add_f64 v[142:143], v[32:33], v[120:121]
	v_cvt_f32_f64_e32 v142, v[142:143]
	v_cvt_f32_f64_e32 v132, v[132:133]
	v_min3_f32 v136, v136, v147, v137
	v_min3_f32 v148, v142, v132, v146
	v_add_u32_e32 v142, 0x80, v134
	v_add_u32_e32 v132, 0xa0, v134
	v_cvt_f64_f32_e32 v[136:137], v136
	v_lshl_add_u64 v[146:147], v[130:131], 3, v[152:153]
	v_ashrrev_i32_e32 v143, 31, v142
	v_ashrrev_i32_e32 v133, 31, v132
	global_store_dwordx2 v[146:147], v[136:137], off
	s_mov_b64 s[2:3], -1
	v_max_f32_e32 v136, v148, v148
	s_mov_b64 vcc, s[8:9]
	s_cbranch_vccz .LBB156_55
; %bb.54:
	v_min_f32_e32 v137, 0, v136
	v_cvt_f64_f32_e32 v[146:147], v137
	v_lshl_add_u64 v[148:149], v[142:143], 3, v[152:153]
	global_store_dwordx2 v[148:149], v[146:147], off
	s_mov_b64 s[2:3], 0
.LBB156_55:
	v_mov_b32_e32 v150, 0
	s_andn2_b64 vcc, exec, s[2:3]
	v_lshlrev_b64 v[148:149], 3, v[142:143]
	s_cbranch_vccnz .LBB156_57
; %bb.56:
	v_lshl_add_u64 v[146:147], v[154:155], 0, v[148:149]
	global_load_dwordx2 v[146:147], v[146:147], off
	v_lshl_add_u64 v[150:151], v[152:153], 0, v[148:149]
	s_waitcnt vmcnt(0)
	v_mul_f64 v[146:147], s[16:17], v[146:147]
	v_cvt_f32_f64_e32 v137, v[146:147]
	v_min_f32_e32 v136, v137, v136
	v_cvt_f64_f32_e32 v[136:137], v136
	global_store_dwordx2 v[150:151], v[136:137], off
	v_lshl_add_u64 v[136:137], v[132:133], 3, v[154:155]
	global_load_dwordx2 v[136:137], v[136:137], off
	s_waitcnt vmcnt(0)
	v_mul_f64 v[136:137], s[16:17], v[136:137]
	v_cvt_f32_f64_e32 v150, v[136:137]
.LBB156_57:
	v_add_f64 v[136:137], v[30:31], v[126:127]
	v_add_f64 v[146:147], v[28:29], v[124:125]
	v_cvt_f32_f64_e32 v146, v[146:147]
	v_cvt_f32_f64_e32 v136, v[136:137]
	v_min3_f32 v151, v146, v136, v220
	v_add_f64 v[136:137], v[26:27], v[126:127]
	v_add_f64 v[146:147], v[24:25], v[124:125]
	v_cvt_f32_f64_e32 v146, v[146:147]
	v_cvt_f32_f64_e32 v136, v[136:137]
	v_min3_f32 v156, v146, v136, v221
	v_add_f64 v[136:137], v[22:23], v[122:123]
	v_add_f64 v[146:147], v[20:21], v[120:121]
	v_cvt_f32_f64_e32 v146, v[146:147]
	v_cvt_f32_f64_e32 v136, v[136:137]
	v_min_f32_e32 v157, v146, v136
	v_add_f64 v[136:137], v[18:19], v[122:123]
	v_add_f64 v[146:147], v[16:17], v[120:121]
	v_cvt_f32_f64_e32 v146, v[146:147]
	v_cvt_f32_f64_e32 v136, v[136:137]
	v_min3_f32 v150, v150, v157, v151
	v_min3_f32 v216, v146, v136, v156
	v_add_u32_e32 v146, 0xc0, v134
	v_add_u32_e32 v136, 0xe0, v134
	v_cvt_f64_f32_e32 v[150:151], v150
	v_lshl_add_u64 v[156:157], v[132:133], 3, v[152:153]
	v_ashrrev_i32_e32 v147, 31, v146
	v_ashrrev_i32_e32 v137, 31, v136
	global_store_dwordx2 v[156:157], v[150:151], off
	s_mov_b64 s[2:3], -1
	v_max_f32_e32 v157, v216, v216
	s_mov_b64 vcc, s[8:9]
	s_cbranch_vccz .LBB156_59
; %bb.58:
	v_min_f32_e32 v150, 0, v157
	v_cvt_f64_f32_e32 v[150:151], v150
	v_lshl_add_u64 v[216:217], v[146:147], 3, v[152:153]
	global_store_dwordx2 v[216:217], v[150:151], off
	s_mov_b64 s[2:3], 0
.LBB156_59:
	v_mov_b32_e32 v156, 0
	s_andn2_b64 vcc, exec, s[2:3]
	v_lshlrev_b64 v[150:151], 3, v[146:147]
	s_cbranch_vccnz .LBB156_61
; %bb.60:
	v_lshl_add_u64 v[216:217], v[154:155], 0, v[150:151]
	global_load_dwordx2 v[216:217], v[216:217], off
	v_lshl_add_u64 v[218:219], v[152:153], 0, v[150:151]
	v_lshl_add_u64 v[154:155], v[136:137], 3, v[154:155]
	s_waitcnt vmcnt(0)
	v_mul_f64 v[216:217], s[16:17], v[216:217]
	v_cvt_f32_f64_e32 v156, v[216:217]
	v_min_f32_e32 v156, v156, v157
	v_cvt_f64_f32_e32 v[156:157], v156
	global_store_dwordx2 v[218:219], v[156:157], off
	global_load_dwordx2 v[154:155], v[154:155], off
	s_waitcnt vmcnt(0)
	v_mul_f64 v[154:155], s[16:17], v[154:155]
	v_cvt_f32_f64_e32 v156, v[154:155]
.LBB156_61:
	v_add_f64 v[126:127], v[2:3], v[126:127]
	v_add_f64 v[124:125], v[0:1], v[124:125]
	v_cvt_f32_f64_e32 v124, v[124:125]
	v_cvt_f32_f64_e32 v125, v[126:127]
	v_add_f64 v[122:123], v[10:11], v[122:123]
	v_add_f64 v[120:121], v[8:9], v[120:121]
	v_min3_f32 v154, v124, v125, v215
	s_waitcnt lgkmcnt(13)
	v_add_f64 v[124:125], v[70:71], v[118:119]
	v_add_f64 v[126:127], v[68:69], v[116:117]
	v_cvt_f32_f64_e32 v120, v[120:121]
	v_cvt_f32_f64_e32 v121, v[122:123]
	;; [unrolled: 1-line block ×4, first 2 shown]
	v_min_f32_e32 v125, v120, v121
	s_waitcnt lgkmcnt(12)
	v_add_f64 v[120:121], v[66:67], v[114:115]
	v_add_f64 v[122:123], v[64:65], v[112:113]
	v_min3_f32 v124, v126, v124, v214
	v_cvt_f32_f64_e32 v122, v[122:123]
	v_cvt_f32_f64_e32 v120, v[120:121]
	v_min3_f32 v124, v122, v120, v124
	v_min3_f32 v120, v156, v125, v154
	v_cvt_f64_f32_e32 v[120:121], v120
	v_lshl_add_u64 v[122:123], v[136:137], 3, v[152:153]
	global_store_dwordx2 v[122:123], v[120:121], off
	v_add_u32_e32 v122, 8, v205
	v_mad_i64_i32 v[120:121], s[2:3], v122, s5, 0
	v_mad_i64_i32 v[122:123], s[2:3], v122, s4, 0
	v_lshl_add_u64 v[120:121], v[120:121], 3, s[0:1]
	s_mov_b64 s[2:3], -1
	v_max_f32_e32 v125, v124, v124
	s_mov_b64 vcc, s[8:9]
	s_cbranch_vccz .LBB156_63
; %bb.62:
	v_min_f32_e32 v124, 0, v125
	v_cvt_f64_f32_e32 v[126:127], v124
	v_lshl_add_u64 v[152:153], v[134:135], 3, v[120:121]
	global_store_dwordx2 v[152:153], v[126:127], off
	s_mov_b64 s[2:3], 0
.LBB156_63:
	v_lshl_add_u64 v[122:123], v[122:123], 3, s[10:11]
	s_andn2_b64 vcc, exec, s[2:3]
	v_mov_b32_e32 v124, 0
	s_cbranch_vccnz .LBB156_65
; %bb.64:
	v_lshl_add_u64 v[126:127], v[122:123], 0, v[138:139]
	global_load_dwordx2 v[126:127], v[126:127], off
	v_lshl_add_u64 v[152:153], v[120:121], 0, v[138:139]
	s_waitcnt vmcnt(0)
	v_mul_f64 v[126:127], s[16:17], v[126:127]
	v_cvt_f32_f64_e32 v124, v[126:127]
	v_min_f32_e32 v124, v124, v125
	v_cvt_f64_f32_e32 v[124:125], v124
	global_store_dwordx2 v[152:153], v[124:125], off
	v_lshl_add_u64 v[124:125], v[128:129], 3, v[122:123]
	global_load_dwordx2 v[124:125], v[124:125], off
	s_waitcnt vmcnt(0)
	v_mul_f64 v[124:125], s[16:17], v[124:125]
	v_cvt_f32_f64_e32 v124, v[124:125]
.LBB156_65:
	v_add_f64 v[126:127], v[62:63], v[118:119]
	v_add_f64 v[152:153], v[60:61], v[116:117]
	v_cvt_f32_f64_e32 v125, v[152:153]
	v_cvt_f32_f64_e32 v126, v[126:127]
	v_min3_f32 v125, v125, v126, v213
	v_add_f64 v[126:127], v[58:59], v[118:119]
	v_add_f64 v[152:153], v[56:57], v[116:117]
	v_cvt_f32_f64_e32 v152, v[152:153]
	v_cvt_f32_f64_e32 v126, v[126:127]
	v_min3_f32 v154, v152, v126, v212
	v_add_f64 v[126:127], v[54:55], v[114:115]
	v_add_f64 v[152:153], v[52:53], v[112:113]
	v_cvt_f32_f64_e32 v152, v[152:153]
	v_cvt_f32_f64_e32 v126, v[126:127]
	v_min_f32_e32 v155, v152, v126
	v_add_f64 v[126:127], v[50:51], v[114:115]
	v_add_f64 v[152:153], v[48:49], v[112:113]
	v_cvt_f32_f64_e32 v152, v[152:153]
	v_cvt_f32_f64_e32 v126, v[126:127]
	v_min3_f32 v124, v124, v155, v125
	v_min3_f32 v152, v152, v126, v154
	v_cvt_f64_f32_e32 v[124:125], v124
	v_lshl_add_u64 v[126:127], v[128:129], 3, v[120:121]
	global_store_dwordx2 v[126:127], v[124:125], off
	s_mov_b64 s[2:3], -1
	v_max_f32_e32 v125, v152, v152
	s_mov_b64 vcc, s[8:9]
	s_cbranch_vccz .LBB156_67
; %bb.66:
	v_min_f32_e32 v124, 0, v125
	v_cvt_f64_f32_e32 v[126:127], v124
	v_lshl_add_u64 v[152:153], v[140:141], 3, v[120:121]
	global_store_dwordx2 v[152:153], v[126:127], off
	s_mov_b64 s[2:3], 0
.LBB156_67:
	s_andn2_b64 vcc, exec, s[2:3]
	v_mov_b32_e32 v124, 0
	s_cbranch_vccnz .LBB156_69
; %bb.68:
	v_lshl_add_u64 v[126:127], v[122:123], 0, v[144:145]
	global_load_dwordx2 v[126:127], v[126:127], off
	v_lshl_add_u64 v[152:153], v[120:121], 0, v[144:145]
	s_waitcnt vmcnt(0)
	v_mul_f64 v[126:127], s[16:17], v[126:127]
	v_cvt_f32_f64_e32 v124, v[126:127]
	v_min_f32_e32 v124, v124, v125
	v_cvt_f64_f32_e32 v[124:125], v124
	global_store_dwordx2 v[152:153], v[124:125], off
	v_lshl_add_u64 v[124:125], v[130:131], 3, v[122:123]
	global_load_dwordx2 v[124:125], v[124:125], off
	s_waitcnt vmcnt(0)
	v_mul_f64 v[124:125], s[16:17], v[124:125]
	v_cvt_f32_f64_e32 v124, v[124:125]
.LBB156_69:
	v_add_f64 v[126:127], v[42:43], v[118:119]
	v_add_f64 v[152:153], v[40:41], v[116:117]
	v_cvt_f32_f64_e32 v125, v[152:153]
	v_cvt_f32_f64_e32 v126, v[126:127]
	v_min3_f32 v125, v125, v126, v211
	v_add_f64 v[126:127], v[46:47], v[118:119]
	v_add_f64 v[152:153], v[44:45], v[116:117]
	v_cvt_f32_f64_e32 v152, v[152:153]
	v_cvt_f32_f64_e32 v126, v[126:127]
	v_min3_f32 v154, v152, v126, v210
	v_add_f64 v[126:127], v[38:39], v[114:115]
	v_add_f64 v[152:153], v[36:37], v[112:113]
	v_cvt_f32_f64_e32 v152, v[152:153]
	v_cvt_f32_f64_e32 v126, v[126:127]
	v_min_f32_e32 v155, v152, v126
	v_add_f64 v[126:127], v[34:35], v[114:115]
	v_add_f64 v[152:153], v[32:33], v[112:113]
	v_cvt_f32_f64_e32 v152, v[152:153]
	v_cvt_f32_f64_e32 v126, v[126:127]
	v_min3_f32 v124, v124, v155, v125
	v_min3_f32 v152, v152, v126, v154
	v_cvt_f64_f32_e32 v[124:125], v124
	v_lshl_add_u64 v[126:127], v[130:131], 3, v[120:121]
	global_store_dwordx2 v[126:127], v[124:125], off
	s_mov_b64 s[2:3], -1
	v_max_f32_e32 v125, v152, v152
	s_mov_b64 vcc, s[8:9]
	s_cbranch_vccz .LBB156_71
; %bb.70:
	v_min_f32_e32 v124, 0, v125
	v_cvt_f64_f32_e32 v[126:127], v124
	v_lshl_add_u64 v[152:153], v[142:143], 3, v[120:121]
	global_store_dwordx2 v[152:153], v[126:127], off
	s_mov_b64 s[2:3], 0
.LBB156_71:
	;; [unrolled: 54-line block ×3, first 2 shown]
	s_andn2_b64 vcc, exec, s[2:3]
	v_mov_b32_e32 v124, 0
	s_cbranch_vccnz .LBB156_77
; %bb.76:
	v_lshl_add_u64 v[126:127], v[122:123], 0, v[150:151]
	global_load_dwordx2 v[126:127], v[126:127], off
	v_lshl_add_u64 v[152:153], v[120:121], 0, v[150:151]
	v_lshl_add_u64 v[122:123], v[136:137], 3, v[122:123]
	s_waitcnt vmcnt(0)
	v_mul_f64 v[126:127], s[16:17], v[126:127]
	v_cvt_f32_f64_e32 v124, v[126:127]
	v_min_f32_e32 v124, v124, v125
	v_cvt_f64_f32_e32 v[124:125], v124
	global_store_dwordx2 v[152:153], v[124:125], off
	global_load_dwordx2 v[122:123], v[122:123], off
	s_waitcnt vmcnt(0)
	v_mul_f64 v[122:123], s[16:17], v[122:123]
	v_cvt_f32_f64_e32 v124, v[122:123]
.LBB156_77:
	v_add_f64 v[118:119], v[2:3], v[118:119]
	v_add_f64 v[116:117], v[0:1], v[116:117]
	v_cvt_f32_f64_e32 v116, v[116:117]
	v_cvt_f32_f64_e32 v117, v[118:119]
	v_add_f64 v[114:115], v[10:11], v[114:115]
	v_add_f64 v[112:113], v[8:9], v[112:113]
	v_min3_f32 v122, v116, v117, v207
	s_waitcnt lgkmcnt(11)
	v_add_f64 v[116:117], v[70:71], v[110:111]
	v_add_f64 v[118:119], v[68:69], v[108:109]
	v_cvt_f32_f64_e32 v112, v[112:113]
	v_cvt_f32_f64_e32 v113, v[114:115]
	v_cvt_f32_f64_e32 v118, v[118:119]
	v_cvt_f32_f64_e32 v116, v[116:117]
	v_min_f32_e32 v117, v112, v113
	s_waitcnt lgkmcnt(10)
	v_add_f64 v[112:113], v[66:67], v[106:107]
	v_add_f64 v[114:115], v[64:65], v[104:105]
	v_min3_f32 v116, v118, v116, v206
	v_cvt_f32_f64_e32 v114, v[114:115]
	v_cvt_f32_f64_e32 v112, v[112:113]
	v_min3_f32 v116, v114, v112, v116
	v_min3_f32 v112, v124, v117, v122
	v_cvt_f64_f32_e32 v[112:113], v112
	v_lshl_add_u64 v[114:115], v[136:137], 3, v[120:121]
	global_store_dwordx2 v[114:115], v[112:113], off
	v_add_u32_e32 v114, 16, v205
	v_mad_i64_i32 v[112:113], s[2:3], v114, s5, 0
	v_mad_i64_i32 v[114:115], s[2:3], v114, s4, 0
	v_lshl_add_u64 v[112:113], v[112:113], 3, s[0:1]
	s_mov_b64 s[2:3], -1
	v_max_f32_e32 v117, v116, v116
	s_mov_b64 vcc, s[8:9]
	s_cbranch_vccz .LBB156_79
; %bb.78:
	v_min_f32_e32 v116, 0, v117
	v_cvt_f64_f32_e32 v[118:119], v116
	v_lshl_add_u64 v[120:121], v[134:135], 3, v[112:113]
	global_store_dwordx2 v[120:121], v[118:119], off
	s_mov_b64 s[2:3], 0
.LBB156_79:
	v_lshl_add_u64 v[114:115], v[114:115], 3, s[10:11]
	s_andn2_b64 vcc, exec, s[2:3]
	v_mov_b32_e32 v116, 0
	s_cbranch_vccnz .LBB156_81
; %bb.80:
	v_lshl_add_u64 v[118:119], v[114:115], 0, v[138:139]
	global_load_dwordx2 v[118:119], v[118:119], off
	v_lshl_add_u64 v[120:121], v[112:113], 0, v[138:139]
	s_waitcnt vmcnt(0)
	v_mul_f64 v[118:119], s[16:17], v[118:119]
	v_cvt_f32_f64_e32 v116, v[118:119]
	v_min_f32_e32 v116, v116, v117
	v_cvt_f64_f32_e32 v[116:117], v116
	global_store_dwordx2 v[120:121], v[116:117], off
	v_lshl_add_u64 v[116:117], v[128:129], 3, v[114:115]
	global_load_dwordx2 v[116:117], v[116:117], off
	s_waitcnt vmcnt(0)
	v_mul_f64 v[116:117], s[16:17], v[116:117]
	v_cvt_f32_f64_e32 v116, v[116:117]
.LBB156_81:
	v_add_f64 v[118:119], v[62:63], v[110:111]
	v_add_f64 v[120:121], v[60:61], v[108:109]
	v_cvt_f32_f64_e32 v117, v[120:121]
	v_cvt_f32_f64_e32 v118, v[118:119]
	v_min3_f32 v117, v117, v118, v204
	v_add_f64 v[118:119], v[58:59], v[110:111]
	v_add_f64 v[120:121], v[56:57], v[108:109]
	v_cvt_f32_f64_e32 v120, v[120:121]
	v_cvt_f32_f64_e32 v118, v[118:119]
	v_min3_f32 v122, v120, v118, v203
	v_add_f64 v[118:119], v[54:55], v[106:107]
	v_add_f64 v[120:121], v[52:53], v[104:105]
	v_cvt_f32_f64_e32 v120, v[120:121]
	v_cvt_f32_f64_e32 v118, v[118:119]
	v_min_f32_e32 v123, v120, v118
	v_add_f64 v[118:119], v[50:51], v[106:107]
	v_add_f64 v[120:121], v[48:49], v[104:105]
	v_cvt_f32_f64_e32 v120, v[120:121]
	v_cvt_f32_f64_e32 v118, v[118:119]
	v_min3_f32 v116, v116, v123, v117
	v_min3_f32 v120, v120, v118, v122
	v_cvt_f64_f32_e32 v[116:117], v116
	v_lshl_add_u64 v[118:119], v[128:129], 3, v[112:113]
	global_store_dwordx2 v[118:119], v[116:117], off
	s_mov_b64 s[2:3], -1
	v_max_f32_e32 v117, v120, v120
	s_mov_b64 vcc, s[8:9]
	s_cbranch_vccz .LBB156_83
; %bb.82:
	v_min_f32_e32 v116, 0, v117
	v_cvt_f64_f32_e32 v[118:119], v116
	v_lshl_add_u64 v[120:121], v[140:141], 3, v[112:113]
	global_store_dwordx2 v[120:121], v[118:119], off
	s_mov_b64 s[2:3], 0
.LBB156_83:
	s_andn2_b64 vcc, exec, s[2:3]
	v_mov_b32_e32 v116, 0
	s_cbranch_vccnz .LBB156_85
; %bb.84:
	v_lshl_add_u64 v[118:119], v[114:115], 0, v[144:145]
	global_load_dwordx2 v[118:119], v[118:119], off
	v_lshl_add_u64 v[120:121], v[112:113], 0, v[144:145]
	s_waitcnt vmcnt(0)
	v_mul_f64 v[118:119], s[16:17], v[118:119]
	v_cvt_f32_f64_e32 v116, v[118:119]
	v_min_f32_e32 v116, v116, v117
	v_cvt_f64_f32_e32 v[116:117], v116
	global_store_dwordx2 v[120:121], v[116:117], off
	v_lshl_add_u64 v[116:117], v[130:131], 3, v[114:115]
	global_load_dwordx2 v[116:117], v[116:117], off
	s_waitcnt vmcnt(0)
	v_mul_f64 v[116:117], s[16:17], v[116:117]
	v_cvt_f32_f64_e32 v116, v[116:117]
.LBB156_85:
	v_add_f64 v[118:119], v[42:43], v[110:111]
	v_add_f64 v[120:121], v[40:41], v[108:109]
	v_cvt_f32_f64_e32 v117, v[120:121]
	v_cvt_f32_f64_e32 v118, v[118:119]
	v_min3_f32 v117, v117, v118, v202
	v_add_f64 v[118:119], v[46:47], v[110:111]
	v_add_f64 v[120:121], v[44:45], v[108:109]
	v_cvt_f32_f64_e32 v120, v[120:121]
	v_cvt_f32_f64_e32 v118, v[118:119]
	v_min3_f32 v122, v120, v118, v201
	v_add_f64 v[118:119], v[38:39], v[106:107]
	v_add_f64 v[120:121], v[36:37], v[104:105]
	v_cvt_f32_f64_e32 v120, v[120:121]
	v_cvt_f32_f64_e32 v118, v[118:119]
	v_min_f32_e32 v123, v120, v118
	v_add_f64 v[118:119], v[34:35], v[106:107]
	v_add_f64 v[120:121], v[32:33], v[104:105]
	v_cvt_f32_f64_e32 v120, v[120:121]
	v_cvt_f32_f64_e32 v118, v[118:119]
	v_min3_f32 v116, v116, v123, v117
	v_min3_f32 v120, v120, v118, v122
	v_cvt_f64_f32_e32 v[116:117], v116
	v_lshl_add_u64 v[118:119], v[130:131], 3, v[112:113]
	global_store_dwordx2 v[118:119], v[116:117], off
	s_mov_b64 s[2:3], -1
	v_max_f32_e32 v117, v120, v120
	s_mov_b64 vcc, s[8:9]
	s_cbranch_vccz .LBB156_87
; %bb.86:
	v_min_f32_e32 v116, 0, v117
	v_cvt_f64_f32_e32 v[118:119], v116
	v_lshl_add_u64 v[120:121], v[142:143], 3, v[112:113]
	global_store_dwordx2 v[120:121], v[118:119], off
	s_mov_b64 s[2:3], 0
.LBB156_87:
	;; [unrolled: 54-line block ×3, first 2 shown]
	s_andn2_b64 vcc, exec, s[2:3]
	v_mov_b32_e32 v116, 0
	s_cbranch_vccnz .LBB156_93
; %bb.92:
	v_lshl_add_u64 v[118:119], v[114:115], 0, v[150:151]
	global_load_dwordx2 v[118:119], v[118:119], off
	v_lshl_add_u64 v[120:121], v[112:113], 0, v[150:151]
	v_lshl_add_u64 v[114:115], v[136:137], 3, v[114:115]
	s_waitcnt vmcnt(0)
	v_mul_f64 v[118:119], s[16:17], v[118:119]
	v_cvt_f32_f64_e32 v116, v[118:119]
	v_min_f32_e32 v116, v116, v117
	v_cvt_f64_f32_e32 v[116:117], v116
	global_store_dwordx2 v[120:121], v[116:117], off
	global_load_dwordx2 v[114:115], v[114:115], off
	s_waitcnt vmcnt(0)
	v_mul_f64 v[114:115], s[16:17], v[114:115]
	v_cvt_f32_f64_e32 v116, v[114:115]
.LBB156_93:
	v_add_f64 v[110:111], v[2:3], v[110:111]
	v_add_f64 v[108:109], v[0:1], v[108:109]
	v_cvt_f32_f64_e32 v108, v[108:109]
	v_cvt_f32_f64_e32 v109, v[110:111]
	v_add_f64 v[106:107], v[10:11], v[106:107]
	v_add_f64 v[104:105], v[8:9], v[104:105]
	v_min3_f32 v114, v108, v109, v198
	s_waitcnt lgkmcnt(9)
	v_add_f64 v[108:109], v[70:71], v[102:103]
	v_add_f64 v[110:111], v[68:69], v[100:101]
	v_cvt_f32_f64_e32 v104, v[104:105]
	v_cvt_f32_f64_e32 v105, v[106:107]
	;; [unrolled: 1-line block ×4, first 2 shown]
	v_min_f32_e32 v109, v104, v105
	s_waitcnt lgkmcnt(8)
	v_add_f64 v[104:105], v[66:67], v[98:99]
	v_add_f64 v[106:107], v[64:65], v[96:97]
	v_min3_f32 v108, v110, v108, v197
	v_cvt_f32_f64_e32 v106, v[106:107]
	v_cvt_f32_f64_e32 v104, v[104:105]
	v_min3_f32 v108, v106, v104, v108
	v_min3_f32 v104, v116, v109, v114
	v_cvt_f64_f32_e32 v[104:105], v104
	v_lshl_add_u64 v[106:107], v[136:137], 3, v[112:113]
	global_store_dwordx2 v[106:107], v[104:105], off
	v_add_u32_e32 v106, 24, v205
	v_mad_i64_i32 v[104:105], s[2:3], v106, s5, 0
	v_mad_i64_i32 v[106:107], s[2:3], v106, s4, 0
	v_lshl_add_u64 v[104:105], v[104:105], 3, s[0:1]
	s_mov_b64 s[2:3], -1
	v_max_f32_e32 v109, v108, v108
	s_mov_b64 vcc, s[8:9]
	s_cbranch_vccz .LBB156_95
; %bb.94:
	v_min_f32_e32 v108, 0, v109
	v_cvt_f64_f32_e32 v[110:111], v108
	v_lshl_add_u64 v[112:113], v[134:135], 3, v[104:105]
	global_store_dwordx2 v[112:113], v[110:111], off
	s_mov_b64 s[2:3], 0
.LBB156_95:
	v_lshl_add_u64 v[106:107], v[106:107], 3, s[10:11]
	s_andn2_b64 vcc, exec, s[2:3]
	v_mov_b32_e32 v108, 0
	s_cbranch_vccnz .LBB156_97
; %bb.96:
	v_lshl_add_u64 v[110:111], v[106:107], 0, v[138:139]
	global_load_dwordx2 v[110:111], v[110:111], off
	v_lshl_add_u64 v[112:113], v[104:105], 0, v[138:139]
	s_waitcnt vmcnt(0)
	v_mul_f64 v[110:111], s[16:17], v[110:111]
	v_cvt_f32_f64_e32 v108, v[110:111]
	v_min_f32_e32 v108, v108, v109
	v_cvt_f64_f32_e32 v[108:109], v108
	global_store_dwordx2 v[112:113], v[108:109], off
	v_lshl_add_u64 v[108:109], v[128:129], 3, v[106:107]
	global_load_dwordx2 v[108:109], v[108:109], off
	s_waitcnt vmcnt(0)
	v_mul_f64 v[108:109], s[16:17], v[108:109]
	v_cvt_f32_f64_e32 v108, v[108:109]
.LBB156_97:
	v_add_f64 v[110:111], v[62:63], v[102:103]
	v_add_f64 v[112:113], v[60:61], v[100:101]
	v_cvt_f32_f64_e32 v109, v[112:113]
	v_cvt_f32_f64_e32 v110, v[110:111]
	v_min3_f32 v109, v109, v110, v196
	v_add_f64 v[110:111], v[58:59], v[102:103]
	v_add_f64 v[112:113], v[56:57], v[100:101]
	v_cvt_f32_f64_e32 v112, v[112:113]
	v_cvt_f32_f64_e32 v110, v[110:111]
	v_min3_f32 v114, v112, v110, v195
	v_add_f64 v[110:111], v[54:55], v[98:99]
	v_add_f64 v[112:113], v[52:53], v[96:97]
	v_cvt_f32_f64_e32 v112, v[112:113]
	v_cvt_f32_f64_e32 v110, v[110:111]
	v_min_f32_e32 v115, v112, v110
	v_add_f64 v[110:111], v[50:51], v[98:99]
	v_add_f64 v[112:113], v[48:49], v[96:97]
	v_cvt_f32_f64_e32 v112, v[112:113]
	v_cvt_f32_f64_e32 v110, v[110:111]
	v_min3_f32 v108, v108, v115, v109
	v_min3_f32 v112, v112, v110, v114
	v_cvt_f64_f32_e32 v[108:109], v108
	v_lshl_add_u64 v[110:111], v[128:129], 3, v[104:105]
	global_store_dwordx2 v[110:111], v[108:109], off
	s_mov_b64 s[2:3], -1
	v_max_f32_e32 v109, v112, v112
	s_mov_b64 vcc, s[8:9]
	s_cbranch_vccz .LBB156_99
; %bb.98:
	v_min_f32_e32 v108, 0, v109
	v_cvt_f64_f32_e32 v[110:111], v108
	v_lshl_add_u64 v[112:113], v[140:141], 3, v[104:105]
	global_store_dwordx2 v[112:113], v[110:111], off
	s_mov_b64 s[2:3], 0
.LBB156_99:
	s_andn2_b64 vcc, exec, s[2:3]
	v_mov_b32_e32 v108, 0
	s_cbranch_vccnz .LBB156_101
; %bb.100:
	v_lshl_add_u64 v[110:111], v[106:107], 0, v[144:145]
	global_load_dwordx2 v[110:111], v[110:111], off
	v_lshl_add_u64 v[112:113], v[104:105], 0, v[144:145]
	s_waitcnt vmcnt(0)
	v_mul_f64 v[110:111], s[16:17], v[110:111]
	v_cvt_f32_f64_e32 v108, v[110:111]
	v_min_f32_e32 v108, v108, v109
	v_cvt_f64_f32_e32 v[108:109], v108
	global_store_dwordx2 v[112:113], v[108:109], off
	v_lshl_add_u64 v[108:109], v[130:131], 3, v[106:107]
	global_load_dwordx2 v[108:109], v[108:109], off
	s_waitcnt vmcnt(0)
	v_mul_f64 v[108:109], s[16:17], v[108:109]
	v_cvt_f32_f64_e32 v108, v[108:109]
.LBB156_101:
	v_add_f64 v[110:111], v[42:43], v[102:103]
	v_add_f64 v[112:113], v[40:41], v[100:101]
	v_cvt_f32_f64_e32 v109, v[112:113]
	v_cvt_f32_f64_e32 v110, v[110:111]
	v_min3_f32 v109, v109, v110, v194
	v_add_f64 v[110:111], v[46:47], v[102:103]
	v_add_f64 v[112:113], v[44:45], v[100:101]
	v_cvt_f32_f64_e32 v112, v[112:113]
	v_cvt_f32_f64_e32 v110, v[110:111]
	v_min3_f32 v114, v112, v110, v193
	v_add_f64 v[110:111], v[38:39], v[98:99]
	v_add_f64 v[112:113], v[36:37], v[96:97]
	v_cvt_f32_f64_e32 v112, v[112:113]
	v_cvt_f32_f64_e32 v110, v[110:111]
	v_min_f32_e32 v115, v112, v110
	v_add_f64 v[110:111], v[34:35], v[98:99]
	v_add_f64 v[112:113], v[32:33], v[96:97]
	v_cvt_f32_f64_e32 v112, v[112:113]
	v_cvt_f32_f64_e32 v110, v[110:111]
	v_min3_f32 v108, v108, v115, v109
	v_min3_f32 v112, v112, v110, v114
	v_cvt_f64_f32_e32 v[108:109], v108
	v_lshl_add_u64 v[110:111], v[130:131], 3, v[104:105]
	global_store_dwordx2 v[110:111], v[108:109], off
	s_mov_b64 s[2:3], -1
	v_max_f32_e32 v109, v112, v112
	s_mov_b64 vcc, s[8:9]
	s_cbranch_vccz .LBB156_103
; %bb.102:
	v_min_f32_e32 v108, 0, v109
	v_cvt_f64_f32_e32 v[110:111], v108
	v_lshl_add_u64 v[112:113], v[142:143], 3, v[104:105]
	global_store_dwordx2 v[112:113], v[110:111], off
	s_mov_b64 s[2:3], 0
.LBB156_103:
	;; [unrolled: 54-line block ×3, first 2 shown]
	s_andn2_b64 vcc, exec, s[2:3]
	v_mov_b32_e32 v108, 0
	s_cbranch_vccnz .LBB156_109
; %bb.108:
	v_lshl_add_u64 v[110:111], v[106:107], 0, v[150:151]
	global_load_dwordx2 v[110:111], v[110:111], off
	v_lshl_add_u64 v[112:113], v[104:105], 0, v[150:151]
	v_lshl_add_u64 v[106:107], v[136:137], 3, v[106:107]
	s_waitcnt vmcnt(0)
	v_mul_f64 v[110:111], s[16:17], v[110:111]
	v_cvt_f32_f64_e32 v108, v[110:111]
	v_min_f32_e32 v108, v108, v109
	v_cvt_f64_f32_e32 v[108:109], v108
	global_store_dwordx2 v[112:113], v[108:109], off
	global_load_dwordx2 v[106:107], v[106:107], off
	s_waitcnt vmcnt(0)
	v_mul_f64 v[106:107], s[16:17], v[106:107]
	v_cvt_f32_f64_e32 v108, v[106:107]
.LBB156_109:
	v_add_f64 v[102:103], v[2:3], v[102:103]
	v_add_f64 v[100:101], v[0:1], v[100:101]
	v_cvt_f32_f64_e32 v100, v[100:101]
	v_cvt_f32_f64_e32 v101, v[102:103]
	v_add_f64 v[98:99], v[10:11], v[98:99]
	v_add_f64 v[96:97], v[8:9], v[96:97]
	v_min3_f32 v106, v100, v101, v190
	s_waitcnt lgkmcnt(7)
	v_add_f64 v[100:101], v[70:71], v[94:95]
	v_add_f64 v[102:103], v[68:69], v[92:93]
	v_cvt_f32_f64_e32 v96, v[96:97]
	v_cvt_f32_f64_e32 v97, v[98:99]
	;; [unrolled: 1-line block ×4, first 2 shown]
	v_min_f32_e32 v101, v96, v97
	s_waitcnt lgkmcnt(6)
	v_add_f64 v[96:97], v[66:67], v[90:91]
	v_add_f64 v[98:99], v[64:65], v[88:89]
	v_min3_f32 v100, v102, v100, v189
	v_cvt_f32_f64_e32 v98, v[98:99]
	v_cvt_f32_f64_e32 v96, v[96:97]
	v_min3_f32 v100, v98, v96, v100
	v_min3_f32 v96, v108, v101, v106
	v_cvt_f64_f32_e32 v[96:97], v96
	v_lshl_add_u64 v[98:99], v[136:137], 3, v[104:105]
	global_store_dwordx2 v[98:99], v[96:97], off
	v_add_u32_e32 v98, 32, v205
	v_mad_i64_i32 v[96:97], s[2:3], v98, s5, 0
	v_mad_i64_i32 v[98:99], s[2:3], v98, s4, 0
	v_lshl_add_u64 v[96:97], v[96:97], 3, s[0:1]
	s_mov_b64 s[2:3], -1
	v_max_f32_e32 v101, v100, v100
	s_mov_b64 vcc, s[8:9]
	s_cbranch_vccz .LBB156_111
; %bb.110:
	v_min_f32_e32 v100, 0, v101
	v_cvt_f64_f32_e32 v[102:103], v100
	v_lshl_add_u64 v[104:105], v[134:135], 3, v[96:97]
	global_store_dwordx2 v[104:105], v[102:103], off
	s_mov_b64 s[2:3], 0
.LBB156_111:
	v_lshl_add_u64 v[98:99], v[98:99], 3, s[10:11]
	s_andn2_b64 vcc, exec, s[2:3]
	v_mov_b32_e32 v100, 0
	s_cbranch_vccnz .LBB156_113
; %bb.112:
	v_lshl_add_u64 v[102:103], v[98:99], 0, v[138:139]
	global_load_dwordx2 v[102:103], v[102:103], off
	v_lshl_add_u64 v[104:105], v[96:97], 0, v[138:139]
	s_waitcnt vmcnt(0)
	v_mul_f64 v[102:103], s[16:17], v[102:103]
	v_cvt_f32_f64_e32 v100, v[102:103]
	v_min_f32_e32 v100, v100, v101
	v_cvt_f64_f32_e32 v[100:101], v100
	global_store_dwordx2 v[104:105], v[100:101], off
	v_lshl_add_u64 v[100:101], v[128:129], 3, v[98:99]
	global_load_dwordx2 v[100:101], v[100:101], off
	s_waitcnt vmcnt(0)
	v_mul_f64 v[100:101], s[16:17], v[100:101]
	v_cvt_f32_f64_e32 v100, v[100:101]
.LBB156_113:
	v_add_f64 v[102:103], v[62:63], v[94:95]
	v_add_f64 v[104:105], v[60:61], v[92:93]
	v_cvt_f32_f64_e32 v101, v[104:105]
	v_cvt_f32_f64_e32 v102, v[102:103]
	v_min3_f32 v101, v101, v102, v188
	v_add_f64 v[102:103], v[58:59], v[94:95]
	v_add_f64 v[104:105], v[56:57], v[92:93]
	v_cvt_f32_f64_e32 v104, v[104:105]
	v_cvt_f32_f64_e32 v102, v[102:103]
	v_min3_f32 v106, v104, v102, v187
	v_add_f64 v[102:103], v[54:55], v[90:91]
	v_add_f64 v[104:105], v[52:53], v[88:89]
	v_cvt_f32_f64_e32 v104, v[104:105]
	v_cvt_f32_f64_e32 v102, v[102:103]
	v_min_f32_e32 v107, v104, v102
	v_add_f64 v[102:103], v[50:51], v[90:91]
	v_add_f64 v[104:105], v[48:49], v[88:89]
	v_cvt_f32_f64_e32 v104, v[104:105]
	v_cvt_f32_f64_e32 v102, v[102:103]
	v_min3_f32 v100, v100, v107, v101
	v_min3_f32 v104, v104, v102, v106
	v_cvt_f64_f32_e32 v[100:101], v100
	v_lshl_add_u64 v[102:103], v[128:129], 3, v[96:97]
	global_store_dwordx2 v[102:103], v[100:101], off
	s_mov_b64 s[2:3], -1
	v_max_f32_e32 v101, v104, v104
	s_mov_b64 vcc, s[8:9]
	s_cbranch_vccz .LBB156_115
; %bb.114:
	v_min_f32_e32 v100, 0, v101
	v_cvt_f64_f32_e32 v[102:103], v100
	v_lshl_add_u64 v[104:105], v[140:141], 3, v[96:97]
	global_store_dwordx2 v[104:105], v[102:103], off
	s_mov_b64 s[2:3], 0
.LBB156_115:
	s_andn2_b64 vcc, exec, s[2:3]
	v_mov_b32_e32 v100, 0
	s_cbranch_vccnz .LBB156_117
; %bb.116:
	v_lshl_add_u64 v[102:103], v[98:99], 0, v[144:145]
	global_load_dwordx2 v[102:103], v[102:103], off
	v_lshl_add_u64 v[104:105], v[96:97], 0, v[144:145]
	s_waitcnt vmcnt(0)
	v_mul_f64 v[102:103], s[16:17], v[102:103]
	v_cvt_f32_f64_e32 v100, v[102:103]
	v_min_f32_e32 v100, v100, v101
	v_cvt_f64_f32_e32 v[100:101], v100
	global_store_dwordx2 v[104:105], v[100:101], off
	v_lshl_add_u64 v[100:101], v[130:131], 3, v[98:99]
	global_load_dwordx2 v[100:101], v[100:101], off
	s_waitcnt vmcnt(0)
	v_mul_f64 v[100:101], s[16:17], v[100:101]
	v_cvt_f32_f64_e32 v100, v[100:101]
.LBB156_117:
	v_add_f64 v[102:103], v[42:43], v[94:95]
	v_add_f64 v[104:105], v[40:41], v[92:93]
	v_cvt_f32_f64_e32 v101, v[104:105]
	v_cvt_f32_f64_e32 v102, v[102:103]
	v_min3_f32 v101, v101, v102, v186
	v_add_f64 v[102:103], v[46:47], v[94:95]
	v_add_f64 v[104:105], v[44:45], v[92:93]
	v_cvt_f32_f64_e32 v104, v[104:105]
	v_cvt_f32_f64_e32 v102, v[102:103]
	v_min3_f32 v106, v104, v102, v185
	v_add_f64 v[102:103], v[38:39], v[90:91]
	v_add_f64 v[104:105], v[36:37], v[88:89]
	v_cvt_f32_f64_e32 v104, v[104:105]
	v_cvt_f32_f64_e32 v102, v[102:103]
	v_min_f32_e32 v107, v104, v102
	v_add_f64 v[102:103], v[34:35], v[90:91]
	v_add_f64 v[104:105], v[32:33], v[88:89]
	v_cvt_f32_f64_e32 v104, v[104:105]
	v_cvt_f32_f64_e32 v102, v[102:103]
	v_min3_f32 v100, v100, v107, v101
	v_min3_f32 v104, v104, v102, v106
	v_cvt_f64_f32_e32 v[100:101], v100
	v_lshl_add_u64 v[102:103], v[130:131], 3, v[96:97]
	global_store_dwordx2 v[102:103], v[100:101], off
	s_mov_b64 s[2:3], -1
	v_max_f32_e32 v101, v104, v104
	s_mov_b64 vcc, s[8:9]
	s_cbranch_vccz .LBB156_119
; %bb.118:
	v_min_f32_e32 v100, 0, v101
	v_cvt_f64_f32_e32 v[102:103], v100
	v_lshl_add_u64 v[104:105], v[142:143], 3, v[96:97]
	global_store_dwordx2 v[104:105], v[102:103], off
	s_mov_b64 s[2:3], 0
.LBB156_119:
	;; [unrolled: 54-line block ×3, first 2 shown]
	s_andn2_b64 vcc, exec, s[2:3]
	v_mov_b32_e32 v100, 0
	s_cbranch_vccnz .LBB156_125
; %bb.124:
	v_lshl_add_u64 v[102:103], v[98:99], 0, v[150:151]
	global_load_dwordx2 v[102:103], v[102:103], off
	v_lshl_add_u64 v[104:105], v[96:97], 0, v[150:151]
	v_lshl_add_u64 v[98:99], v[136:137], 3, v[98:99]
	s_waitcnt vmcnt(0)
	v_mul_f64 v[102:103], s[16:17], v[102:103]
	v_cvt_f32_f64_e32 v100, v[102:103]
	v_min_f32_e32 v100, v100, v101
	v_cvt_f64_f32_e32 v[100:101], v100
	global_store_dwordx2 v[104:105], v[100:101], off
	global_load_dwordx2 v[98:99], v[98:99], off
	s_waitcnt vmcnt(0)
	v_mul_f64 v[98:99], s[16:17], v[98:99]
	v_cvt_f32_f64_e32 v100, v[98:99]
.LBB156_125:
	v_add_f64 v[94:95], v[2:3], v[94:95]
	v_add_f64 v[92:93], v[0:1], v[92:93]
	v_cvt_f32_f64_e32 v92, v[92:93]
	v_cvt_f32_f64_e32 v93, v[94:95]
	v_add_f64 v[90:91], v[10:11], v[90:91]
	v_add_f64 v[88:89], v[8:9], v[88:89]
	v_min3_f32 v98, v92, v93, v182
	s_waitcnt lgkmcnt(5)
	v_add_f64 v[92:93], v[70:71], v[86:87]
	v_add_f64 v[94:95], v[68:69], v[84:85]
	v_cvt_f32_f64_e32 v88, v[88:89]
	v_cvt_f32_f64_e32 v89, v[90:91]
	v_cvt_f32_f64_e32 v94, v[94:95]
	v_cvt_f32_f64_e32 v92, v[92:93]
	v_min_f32_e32 v93, v88, v89
	s_waitcnt lgkmcnt(4)
	v_add_f64 v[88:89], v[66:67], v[82:83]
	v_add_f64 v[90:91], v[64:65], v[80:81]
	v_min3_f32 v92, v94, v92, v181
	v_cvt_f32_f64_e32 v90, v[90:91]
	v_cvt_f32_f64_e32 v88, v[88:89]
	v_min3_f32 v92, v90, v88, v92
	v_min3_f32 v88, v100, v93, v98
	v_cvt_f64_f32_e32 v[88:89], v88
	v_lshl_add_u64 v[90:91], v[136:137], 3, v[96:97]
	global_store_dwordx2 v[90:91], v[88:89], off
	v_add_u32_e32 v90, 40, v205
	v_mad_i64_i32 v[88:89], s[2:3], v90, s5, 0
	v_mad_i64_i32 v[90:91], s[2:3], v90, s4, 0
	v_lshl_add_u64 v[88:89], v[88:89], 3, s[0:1]
	s_mov_b64 s[2:3], -1
	v_max_f32_e32 v93, v92, v92
	s_mov_b64 vcc, s[8:9]
	s_cbranch_vccz .LBB156_127
; %bb.126:
	v_min_f32_e32 v92, 0, v93
	v_cvt_f64_f32_e32 v[94:95], v92
	v_lshl_add_u64 v[96:97], v[134:135], 3, v[88:89]
	global_store_dwordx2 v[96:97], v[94:95], off
	s_mov_b64 s[2:3], 0
.LBB156_127:
	v_lshl_add_u64 v[90:91], v[90:91], 3, s[10:11]
	s_andn2_b64 vcc, exec, s[2:3]
	v_mov_b32_e32 v92, 0
	s_cbranch_vccnz .LBB156_129
; %bb.128:
	v_lshl_add_u64 v[94:95], v[90:91], 0, v[138:139]
	global_load_dwordx2 v[94:95], v[94:95], off
	v_lshl_add_u64 v[96:97], v[88:89], 0, v[138:139]
	s_waitcnt vmcnt(0)
	v_mul_f64 v[94:95], s[16:17], v[94:95]
	v_cvt_f32_f64_e32 v92, v[94:95]
	v_min_f32_e32 v92, v92, v93
	v_cvt_f64_f32_e32 v[92:93], v92
	global_store_dwordx2 v[96:97], v[92:93], off
	v_lshl_add_u64 v[92:93], v[128:129], 3, v[90:91]
	global_load_dwordx2 v[92:93], v[92:93], off
	s_waitcnt vmcnt(0)
	v_mul_f64 v[92:93], s[16:17], v[92:93]
	v_cvt_f32_f64_e32 v92, v[92:93]
.LBB156_129:
	v_add_f64 v[94:95], v[62:63], v[86:87]
	v_add_f64 v[96:97], v[60:61], v[84:85]
	v_cvt_f32_f64_e32 v93, v[96:97]
	v_cvt_f32_f64_e32 v94, v[94:95]
	v_min3_f32 v93, v93, v94, v180
	v_add_f64 v[94:95], v[58:59], v[86:87]
	v_add_f64 v[96:97], v[56:57], v[84:85]
	v_cvt_f32_f64_e32 v96, v[96:97]
	v_cvt_f32_f64_e32 v94, v[94:95]
	v_min3_f32 v98, v96, v94, v179
	v_add_f64 v[94:95], v[54:55], v[82:83]
	v_add_f64 v[96:97], v[52:53], v[80:81]
	v_cvt_f32_f64_e32 v96, v[96:97]
	v_cvt_f32_f64_e32 v94, v[94:95]
	v_min_f32_e32 v99, v96, v94
	v_add_f64 v[94:95], v[50:51], v[82:83]
	v_add_f64 v[96:97], v[48:49], v[80:81]
	v_cvt_f32_f64_e32 v96, v[96:97]
	v_cvt_f32_f64_e32 v94, v[94:95]
	v_min3_f32 v92, v92, v99, v93
	v_min3_f32 v96, v96, v94, v98
	v_cvt_f64_f32_e32 v[92:93], v92
	v_lshl_add_u64 v[94:95], v[128:129], 3, v[88:89]
	global_store_dwordx2 v[94:95], v[92:93], off
	s_mov_b64 s[2:3], -1
	v_max_f32_e32 v93, v96, v96
	s_mov_b64 vcc, s[8:9]
	s_cbranch_vccz .LBB156_131
; %bb.130:
	v_min_f32_e32 v92, 0, v93
	v_cvt_f64_f32_e32 v[94:95], v92
	v_lshl_add_u64 v[96:97], v[140:141], 3, v[88:89]
	global_store_dwordx2 v[96:97], v[94:95], off
	s_mov_b64 s[2:3], 0
.LBB156_131:
	s_andn2_b64 vcc, exec, s[2:3]
	v_mov_b32_e32 v92, 0
	s_cbranch_vccnz .LBB156_133
; %bb.132:
	v_lshl_add_u64 v[94:95], v[90:91], 0, v[144:145]
	global_load_dwordx2 v[94:95], v[94:95], off
	v_lshl_add_u64 v[96:97], v[88:89], 0, v[144:145]
	s_waitcnt vmcnt(0)
	v_mul_f64 v[94:95], s[16:17], v[94:95]
	v_cvt_f32_f64_e32 v92, v[94:95]
	v_min_f32_e32 v92, v92, v93
	v_cvt_f64_f32_e32 v[92:93], v92
	global_store_dwordx2 v[96:97], v[92:93], off
	v_lshl_add_u64 v[92:93], v[130:131], 3, v[90:91]
	global_load_dwordx2 v[92:93], v[92:93], off
	s_waitcnt vmcnt(0)
	v_mul_f64 v[92:93], s[16:17], v[92:93]
	v_cvt_f32_f64_e32 v92, v[92:93]
.LBB156_133:
	v_add_f64 v[94:95], v[42:43], v[86:87]
	v_add_f64 v[96:97], v[40:41], v[84:85]
	v_cvt_f32_f64_e32 v93, v[96:97]
	v_cvt_f32_f64_e32 v94, v[94:95]
	v_min3_f32 v93, v93, v94, v178
	v_add_f64 v[94:95], v[46:47], v[86:87]
	v_add_f64 v[96:97], v[44:45], v[84:85]
	v_cvt_f32_f64_e32 v96, v[96:97]
	v_cvt_f32_f64_e32 v94, v[94:95]
	v_min3_f32 v98, v96, v94, v177
	v_add_f64 v[94:95], v[38:39], v[82:83]
	v_add_f64 v[96:97], v[36:37], v[80:81]
	v_cvt_f32_f64_e32 v96, v[96:97]
	v_cvt_f32_f64_e32 v94, v[94:95]
	v_min_f32_e32 v99, v96, v94
	v_add_f64 v[94:95], v[34:35], v[82:83]
	v_add_f64 v[96:97], v[32:33], v[80:81]
	v_cvt_f32_f64_e32 v96, v[96:97]
	v_cvt_f32_f64_e32 v94, v[94:95]
	v_min3_f32 v92, v92, v99, v93
	v_min3_f32 v96, v96, v94, v98
	v_cvt_f64_f32_e32 v[92:93], v92
	v_lshl_add_u64 v[94:95], v[130:131], 3, v[88:89]
	global_store_dwordx2 v[94:95], v[92:93], off
	s_mov_b64 s[2:3], -1
	v_max_f32_e32 v93, v96, v96
	s_mov_b64 vcc, s[8:9]
	s_cbranch_vccz .LBB156_135
; %bb.134:
	v_min_f32_e32 v92, 0, v93
	v_cvt_f64_f32_e32 v[94:95], v92
	v_lshl_add_u64 v[96:97], v[142:143], 3, v[88:89]
	global_store_dwordx2 v[96:97], v[94:95], off
	s_mov_b64 s[2:3], 0
.LBB156_135:
	;; [unrolled: 54-line block ×3, first 2 shown]
	s_andn2_b64 vcc, exec, s[2:3]
	v_mov_b32_e32 v92, 0
	s_cbranch_vccnz .LBB156_141
; %bb.140:
	v_lshl_add_u64 v[94:95], v[90:91], 0, v[150:151]
	global_load_dwordx2 v[94:95], v[94:95], off
	v_lshl_add_u64 v[96:97], v[88:89], 0, v[150:151]
	v_lshl_add_u64 v[90:91], v[136:137], 3, v[90:91]
	s_waitcnt vmcnt(0)
	v_mul_f64 v[94:95], s[16:17], v[94:95]
	v_cvt_f32_f64_e32 v92, v[94:95]
	v_min_f32_e32 v92, v92, v93
	v_cvt_f64_f32_e32 v[92:93], v92
	global_store_dwordx2 v[96:97], v[92:93], off
	global_load_dwordx2 v[90:91], v[90:91], off
	s_waitcnt vmcnt(0)
	v_mul_f64 v[90:91], s[16:17], v[90:91]
	v_cvt_f32_f64_e32 v92, v[90:91]
.LBB156_141:
	v_add_f64 v[86:87], v[2:3], v[86:87]
	v_add_f64 v[84:85], v[0:1], v[84:85]
	v_cvt_f32_f64_e32 v84, v[84:85]
	v_cvt_f32_f64_e32 v85, v[86:87]
	v_add_f64 v[82:83], v[10:11], v[82:83]
	v_add_f64 v[80:81], v[8:9], v[80:81]
	v_min3_f32 v90, v84, v85, v174
	s_waitcnt lgkmcnt(3)
	v_add_f64 v[84:85], v[70:71], v[78:79]
	v_add_f64 v[86:87], v[68:69], v[76:77]
	v_cvt_f32_f64_e32 v80, v[80:81]
	v_cvt_f32_f64_e32 v81, v[82:83]
	;; [unrolled: 1-line block ×4, first 2 shown]
	v_min_f32_e32 v85, v80, v81
	s_waitcnt lgkmcnt(2)
	v_add_f64 v[80:81], v[66:67], v[74:75]
	v_add_f64 v[82:83], v[64:65], v[72:73]
	v_min3_f32 v84, v86, v84, v173
	v_cvt_f32_f64_e32 v82, v[82:83]
	v_cvt_f32_f64_e32 v80, v[80:81]
	v_min3_f32 v84, v82, v80, v84
	v_min3_f32 v80, v92, v85, v90
	v_cvt_f64_f32_e32 v[80:81], v80
	v_lshl_add_u64 v[82:83], v[136:137], 3, v[88:89]
	global_store_dwordx2 v[82:83], v[80:81], off
	v_add_u32_e32 v82, 48, v205
	v_mad_i64_i32 v[80:81], s[2:3], v82, s5, 0
	v_mad_i64_i32 v[82:83], s[2:3], v82, s4, 0
	v_lshl_add_u64 v[80:81], v[80:81], 3, s[0:1]
	s_mov_b64 s[2:3], -1
	v_max_f32_e32 v85, v84, v84
	s_mov_b64 vcc, s[8:9]
	s_cbranch_vccz .LBB156_143
; %bb.142:
	v_min_f32_e32 v84, 0, v85
	v_cvt_f64_f32_e32 v[86:87], v84
	v_lshl_add_u64 v[88:89], v[134:135], 3, v[80:81]
	global_store_dwordx2 v[88:89], v[86:87], off
	s_mov_b64 s[2:3], 0
.LBB156_143:
	v_lshl_add_u64 v[82:83], v[82:83], 3, s[10:11]
	s_andn2_b64 vcc, exec, s[2:3]
	v_mov_b32_e32 v84, 0
	s_cbranch_vccnz .LBB156_145
; %bb.144:
	v_lshl_add_u64 v[86:87], v[82:83], 0, v[138:139]
	global_load_dwordx2 v[86:87], v[86:87], off
	v_lshl_add_u64 v[88:89], v[80:81], 0, v[138:139]
	s_waitcnt vmcnt(0)
	v_mul_f64 v[86:87], s[16:17], v[86:87]
	v_cvt_f32_f64_e32 v84, v[86:87]
	v_min_f32_e32 v84, v84, v85
	v_cvt_f64_f32_e32 v[84:85], v84
	global_store_dwordx2 v[88:89], v[84:85], off
	v_lshl_add_u64 v[84:85], v[128:129], 3, v[82:83]
	global_load_dwordx2 v[84:85], v[84:85], off
	s_waitcnt vmcnt(0)
	v_mul_f64 v[84:85], s[16:17], v[84:85]
	v_cvt_f32_f64_e32 v84, v[84:85]
.LBB156_145:
	v_add_f64 v[86:87], v[62:63], v[78:79]
	v_add_f64 v[88:89], v[60:61], v[76:77]
	v_cvt_f32_f64_e32 v85, v[88:89]
	v_cvt_f32_f64_e32 v86, v[86:87]
	v_min3_f32 v85, v85, v86, v172
	v_add_f64 v[86:87], v[58:59], v[78:79]
	v_add_f64 v[88:89], v[56:57], v[76:77]
	v_cvt_f32_f64_e32 v88, v[88:89]
	v_cvt_f32_f64_e32 v86, v[86:87]
	v_min3_f32 v90, v88, v86, v171
	v_add_f64 v[86:87], v[54:55], v[74:75]
	v_add_f64 v[88:89], v[52:53], v[72:73]
	v_cvt_f32_f64_e32 v88, v[88:89]
	v_cvt_f32_f64_e32 v86, v[86:87]
	v_min_f32_e32 v91, v88, v86
	v_add_f64 v[86:87], v[50:51], v[74:75]
	v_add_f64 v[88:89], v[48:49], v[72:73]
	v_cvt_f32_f64_e32 v88, v[88:89]
	v_cvt_f32_f64_e32 v86, v[86:87]
	v_min3_f32 v84, v84, v91, v85
	v_min3_f32 v88, v88, v86, v90
	v_cvt_f64_f32_e32 v[84:85], v84
	v_lshl_add_u64 v[86:87], v[128:129], 3, v[80:81]
	global_store_dwordx2 v[86:87], v[84:85], off
	s_mov_b64 s[2:3], -1
	v_max_f32_e32 v85, v88, v88
	s_mov_b64 vcc, s[8:9]
	s_cbranch_vccz .LBB156_147
; %bb.146:
	v_min_f32_e32 v84, 0, v85
	v_cvt_f64_f32_e32 v[86:87], v84
	v_lshl_add_u64 v[88:89], v[140:141], 3, v[80:81]
	global_store_dwordx2 v[88:89], v[86:87], off
	s_mov_b64 s[2:3], 0
.LBB156_147:
	s_andn2_b64 vcc, exec, s[2:3]
	v_mov_b32_e32 v84, 0
	s_cbranch_vccnz .LBB156_149
; %bb.148:
	v_lshl_add_u64 v[86:87], v[82:83], 0, v[144:145]
	global_load_dwordx2 v[86:87], v[86:87], off
	v_lshl_add_u64 v[88:89], v[80:81], 0, v[144:145]
	s_waitcnt vmcnt(0)
	v_mul_f64 v[86:87], s[16:17], v[86:87]
	v_cvt_f32_f64_e32 v84, v[86:87]
	v_min_f32_e32 v84, v84, v85
	v_cvt_f64_f32_e32 v[84:85], v84
	global_store_dwordx2 v[88:89], v[84:85], off
	v_lshl_add_u64 v[84:85], v[130:131], 3, v[82:83]
	global_load_dwordx2 v[84:85], v[84:85], off
	s_waitcnt vmcnt(0)
	v_mul_f64 v[84:85], s[16:17], v[84:85]
	v_cvt_f32_f64_e32 v84, v[84:85]
.LBB156_149:
	v_add_f64 v[86:87], v[42:43], v[78:79]
	v_add_f64 v[88:89], v[40:41], v[76:77]
	v_cvt_f32_f64_e32 v85, v[88:89]
	v_cvt_f32_f64_e32 v86, v[86:87]
	v_min3_f32 v85, v85, v86, v170
	v_add_f64 v[86:87], v[46:47], v[78:79]
	v_add_f64 v[88:89], v[44:45], v[76:77]
	v_cvt_f32_f64_e32 v88, v[88:89]
	v_cvt_f32_f64_e32 v86, v[86:87]
	v_min3_f32 v90, v88, v86, v169
	v_add_f64 v[86:87], v[38:39], v[74:75]
	v_add_f64 v[88:89], v[36:37], v[72:73]
	v_cvt_f32_f64_e32 v88, v[88:89]
	v_cvt_f32_f64_e32 v86, v[86:87]
	v_min_f32_e32 v91, v88, v86
	v_add_f64 v[86:87], v[34:35], v[74:75]
	v_add_f64 v[88:89], v[32:33], v[72:73]
	v_cvt_f32_f64_e32 v88, v[88:89]
	v_cvt_f32_f64_e32 v86, v[86:87]
	v_min3_f32 v84, v84, v91, v85
	v_min3_f32 v88, v88, v86, v90
	v_cvt_f64_f32_e32 v[84:85], v84
	v_lshl_add_u64 v[86:87], v[130:131], 3, v[80:81]
	global_store_dwordx2 v[86:87], v[84:85], off
	s_mov_b64 s[2:3], -1
	v_max_f32_e32 v85, v88, v88
	s_mov_b64 vcc, s[8:9]
	s_cbranch_vccz .LBB156_151
; %bb.150:
	v_min_f32_e32 v84, 0, v85
	v_cvt_f64_f32_e32 v[86:87], v84
	v_lshl_add_u64 v[88:89], v[142:143], 3, v[80:81]
	global_store_dwordx2 v[88:89], v[86:87], off
	s_mov_b64 s[2:3], 0
.LBB156_151:
	;; [unrolled: 54-line block ×3, first 2 shown]
	s_andn2_b64 vcc, exec, s[2:3]
	v_mov_b32_e32 v84, 0
	s_cbranch_vccnz .LBB156_157
; %bb.156:
	v_lshl_add_u64 v[86:87], v[82:83], 0, v[150:151]
	global_load_dwordx2 v[86:87], v[86:87], off
	v_lshl_add_u64 v[88:89], v[80:81], 0, v[150:151]
	v_lshl_add_u64 v[82:83], v[136:137], 3, v[82:83]
	s_waitcnt vmcnt(0)
	v_mul_f64 v[86:87], s[16:17], v[86:87]
	v_cvt_f32_f64_e32 v84, v[86:87]
	v_min_f32_e32 v84, v84, v85
	v_cvt_f64_f32_e32 v[84:85], v84
	global_store_dwordx2 v[88:89], v[84:85], off
	global_load_dwordx2 v[82:83], v[82:83], off
	s_waitcnt vmcnt(0)
	v_mul_f64 v[82:83], s[16:17], v[82:83]
	v_cvt_f32_f64_e32 v84, v[82:83]
.LBB156_157:
	v_add_f64 v[78:79], v[2:3], v[78:79]
	v_add_f64 v[76:77], v[0:1], v[76:77]
	s_waitcnt lgkmcnt(1)
	v_add_f64 v[70:71], v[70:71], v[6:7]
	v_add_f64 v[68:69], v[68:69], v[4:5]
	v_cvt_f32_f64_e32 v76, v[76:77]
	v_cvt_f32_f64_e32 v77, v[78:79]
	;; [unrolled: 1-line block ×4, first 2 shown]
	v_min3_f32 v76, v76, v77, v166
	v_min3_f32 v77, v68, v69, v165
	v_add_f64 v[68:69], v[10:11], v[74:75]
	v_add_f64 v[70:71], v[8:9], v[72:73]
	v_cvt_f32_f64_e32 v70, v[70:71]
	v_cvt_f32_f64_e32 v68, v[68:69]
	s_waitcnt lgkmcnt(0)
	v_add_f64 v[66:67], v[66:67], v[14:15]
	v_add_f64 v[64:65], v[64:65], v[12:13]
	v_min_f32_e32 v68, v70, v68
	v_cvt_f32_f64_e32 v64, v[64:65]
	v_cvt_f32_f64_e32 v65, v[66:67]
	v_min3_f32 v69, v64, v65, v77
	v_min3_f32 v64, v84, v68, v76
	v_cvt_f64_f32_e32 v[64:65], v64
	v_lshl_add_u64 v[66:67], v[136:137], 3, v[80:81]
	global_store_dwordx2 v[66:67], v[64:65], off
	v_add_u32_e32 v66, 56, v205
	v_mad_i64_i32 v[64:65], s[2:3], v66, s5, 0
	v_lshl_add_u64 v[64:65], v[64:65], 3, s[0:1]
	v_mad_i64_i32 v[66:67], s[0:1], v66, s4, 0
	s_mov_b64 s[0:1], -1
	v_max_f32_e32 v69, v69, v69
	s_mov_b64 vcc, s[8:9]
	s_cbranch_vccz .LBB156_159
; %bb.158:
	v_min_f32_e32 v68, 0, v69
	v_cvt_f64_f32_e32 v[70:71], v68
	v_lshl_add_u64 v[72:73], v[134:135], 3, v[64:65]
	global_store_dwordx2 v[72:73], v[70:71], off
	s_mov_b64 s[0:1], 0
.LBB156_159:
	v_lshl_add_u64 v[66:67], v[66:67], 3, s[10:11]
	s_andn2_b64 vcc, exec, s[0:1]
	v_mov_b32_e32 v68, 0
	s_cbranch_vccnz .LBB156_161
; %bb.160:
	v_lshl_add_u64 v[70:71], v[66:67], 0, v[138:139]
	global_load_dwordx2 v[70:71], v[70:71], off
	v_lshl_add_u64 v[72:73], v[64:65], 0, v[138:139]
	s_waitcnt vmcnt(0)
	v_mul_f64 v[70:71], s[16:17], v[70:71]
	v_cvt_f32_f64_e32 v68, v[70:71]
	v_min_f32_e32 v68, v68, v69
	v_cvt_f64_f32_e32 v[68:69], v68
	global_store_dwordx2 v[72:73], v[68:69], off
	v_lshl_add_u64 v[68:69], v[128:129], 3, v[66:67]
	global_load_dwordx2 v[68:69], v[68:69], off
	s_waitcnt vmcnt(0)
	v_mul_f64 v[68:69], s[16:17], v[68:69]
	v_cvt_f32_f64_e32 v68, v[68:69]
.LBB156_161:
	v_add_f64 v[62:63], v[62:63], v[6:7]
	v_add_f64 v[60:61], v[60:61], v[4:5]
	;; [unrolled: 1-line block ×6, first 2 shown]
	v_cvt_f32_f64_e32 v60, v[60:61]
	v_cvt_f32_f64_e32 v61, v[62:63]
	;; [unrolled: 1-line block ×6, first 2 shown]
	v_add_f64 v[50:51], v[50:51], v[14:15]
	v_add_f64 v[48:49], v[48:49], v[12:13]
	v_min3_f32 v60, v60, v61, v164
	v_min3_f32 v56, v56, v57, v163
	v_min_f32_e32 v52, v52, v53
	v_cvt_f32_f64_e32 v48, v[48:49]
	v_cvt_f32_f64_e32 v49, v[50:51]
	v_min3_f32 v53, v48, v49, v56
	v_min3_f32 v48, v68, v52, v60
	v_cvt_f64_f32_e32 v[48:49], v48
	v_lshl_add_u64 v[50:51], v[128:129], 3, v[64:65]
	global_store_dwordx2 v[50:51], v[48:49], off
	s_mov_b64 s[0:1], -1
	v_max_f32_e32 v49, v53, v53
	s_mov_b64 vcc, s[8:9]
	s_cbranch_vccz .LBB156_163
; %bb.162:
	v_min_f32_e32 v48, 0, v49
	v_cvt_f64_f32_e32 v[50:51], v48
	v_lshl_add_u64 v[52:53], v[140:141], 3, v[64:65]
	global_store_dwordx2 v[52:53], v[50:51], off
	s_mov_b64 s[0:1], 0
.LBB156_163:
	s_andn2_b64 vcc, exec, s[0:1]
	v_mov_b32_e32 v48, 0
	s_cbranch_vccnz .LBB156_165
; %bb.164:
	v_lshl_add_u64 v[50:51], v[66:67], 0, v[144:145]
	global_load_dwordx2 v[50:51], v[50:51], off
	v_lshl_add_u64 v[52:53], v[64:65], 0, v[144:145]
	s_waitcnt vmcnt(0)
	v_mul_f64 v[50:51], s[16:17], v[50:51]
	v_cvt_f32_f64_e32 v48, v[50:51]
	v_min_f32_e32 v48, v48, v49
	v_cvt_f64_f32_e32 v[48:49], v48
	global_store_dwordx2 v[52:53], v[48:49], off
	v_lshl_add_u64 v[48:49], v[130:131], 3, v[66:67]
	global_load_dwordx2 v[48:49], v[48:49], off
	s_waitcnt vmcnt(0)
	v_mul_f64 v[48:49], s[16:17], v[48:49]
	v_cvt_f32_f64_e32 v48, v[48:49]
.LBB156_165:
	v_add_f64 v[42:43], v[42:43], v[6:7]
	v_add_f64 v[40:41], v[40:41], v[4:5]
	v_cvt_f32_f64_e32 v40, v[40:41]
	v_cvt_f32_f64_e32 v41, v[42:43]
	v_min3_f32 v49, v40, v41, v162
	v_add_f64 v[40:41], v[46:47], v[6:7]
	v_add_f64 v[42:43], v[44:45], v[4:5]
	;; [unrolled: 1-line block ×4, first 2 shown]
	v_cvt_f32_f64_e32 v42, v[42:43]
	v_cvt_f32_f64_e32 v40, v[40:41]
	;; [unrolled: 1-line block ×4, first 2 shown]
	v_add_f64 v[34:35], v[34:35], v[14:15]
	v_add_f64 v[32:33], v[32:33], v[12:13]
	v_min3_f32 v40, v42, v40, v161
	v_min_f32_e32 v36, v36, v37
	v_cvt_f32_f64_e32 v32, v[32:33]
	v_cvt_f32_f64_e32 v33, v[34:35]
	v_min3_f32 v37, v32, v33, v40
	v_min3_f32 v32, v48, v36, v49
	v_cvt_f64_f32_e32 v[32:33], v32
	v_lshl_add_u64 v[34:35], v[130:131], 3, v[64:65]
	global_store_dwordx2 v[34:35], v[32:33], off
	s_mov_b64 s[0:1], -1
	v_max_f32_e32 v33, v37, v37
	s_mov_b64 vcc, s[8:9]
	s_cbranch_vccz .LBB156_167
; %bb.166:
	v_min_f32_e32 v32, 0, v33
	v_cvt_f64_f32_e32 v[34:35], v32
	v_lshl_add_u64 v[36:37], v[142:143], 3, v[64:65]
	global_store_dwordx2 v[36:37], v[34:35], off
	s_mov_b64 s[0:1], 0
.LBB156_167:
	s_andn2_b64 vcc, exec, s[0:1]
	v_mov_b32_e32 v32, 0
	s_cbranch_vccnz .LBB156_169
; %bb.168:
	v_lshl_add_u64 v[34:35], v[66:67], 0, v[148:149]
	global_load_dwordx2 v[34:35], v[34:35], off
	v_lshl_add_u64 v[36:37], v[64:65], 0, v[148:149]
	s_waitcnt vmcnt(0)
	v_mul_f64 v[34:35], s[16:17], v[34:35]
	v_cvt_f32_f64_e32 v32, v[34:35]
	v_min_f32_e32 v32, v32, v33
	v_cvt_f64_f32_e32 v[32:33], v32
	global_store_dwordx2 v[36:37], v[32:33], off
	v_lshl_add_u64 v[32:33], v[132:133], 3, v[66:67]
	global_load_dwordx2 v[32:33], v[32:33], off
	s_waitcnt vmcnt(0)
	v_mul_f64 v[32:33], s[16:17], v[32:33]
	v_cvt_f32_f64_e32 v32, v[32:33]
.LBB156_169:
	v_add_f64 v[30:31], v[30:31], v[6:7]
	v_add_f64 v[28:29], v[28:29], v[4:5]
	;; [unrolled: 1-line block ×6, first 2 shown]
	v_cvt_f32_f64_e32 v28, v[28:29]
	v_cvt_f32_f64_e32 v29, v[30:31]
	;; [unrolled: 1-line block ×6, first 2 shown]
	v_add_f64 v[18:19], v[18:19], v[14:15]
	v_add_f64 v[16:17], v[16:17], v[12:13]
	v_min3_f32 v28, v28, v29, v160
	v_min3_f32 v24, v24, v25, v159
	v_min_f32_e32 v20, v20, v21
	v_cvt_f32_f64_e32 v16, v[16:17]
	v_cvt_f32_f64_e32 v17, v[18:19]
	v_min3_f32 v21, v16, v17, v24
	v_min3_f32 v16, v32, v20, v28
	v_cvt_f64_f32_e32 v[16:17], v16
	v_lshl_add_u64 v[18:19], v[132:133], 3, v[64:65]
	global_store_dwordx2 v[18:19], v[16:17], off
	s_mov_b64 s[0:1], -1
	v_max_f32_e32 v17, v21, v21
	s_mov_b64 vcc, s[8:9]
	s_cbranch_vccz .LBB156_171
; %bb.170:
	v_min_f32_e32 v16, 0, v17
	v_cvt_f64_f32_e32 v[18:19], v16
	v_lshl_add_u64 v[20:21], v[146:147], 3, v[64:65]
	global_store_dwordx2 v[20:21], v[18:19], off
	s_mov_b64 s[0:1], 0
.LBB156_171:
	s_andn2_b64 vcc, exec, s[0:1]
	v_mov_b32_e32 v16, 0
	s_cbranch_vccnz .LBB156_173
; %bb.172:
	v_lshl_add_u64 v[18:19], v[66:67], 0, v[150:151]
	global_load_dwordx2 v[18:19], v[18:19], off
	v_lshl_add_u64 v[20:21], v[64:65], 0, v[150:151]
	s_waitcnt vmcnt(0)
	v_mul_f64 v[18:19], s[16:17], v[18:19]
	v_cvt_f32_f64_e32 v16, v[18:19]
	v_min_f32_e32 v16, v16, v17
	v_cvt_f64_f32_e32 v[16:17], v16
	global_store_dwordx2 v[20:21], v[16:17], off
	v_lshl_add_u64 v[16:17], v[136:137], 3, v[66:67]
	global_load_dwordx2 v[16:17], v[16:17], off
	s_waitcnt vmcnt(0)
	v_mul_f64 v[16:17], s[16:17], v[16:17]
	v_cvt_f32_f64_e32 v16, v[16:17]
.LBB156_173:
	v_add_f64 v[10:11], v[10:11], v[14:15]
	v_add_f64 v[8:9], v[8:9], v[12:13]
	;; [unrolled: 1-line block ×4, first 2 shown]
	v_cvt_f32_f64_e32 v8, v[8:9]
	v_cvt_f32_f64_e32 v9, v[10:11]
	;; [unrolled: 1-line block ×4, first 2 shown]
	v_min_f32_e32 v8, v8, v9
	v_min3_f32 v0, v0, v1, v158
	v_min3_f32 v0, v16, v8, v0
	v_cvt_f64_f32_e32 v[0:1], v0
	v_lshl_add_u64 v[2:3], v[136:137], 3, v[64:65]
	global_store_dwordx2 v[2:3], v[0:1], off
	s_endpgm
	.section	.rodata,"a",@progbits
	.p2align	6, 0x0
	.amdhsa_kernel _ZN12_GLOBAL__N_120geam_min_plus_kernelId15HIP_vector_typeIdLj2EEdLi32ELi8ELi256ELi64ELi4ELi64ELi4ELi4ELi64ELc78ELc78ELb0ELb0ELb1EPKdS3_dEEviiiT16_PT17_ilS7_ilS5_S7_ilPT18_ili26rocblas_geam_ex_operation_
		.amdhsa_group_segment_fixed_size 20480
		.amdhsa_private_segment_fixed_size 0
		.amdhsa_kernarg_size 136
		.amdhsa_user_sgpr_count 2
		.amdhsa_user_sgpr_dispatch_ptr 0
		.amdhsa_user_sgpr_queue_ptr 0
		.amdhsa_user_sgpr_kernarg_segment_ptr 1
		.amdhsa_user_sgpr_dispatch_id 0
		.amdhsa_user_sgpr_kernarg_preload_length 0
		.amdhsa_user_sgpr_kernarg_preload_offset 0
		.amdhsa_user_sgpr_private_segment_size 0
		.amdhsa_uses_dynamic_stack 0
		.amdhsa_enable_private_segment 0
		.amdhsa_system_sgpr_workgroup_id_x 1
		.amdhsa_system_sgpr_workgroup_id_y 0
		.amdhsa_system_sgpr_workgroup_id_z 1
		.amdhsa_system_sgpr_workgroup_info 0
		.amdhsa_system_vgpr_workitem_id 1
		.amdhsa_next_free_vgpr 230
		.amdhsa_next_free_sgpr 32
		.amdhsa_accum_offset 232
		.amdhsa_reserve_vcc 1
		.amdhsa_float_round_mode_32 0
		.amdhsa_float_round_mode_16_64 0
		.amdhsa_float_denorm_mode_32 3
		.amdhsa_float_denorm_mode_16_64 3
		.amdhsa_dx10_clamp 1
		.amdhsa_ieee_mode 1
		.amdhsa_fp16_overflow 0
		.amdhsa_tg_split 0
		.amdhsa_exception_fp_ieee_invalid_op 0
		.amdhsa_exception_fp_denorm_src 0
		.amdhsa_exception_fp_ieee_div_zero 0
		.amdhsa_exception_fp_ieee_overflow 0
		.amdhsa_exception_fp_ieee_underflow 0
		.amdhsa_exception_fp_ieee_inexact 0
		.amdhsa_exception_int_div_zero 0
	.end_amdhsa_kernel
	.section	.text._ZN12_GLOBAL__N_120geam_min_plus_kernelId15HIP_vector_typeIdLj2EEdLi32ELi8ELi256ELi64ELi4ELi64ELi4ELi4ELi64ELc78ELc78ELb0ELb0ELb1EPKdS3_dEEviiiT16_PT17_ilS7_ilS5_S7_ilPT18_ili26rocblas_geam_ex_operation_,"axG",@progbits,_ZN12_GLOBAL__N_120geam_min_plus_kernelId15HIP_vector_typeIdLj2EEdLi32ELi8ELi256ELi64ELi4ELi64ELi4ELi4ELi64ELc78ELc78ELb0ELb0ELb1EPKdS3_dEEviiiT16_PT17_ilS7_ilS5_S7_ilPT18_ili26rocblas_geam_ex_operation_,comdat
.Lfunc_end156:
	.size	_ZN12_GLOBAL__N_120geam_min_plus_kernelId15HIP_vector_typeIdLj2EEdLi32ELi8ELi256ELi64ELi4ELi64ELi4ELi4ELi64ELc78ELc78ELb0ELb0ELb1EPKdS3_dEEviiiT16_PT17_ilS7_ilS5_S7_ilPT18_ili26rocblas_geam_ex_operation_, .Lfunc_end156-_ZN12_GLOBAL__N_120geam_min_plus_kernelId15HIP_vector_typeIdLj2EEdLi32ELi8ELi256ELi64ELi4ELi64ELi4ELi4ELi64ELc78ELc78ELb0ELb0ELb1EPKdS3_dEEviiiT16_PT17_ilS7_ilS5_S7_ilPT18_ili26rocblas_geam_ex_operation_
                                        ; -- End function
	.set _ZN12_GLOBAL__N_120geam_min_plus_kernelId15HIP_vector_typeIdLj2EEdLi32ELi8ELi256ELi64ELi4ELi64ELi4ELi4ELi64ELc78ELc78ELb0ELb0ELb1EPKdS3_dEEviiiT16_PT17_ilS7_ilS5_S7_ilPT18_ili26rocblas_geam_ex_operation_.num_vgpr, 230
	.set _ZN12_GLOBAL__N_120geam_min_plus_kernelId15HIP_vector_typeIdLj2EEdLi32ELi8ELi256ELi64ELi4ELi64ELi4ELi4ELi64ELc78ELc78ELb0ELb0ELb1EPKdS3_dEEviiiT16_PT17_ilS7_ilS5_S7_ilPT18_ili26rocblas_geam_ex_operation_.num_agpr, 0
	.set _ZN12_GLOBAL__N_120geam_min_plus_kernelId15HIP_vector_typeIdLj2EEdLi32ELi8ELi256ELi64ELi4ELi64ELi4ELi4ELi64ELc78ELc78ELb0ELb0ELb1EPKdS3_dEEviiiT16_PT17_ilS7_ilS5_S7_ilPT18_ili26rocblas_geam_ex_operation_.numbered_sgpr, 32
	.set _ZN12_GLOBAL__N_120geam_min_plus_kernelId15HIP_vector_typeIdLj2EEdLi32ELi8ELi256ELi64ELi4ELi64ELi4ELi4ELi64ELc78ELc78ELb0ELb0ELb1EPKdS3_dEEviiiT16_PT17_ilS7_ilS5_S7_ilPT18_ili26rocblas_geam_ex_operation_.num_named_barrier, 0
	.set _ZN12_GLOBAL__N_120geam_min_plus_kernelId15HIP_vector_typeIdLj2EEdLi32ELi8ELi256ELi64ELi4ELi64ELi4ELi4ELi64ELc78ELc78ELb0ELb0ELb1EPKdS3_dEEviiiT16_PT17_ilS7_ilS5_S7_ilPT18_ili26rocblas_geam_ex_operation_.private_seg_size, 0
	.set _ZN12_GLOBAL__N_120geam_min_plus_kernelId15HIP_vector_typeIdLj2EEdLi32ELi8ELi256ELi64ELi4ELi64ELi4ELi4ELi64ELc78ELc78ELb0ELb0ELb1EPKdS3_dEEviiiT16_PT17_ilS7_ilS5_S7_ilPT18_ili26rocblas_geam_ex_operation_.uses_vcc, 1
	.set _ZN12_GLOBAL__N_120geam_min_plus_kernelId15HIP_vector_typeIdLj2EEdLi32ELi8ELi256ELi64ELi4ELi64ELi4ELi4ELi64ELc78ELc78ELb0ELb0ELb1EPKdS3_dEEviiiT16_PT17_ilS7_ilS5_S7_ilPT18_ili26rocblas_geam_ex_operation_.uses_flat_scratch, 0
	.set _ZN12_GLOBAL__N_120geam_min_plus_kernelId15HIP_vector_typeIdLj2EEdLi32ELi8ELi256ELi64ELi4ELi64ELi4ELi4ELi64ELc78ELc78ELb0ELb0ELb1EPKdS3_dEEviiiT16_PT17_ilS7_ilS5_S7_ilPT18_ili26rocblas_geam_ex_operation_.has_dyn_sized_stack, 0
	.set _ZN12_GLOBAL__N_120geam_min_plus_kernelId15HIP_vector_typeIdLj2EEdLi32ELi8ELi256ELi64ELi4ELi64ELi4ELi4ELi64ELc78ELc78ELb0ELb0ELb1EPKdS3_dEEviiiT16_PT17_ilS7_ilS5_S7_ilPT18_ili26rocblas_geam_ex_operation_.has_recursion, 0
	.set _ZN12_GLOBAL__N_120geam_min_plus_kernelId15HIP_vector_typeIdLj2EEdLi32ELi8ELi256ELi64ELi4ELi64ELi4ELi4ELi64ELc78ELc78ELb0ELb0ELb1EPKdS3_dEEviiiT16_PT17_ilS7_ilS5_S7_ilPT18_ili26rocblas_geam_ex_operation_.has_indirect_call, 0
	.section	.AMDGPU.csdata,"",@progbits
; Kernel info:
; codeLenInByte = 25308
; TotalNumSgprs: 38
; NumVgprs: 230
; NumAgprs: 0
; TotalNumVgprs: 230
; ScratchSize: 0
; MemoryBound: 1
; FloatMode: 240
; IeeeMode: 1
; LDSByteSize: 20480 bytes/workgroup (compile time only)
; SGPRBlocks: 4
; VGPRBlocks: 28
; NumSGPRsForWavesPerEU: 38
; NumVGPRsForWavesPerEU: 230
; AccumOffset: 232
; Occupancy: 2
; WaveLimiterHint : 1
; COMPUTE_PGM_RSRC2:SCRATCH_EN: 0
; COMPUTE_PGM_RSRC2:USER_SGPR: 2
; COMPUTE_PGM_RSRC2:TRAP_HANDLER: 0
; COMPUTE_PGM_RSRC2:TGID_X_EN: 1
; COMPUTE_PGM_RSRC2:TGID_Y_EN: 0
; COMPUTE_PGM_RSRC2:TGID_Z_EN: 1
; COMPUTE_PGM_RSRC2:TIDIG_COMP_CNT: 1
; COMPUTE_PGM_RSRC3_GFX90A:ACCUM_OFFSET: 57
; COMPUTE_PGM_RSRC3_GFX90A:TG_SPLIT: 0
	.section	.text._ZN12_GLOBAL__N_120geam_min_plus_kernelId15HIP_vector_typeIdLj2EEdLi32ELi8ELi256ELi64ELi4ELi64ELi4ELi4ELi64ELc78ELc78ELb1ELb0ELb1EdKddEEviiiT16_PT17_ilS6_ilS4_S6_ilPT18_ili26rocblas_geam_ex_operation_,"axG",@progbits,_ZN12_GLOBAL__N_120geam_min_plus_kernelId15HIP_vector_typeIdLj2EEdLi32ELi8ELi256ELi64ELi4ELi64ELi4ELi4ELi64ELc78ELc78ELb1ELb0ELb1EdKddEEviiiT16_PT17_ilS6_ilS4_S6_ilPT18_ili26rocblas_geam_ex_operation_,comdat
	.globl	_ZN12_GLOBAL__N_120geam_min_plus_kernelId15HIP_vector_typeIdLj2EEdLi32ELi8ELi256ELi64ELi4ELi64ELi4ELi4ELi64ELc78ELc78ELb1ELb0ELb1EdKddEEviiiT16_PT17_ilS6_ilS4_S6_ilPT18_ili26rocblas_geam_ex_operation_ ; -- Begin function _ZN12_GLOBAL__N_120geam_min_plus_kernelId15HIP_vector_typeIdLj2EEdLi32ELi8ELi256ELi64ELi4ELi64ELi4ELi4ELi64ELc78ELc78ELb1ELb0ELb1EdKddEEviiiT16_PT17_ilS6_ilS4_S6_ilPT18_ili26rocblas_geam_ex_operation_
	.p2align	8
	.type	_ZN12_GLOBAL__N_120geam_min_plus_kernelId15HIP_vector_typeIdLj2EEdLi32ELi8ELi256ELi64ELi4ELi64ELi4ELi4ELi64ELc78ELc78ELb1ELb0ELb1EdKddEEviiiT16_PT17_ilS6_ilS4_S6_ilPT18_ili26rocblas_geam_ex_operation_,@function
_ZN12_GLOBAL__N_120geam_min_plus_kernelId15HIP_vector_typeIdLj2EEdLi32ELi8ELi256ELi64ELi4ELi64ELi4ELi4ELi64ELc78ELc78ELb1ELb0ELb1EdKddEEviiiT16_PT17_ilS6_ilS4_S6_ilPT18_ili26rocblas_geam_ex_operation_: ; @_ZN12_GLOBAL__N_120geam_min_plus_kernelId15HIP_vector_typeIdLj2EEdLi32ELi8ELi256ELi64ELi4ELi64ELi4ELi4ELi64ELc78ELc78ELb1ELb0ELb1EdKddEEviiiT16_PT17_ilS6_ilS4_S6_ilPT18_ili26rocblas_geam_ex_operation_
; %bb.0:
	s_load_dwordx4 s[4:7], s[0:1], 0x10
	s_load_dwordx4 s[8:11], s[0:1], 0x28
	s_mov_b64 s[14:15], 0
	s_waitcnt lgkmcnt(0)
	v_cmp_eq_f64_e64 s[12:13], s[4:5], 0
	s_and_b64 vcc, exec, s[12:13]
	s_cbranch_vccnz .LBB157_2
; %bb.1:
	s_mul_i32 s4, s9, s3
	s_mul_hi_u32 s5, s8, s3
	s_add_i32 s5, s5, s4
	s_mul_i32 s4, s8, s3
	s_lshl_b64 s[4:5], s[4:5], 3
	s_add_u32 s14, s6, s4
	s_addc_u32 s15, s7, s5
.LBB157_2:
	s_load_dwordx4 s[4:7], s[0:1], 0x40
	s_load_dwordx2 s[18:19], s[0:1], 0x50
	s_andn2_b64 vcc, exec, s[12:13]
	s_mov_b64 s[8:9], -1
	s_cbranch_vccnz .LBB157_4
; %bb.3:
	s_mov_b64 s[8:9], 0
.LBB157_4:
	s_mov_b64 s[12:13], 0
	s_andn2_b64 vcc, exec, s[8:9]
	s_mov_b64 s[16:17], 0
	s_cbranch_vccnz .LBB157_6
; %bb.5:
	s_waitcnt lgkmcnt(0)
	s_mul_i32 s5, s5, s3
	s_mul_hi_u32 s8, s4, s3
	s_add_i32 s5, s8, s5
	s_mul_i32 s4, s4, s3
	s_lshl_b64 s[4:5], s[4:5], 3
	s_add_u32 s16, s10, s4
	s_addc_u32 s17, s11, s5
.LBB157_6:
	s_load_dwordx4 s[8:11], s[0:1], 0x60
	s_waitcnt lgkmcnt(0)
	v_cmp_eq_f64_e64 s[4:5], s[6:7], 0
	s_and_b64 s[4:5], exec, s[4:5]
	s_mov_b64 vcc, s[4:5]
	s_cbranch_vccnz .LBB157_8
; %bb.7:
	s_mul_i32 s9, s9, s3
	s_mul_hi_u32 s12, s8, s3
	s_add_i32 s9, s12, s9
	s_mul_i32 s8, s8, s3
	s_lshl_b64 s[8:9], s[8:9], 3
	s_add_u32 s12, s18, s8
	s_addc_u32 s13, s19, s9
.LBB157_8:
	s_load_dword s8, s[0:1], 0x0
	s_load_dword s19, s[0:1], 0x38
	;; [unrolled: 1-line block ×4, first 2 shown]
	v_bfe_u32 v117, v0, 10, 10
	s_waitcnt lgkmcnt(0)
	s_add_i32 s8, s8, -1
	s_ashr_i32 s9, s8, 31
	s_lshr_b32 s9, s9, 24
	s_add_i32 s8, s8, s9
	s_ashr_i32 s8, s8, 8
	s_add_i32 s9, s8, 1
	v_cvt_f32_u32_e32 v1, s9
	s_not_b32 s8, s8
	v_and_b32_e32 v116, 0x3ff, v0
	v_lshlrev_b32_e32 v130, 5, v117
	v_rcp_iflag_f32_e32 v1, v1
	v_add_u32_e32 v2, v130, v116
	v_and_b32_e32 v14, 63, v2
	v_lshrrev_b32_e32 v120, 6, v2
	v_mul_f32_e32 v1, 0x4f7ffffe, v1
	v_cvt_u32_f32_e32 v1, v1
	v_lshrrev_b32_e32 v15, 2, v2
	v_lshlrev_b32_e32 v0, 3, v0
	v_and_b32_e32 v104, 24, v0
	v_readfirstlane_b32 s20, v1
	s_mul_i32 s8, s8, s20
	s_mul_hi_u32 s8, s20, s8
	s_add_i32 s20, s20, s8
	s_mul_hi_u32 s8, s2, s20
	s_mul_i32 s20, s8, s9
	s_sub_i32 s20, s2, s20
	s_add_i32 s22, s8, 1
	s_sub_i32 s23, s20, s9
	s_cmp_ge_u32 s20, s9
	s_cselect_b32 s8, s22, s8
	s_cselect_b32 s20, s23, s20
	s_add_i32 s22, s8, 1
	s_cmp_ge_u32 s20, s9
	s_cselect_b32 s8, s22, s8
	s_mul_i32 s9, s8, s9
	s_sub_i32 s2, s2, s9
	s_lshl_b32 s2, s2, 8
	s_lshl_b32 s20, s8, 6
	v_or_b32_e32 v2, s2, v14
	v_mad_i64_i32 v[4:5], s[8:9], s18, v120, 0
	v_ashrrev_i32_e32 v3, 31, v2
	v_add_u32_e32 v1, s20, v15
	v_lshl_add_u64 v[4:5], v[4:5], 3, s[14:15]
	v_lshlrev_b64 v[100:101], 3, v[2:3]
	v_mad_i64_i32 v[102:103], s[8:9], v1, s19, 0
	v_lshl_add_u64 v[2:3], v[4:5], 0, v[100:101]
	v_lshl_add_u64 v[4:5], v[102:103], 3, s[16:17]
	v_mov_b32_e32 v105, 0
	v_lshl_add_u64 v[0:1], v[4:5], 0, v[104:105]
	global_load_dwordx2 v[4:5], v[0:1], off
	global_load_dwordx2 v[6:7], v[2:3], off
	global_load_dwordx2 v[8:9], v[2:3], off offset:512
	global_load_dwordx2 v[10:11], v[2:3], off offset:1024
	global_load_dwordx2 v[12:13], v[2:3], off offset:1536
	v_add_u32_e32 v2, 4, v120
	v_mad_i64_i32 v[2:3], s[22:23], s18, v2, 0
	v_lshl_add_u64 v[2:3], v[2:3], 3, s[14:15]
	v_lshlrev_b32_e32 v118, 5, v116
	v_lshlrev_b32_e32 v14, 5, v14
	v_lshl_or_b32 v104, v15, 5, v104
	global_load_dwordx2 v[106:107], v[0:1], off offset:32
	v_lshl_add_u64 v[0:1], v[2:3], 0, v[100:101]
	v_lshl_add_u32 v119, v120, 3, v14
	global_load_dwordx2 v[108:109], v[0:1], off
	global_load_dwordx2 v[112:113], v[0:1], off offset:512
	global_load_dwordx2 v[110:111], v[0:1], off offset:1024
	;; [unrolled: 1-line block ×3, first 2 shown]
	s_mov_b32 s8, 0x7f800000
	s_cmp_lt_i32 s21, 9
	s_waitcnt vmcnt(9)
	ds_write_b64 v104, v[4:5] offset:16384
	s_waitcnt vmcnt(7)
	ds_write2st64_b64 v119, v[6:7], v[8:9] offset1:4
	s_waitcnt vmcnt(5)
	ds_write2st64_b64 v119, v[10:11], v[12:13] offset0:8 offset1:12
	s_waitcnt lgkmcnt(0)
	s_barrier
	ds_read_b128 v[8:11], v118 offset:7168
	ds_read_b128 v[72:75], v130 offset:16640
	;; [unrolled: 1-line block ×8, first 2 shown]
	ds_read_b128 v[20:23], v118
	ds_read_b128 v[0:3], v118 offset:16
	ds_read_b128 v[76:79], v130 offset:16384
	;; [unrolled: 1-line block ×15, first 2 shown]
	s_waitcnt lgkmcnt(13)
	v_add_f64 v[60:61], v[22:23], v[78:79]
	v_add_f64 v[62:63], v[20:21], v[76:77]
	s_waitcnt lgkmcnt(11)
	v_add_f64 v[122:123], v[18:19], v[78:79]
	v_add_f64 v[124:125], v[16:17], v[76:77]
	;; [unrolled: 3-line block ×5, first 2 shown]
	v_cvt_f32_f64_e32 v62, v[62:63]
	v_cvt_f32_f64_e32 v60, v[60:61]
	;; [unrolled: 1-line block ×10, first 2 shown]
	v_min3_f32 v174, v121, v122, s8
	v_min3_f32 v175, v123, v124, s8
	;; [unrolled: 1-line block ×3, first 2 shown]
	v_add_f64 v[122:123], v[22:23], v[74:75]
	v_add_f64 v[124:125], v[20:21], v[72:73]
	v_cvt_f32_f64_e32 v121, v[124:125]
	v_cvt_f32_f64_e32 v122, v[122:123]
	v_min3_f32 v180, v121, v122, s8
	v_add_f64 v[122:123], v[18:19], v[74:75]
	v_add_f64 v[124:125], v[16:17], v[72:73]
	v_cvt_f32_f64_e32 v121, v[124:125]
	v_cvt_f32_f64_e32 v122, v[122:123]
	v_min3_f32 v181, v121, v122, s8
	;; [unrolled: 5-line block ×5, first 2 shown]
	s_waitcnt lgkmcnt(3)
	v_add_f64 v[122:123], v[94:95], v[74:75]
	v_add_f64 v[124:125], v[92:93], v[72:73]
	v_cvt_f32_f64_e32 v121, v[124:125]
	v_cvt_f32_f64_e32 v122, v[122:123]
	v_min3_f32 v168, v121, v122, s8
	s_waitcnt lgkmcnt(1)
	v_add_f64 v[122:123], v[98:99], v[74:75]
	v_add_f64 v[124:125], v[96:97], v[72:73]
	v_cvt_f32_f64_e32 v121, v[124:125]
	v_cvt_f32_f64_e32 v122, v[122:123]
	v_min3_f32 v166, v121, v122, s8
	v_add_f64 v[122:123], v[22:23], v[70:71]
	v_add_f64 v[124:125], v[20:21], v[68:69]
	v_cvt_f32_f64_e32 v121, v[124:125]
	v_cvt_f32_f64_e32 v122, v[122:123]
	v_min3_f32 v171, v121, v122, s8
	;; [unrolled: 5-line block ×19, first 2 shown]
	v_add_f64 v[122:123], v[90:91], v[34:35]
	v_add_f64 v[124:125], v[88:89], v[32:33]
	;; [unrolled: 1-line block ×3, first 2 shown]
	v_cvt_f32_f64_e32 v121, v[124:125]
	v_cvt_f32_f64_e32 v122, v[122:123]
	v_min3_f32 v131, v62, v60, s8
	v_cvt_f32_f64_e32 v60, v[146:147]
	v_min3_f32 v146, v121, v122, s8
	v_add_f64 v[122:123], v[94:95], v[34:35]
	v_add_f64 v[124:125], v[92:93], v[32:33]
	;; [unrolled: 1-line block ×4, first 2 shown]
	v_cvt_f32_f64_e32 v121, v[124:125]
	v_cvt_f32_f64_e32 v122, v[122:123]
	v_cvt_f32_f64_e32 v128, v[140:141]
	v_min3_f32 v140, v61, v63, s8
	v_cvt_f32_f64_e32 v61, v[144:145]
	v_min3_f32 v144, v121, v122, s8
	v_add_f64 v[122:123], v[98:99], v[34:35]
	v_add_f64 v[124:125], v[96:97], v[32:33]
	;; [unrolled: 1-line block ×3, first 2 shown]
	v_cvt_f32_f64_e32 v121, v[124:125]
	v_cvt_f32_f64_e32 v122, v[122:123]
	;; [unrolled: 1-line block ×3, first 2 shown]
	v_min3_f32 v142, v121, v122, s8
	v_add_f64 v[122:123], v[22:23], v[30:31]
	v_add_f64 v[124:125], v[20:21], v[28:29]
	v_cvt_f32_f64_e32 v121, v[124:125]
	v_cvt_f32_f64_e32 v122, v[122:123]
	v_min3_f32 v148, v121, v122, s8
	v_add_f64 v[122:123], v[18:19], v[30:31]
	v_add_f64 v[124:125], v[16:17], v[28:29]
	v_cvt_f32_f64_e32 v121, v[124:125]
	v_cvt_f32_f64_e32 v122, v[122:123]
	;; [unrolled: 5-line block ×7, first 2 shown]
	v_min3_f32 v177, v127, v128, s8
	v_min3_f32 v127, v121, v122, s8
	v_add_f64 v[122:123], v[22:23], v[26:27]
	v_add_f64 v[132:133], v[20:21], v[24:25]
	v_cvt_f32_f64_e32 v121, v[132:133]
	v_cvt_f32_f64_e32 v122, v[122:123]
	v_min3_f32 v139, v121, v122, s8
	v_add_f64 v[122:123], v[18:19], v[26:27]
	v_add_f64 v[132:133], v[16:17], v[24:25]
	v_cvt_f32_f64_e32 v121, v[132:133]
	v_cvt_f32_f64_e32 v122, v[122:123]
	;; [unrolled: 5-line block ×3, first 2 shown]
	v_add_f64 v[22:23], v[22:23], v[14:15]
	v_add_f64 v[20:21], v[20:21], v[12:13]
	;; [unrolled: 1-line block ×4, first 2 shown]
	v_min3_f32 v128, v121, v122, s8
	v_add_f64 v[122:123], v[86:87], v[26:27]
	v_add_f64 v[132:133], v[84:85], v[24:25]
	v_cvt_f32_f64_e32 v20, v[20:21]
	v_cvt_f32_f64_e32 v21, v[22:23]
	;; [unrolled: 1-line block ×6, first 2 shown]
	v_min3_f32 v22, v20, v21, s8
	v_min3_f32 v21, v16, v17, s8
	v_add_f64 v[16:17], v[82:83], v[14:15]
	v_add_f64 v[18:19], v[80:81], v[12:13]
	v_min3_f32 v126, v121, v122, s8
	v_add_f64 v[122:123], v[90:91], v[26:27]
	v_add_f64 v[132:133], v[88:89], v[24:25]
	v_cvt_f32_f64_e32 v18, v[18:19]
	v_cvt_f32_f64_e32 v16, v[16:17]
	;; [unrolled: 1-line block ×4, first 2 shown]
	v_add_f64 v[132:133], v[92:93], v[24:25]
	v_min3_f32 v20, v18, v16, s8
	v_add_f64 v[16:17], v[86:87], v[14:15]
	v_add_f64 v[18:19], v[84:85], v[12:13]
	v_add_f64 v[78:79], v[10:11], v[78:79]
	v_add_f64 v[76:77], v[8:9], v[76:77]
	v_add_f64 v[74:75], v[10:11], v[74:75]
	v_add_f64 v[72:73], v[8:9], v[72:73]
	v_add_f64 v[70:71], v[10:11], v[70:71]
	v_add_f64 v[68:69], v[8:9], v[68:69]
	v_add_f64 v[66:67], v[10:11], v[66:67]
	v_add_f64 v[64:65], v[8:9], v[64:65]
	v_add_f64 v[34:35], v[10:11], v[34:35]
	v_add_f64 v[32:33], v[8:9], v[32:33]
	v_add_f64 v[30:31], v[10:11], v[30:31]
	v_add_f64 v[28:29], v[8:9], v[28:29]
	v_min3_f32 v124, v121, v122, s8
	v_add_f64 v[122:123], v[94:95], v[26:27]
	v_cvt_f32_f64_e32 v121, v[132:133]
	v_add_f64 v[132:133], v[98:99], v[26:27]
	v_add_f64 v[136:137], v[96:97], v[24:25]
	;; [unrolled: 1-line block ×4, first 2 shown]
	v_cvt_f32_f64_e32 v18, v[18:19]
	v_cvt_f32_f64_e32 v16, v[16:17]
	v_add_f64 v[80:81], v[88:89], v[12:13]
	v_add_f64 v[10:11], v[10:11], v[14:15]
	;; [unrolled: 1-line block ×3, first 2 shown]
	v_min3_f32 v19, v18, v16, s8
	v_cvt_f32_f64_e32 v18, v[80:81]
	v_add_f64 v[80:81], v[92:93], v[12:13]
	v_add_f64 v[82:83], v[96:97], v[12:13]
	v_cvt_f32_f64_e32 v8, v[8:9]
	v_cvt_f32_f64_e32 v9, v[10:11]
	v_add_f64 v[10:11], v[2:3], v[6:7]
	v_add_f64 v[12:13], v[0:1], v[4:5]
	v_min3_f32 v8, v8, v9, s8
	v_cvt_f32_f64_e32 v9, v[12:13]
	v_cvt_f32_f64_e32 v10, v[10:11]
	v_min3_f32 v86, v9, v10, v131
	v_add_f64 v[10:11], v[58:59], v[6:7]
	v_add_f64 v[12:13], v[56:57], v[4:5]
	v_cvt_f32_f64_e32 v9, v[12:13]
	v_cvt_f32_f64_e32 v10, v[10:11]
	v_min3_f32 v131, v9, v10, v140
	v_add_f64 v[10:11], v[54:55], v[6:7]
	v_add_f64 v[12:13], v[52:53], v[4:5]
	v_cvt_f32_f64_e32 v9, v[12:13]
	v_cvt_f32_f64_e32 v10, v[10:11]
	v_min3_f32 v140, v9, v10, v174
	v_add_f64 v[10:11], v[50:51], v[6:7]
	v_add_f64 v[12:13], v[48:49], v[4:5]
	v_min3_f32 v178, v60, v61, s8
	ds_read_b128 v[60:63], v118 offset:7184
	v_cvt_f32_f64_e32 v122, v[122:123]
	v_cvt_f32_f64_e32 v9, v[12:13]
	;; [unrolled: 1-line block ×5, first 2 shown]
	v_min3_f32 v123, v121, v122, s8
	v_cvt_f32_f64_e32 v122, v[132:133]
	v_min3_f32 v132, v9, v10, v175
	v_add_f64 v[10:11], v[46:47], v[6:7]
	v_add_f64 v[12:13], v[44:45], v[4:5]
	v_min3_f32 v179, v76, v77, s8
	ds_read_b128 v[76:79], v130 offset:16656
	v_cvt_f32_f64_e32 v9, v[12:13]
	v_cvt_f32_f64_e32 v10, v[10:11]
	v_min3_f32 v133, v9, v10, v176
	v_add_f64 v[10:11], v[42:43], v[6:7]
	v_add_f64 v[12:13], v[40:41], v[4:5]
	v_cvt_f32_f64_e32 v9, v[12:13]
	v_cvt_f32_f64_e32 v10, v[10:11]
	;; [unrolled: 1-line block ×3, first 2 shown]
	v_min3_f32 v136, v9, v10, v177
	s_waitcnt lgkmcnt(2)
	v_add_f64 v[10:11], v[38:39], v[6:7]
	v_add_f64 v[12:13], v[36:37], v[4:5]
	s_waitcnt lgkmcnt(1)
	v_add_f64 v[6:7], v[62:63], v[6:7]
	v_add_f64 v[4:5], v[60:61], v[4:5]
	v_cvt_f32_f64_e32 v4, v[4:5]
	v_cvt_f32_f64_e32 v5, v[6:7]
	v_min3_f32 v211, v4, v5, v179
	s_waitcnt lgkmcnt(0)
	v_add_f64 v[4:5], v[2:3], v[78:79]
	v_add_f64 v[6:7], v[0:1], v[76:77]
	v_cvt_f32_f64_e32 v6, v[6:7]
	v_cvt_f32_f64_e32 v4, v[4:5]
	v_min3_f32 v212, v6, v4, v180
	v_add_f64 v[4:5], v[58:59], v[78:79]
	v_add_f64 v[6:7], v[56:57], v[76:77]
	v_cvt_f32_f64_e32 v6, v[6:7]
	v_cvt_f32_f64_e32 v4, v[4:5]
	v_min3_f32 v209, v6, v4, v181
	v_add_f64 v[4:5], v[54:55], v[78:79]
	v_add_f64 v[6:7], v[52:53], v[76:77]
	v_cvt_f32_f64_e32 v6, v[6:7]
	v_cvt_f32_f64_e32 v4, v[4:5]
	v_min3_f32 v210, v6, v4, v173
	v_add_f64 v[4:5], v[50:51], v[78:79]
	v_add_f64 v[6:7], v[48:49], v[76:77]
	v_cvt_f32_f64_e32 v6, v[6:7]
	v_cvt_f32_f64_e32 v4, v[4:5]
	v_min3_f32 v207, v6, v4, v172
	v_add_f64 v[4:5], v[46:47], v[78:79]
	v_add_f64 v[6:7], v[44:45], v[76:77]
	v_cvt_f32_f64_e32 v6, v[6:7]
	v_cvt_f32_f64_e32 v4, v[4:5]
	v_cvt_f32_f64_e32 v72, v[72:73]
	v_cvt_f32_f64_e32 v73, v[74:75]
	v_min3_f32 v208, v6, v4, v170
	v_add_f64 v[4:5], v[42:43], v[78:79]
	v_add_f64 v[6:7], v[40:41], v[76:77]
	v_min3_f32 v163, v72, v73, s8
	ds_read_b128 v[72:75], v130 offset:16912
	v_cvt_f32_f64_e32 v6, v[6:7]
	v_cvt_f32_f64_e32 v4, v[4:5]
	v_min3_f32 v204, v6, v4, v168
	v_add_f64 v[4:5], v[38:39], v[78:79]
	v_add_f64 v[6:7], v[36:37], v[76:77]
	v_cvt_f32_f64_e32 v6, v[6:7]
	v_cvt_f32_f64_e32 v4, v[4:5]
	v_min3_f32 v206, v6, v4, v166
	v_add_f64 v[4:5], v[62:63], v[78:79]
	v_add_f64 v[6:7], v[60:61], v[76:77]
	v_cvt_f32_f64_e32 v68, v[68:69]
	v_cvt_f32_f64_e32 v69, v[70:71]
	;; [unrolled: 1-line block ×4, first 2 shown]
	v_min3_f32 v155, v68, v69, s8
	ds_read_b128 v[68:71], v130 offset:17168
	v_min3_f32 v203, v6, v4, v163
	s_waitcnt lgkmcnt(1)
	v_add_f64 v[4:5], v[2:3], v[74:75]
	v_add_f64 v[6:7], v[0:1], v[72:73]
	v_cvt_f32_f64_e32 v6, v[6:7]
	v_cvt_f32_f64_e32 v4, v[4:5]
	v_min3_f32 v205, v6, v4, v171
	v_add_f64 v[4:5], v[58:59], v[74:75]
	v_add_f64 v[6:7], v[56:57], v[72:73]
	v_cvt_f32_f64_e32 v6, v[6:7]
	v_cvt_f32_f64_e32 v4, v[4:5]
	v_min3_f32 v201, v6, v4, v169
	;; [unrolled: 5-line block ×8, first 2 shown]
	s_waitcnt lgkmcnt(0)
	v_add_f64 v[4:5], v[2:3], v[70:71]
	v_add_f64 v[6:7], v[0:1], v[68:69]
	v_cvt_f32_f64_e32 v6, v[6:7]
	v_cvt_f32_f64_e32 v4, v[4:5]
	v_min3_f32 v196, v6, v4, v164
	v_add_f64 v[4:5], v[58:59], v[70:71]
	v_add_f64 v[6:7], v[56:57], v[68:69]
	v_cvt_f32_f64_e32 v6, v[6:7]
	v_cvt_f32_f64_e32 v4, v[4:5]
	v_min3_f32 v192, v6, v4, v161
	;; [unrolled: 5-line block ×4, first 2 shown]
	v_add_f64 v[4:5], v[46:47], v[70:71]
	v_add_f64 v[6:7], v[44:45], v[68:69]
	v_cvt_f32_f64_e32 v6, v[6:7]
	v_cvt_f32_f64_e32 v4, v[4:5]
	v_cvt_f32_f64_e32 v64, v[64:65]
	v_cvt_f32_f64_e32 v65, v[66:67]
	v_min3_f32 v191, v6, v4, v154
	v_add_f64 v[4:5], v[42:43], v[70:71]
	v_add_f64 v[6:7], v[40:41], v[68:69]
	v_min3_f32 v147, v64, v65, s8
	ds_read_b128 v[64:67], v130 offset:17424
	v_cvt_f32_f64_e32 v6, v[6:7]
	v_cvt_f32_f64_e32 v4, v[4:5]
	v_min3_f32 v187, v6, v4, v152
	v_add_f64 v[4:5], v[38:39], v[70:71]
	v_add_f64 v[6:7], v[36:37], v[68:69]
	v_cvt_f32_f64_e32 v6, v[6:7]
	v_cvt_f32_f64_e32 v4, v[4:5]
	v_min3_f32 v189, v6, v4, v150
	v_add_f64 v[4:5], v[62:63], v[70:71]
	v_add_f64 v[6:7], v[60:61], v[68:69]
	v_cvt_f32_f64_e32 v32, v[32:33]
	v_cvt_f32_f64_e32 v33, v[34:35]
	;; [unrolled: 1-line block ×4, first 2 shown]
	v_min3_f32 v138, v32, v33, s8
	ds_read_b128 v[32:35], v130 offset:17680
	v_min3_f32 v186, v6, v4, v147
	s_waitcnt lgkmcnt(1)
	v_add_f64 v[4:5], v[2:3], v[66:67]
	v_add_f64 v[6:7], v[0:1], v[64:65]
	v_cvt_f32_f64_e32 v6, v[6:7]
	v_cvt_f32_f64_e32 v4, v[4:5]
	v_min3_f32 v188, v6, v4, v156
	v_add_f64 v[4:5], v[58:59], v[66:67]
	v_add_f64 v[6:7], v[56:57], v[64:65]
	v_cvt_f32_f64_e32 v6, v[6:7]
	v_cvt_f32_f64_e32 v4, v[4:5]
	v_min3_f32 v184, v6, v4, v153
	v_add_f64 v[4:5], v[54:55], v[66:67]
	v_add_f64 v[6:7], v[52:53], v[64:65]
	v_cvt_f32_f64_e32 v6, v[6:7]
	v_cvt_f32_f64_e32 v4, v[4:5]
	v_min3_f32 v185, v6, v4, v151
	v_add_f64 v[4:5], v[50:51], v[66:67]
	v_add_f64 v[6:7], v[48:49], v[64:65]
	v_cvt_f32_f64_e32 v6, v[6:7]
	v_cvt_f32_f64_e32 v4, v[4:5]
	v_min3_f32 v182, v6, v4, v149
	v_add_f64 v[4:5], v[46:47], v[66:67]
	v_add_f64 v[6:7], v[44:45], v[64:65]
	v_cvt_f32_f64_e32 v6, v[6:7]
	v_cvt_f32_f64_e32 v4, v[4:5]
	v_min3_f32 v183, v6, v4, v146
	v_add_f64 v[4:5], v[42:43], v[66:67]
	v_add_f64 v[6:7], v[40:41], v[64:65]
	v_cvt_f32_f64_e32 v6, v[6:7]
	v_cvt_f32_f64_e32 v4, v[4:5]
	v_min3_f32 v179, v6, v4, v144
	v_add_f64 v[4:5], v[38:39], v[66:67]
	v_add_f64 v[6:7], v[36:37], v[64:65]
	v_cvt_f32_f64_e32 v6, v[6:7]
	v_cvt_f32_f64_e32 v4, v[4:5]
	v_min3_f32 v181, v6, v4, v142
	v_add_f64 v[4:5], v[62:63], v[66:67]
	v_add_f64 v[6:7], v[60:61], v[64:65]
	v_cvt_f32_f64_e32 v9, v[12:13]
	v_cvt_f32_f64_e32 v10, v[10:11]
	;; [unrolled: 1-line block ×4, first 2 shown]
	v_min3_f32 v137, v9, v10, v178
	v_min3_f32 v178, v6, v4, v138
	s_waitcnt lgkmcnt(0)
	v_add_f64 v[4:5], v[2:3], v[34:35]
	v_add_f64 v[6:7], v[0:1], v[32:33]
	v_cvt_f32_f64_e32 v6, v[6:7]
	v_cvt_f32_f64_e32 v4, v[4:5]
	v_min3_f32 v180, v6, v4, v148
	v_add_f64 v[4:5], v[58:59], v[34:35]
	v_add_f64 v[6:7], v[56:57], v[32:33]
	v_cvt_f32_f64_e32 v6, v[6:7]
	v_cvt_f32_f64_e32 v4, v[4:5]
	v_min3_f32 v176, v6, v4, v145
	;; [unrolled: 5-line block ×4, first 2 shown]
	v_add_f64 v[4:5], v[46:47], v[34:35]
	v_add_f64 v[6:7], v[44:45], v[32:33]
	v_cvt_f32_f64_e32 v6, v[6:7]
	v_cvt_f32_f64_e32 v4, v[4:5]
	v_cvt_f32_f64_e32 v28, v[28:29]
	v_cvt_f32_f64_e32 v29, v[30:31]
	v_cvt_f32_f64_e32 v24, v[24:25]
	v_cvt_f32_f64_e32 v25, v[26:27]
	v_min3_f32 v175, v6, v4, v135
	v_add_f64 v[4:5], v[42:43], v[34:35]
	v_add_f64 v[6:7], v[40:41], v[32:33]
	v_min3_f32 v125, v28, v29, s8
	ds_read_b128 v[28:31], v130 offset:17936
	v_min3_f32 v122, v121, v122, s8
	v_min3_f32 v121, v24, v25, s8
	ds_read_b128 v[24:27], v130 offset:18192
	v_cvt_f32_f64_e32 v6, v[6:7]
	v_cvt_f32_f64_e32 v4, v[4:5]
	v_min3_f32 v171, v6, v4, v129
	v_add_f64 v[4:5], v[38:39], v[34:35]
	v_add_f64 v[6:7], v[36:37], v[32:33]
	v_cvt_f32_f64_e32 v6, v[6:7]
	v_cvt_f32_f64_e32 v4, v[4:5]
	v_min3_f32 v173, v6, v4, v127
	v_add_f64 v[4:5], v[62:63], v[34:35]
	v_add_f64 v[6:7], v[60:61], v[32:33]
	v_cvt_f32_f64_e32 v6, v[6:7]
	v_cvt_f32_f64_e32 v4, v[4:5]
	v_min3_f32 v170, v6, v4, v125
	s_waitcnt lgkmcnt(1)
	v_add_f64 v[4:5], v[2:3], v[30:31]
	v_add_f64 v[6:7], v[0:1], v[28:29]
	s_waitcnt lgkmcnt(0)
	v_add_f64 v[2:3], v[2:3], v[26:27]
	v_add_f64 v[0:1], v[0:1], v[24:25]
	v_cvt_f32_f64_e32 v6, v[6:7]
	v_cvt_f32_f64_e32 v4, v[4:5]
	v_cvt_f32_f64_e32 v0, v[0:1]
	v_cvt_f32_f64_e32 v1, v[2:3]
	v_min3_f32 v172, v6, v4, v139
	v_add_f64 v[4:5], v[58:59], v[30:31]
	v_add_f64 v[6:7], v[56:57], v[28:29]
	v_min3_f32 v163, v0, v1, v22
	v_add_f64 v[0:1], v[58:59], v[26:27]
	v_add_f64 v[2:3], v[56:57], v[24:25]
	v_cvt_f32_f64_e32 v6, v[6:7]
	v_cvt_f32_f64_e32 v4, v[4:5]
	v_cvt_f32_f64_e32 v2, v[2:3]
	v_cvt_f32_f64_e32 v0, v[0:1]
	v_min3_f32 v168, v6, v4, v134
	v_add_f64 v[4:5], v[54:55], v[30:31]
	v_add_f64 v[6:7], v[52:53], v[28:29]
	v_min3_f32 v160, v2, v0, v21
	v_add_f64 v[0:1], v[54:55], v[26:27]
	v_add_f64 v[2:3], v[52:53], v[24:25]
	v_cvt_f32_f64_e32 v6, v[6:7]
	v_cvt_f32_f64_e32 v4, v[4:5]
	v_cvt_f32_f64_e32 v2, v[2:3]
	v_cvt_f32_f64_e32 v0, v[0:1]
	v_min3_f32 v169, v6, v4, v128
	v_add_f64 v[4:5], v[50:51], v[30:31]
	v_add_f64 v[6:7], v[48:49], v[28:29]
	v_min3_f32 v161, v2, v0, v20
	v_add_f64 v[0:1], v[50:51], v[26:27]
	v_add_f64 v[2:3], v[48:49], v[24:25]
	;; [unrolled: 1-line block ×3, first 2 shown]
	v_cvt_f32_f64_e32 v6, v[6:7]
	v_cvt_f32_f64_e32 v4, v[4:5]
	;; [unrolled: 1-line block ×5, first 2 shown]
	v_min3_f32 v166, v6, v4, v126
	v_add_f64 v[4:5], v[46:47], v[30:31]
	v_add_f64 v[6:7], v[44:45], v[28:29]
	v_min3_f32 v158, v2, v0, v19
	v_add_f64 v[0:1], v[46:47], v[26:27]
	v_add_f64 v[2:3], v[44:45], v[24:25]
	v_min3_f32 v18, v18, v16, s8
	v_add_f64 v[16:17], v[94:95], v[14:15]
	v_cvt_f32_f64_e32 v6, v[6:7]
	v_cvt_f32_f64_e32 v4, v[4:5]
	;; [unrolled: 1-line block ×6, first 2 shown]
	v_min3_f32 v167, v6, v4, v124
	v_add_f64 v[4:5], v[42:43], v[30:31]
	v_add_f64 v[6:7], v[40:41], v[28:29]
	v_min3_f32 v159, v2, v0, v18
	v_add_f64 v[0:1], v[42:43], v[26:27]
	v_add_f64 v[2:3], v[40:41], v[24:25]
	v_min3_f32 v17, v23, v16, s8
	v_add_f64 v[80:81], v[98:99], v[14:15]
	v_cvt_f32_f64_e32 v6, v[6:7]
	v_cvt_f32_f64_e32 v4, v[4:5]
	;; [unrolled: 1-line block ×6, first 2 shown]
	v_min3_f32 v164, v6, v4, v123
	v_add_f64 v[4:5], v[38:39], v[30:31]
	v_add_f64 v[6:7], v[36:37], v[28:29]
	v_min3_f32 v156, v2, v0, v17
	v_add_f64 v[0:1], v[38:39], v[26:27]
	v_add_f64 v[2:3], v[36:37], v[24:25]
	v_min3_f32 v16, v16, v23, s8
	v_cvt_f32_f64_e32 v6, v[6:7]
	v_cvt_f32_f64_e32 v4, v[4:5]
	;; [unrolled: 1-line block ×4, first 2 shown]
	v_min3_f32 v165, v6, v4, v122
	v_add_f64 v[4:5], v[62:63], v[30:31]
	v_add_f64 v[6:7], v[60:61], v[28:29]
	v_min3_f32 v157, v2, v0, v16
	v_add_f64 v[0:1], v[62:63], v[26:27]
	v_add_f64 v[2:3], v[60:61], v[24:25]
	v_cvt_f32_f64_e32 v6, v[6:7]
	v_cvt_f32_f64_e32 v4, v[4:5]
	;; [unrolled: 1-line block ×4, first 2 shown]
	v_min3_f32 v162, v6, v4, v121
	v_min3_f32 v200, v2, v0, v8
	s_waitcnt vmcnt(2)
	ds_write2st64_b64 v119, v[108:109], v[112:113] offset0:16 offset1:20
	s_waitcnt vmcnt(0)
	ds_write2st64_b64 v119, v[110:111], v[114:115] offset0:24 offset1:28
	ds_write_b64 v104, v[106:107] offset:18432
	s_waitcnt lgkmcnt(0)
	s_barrier
	s_cbranch_scc1 .LBB157_11
; %bb.9:
	v_mov_b32_e32 v0, 0x2000
	v_lshl_add_u32 v84, v116, 5, v0
	v_and_b32_e32 v0, 3, v116
	v_add_u32_e32 v80, 0x4000, v104
	v_add_u32_e32 v83, 0x4800, v104
	v_lshlrev_b32_e32 v104, 3, v0
	v_lshl_add_u64 v[0:1], v[102:103], 3, v[104:105]
	v_lshl_add_u64 v[0:1], s[16:17], 0, v[0:1]
	;; [unrolled: 1-line block ×3, first 2 shown]
	v_add_u32_e32 v0, 12, v120
	v_mad_i64_i32 v[0:1], s[8:9], v0, s18, 0
	v_lshl_add_u64 v[66:67], v[0:1], 3, s[14:15]
	v_add_u32_e32 v0, 8, v120
	s_ashr_i32 s19, s18, 31
	v_mad_i64_i32 v[0:1], s[16:17], v0, s18, 0
	v_add_u32_e32 v81, 0x4000, v130
	v_add_u32_e32 v82, 0x2000, v119
	s_add_i32 s21, s21, -8
	v_add_u32_e32 v85, 0x4800, v130
	s_lshl_b64 s[8:9], s[18:19], 6
	v_lshl_add_u64 v[68:69], v[0:1], 3, s[14:15]
	s_mov_b32 s14, 0
.LBB157_10:                             ; =>This Inner Loop Header: Depth=1
	v_lshl_add_u64 v[0:1], v[68:69], 0, v[100:101]
	global_load_dwordx2 v[76:77], v[0:1], off
	global_load_dwordx2 v[78:79], v[0:1], off offset:512
	global_load_dwordx2 v[72:73], v[0:1], off offset:1024
	;; [unrolled: 1-line block ×3, first 2 shown]
	global_load_dwordx2 v[70:71], v[64:65], off
	ds_read_b128 v[36:39], v84 offset:1024
	ds_read_b128 v[32:35], v84 offset:2048
	;; [unrolled: 1-line block ×14, first 2 shown]
	ds_read_b128 v[92:95], v85
	ds_read_b128 v[4:7], v85 offset:16
	ds_read_b128 v[56:59], v84
	ds_read_b128 v[0:3], v84 offset:16
	s_add_i32 s14, s14, 8
	v_lshl_add_u64 v[68:69], v[68:69], 0, s[8:9]
	s_cmp_ge_i32 s14, s21
	s_waitcnt lgkmcnt(1)
	v_add_f64 v[96:97], v[58:59], v[94:95]
	v_add_f64 v[98:99], v[56:57], v[92:93]
	v_cvt_f32_f64_e32 v87, v[98:99]
	v_cvt_f32_f64_e32 v96, v[96:97]
	v_min3_f32 v213, v87, v96, v86
	v_add_f64 v[86:87], v[38:39], v[94:95]
	v_add_f64 v[96:97], v[36:37], v[92:93]
	v_cvt_f32_f64_e32 v96, v[96:97]
	v_cvt_f32_f64_e32 v86, v[86:87]
	v_min3_f32 v155, v96, v86, v131
	v_add_f64 v[86:87], v[34:35], v[94:95]
	v_add_f64 v[96:97], v[32:33], v[92:93]
	v_cvt_f32_f64_e32 v96, v[96:97]
	v_cvt_f32_f64_e32 v86, v[86:87]
	v_min3_f32 v154, v96, v86, v140
	v_add_f64 v[86:87], v[30:31], v[94:95]
	v_add_f64 v[96:97], v[28:29], v[92:93]
	v_cvt_f32_f64_e32 v96, v[96:97]
	v_cvt_f32_f64_e32 v86, v[86:87]
	v_min3_f32 v153, v96, v86, v132
	v_add_f64 v[86:87], v[26:27], v[94:95]
	v_add_f64 v[96:97], v[24:25], v[92:93]
	v_cvt_f32_f64_e32 v96, v[96:97]
	v_cvt_f32_f64_e32 v86, v[86:87]
	v_min3_f32 v152, v96, v86, v133
	v_add_f64 v[86:87], v[22:23], v[94:95]
	v_add_f64 v[96:97], v[20:21], v[92:93]
	v_cvt_f32_f64_e32 v96, v[96:97]
	v_cvt_f32_f64_e32 v86, v[86:87]
	v_min3_f32 v151, v96, v86, v136
	v_add_f64 v[86:87], v[14:15], v[94:95]
	v_add_f64 v[96:97], v[12:13], v[92:93]
	v_cvt_f32_f64_e32 v96, v[96:97]
	v_cvt_f32_f64_e32 v86, v[86:87]
	v_min3_f32 v150, v96, v86, v137
	v_add_f64 v[86:87], v[10:11], v[94:95]
	v_add_f64 v[92:93], v[8:9], v[92:93]
	v_cvt_f32_f64_e32 v92, v[92:93]
	v_cvt_f32_f64_e32 v86, v[86:87]
	v_min3_f32 v149, v92, v86, v211
	v_add_f64 v[86:87], v[58:59], v[62:63]
	v_add_f64 v[92:93], v[56:57], v[60:61]
	v_cvt_f32_f64_e32 v92, v[92:93]
	v_cvt_f32_f64_e32 v86, v[86:87]
	v_min3_f32 v148, v92, v86, v212
	v_add_f64 v[86:87], v[38:39], v[62:63]
	v_add_f64 v[92:93], v[36:37], v[60:61]
	v_cvt_f32_f64_e32 v92, v[92:93]
	v_cvt_f32_f64_e32 v86, v[86:87]
	v_min3_f32 v147, v92, v86, v209
	v_add_f64 v[86:87], v[34:35], v[62:63]
	v_add_f64 v[92:93], v[32:33], v[60:61]
	v_cvt_f32_f64_e32 v92, v[92:93]
	v_cvt_f32_f64_e32 v86, v[86:87]
	v_min3_f32 v146, v92, v86, v210
	v_add_f64 v[86:87], v[30:31], v[62:63]
	v_add_f64 v[92:93], v[28:29], v[60:61]
	v_cvt_f32_f64_e32 v92, v[92:93]
	v_cvt_f32_f64_e32 v86, v[86:87]
	v_min3_f32 v145, v92, v86, v207
	v_add_f64 v[86:87], v[26:27], v[62:63]
	v_add_f64 v[92:93], v[24:25], v[60:61]
	v_cvt_f32_f64_e32 v92, v[92:93]
	v_cvt_f32_f64_e32 v86, v[86:87]
	v_min3_f32 v144, v92, v86, v208
	v_add_f64 v[86:87], v[22:23], v[62:63]
	v_add_f64 v[92:93], v[20:21], v[60:61]
	v_cvt_f32_f64_e32 v92, v[92:93]
	v_cvt_f32_f64_e32 v86, v[86:87]
	v_min3_f32 v143, v92, v86, v204
	v_add_f64 v[86:87], v[14:15], v[62:63]
	v_add_f64 v[92:93], v[12:13], v[60:61]
	;; [unrolled: 1-line block ×4, first 2 shown]
	v_cvt_f32_f64_e32 v60, v[60:61]
	v_cvt_f32_f64_e32 v61, v[62:63]
	v_min3_f32 v141, v60, v61, v203
	v_add_f64 v[60:61], v[58:59], v[90:91]
	v_add_f64 v[62:63], v[56:57], v[88:89]
	v_cvt_f32_f64_e32 v62, v[62:63]
	v_cvt_f32_f64_e32 v60, v[60:61]
	v_min3_f32 v140, v62, v60, v205
	v_add_f64 v[60:61], v[38:39], v[90:91]
	v_add_f64 v[62:63], v[36:37], v[88:89]
	;; [unrolled: 5-line block ×15, first 2 shown]
	v_add_f64 v[54:55], v[10:11], v[54:55]
	v_add_f64 v[52:53], v[8:9], v[52:53]
	v_cvt_f32_f64_e32 v52, v[52:53]
	v_cvt_f32_f64_e32 v53, v[54:55]
	v_min3_f32 v124, v52, v53, v186
	v_add_f64 v[52:53], v[58:59], v[50:51]
	v_add_f64 v[54:55], v[56:57], v[48:49]
	v_cvt_f32_f64_e32 v54, v[54:55]
	v_cvt_f32_f64_e32 v52, v[52:53]
	v_min3_f32 v123, v54, v52, v188
	v_add_f64 v[52:53], v[38:39], v[50:51]
	v_add_f64 v[54:55], v[36:37], v[48:49]
	v_cvt_f32_f64_e32 v54, v[54:55]
	v_cvt_f32_f64_e32 v52, v[52:53]
	v_min3_f32 v122, v54, v52, v184
	v_add_f64 v[52:53], v[34:35], v[50:51]
	v_add_f64 v[54:55], v[32:33], v[48:49]
	v_cvt_f32_f64_e32 v54, v[54:55]
	v_cvt_f32_f64_e32 v52, v[52:53]
	v_min3_f32 v121, v54, v52, v185
	v_add_f64 v[52:53], v[30:31], v[50:51]
	v_add_f64 v[54:55], v[28:29], v[48:49]
	v_cvt_f32_f64_e32 v54, v[54:55]
	v_cvt_f32_f64_e32 v52, v[52:53]
	v_min3_f32 v120, v54, v52, v182
	v_add_f64 v[52:53], v[26:27], v[50:51]
	v_add_f64 v[54:55], v[24:25], v[48:49]
	v_cvt_f32_f64_e32 v54, v[54:55]
	v_cvt_f32_f64_e32 v52, v[52:53]
	v_min3_f32 v115, v54, v52, v183
	v_add_f64 v[52:53], v[22:23], v[50:51]
	v_add_f64 v[54:55], v[20:21], v[48:49]
	v_cvt_f32_f64_e32 v54, v[54:55]
	v_cvt_f32_f64_e32 v52, v[52:53]
	v_min3_f32 v114, v54, v52, v179
	v_add_f64 v[52:53], v[14:15], v[50:51]
	v_add_f64 v[54:55], v[12:13], v[48:49]
	v_add_f64 v[50:51], v[10:11], v[50:51]
	v_add_f64 v[48:49], v[8:9], v[48:49]
	v_cvt_f32_f64_e32 v48, v[48:49]
	v_cvt_f32_f64_e32 v49, v[50:51]
	v_min3_f32 v112, v48, v49, v178
	v_add_f64 v[48:49], v[58:59], v[46:47]
	v_add_f64 v[50:51], v[56:57], v[44:45]
	v_cvt_f32_f64_e32 v50, v[50:51]
	v_cvt_f32_f64_e32 v48, v[48:49]
	v_min3_f32 v111, v50, v48, v180
	v_add_f64 v[48:49], v[38:39], v[46:47]
	v_add_f64 v[50:51], v[36:37], v[44:45]
	v_cvt_f32_f64_e32 v50, v[50:51]
	v_cvt_f32_f64_e32 v48, v[48:49]
	v_min3_f32 v110, v50, v48, v176
	v_add_f64 v[48:49], v[34:35], v[46:47]
	v_add_f64 v[50:51], v[32:33], v[44:45]
	v_cvt_f32_f64_e32 v50, v[50:51]
	v_cvt_f32_f64_e32 v48, v[48:49]
	v_min3_f32 v109, v50, v48, v177
	v_add_f64 v[48:49], v[30:31], v[46:47]
	v_add_f64 v[50:51], v[28:29], v[44:45]
	v_cvt_f32_f64_e32 v50, v[50:51]
	v_cvt_f32_f64_e32 v48, v[48:49]
	v_min3_f32 v108, v50, v48, v174
	v_add_f64 v[48:49], v[26:27], v[46:47]
	v_add_f64 v[50:51], v[24:25], v[44:45]
	v_cvt_f32_f64_e32 v50, v[50:51]
	v_cvt_f32_f64_e32 v48, v[48:49]
	v_min3_f32 v107, v50, v48, v175
	v_add_f64 v[48:49], v[22:23], v[46:47]
	v_add_f64 v[50:51], v[20:21], v[44:45]
	v_cvt_f32_f64_e32 v50, v[50:51]
	v_cvt_f32_f64_e32 v48, v[48:49]
	v_min3_f32 v106, v50, v48, v171
	v_add_f64 v[48:49], v[14:15], v[46:47]
	v_add_f64 v[50:51], v[12:13], v[44:45]
	;; [unrolled: 37-line block ×3, first 2 shown]
	v_add_f64 v[42:43], v[10:11], v[42:43]
	v_add_f64 v[40:41], v[8:9], v[40:41]
	;; [unrolled: 1-line block ×10, first 2 shown]
	v_cvt_f32_f64_e32 v40, v[40:41]
	v_cvt_f32_f64_e32 v41, v[42:43]
	v_cvt_f32_f64_e32 v28, v[28:29]
	v_cvt_f32_f64_e32 v29, v[30:31]
	v_cvt_f32_f64_e32 v24, v[24:25]
	v_cvt_f32_f64_e32 v25, v[26:27]
	v_cvt_f32_f64_e32 v20, v[20:21]
	v_cvt_f32_f64_e32 v21, v[22:23]
	v_cvt_f32_f64_e32 v12, v[12:13]
	v_cvt_f32_f64_e32 v13, v[14:15]
	v_cvt_f32_f64_e32 v86, v[86:87]
	v_min3_f32 v94, v40, v41, v162
	v_add_f64 v[40:41], v[58:59], v[18:19]
	v_add_f64 v[42:43], v[56:57], v[16:17]
	;; [unrolled: 1-line block ×6, first 2 shown]
	v_min3_f32 v90, v28, v29, v158
	v_min3_f32 v89, v24, v25, v159
	;; [unrolled: 1-line block ×4, first 2 shown]
	v_add_f64 v[10:11], v[10:11], v[18:19]
	v_add_f64 v[8:9], v[8:9], v[16:17]
	s_waitcnt lgkmcnt(0)
	v_add_f64 v[156:157], v[2:3], v[6:7]
	v_add_f64 v[158:159], v[0:1], v[4:5]
	v_cvt_f32_f64_e32 v92, v[92:93]
	v_cvt_f32_f64_e32 v62, v[62:63]
	v_cvt_f32_f64_e32 v60, v[60:61]
	v_cvt_f32_f64_e32 v54, v[54:55]
	v_cvt_f32_f64_e32 v52, v[52:53]
	v_cvt_f32_f64_e32 v50, v[50:51]
	v_cvt_f32_f64_e32 v48, v[48:49]
	v_cvt_f32_f64_e32 v46, v[46:47]
	v_cvt_f32_f64_e32 v44, v[44:45]
	v_cvt_f32_f64_e32 v42, v[42:43]
	v_cvt_f32_f64_e32 v40, v[40:41]
	v_cvt_f32_f64_e32 v36, v[36:37]
	v_cvt_f32_f64_e32 v37, v[38:39]
	v_cvt_f32_f64_e32 v32, v[32:33]
	v_cvt_f32_f64_e32 v33, v[34:35]
	v_cvt_f32_f64_e32 v8, v[8:9]
	v_cvt_f32_f64_e32 v9, v[10:11]
	v_cvt_f32_f64_e32 v158, v[158:159]
	v_cvt_f32_f64_e32 v156, v[156:157]
	v_min3_f32 v142, v92, v86, v206
	v_min3_f32 v125, v62, v60, v189
	;; [unrolled: 1-line block ×9, first 2 shown]
	ds_read_b128 v[32:35], v84 offset:1040
	ds_read_b128 v[28:31], v84 offset:2064
	;; [unrolled: 1-line block ×14, first 2 shown]
	v_min3_f32 v156, v158, v156, v213
	s_waitcnt lgkmcnt(13)
	v_add_f64 v[158:159], v[34:35], v[6:7]
	v_add_f64 v[160:161], v[32:33], v[4:5]
	v_cvt_f32_f64_e32 v157, v[160:161]
	v_cvt_f32_f64_e32 v158, v[158:159]
	v_min3_f32 v155, v157, v158, v155
	s_waitcnt lgkmcnt(12)
	v_add_f64 v[158:159], v[30:31], v[6:7]
	v_add_f64 v[160:161], v[28:29], v[4:5]
	v_cvt_f32_f64_e32 v157, v[160:161]
	v_cvt_f32_f64_e32 v158, v[158:159]
	;; [unrolled: 6-line block ×5, first 2 shown]
	v_min3_f32 v151, v157, v158, v151
	s_waitcnt lgkmcnt(8)
	v_add_f64 v[158:159], v[14:15], v[6:7]
	v_add_f64 v[160:161], v[12:13], v[4:5]
	s_waitcnt lgkmcnt(7)
	v_add_f64 v[6:7], v[10:11], v[6:7]
	v_add_f64 v[4:5], v[8:9], v[4:5]
	v_cvt_f32_f64_e32 v4, v[4:5]
	v_cvt_f32_f64_e32 v5, v[6:7]
	v_min3_f32 v149, v4, v5, v149
	s_waitcnt lgkmcnt(6)
	v_add_f64 v[4:5], v[2:3], v[62:63]
	v_add_f64 v[6:7], v[0:1], v[60:61]
	v_cvt_f32_f64_e32 v6, v[6:7]
	v_cvt_f32_f64_e32 v4, v[4:5]
	v_min3_f32 v148, v6, v4, v148
	v_add_f64 v[4:5], v[34:35], v[62:63]
	v_add_f64 v[6:7], v[32:33], v[60:61]
	v_cvt_f32_f64_e32 v6, v[6:7]
	v_cvt_f32_f64_e32 v4, v[4:5]
	v_min3_f32 v147, v6, v4, v147
	v_add_f64 v[4:5], v[30:31], v[62:63]
	v_add_f64 v[6:7], v[28:29], v[60:61]
	v_cvt_f32_f64_e32 v6, v[6:7]
	v_cvt_f32_f64_e32 v4, v[4:5]
	v_min3_f32 v146, v6, v4, v146
	v_add_f64 v[4:5], v[26:27], v[62:63]
	v_add_f64 v[6:7], v[24:25], v[60:61]
	v_cvt_f32_f64_e32 v6, v[6:7]
	v_cvt_f32_f64_e32 v4, v[4:5]
	v_min3_f32 v145, v6, v4, v145
	v_add_f64 v[4:5], v[22:23], v[62:63]
	v_add_f64 v[6:7], v[20:21], v[60:61]
	v_cvt_f32_f64_e32 v6, v[6:7]
	v_cvt_f32_f64_e32 v4, v[4:5]
	v_min3_f32 v144, v6, v4, v144
	v_add_f64 v[4:5], v[18:19], v[62:63]
	v_add_f64 v[6:7], v[16:17], v[60:61]
	v_cvt_f32_f64_e32 v6, v[6:7]
	v_cvt_f32_f64_e32 v4, v[4:5]
	v_min3_f32 v143, v6, v4, v143
	v_add_f64 v[4:5], v[14:15], v[62:63]
	v_add_f64 v[6:7], v[12:13], v[60:61]
	v_cvt_f32_f64_e32 v6, v[6:7]
	v_cvt_f32_f64_e32 v4, v[4:5]
	v_min3_f32 v142, v6, v4, v142
	v_add_f64 v[4:5], v[10:11], v[62:63]
	v_add_f64 v[6:7], v[8:9], v[60:61]
	v_cvt_f32_f64_e32 v6, v[6:7]
	v_cvt_f32_f64_e32 v4, v[4:5]
	v_min3_f32 v60, v6, v4, v141
	s_waitcnt lgkmcnt(5)
	v_add_f64 v[4:5], v[2:3], v[58:59]
	v_add_f64 v[6:7], v[0:1], v[56:57]
	v_cvt_f32_f64_e32 v6, v[6:7]
	v_cvt_f32_f64_e32 v4, v[4:5]
	v_min3_f32 v61, v6, v4, v140
	v_add_f64 v[4:5], v[34:35], v[58:59]
	v_add_f64 v[6:7], v[32:33], v[56:57]
	v_cvt_f32_f64_e32 v6, v[6:7]
	v_cvt_f32_f64_e32 v4, v[4:5]
	v_min3_f32 v62, v6, v4, v139
	v_add_f64 v[4:5], v[30:31], v[58:59]
	v_add_f64 v[6:7], v[28:29], v[56:57]
	v_cvt_f32_f64_e32 v6, v[6:7]
	v_cvt_f32_f64_e32 v4, v[4:5]
	v_min3_f32 v63, v6, v4, v138
	v_add_f64 v[4:5], v[26:27], v[58:59]
	v_add_f64 v[6:7], v[24:25], v[56:57]
	v_cvt_f32_f64_e32 v6, v[6:7]
	v_cvt_f32_f64_e32 v4, v[4:5]
	v_min3_f32 v138, v6, v4, v137
	v_add_f64 v[4:5], v[22:23], v[58:59]
	v_add_f64 v[6:7], v[20:21], v[56:57]
	v_cvt_f32_f64_e32 v6, v[6:7]
	v_cvt_f32_f64_e32 v4, v[4:5]
	v_min3_f32 v139, v6, v4, v136
	v_add_f64 v[4:5], v[18:19], v[58:59]
	v_add_f64 v[6:7], v[16:17], v[56:57]
	v_cvt_f32_f64_e32 v6, v[6:7]
	v_cvt_f32_f64_e32 v4, v[4:5]
	v_min3_f32 v135, v6, v4, v135
	v_add_f64 v[4:5], v[14:15], v[58:59]
	v_add_f64 v[6:7], v[12:13], v[56:57]
	v_cvt_f32_f64_e32 v6, v[6:7]
	v_cvt_f32_f64_e32 v4, v[4:5]
	v_min3_f32 v134, v6, v4, v134
	;; [unrolled: 41-line block ×5, first 2 shown]
	v_add_f64 v[4:5], v[10:11], v[46:47]
	v_add_f64 v[6:7], v[8:9], v[44:45]
	v_cvt_f32_f64_e32 v6, v[6:7]
	v_cvt_f32_f64_e32 v4, v[4:5]
	v_min3_f32 v104, v6, v4, v104
	s_waitcnt lgkmcnt(1)
	v_add_f64 v[4:5], v[2:3], v[42:43]
	v_add_f64 v[6:7], v[0:1], v[40:41]
	s_waitcnt lgkmcnt(0)
	v_add_f64 v[2:3], v[2:3], v[38:39]
	v_add_f64 v[0:1], v[0:1], v[36:37]
	v_cvt_f32_f64_e32 v0, v[0:1]
	v_cvt_f32_f64_e32 v1, v[2:3]
	v_cvt_f32_f64_e32 v6, v[6:7]
	v_cvt_f32_f64_e32 v4, v[4:5]
	v_min3_f32 v93, v0, v1, v93
	v_add_f64 v[0:1], v[34:35], v[38:39]
	v_add_f64 v[2:3], v[32:33], v[36:37]
	v_min3_f32 v103, v6, v4, v103
	v_add_f64 v[4:5], v[34:35], v[42:43]
	v_add_f64 v[6:7], v[32:33], v[40:41]
	v_cvt_f32_f64_e32 v2, v[2:3]
	v_cvt_f32_f64_e32 v0, v[0:1]
	v_cvt_f32_f64_e32 v6, v[6:7]
	v_cvt_f32_f64_e32 v4, v[4:5]
	v_min3_f32 v92, v2, v0, v92
	v_add_f64 v[0:1], v[30:31], v[38:39]
	v_add_f64 v[2:3], v[28:29], v[36:37]
	v_min3_f32 v102, v6, v4, v102
	;; [unrolled: 10-line block ×6, first 2 shown]
	v_add_f64 v[4:5], v[14:15], v[42:43]
	v_add_f64 v[6:7], v[12:13], v[40:41]
	v_cvt_f32_f64_e32 v2, v[2:3]
	v_cvt_f32_f64_e32 v0, v[0:1]
	;; [unrolled: 1-line block ×4, first 2 shown]
	v_min3_f32 v87, v2, v0, v87
	v_add_f64 v[0:1], v[10:11], v[38:39]
	v_add_f64 v[2:3], v[8:9], v[36:37]
	v_cvt_f32_f64_e32 v157, v[160:161]
	v_cvt_f32_f64_e32 v158, v[158:159]
	v_min3_f32 v95, v6, v4, v95
	v_add_f64 v[4:5], v[10:11], v[42:43]
	v_add_f64 v[6:7], v[8:9], v[40:41]
	v_cvt_f32_f64_e32 v2, v[2:3]
	v_cvt_f32_f64_e32 v0, v[0:1]
	v_min3_f32 v150, v157, v158, v150
	v_cvt_f32_f64_e32 v6, v[6:7]
	v_cvt_f32_f64_e32 v4, v[4:5]
	v_min3_f32 v157, v2, v0, v86
	v_lshl_add_u64 v[0:1], v[66:67], 0, v[100:101]
	v_min3_f32 v94, v6, v4, v94
	s_waitcnt vmcnt(3)
	ds_write2st64_b64 v119, v[76:77], v[78:79] offset1:4
	s_waitcnt vmcnt(1)
	ds_write2st64_b64 v119, v[72:73], v[74:75] offset0:8 offset1:12
	s_waitcnt vmcnt(0)
	ds_write_b64 v80, v[70:71]
	s_waitcnt lgkmcnt(0)
	s_barrier
	global_load_dwordx2 v[70:71], v[0:1], off
	global_load_dwordx2 v[72:73], v[0:1], off offset:512
	global_load_dwordx2 v[74:75], v[0:1], off offset:1024
	;; [unrolled: 1-line block ×4, first 2 shown]
	ds_read_b128 v[32:35], v118 offset:1024
	ds_read_b128 v[28:31], v118 offset:2048
	;; [unrolled: 1-line block ×14, first 2 shown]
	ds_read_b128 v[40:43], v118
	ds_read_b128 v[0:3], v118 offset:16
	ds_read_b128 v[170:173], v81
	ds_read_b128 v[36:39], v81 offset:16
	v_lshl_add_u64 v[64:65], v[64:65], 0, 64
	v_lshl_add_u64 v[66:67], v[66:67], 0, s[8:9]
	s_waitcnt lgkmcnt(1)
	v_add_f64 v[132:133], v[42:43], v[172:173]
	v_add_f64 v[136:137], v[40:41], v[170:171]
	v_cvt_f32_f64_e32 v86, v[136:137]
	v_cvt_f32_f64_e32 v129, v[132:133]
	v_add_f64 v[132:133], v[34:35], v[172:173]
	v_add_f64 v[136:137], v[32:33], v[170:171]
	v_min3_f32 v86, v86, v129, v156
	v_cvt_f32_f64_e32 v129, v[136:137]
	v_cvt_f32_f64_e32 v131, v[132:133]
	v_add_f64 v[132:133], v[30:31], v[172:173]
	v_add_f64 v[136:137], v[28:29], v[170:171]
	v_min3_f32 v131, v129, v131, v155
	v_cvt_f32_f64_e32 v129, v[136:137]
	v_cvt_f32_f64_e32 v132, v[132:133]
	v_min3_f32 v140, v129, v132, v154
	v_add_f64 v[132:133], v[26:27], v[172:173]
	v_add_f64 v[136:137], v[24:25], v[170:171]
	v_cvt_f32_f64_e32 v129, v[136:137]
	v_cvt_f32_f64_e32 v132, v[132:133]
	v_add_f64 v[136:137], v[22:23], v[172:173]
	v_add_f64 v[154:155], v[20:21], v[170:171]
	v_min3_f32 v132, v129, v132, v153
	v_cvt_f32_f64_e32 v129, v[154:155]
	v_cvt_f32_f64_e32 v133, v[136:137]
	v_min3_f32 v133, v129, v133, v152
	v_add_f64 v[136:137], v[18:19], v[172:173]
	v_add_f64 v[152:153], v[16:17], v[170:171]
	;; [unrolled: 10-line block ×8, first 2 shown]
	v_cvt_f32_f64_e32 v129, v[142:143]
	v_cvt_f32_f64_e32 v60, v[60:61]
	v_min3_f32 v146, v129, v60, v62
	v_add_f64 v[60:61], v[30:31], v[164:165]
	v_add_f64 v[142:143], v[28:29], v[162:163]
	v_cvt_f32_f64_e32 v62, v[142:143]
	v_cvt_f32_f64_e32 v60, v[60:61]
	v_min3_f32 v145, v62, v60, v63
	v_add_f64 v[60:61], v[26:27], v[164:165]
	v_add_f64 v[62:63], v[24:25], v[162:163]
	;; [unrolled: 5-line block ×21, first 2 shown]
	v_add_f64 v[54:55], v[6:7], v[54:55]
	v_add_f64 v[52:53], v[4:5], v[52:53]
	v_cvt_f32_f64_e32 v58, v[58:59]
	v_cvt_f32_f64_e32 v56, v[56:57]
	;; [unrolled: 1-line block ×4, first 2 shown]
	v_min3_f32 v114, v58, v56, v113
	v_min3_f32 v113, v52, v53, v112
	v_add_f64 v[52:53], v[42:43], v[50:51]
	v_add_f64 v[54:55], v[40:41], v[48:49]
	v_cvt_f32_f64_e32 v54, v[54:55]
	v_cvt_f32_f64_e32 v52, v[52:53]
	v_min3_f32 v112, v54, v52, v111
	v_add_f64 v[52:53], v[34:35], v[50:51]
	v_add_f64 v[54:55], v[32:33], v[48:49]
	v_cvt_f32_f64_e32 v54, v[54:55]
	v_cvt_f32_f64_e32 v52, v[52:53]
	;; [unrolled: 5-line block ×6, first 2 shown]
	v_min3_f32 v107, v54, v52, v106
	v_add_f64 v[52:53], v[10:11], v[50:51]
	v_add_f64 v[54:55], v[8:9], v[48:49]
	;; [unrolled: 1-line block ×4, first 2 shown]
	v_cvt_f32_f64_e32 v54, v[54:55]
	v_cvt_f32_f64_e32 v52, v[52:53]
	;; [unrolled: 1-line block ×4, first 2 shown]
	v_min3_f32 v106, v54, v52, v105
	v_min3_f32 v105, v48, v49, v104
	v_add_f64 v[48:49], v[42:43], v[46:47]
	v_add_f64 v[50:51], v[40:41], v[44:45]
	v_cvt_f32_f64_e32 v50, v[50:51]
	v_cvt_f32_f64_e32 v48, v[48:49]
	v_min3_f32 v104, v50, v48, v103
	v_add_f64 v[48:49], v[34:35], v[46:47]
	v_add_f64 v[50:51], v[32:33], v[44:45]
	v_cvt_f32_f64_e32 v50, v[50:51]
	v_cvt_f32_f64_e32 v48, v[48:49]
	;; [unrolled: 5-line block ×6, first 2 shown]
	v_min3_f32 v97, v50, v48, v96
	v_add_f64 v[48:49], v[10:11], v[46:47]
	v_add_f64 v[50:51], v[8:9], v[44:45]
	;; [unrolled: 1-line block ×20, first 2 shown]
	v_cvt_f32_f64_e32 v50, v[50:51]
	v_cvt_f32_f64_e32 v48, v[48:49]
	;; [unrolled: 1-line block ×20, first 2 shown]
	s_waitcnt lgkmcnt(0)
	v_add_f64 v[158:159], v[2:3], v[38:39]
	v_add_f64 v[160:161], v[0:1], v[36:37]
	v_min3_f32 v96, v50, v48, v95
	v_min3_f32 v95, v44, v45, v94
	;; [unrolled: 1-line block ×10, first 2 shown]
	v_cvt_f32_f64_e32 v157, v[160:161]
	v_cvt_f32_f64_e32 v158, v[158:159]
	ds_read_b128 v[28:31], v118 offset:1040
	ds_read_b128 v[24:27], v118 offset:2064
	ds_read_b128 v[20:23], v118 offset:3088
	ds_read_b128 v[16:19], v118 offset:4112
	ds_read_b128 v[12:15], v118 offset:5136
	ds_read_b128 v[8:11], v118 offset:6160
	ds_read_b128 v[4:7], v118 offset:7184
	ds_read_b128 v[60:63], v81 offset:272
	ds_read_b128 v[56:59], v81 offset:528
	ds_read_b128 v[52:55], v81 offset:784
	ds_read_b128 v[48:51], v81 offset:1040
	ds_read_b128 v[44:47], v81 offset:1296
	ds_read_b128 v[40:43], v81 offset:1552
	ds_read_b128 v[32:35], v81 offset:1808
	v_min3_f32 v86, v157, v158, v86
	s_waitcnt lgkmcnt(13)
	v_add_f64 v[158:159], v[30:31], v[38:39]
	v_add_f64 v[160:161], v[28:29], v[36:37]
	v_cvt_f32_f64_e32 v157, v[160:161]
	v_cvt_f32_f64_e32 v158, v[158:159]
	v_min3_f32 v131, v157, v158, v131
	s_waitcnt lgkmcnt(12)
	v_add_f64 v[158:159], v[26:27], v[38:39]
	v_add_f64 v[160:161], v[24:25], v[36:37]
	v_cvt_f32_f64_e32 v157, v[160:161]
	v_cvt_f32_f64_e32 v158, v[158:159]
	;; [unrolled: 6-line block ×5, first 2 shown]
	v_min3_f32 v136, v157, v158, v136
	s_waitcnt lgkmcnt(8)
	v_add_f64 v[158:159], v[10:11], v[38:39]
	v_add_f64 v[160:161], v[8:9], v[36:37]
	s_waitcnt lgkmcnt(7)
	v_add_f64 v[38:39], v[6:7], v[38:39]
	v_add_f64 v[36:37], v[4:5], v[36:37]
	v_cvt_f32_f64_e32 v36, v[36:37]
	v_cvt_f32_f64_e32 v37, v[38:39]
	v_min3_f32 v211, v36, v37, v156
	s_waitcnt lgkmcnt(6)
	v_add_f64 v[36:37], v[2:3], v[62:63]
	v_add_f64 v[38:39], v[0:1], v[60:61]
	v_cvt_f32_f64_e32 v38, v[38:39]
	v_cvt_f32_f64_e32 v36, v[36:37]
	v_min3_f32 v212, v38, v36, v155
	v_add_f64 v[36:37], v[30:31], v[62:63]
	v_add_f64 v[38:39], v[28:29], v[60:61]
	v_cvt_f32_f64_e32 v38, v[38:39]
	v_cvt_f32_f64_e32 v36, v[36:37]
	v_min3_f32 v209, v38, v36, v154
	v_add_f64 v[36:37], v[26:27], v[62:63]
	v_add_f64 v[38:39], v[24:25], v[60:61]
	v_cvt_f32_f64_e32 v38, v[38:39]
	v_cvt_f32_f64_e32 v36, v[36:37]
	v_min3_f32 v210, v38, v36, v153
	v_add_f64 v[36:37], v[22:23], v[62:63]
	v_add_f64 v[38:39], v[20:21], v[60:61]
	v_cvt_f32_f64_e32 v38, v[38:39]
	v_cvt_f32_f64_e32 v36, v[36:37]
	v_min3_f32 v207, v38, v36, v152
	v_add_f64 v[36:37], v[18:19], v[62:63]
	v_add_f64 v[38:39], v[16:17], v[60:61]
	v_cvt_f32_f64_e32 v38, v[38:39]
	v_cvt_f32_f64_e32 v36, v[36:37]
	v_min3_f32 v208, v38, v36, v151
	v_add_f64 v[36:37], v[14:15], v[62:63]
	v_add_f64 v[38:39], v[12:13], v[60:61]
	v_cvt_f32_f64_e32 v38, v[38:39]
	v_cvt_f32_f64_e32 v36, v[36:37]
	v_min3_f32 v204, v38, v36, v150
	v_add_f64 v[36:37], v[10:11], v[62:63]
	v_add_f64 v[38:39], v[8:9], v[60:61]
	v_cvt_f32_f64_e32 v38, v[38:39]
	v_cvt_f32_f64_e32 v36, v[36:37]
	v_min3_f32 v206, v38, v36, v149
	v_add_f64 v[36:37], v[6:7], v[62:63]
	v_add_f64 v[38:39], v[4:5], v[60:61]
	v_cvt_f32_f64_e32 v38, v[38:39]
	v_cvt_f32_f64_e32 v36, v[36:37]
	v_min3_f32 v203, v38, v36, v148
	s_waitcnt lgkmcnt(5)
	v_add_f64 v[36:37], v[2:3], v[58:59]
	v_add_f64 v[38:39], v[0:1], v[56:57]
	v_cvt_f32_f64_e32 v38, v[38:39]
	v_cvt_f32_f64_e32 v36, v[36:37]
	v_min3_f32 v205, v38, v36, v147
	v_add_f64 v[36:37], v[30:31], v[58:59]
	v_add_f64 v[38:39], v[28:29], v[56:57]
	v_cvt_f32_f64_e32 v38, v[38:39]
	v_cvt_f32_f64_e32 v36, v[36:37]
	v_min3_f32 v201, v38, v36, v146
	v_add_f64 v[36:37], v[26:27], v[58:59]
	v_add_f64 v[38:39], v[24:25], v[56:57]
	v_cvt_f32_f64_e32 v38, v[38:39]
	v_cvt_f32_f64_e32 v36, v[36:37]
	v_min3_f32 v202, v38, v36, v145
	v_add_f64 v[36:37], v[22:23], v[58:59]
	v_add_f64 v[38:39], v[20:21], v[56:57]
	v_cvt_f32_f64_e32 v38, v[38:39]
	v_cvt_f32_f64_e32 v36, v[36:37]
	v_min3_f32 v198, v38, v36, v144
	v_add_f64 v[36:37], v[18:19], v[58:59]
	v_add_f64 v[38:39], v[16:17], v[56:57]
	v_cvt_f32_f64_e32 v38, v[38:39]
	v_cvt_f32_f64_e32 v36, v[36:37]
	v_min3_f32 v199, v38, v36, v143
	v_add_f64 v[36:37], v[14:15], v[58:59]
	v_add_f64 v[38:39], v[12:13], v[56:57]
	v_cvt_f32_f64_e32 v38, v[38:39]
	v_cvt_f32_f64_e32 v36, v[36:37]
	v_min3_f32 v195, v38, v36, v142
	v_add_f64 v[36:37], v[10:11], v[58:59]
	v_add_f64 v[38:39], v[8:9], v[56:57]
	v_cvt_f32_f64_e32 v38, v[38:39]
	v_cvt_f32_f64_e32 v36, v[36:37]
	v_min3_f32 v197, v38, v36, v141
	;; [unrolled: 41-line block ×5, first 2 shown]
	v_add_f64 v[36:37], v[6:7], v[46:47]
	v_add_f64 v[38:39], v[4:5], v[44:45]
	v_cvt_f32_f64_e32 v38, v[38:39]
	v_cvt_f32_f64_e32 v36, v[36:37]
	v_min3_f32 v170, v38, v36, v105
	s_waitcnt lgkmcnt(1)
	v_add_f64 v[36:37], v[2:3], v[42:43]
	v_add_f64 v[38:39], v[0:1], v[40:41]
	s_waitcnt lgkmcnt(0)
	v_add_f64 v[2:3], v[2:3], v[34:35]
	v_add_f64 v[0:1], v[0:1], v[32:33]
	v_cvt_f32_f64_e32 v38, v[38:39]
	v_cvt_f32_f64_e32 v36, v[36:37]
	v_cvt_f32_f64_e32 v0, v[0:1]
	v_cvt_f32_f64_e32 v1, v[2:3]
	v_min3_f32 v172, v38, v36, v104
	v_add_f64 v[36:37], v[30:31], v[42:43]
	v_add_f64 v[38:39], v[28:29], v[40:41]
	v_min3_f32 v163, v0, v1, v94
	v_add_f64 v[0:1], v[30:31], v[34:35]
	v_add_f64 v[2:3], v[28:29], v[32:33]
	v_cvt_f32_f64_e32 v38, v[38:39]
	v_cvt_f32_f64_e32 v36, v[36:37]
	;; [unrolled: 1-line block ×5, first 2 shown]
	v_min3_f32 v168, v38, v36, v103
	v_add_f64 v[36:37], v[26:27], v[42:43]
	v_add_f64 v[38:39], v[24:25], v[40:41]
	v_min3_f32 v160, v2, v0, v93
	v_add_f64 v[0:1], v[26:27], v[34:35]
	v_add_f64 v[2:3], v[24:25], v[32:33]
	v_cvt_f32_f64_e32 v38, v[38:39]
	v_cvt_f32_f64_e32 v36, v[36:37]
	;; [unrolled: 1-line block ×4, first 2 shown]
	v_min3_f32 v169, v38, v36, v102
	v_add_f64 v[36:37], v[22:23], v[42:43]
	v_add_f64 v[38:39], v[20:21], v[40:41]
	v_min3_f32 v161, v2, v0, v92
	v_add_f64 v[0:1], v[22:23], v[34:35]
	v_add_f64 v[2:3], v[20:21], v[32:33]
	v_cvt_f32_f64_e32 v158, v[158:159]
	v_cvt_f32_f64_e32 v38, v[38:39]
	v_cvt_f32_f64_e32 v36, v[36:37]
	v_cvt_f32_f64_e32 v2, v[2:3]
	v_cvt_f32_f64_e32 v0, v[0:1]
	v_min3_f32 v137, v157, v158, v137
	v_min3_f32 v166, v38, v36, v99
	v_add_f64 v[36:37], v[18:19], v[42:43]
	v_add_f64 v[38:39], v[16:17], v[40:41]
	v_min3_f32 v158, v2, v0, v91
	v_add_f64 v[0:1], v[18:19], v[34:35]
	v_add_f64 v[2:3], v[16:17], v[32:33]
	v_cvt_f32_f64_e32 v38, v[38:39]
	v_cvt_f32_f64_e32 v36, v[36:37]
	v_cvt_f32_f64_e32 v2, v[2:3]
	v_cvt_f32_f64_e32 v0, v[0:1]
	v_min3_f32 v167, v38, v36, v98
	v_add_f64 v[36:37], v[14:15], v[42:43]
	v_add_f64 v[38:39], v[12:13], v[40:41]
	v_min3_f32 v159, v2, v0, v90
	v_add_f64 v[0:1], v[14:15], v[34:35]
	v_add_f64 v[2:3], v[12:13], v[32:33]
	v_cvt_f32_f64_e32 v38, v[38:39]
	v_cvt_f32_f64_e32 v36, v[36:37]
	v_cvt_f32_f64_e32 v2, v[2:3]
	v_cvt_f32_f64_e32 v0, v[0:1]
	;; [unrolled: 10-line block ×4, first 2 shown]
	v_min3_f32 v162, v38, v36, v95
	v_min3_f32 v200, v2, v0, v87
	s_waitcnt vmcnt(3)
	ds_write2st64_b64 v82, v[70:71], v[72:73] offset1:4
	s_waitcnt vmcnt(1)
	ds_write2st64_b64 v82, v[74:75], v[76:77] offset0:8 offset1:12
	s_waitcnt vmcnt(0)
	ds_write_b64 v83, v[78:79]
	s_waitcnt lgkmcnt(0)
	s_barrier
	s_cbranch_scc0 .LBB157_10
.LBB157_11:
	s_load_dwordx2 s[14:15], s[0:1], 0x78
	s_load_dword s8, s[0:1], 0x58
	s_load_dword s9, s[0:1], 0x70
	ds_read_b128 v[68:71], v118 offset:8192
	ds_read_b128 v[124:127], v130 offset:18432
	ds_read_b128 v[64:67], v118 offset:8208
	ds_read_b128 v[120:123], v130 offset:18448
	s_waitcnt lgkmcnt(0)
	s_mul_i32 s1, s15, s3
	s_mul_hi_u32 s15, s14, s3
	s_mul_i32 s0, s14, s3
	v_add_f64 v[0:1], v[70:71], v[126:127]
	v_add_f64 v[2:3], v[68:69], v[124:125]
	s_add_i32 s1, s15, s1
	v_cvt_f32_f64_e32 v2, v[2:3]
	v_cvt_f32_f64_e32 v0, v[0:1]
	s_lshl_b64 s[0:1], s[0:1], 3
	v_min3_f32 v4, v2, v0, v86
	v_add_f64 v[0:1], v[66:67], v[122:123]
	v_add_f64 v[2:3], v[64:65], v[120:121]
	s_add_u32 s0, s10, s0
	v_cvt_f32_f64_e32 v2, v[2:3]
	v_cvt_f32_f64_e32 v0, v[0:1]
	v_add_u32_e32 v213, s20, v117
	s_addc_u32 s1, s11, s1
	v_min3_f32 v2, v2, v0, v4
	v_add_u32_e32 v134, s2, v116
	v_mad_i64_i32 v[0:1], s[2:3], v213, s9, 0
	v_add_u32_e32 v128, 32, v134
	v_lshl_add_u64 v[152:153], v[0:1], 3, s[0:1]
	v_mad_i64_i32 v[0:1], s[2:3], v213, s8, 0
	v_ashrrev_i32_e32 v135, 31, v134
	v_ashrrev_i32_e32 v129, 31, v128
	s_mov_b64 s[2:3], -1
	v_max_f32_e32 v2, v2, v2
	s_mov_b64 vcc, s[4:5]
	s_cbranch_vccz .LBB157_13
; %bb.12:
	v_min_f32_e32 v3, 0, v2
	v_cvt_f64_f32_e32 v[4:5], v3
	v_lshl_add_u64 v[6:7], v[134:135], 3, v[152:153]
	global_store_dwordx2 v[6:7], v[4:5], off
	s_mov_b64 s[2:3], 0
.LBB157_13:
	ds_read_b128 v[60:63], v118 offset:9216
	ds_read_b128 v[52:55], v118 offset:9232
	;; [unrolled: 1-line block ×4, first 2 shown]
	v_lshl_add_u64 v[154:155], v[0:1], 3, s[12:13]
	v_mov_b32_e32 v142, 0
	s_andn2_b64 vcc, exec, s[2:3]
	v_lshlrev_b64 v[138:139], 3, v[134:135]
	s_cbranch_vccnz .LBB157_15
; %bb.14:
	v_lshl_add_u64 v[0:1], v[154:155], 0, v[138:139]
	global_load_dwordx2 v[0:1], v[0:1], off
	v_lshl_add_u64 v[4:5], v[152:153], 0, v[138:139]
	s_waitcnt vmcnt(0)
	v_mul_f64 v[0:1], s[6:7], v[0:1]
	v_cvt_f32_f64_e32 v0, v[0:1]
	v_min_f32_e32 v0, v0, v2
	v_cvt_f64_f32_e32 v[0:1], v0
	global_store_dwordx2 v[4:5], v[0:1], off
	v_lshl_add_u64 v[0:1], v[128:129], 3, v[154:155]
	global_load_dwordx2 v[0:1], v[0:1], off
	s_waitcnt vmcnt(0)
	v_mul_f64 v[0:1], s[6:7], v[0:1]
	v_cvt_f32_f64_e32 v142, v[0:1]
.LBB157_15:
	ds_read_b128 v[40:43], v118 offset:11264
	ds_read_b128 v[36:39], v118 offset:11280
	;; [unrolled: 1-line block ×24, first 2 shown]
	s_waitcnt lgkmcnt(14)
	v_add_f64 v[144:145], v[62:63], v[126:127]
	v_add_f64 v[146:147], v[60:61], v[124:125]
	v_cvt_f32_f64_e32 v130, v[146:147]
	v_cvt_f32_f64_e32 v141, v[144:145]
	v_min3_f32 v143, v130, v141, v131
	v_add_f64 v[130:131], v[58:59], v[126:127]
	v_add_f64 v[144:145], v[56:57], v[124:125]
	v_cvt_f32_f64_e32 v141, v[144:145]
	v_cvt_f32_f64_e32 v130, v[130:131]
	v_min3_f32 v144, v141, v130, v140
	v_add_f64 v[130:131], v[54:55], v[122:123]
	v_add_f64 v[140:141], v[52:53], v[120:121]
	v_cvt_f32_f64_e32 v140, v[140:141]
	v_cvt_f32_f64_e32 v130, v[130:131]
	v_min_f32_e32 v145, v140, v130
	v_add_f64 v[130:131], v[50:51], v[122:123]
	v_add_f64 v[140:141], v[48:49], v[120:121]
	v_cvt_f32_f64_e32 v140, v[140:141]
	v_cvt_f32_f64_e32 v130, v[130:131]
	v_min3_f32 v142, v142, v145, v143
	v_min3_f32 v146, v140, v130, v144
	v_add_u32_e32 v140, 64, v134
	v_add_u32_e32 v130, 0x60, v134
	v_cvt_f64_f32_e32 v[142:143], v142
	v_lshl_add_u64 v[144:145], v[128:129], 3, v[152:153]
	v_ashrrev_i32_e32 v141, 31, v140
	v_ashrrev_i32_e32 v131, 31, v130
	global_store_dwordx2 v[144:145], v[142:143], off
	s_mov_b64 s[2:3], -1
	v_max_f32_e32 v142, v146, v146
	s_mov_b64 vcc, s[4:5]
	s_cbranch_vccz .LBB157_17
; %bb.16:
	v_min_f32_e32 v143, 0, v142
	v_cvt_f64_f32_e32 v[144:145], v143
	v_lshl_add_u64 v[146:147], v[140:141], 3, v[152:153]
	global_store_dwordx2 v[146:147], v[144:145], off
	s_mov_b64 s[2:3], 0
.LBB157_17:
	v_mov_b32_e32 v146, 0
	s_andn2_b64 vcc, exec, s[2:3]
	v_lshlrev_b64 v[144:145], 3, v[140:141]
	s_cbranch_vccnz .LBB157_19
; %bb.18:
	v_lshl_add_u64 v[146:147], v[154:155], 0, v[144:145]
	global_load_dwordx2 v[146:147], v[146:147], off
	v_lshl_add_u64 v[148:149], v[152:153], 0, v[144:145]
	s_waitcnt vmcnt(0)
	v_mul_f64 v[146:147], s[6:7], v[146:147]
	v_cvt_f32_f64_e32 v143, v[146:147]
	v_min_f32_e32 v142, v143, v142
	v_cvt_f64_f32_e32 v[142:143], v142
	global_store_dwordx2 v[148:149], v[142:143], off
	v_lshl_add_u64 v[142:143], v[130:131], 3, v[154:155]
	global_load_dwordx2 v[142:143], v[142:143], off
	s_waitcnt vmcnt(0)
	v_mul_f64 v[142:143], s[6:7], v[142:143]
	v_cvt_f32_f64_e32 v146, v[142:143]
.LBB157_19:
	v_add_f64 v[142:143], v[42:43], v[126:127]
	v_add_f64 v[148:149], v[40:41], v[124:125]
	v_cvt_f32_f64_e32 v147, v[148:149]
	v_cvt_f32_f64_e32 v142, v[142:143]
	v_min3_f32 v147, v147, v142, v132
	v_add_f64 v[142:143], v[46:47], v[126:127]
	v_add_f64 v[148:149], v[44:45], v[124:125]
	v_cvt_f32_f64_e32 v132, v[148:149]
	v_cvt_f32_f64_e32 v142, v[142:143]
	v_min3_f32 v148, v132, v142, v133
	v_add_f64 v[132:133], v[38:39], v[122:123]
	v_add_f64 v[142:143], v[36:37], v[120:121]
	v_cvt_f32_f64_e32 v142, v[142:143]
	v_cvt_f32_f64_e32 v132, v[132:133]
	v_min_f32_e32 v149, v142, v132
	v_add_f64 v[132:133], v[34:35], v[122:123]
	v_add_f64 v[142:143], v[32:33], v[120:121]
	v_cvt_f32_f64_e32 v142, v[142:143]
	v_cvt_f32_f64_e32 v132, v[132:133]
	v_min3_f32 v146, v146, v149, v147
	v_min3_f32 v150, v142, v132, v148
	v_add_u32_e32 v142, 0x80, v134
	v_add_u32_e32 v132, 0xa0, v134
	v_cvt_f64_f32_e32 v[146:147], v146
	v_lshl_add_u64 v[148:149], v[130:131], 3, v[152:153]
	v_ashrrev_i32_e32 v143, 31, v142
	v_ashrrev_i32_e32 v133, 31, v132
	global_store_dwordx2 v[148:149], v[146:147], off
	s_mov_b64 s[2:3], -1
	v_max_f32_e32 v146, v150, v150
	s_mov_b64 vcc, s[4:5]
	s_cbranch_vccz .LBB157_21
; %bb.20:
	v_min_f32_e32 v147, 0, v146
	v_cvt_f64_f32_e32 v[148:149], v147
	v_lshl_add_u64 v[150:151], v[142:143], 3, v[152:153]
	global_store_dwordx2 v[150:151], v[148:149], off
	s_mov_b64 s[2:3], 0
.LBB157_21:
	v_mov_b32_e32 v150, 0
	s_andn2_b64 vcc, exec, s[2:3]
	v_lshlrev_b64 v[148:149], 3, v[142:143]
	s_cbranch_vccnz .LBB157_23
; %bb.22:
	v_lshl_add_u64 v[150:151], v[154:155], 0, v[148:149]
	global_load_dwordx2 v[150:151], v[150:151], off
	v_lshl_add_u64 v[214:215], v[152:153], 0, v[148:149]
	s_waitcnt vmcnt(0)
	v_mul_f64 v[150:151], s[6:7], v[150:151]
	v_cvt_f32_f64_e32 v147, v[150:151]
	v_min_f32_e32 v146, v147, v146
	v_cvt_f64_f32_e32 v[146:147], v146
	global_store_dwordx2 v[214:215], v[146:147], off
	v_lshl_add_u64 v[146:147], v[132:133], 3, v[154:155]
	global_load_dwordx2 v[146:147], v[146:147], off
	s_waitcnt vmcnt(0)
	v_mul_f64 v[146:147], s[6:7], v[146:147]
	v_cvt_f32_f64_e32 v150, v[146:147]
.LBB157_23:
	v_add_f64 v[146:147], v[30:31], v[126:127]
	v_add_f64 v[214:215], v[28:29], v[124:125]
	v_cvt_f32_f64_e32 v151, v[214:215]
	v_cvt_f32_f64_e32 v146, v[146:147]
	v_min3_f32 v151, v151, v146, v136
	v_add_f64 v[146:147], v[26:27], v[126:127]
	v_add_f64 v[214:215], v[24:25], v[124:125]
	v_cvt_f32_f64_e32 v136, v[214:215]
	v_cvt_f32_f64_e32 v146, v[146:147]
	v_min3_f32 v214, v136, v146, v137
	v_add_f64 v[136:137], v[22:23], v[122:123]
	v_add_f64 v[146:147], v[20:21], v[120:121]
	v_cvt_f32_f64_e32 v146, v[146:147]
	v_cvt_f32_f64_e32 v136, v[136:137]
	v_min_f32_e32 v215, v146, v136
	v_add_f64 v[136:137], v[18:19], v[122:123]
	v_add_f64 v[146:147], v[16:17], v[120:121]
	v_cvt_f32_f64_e32 v146, v[146:147]
	v_cvt_f32_f64_e32 v136, v[136:137]
	v_min3_f32 v150, v150, v215, v151
	v_min3_f32 v216, v146, v136, v214
	v_add_u32_e32 v146, 0xc0, v134
	v_add_u32_e32 v136, 0xe0, v134
	v_cvt_f64_f32_e32 v[150:151], v150
	v_lshl_add_u64 v[214:215], v[132:133], 3, v[152:153]
	v_ashrrev_i32_e32 v147, 31, v146
	v_ashrrev_i32_e32 v137, 31, v136
	global_store_dwordx2 v[214:215], v[150:151], off
	s_mov_b64 s[2:3], -1
	v_max_f32_e32 v215, v216, v216
	s_mov_b64 vcc, s[4:5]
	s_cbranch_vccz .LBB157_25
; %bb.24:
	v_min_f32_e32 v150, 0, v215
	v_cvt_f64_f32_e32 v[150:151], v150
	v_lshl_add_u64 v[216:217], v[146:147], 3, v[152:153]
	global_store_dwordx2 v[216:217], v[150:151], off
	s_mov_b64 s[2:3], 0
.LBB157_25:
	v_mov_b32_e32 v214, 0
	s_andn2_b64 vcc, exec, s[2:3]
	v_lshlrev_b64 v[150:151], 3, v[146:147]
	s_cbranch_vccnz .LBB157_27
; %bb.26:
	v_lshl_add_u64 v[216:217], v[154:155], 0, v[150:151]
	global_load_dwordx2 v[216:217], v[216:217], off
	v_lshl_add_u64 v[218:219], v[152:153], 0, v[150:151]
	v_lshl_add_u64 v[154:155], v[136:137], 3, v[154:155]
	s_waitcnt vmcnt(0)
	v_mul_f64 v[216:217], s[6:7], v[216:217]
	v_cvt_f32_f64_e32 v214, v[216:217]
	v_min_f32_e32 v214, v214, v215
	v_cvt_f64_f32_e32 v[214:215], v214
	global_store_dwordx2 v[218:219], v[214:215], off
	global_load_dwordx2 v[154:155], v[154:155], off
	s_waitcnt vmcnt(0)
	v_mul_f64 v[154:155], s[6:7], v[154:155]
	v_cvt_f32_f64_e32 v214, v[154:155]
.LBB157_27:
	v_add_f64 v[126:127], v[2:3], v[126:127]
	v_add_f64 v[124:125], v[0:1], v[124:125]
	v_cvt_f32_f64_e32 v124, v[124:125]
	v_cvt_f32_f64_e32 v125, v[126:127]
	v_add_f64 v[122:123], v[10:11], v[122:123]
	v_add_f64 v[120:121], v[8:9], v[120:121]
	v_min3_f32 v154, v124, v125, v211
	s_waitcnt lgkmcnt(13)
	v_add_f64 v[124:125], v[70:71], v[118:119]
	v_add_f64 v[126:127], v[68:69], v[116:117]
	v_cvt_f32_f64_e32 v120, v[120:121]
	v_cvt_f32_f64_e32 v121, v[122:123]
	;; [unrolled: 1-line block ×4, first 2 shown]
	v_min_f32_e32 v125, v120, v121
	s_waitcnt lgkmcnt(12)
	v_add_f64 v[120:121], v[66:67], v[114:115]
	v_add_f64 v[122:123], v[64:65], v[112:113]
	v_min3_f32 v124, v126, v124, v212
	v_cvt_f32_f64_e32 v122, v[122:123]
	v_cvt_f32_f64_e32 v120, v[120:121]
	v_min3_f32 v124, v122, v120, v124
	v_min3_f32 v120, v214, v125, v154
	v_cvt_f64_f32_e32 v[120:121], v120
	v_lshl_add_u64 v[122:123], v[136:137], 3, v[152:153]
	global_store_dwordx2 v[122:123], v[120:121], off
	v_add_u32_e32 v122, 8, v213
	v_mad_i64_i32 v[120:121], s[2:3], v122, s9, 0
	v_mad_i64_i32 v[122:123], s[2:3], v122, s8, 0
	v_lshl_add_u64 v[120:121], v[120:121], 3, s[0:1]
	s_mov_b64 s[2:3], -1
	v_max_f32_e32 v125, v124, v124
	s_mov_b64 vcc, s[4:5]
	s_cbranch_vccz .LBB157_29
; %bb.28:
	v_min_f32_e32 v124, 0, v125
	v_cvt_f64_f32_e32 v[126:127], v124
	v_lshl_add_u64 v[152:153], v[134:135], 3, v[120:121]
	global_store_dwordx2 v[152:153], v[126:127], off
	s_mov_b64 s[2:3], 0
.LBB157_29:
	v_lshl_add_u64 v[122:123], v[122:123], 3, s[12:13]
	s_andn2_b64 vcc, exec, s[2:3]
	v_mov_b32_e32 v124, 0
	s_cbranch_vccnz .LBB157_31
; %bb.30:
	v_lshl_add_u64 v[126:127], v[122:123], 0, v[138:139]
	global_load_dwordx2 v[126:127], v[126:127], off
	v_lshl_add_u64 v[152:153], v[120:121], 0, v[138:139]
	s_waitcnt vmcnt(0)
	v_mul_f64 v[126:127], s[6:7], v[126:127]
	v_cvt_f32_f64_e32 v124, v[126:127]
	v_min_f32_e32 v124, v124, v125
	v_cvt_f64_f32_e32 v[124:125], v124
	global_store_dwordx2 v[152:153], v[124:125], off
	v_lshl_add_u64 v[124:125], v[128:129], 3, v[122:123]
	global_load_dwordx2 v[124:125], v[124:125], off
	s_waitcnt vmcnt(0)
	v_mul_f64 v[124:125], s[6:7], v[124:125]
	v_cvt_f32_f64_e32 v124, v[124:125]
.LBB157_31:
	v_add_f64 v[126:127], v[62:63], v[118:119]
	v_add_f64 v[152:153], v[60:61], v[116:117]
	v_cvt_f32_f64_e32 v125, v[152:153]
	v_cvt_f32_f64_e32 v126, v[126:127]
	v_min3_f32 v125, v125, v126, v209
	v_add_f64 v[126:127], v[58:59], v[118:119]
	v_add_f64 v[152:153], v[56:57], v[116:117]
	v_cvt_f32_f64_e32 v152, v[152:153]
	v_cvt_f32_f64_e32 v126, v[126:127]
	v_min3_f32 v154, v152, v126, v210
	v_add_f64 v[126:127], v[54:55], v[114:115]
	v_add_f64 v[152:153], v[52:53], v[112:113]
	v_cvt_f32_f64_e32 v152, v[152:153]
	v_cvt_f32_f64_e32 v126, v[126:127]
	v_min_f32_e32 v155, v152, v126
	v_add_f64 v[126:127], v[50:51], v[114:115]
	v_add_f64 v[152:153], v[48:49], v[112:113]
	v_cvt_f32_f64_e32 v152, v[152:153]
	v_cvt_f32_f64_e32 v126, v[126:127]
	v_min3_f32 v124, v124, v155, v125
	v_min3_f32 v152, v152, v126, v154
	v_cvt_f64_f32_e32 v[124:125], v124
	v_lshl_add_u64 v[126:127], v[128:129], 3, v[120:121]
	global_store_dwordx2 v[126:127], v[124:125], off
	s_mov_b64 s[2:3], -1
	v_max_f32_e32 v125, v152, v152
	s_mov_b64 vcc, s[4:5]
	s_cbranch_vccz .LBB157_33
; %bb.32:
	v_min_f32_e32 v124, 0, v125
	v_cvt_f64_f32_e32 v[126:127], v124
	v_lshl_add_u64 v[152:153], v[140:141], 3, v[120:121]
	global_store_dwordx2 v[152:153], v[126:127], off
	s_mov_b64 s[2:3], 0
.LBB157_33:
	s_andn2_b64 vcc, exec, s[2:3]
	v_mov_b32_e32 v124, 0
	s_cbranch_vccnz .LBB157_35
; %bb.34:
	v_lshl_add_u64 v[126:127], v[122:123], 0, v[144:145]
	global_load_dwordx2 v[126:127], v[126:127], off
	v_lshl_add_u64 v[152:153], v[120:121], 0, v[144:145]
	s_waitcnt vmcnt(0)
	v_mul_f64 v[126:127], s[6:7], v[126:127]
	v_cvt_f32_f64_e32 v124, v[126:127]
	v_min_f32_e32 v124, v124, v125
	v_cvt_f64_f32_e32 v[124:125], v124
	global_store_dwordx2 v[152:153], v[124:125], off
	v_lshl_add_u64 v[124:125], v[130:131], 3, v[122:123]
	global_load_dwordx2 v[124:125], v[124:125], off
	s_waitcnt vmcnt(0)
	v_mul_f64 v[124:125], s[6:7], v[124:125]
	v_cvt_f32_f64_e32 v124, v[124:125]
.LBB157_35:
	v_add_f64 v[126:127], v[42:43], v[118:119]
	v_add_f64 v[152:153], v[40:41], v[116:117]
	v_cvt_f32_f64_e32 v125, v[152:153]
	v_cvt_f32_f64_e32 v126, v[126:127]
	v_min3_f32 v125, v125, v126, v207
	v_add_f64 v[126:127], v[46:47], v[118:119]
	v_add_f64 v[152:153], v[44:45], v[116:117]
	v_cvt_f32_f64_e32 v152, v[152:153]
	v_cvt_f32_f64_e32 v126, v[126:127]
	v_min3_f32 v154, v152, v126, v208
	v_add_f64 v[126:127], v[38:39], v[114:115]
	v_add_f64 v[152:153], v[36:37], v[112:113]
	v_cvt_f32_f64_e32 v152, v[152:153]
	v_cvt_f32_f64_e32 v126, v[126:127]
	v_min_f32_e32 v155, v152, v126
	v_add_f64 v[126:127], v[34:35], v[114:115]
	v_add_f64 v[152:153], v[32:33], v[112:113]
	v_cvt_f32_f64_e32 v152, v[152:153]
	v_cvt_f32_f64_e32 v126, v[126:127]
	v_min3_f32 v124, v124, v155, v125
	v_min3_f32 v152, v152, v126, v154
	v_cvt_f64_f32_e32 v[124:125], v124
	v_lshl_add_u64 v[126:127], v[130:131], 3, v[120:121]
	global_store_dwordx2 v[126:127], v[124:125], off
	s_mov_b64 s[2:3], -1
	v_max_f32_e32 v125, v152, v152
	s_mov_b64 vcc, s[4:5]
	s_cbranch_vccz .LBB157_37
; %bb.36:
	v_min_f32_e32 v124, 0, v125
	v_cvt_f64_f32_e32 v[126:127], v124
	v_lshl_add_u64 v[152:153], v[142:143], 3, v[120:121]
	global_store_dwordx2 v[152:153], v[126:127], off
	s_mov_b64 s[2:3], 0
.LBB157_37:
	;; [unrolled: 54-line block ×3, first 2 shown]
	s_andn2_b64 vcc, exec, s[2:3]
	v_mov_b32_e32 v124, 0
	s_cbranch_vccnz .LBB157_43
; %bb.42:
	v_lshl_add_u64 v[126:127], v[122:123], 0, v[150:151]
	global_load_dwordx2 v[126:127], v[126:127], off
	v_lshl_add_u64 v[152:153], v[120:121], 0, v[150:151]
	v_lshl_add_u64 v[122:123], v[136:137], 3, v[122:123]
	s_waitcnt vmcnt(0)
	v_mul_f64 v[126:127], s[6:7], v[126:127]
	v_cvt_f32_f64_e32 v124, v[126:127]
	v_min_f32_e32 v124, v124, v125
	v_cvt_f64_f32_e32 v[124:125], v124
	global_store_dwordx2 v[152:153], v[124:125], off
	global_load_dwordx2 v[122:123], v[122:123], off
	s_waitcnt vmcnt(0)
	v_mul_f64 v[122:123], s[6:7], v[122:123]
	v_cvt_f32_f64_e32 v124, v[122:123]
.LBB157_43:
	v_add_f64 v[118:119], v[2:3], v[118:119]
	v_add_f64 v[116:117], v[0:1], v[116:117]
	v_cvt_f32_f64_e32 v116, v[116:117]
	v_cvt_f32_f64_e32 v117, v[118:119]
	v_add_f64 v[114:115], v[10:11], v[114:115]
	v_add_f64 v[112:113], v[8:9], v[112:113]
	v_min3_f32 v122, v116, v117, v203
	s_waitcnt lgkmcnt(11)
	v_add_f64 v[116:117], v[70:71], v[110:111]
	v_add_f64 v[118:119], v[68:69], v[108:109]
	v_cvt_f32_f64_e32 v112, v[112:113]
	v_cvt_f32_f64_e32 v113, v[114:115]
	;; [unrolled: 1-line block ×4, first 2 shown]
	v_min_f32_e32 v117, v112, v113
	s_waitcnt lgkmcnt(10)
	v_add_f64 v[112:113], v[66:67], v[106:107]
	v_add_f64 v[114:115], v[64:65], v[104:105]
	v_min3_f32 v116, v118, v116, v205
	v_cvt_f32_f64_e32 v114, v[114:115]
	v_cvt_f32_f64_e32 v112, v[112:113]
	v_min3_f32 v116, v114, v112, v116
	v_min3_f32 v112, v124, v117, v122
	v_cvt_f64_f32_e32 v[112:113], v112
	v_lshl_add_u64 v[114:115], v[136:137], 3, v[120:121]
	global_store_dwordx2 v[114:115], v[112:113], off
	v_add_u32_e32 v114, 16, v213
	v_mad_i64_i32 v[112:113], s[2:3], v114, s9, 0
	v_mad_i64_i32 v[114:115], s[2:3], v114, s8, 0
	v_lshl_add_u64 v[112:113], v[112:113], 3, s[0:1]
	s_mov_b64 s[2:3], -1
	v_max_f32_e32 v117, v116, v116
	s_mov_b64 vcc, s[4:5]
	s_cbranch_vccz .LBB157_45
; %bb.44:
	v_min_f32_e32 v116, 0, v117
	v_cvt_f64_f32_e32 v[118:119], v116
	v_lshl_add_u64 v[120:121], v[134:135], 3, v[112:113]
	global_store_dwordx2 v[120:121], v[118:119], off
	s_mov_b64 s[2:3], 0
.LBB157_45:
	v_lshl_add_u64 v[114:115], v[114:115], 3, s[12:13]
	s_andn2_b64 vcc, exec, s[2:3]
	v_mov_b32_e32 v116, 0
	s_cbranch_vccnz .LBB157_47
; %bb.46:
	v_lshl_add_u64 v[118:119], v[114:115], 0, v[138:139]
	global_load_dwordx2 v[118:119], v[118:119], off
	v_lshl_add_u64 v[120:121], v[112:113], 0, v[138:139]
	s_waitcnt vmcnt(0)
	v_mul_f64 v[118:119], s[6:7], v[118:119]
	v_cvt_f32_f64_e32 v116, v[118:119]
	v_min_f32_e32 v116, v116, v117
	v_cvt_f64_f32_e32 v[116:117], v116
	global_store_dwordx2 v[120:121], v[116:117], off
	v_lshl_add_u64 v[116:117], v[128:129], 3, v[114:115]
	global_load_dwordx2 v[116:117], v[116:117], off
	s_waitcnt vmcnt(0)
	v_mul_f64 v[116:117], s[6:7], v[116:117]
	v_cvt_f32_f64_e32 v116, v[116:117]
.LBB157_47:
	v_add_f64 v[118:119], v[62:63], v[110:111]
	v_add_f64 v[120:121], v[60:61], v[108:109]
	v_cvt_f32_f64_e32 v117, v[120:121]
	v_cvt_f32_f64_e32 v118, v[118:119]
	v_min3_f32 v117, v117, v118, v201
	v_add_f64 v[118:119], v[58:59], v[110:111]
	v_add_f64 v[120:121], v[56:57], v[108:109]
	v_cvt_f32_f64_e32 v120, v[120:121]
	v_cvt_f32_f64_e32 v118, v[118:119]
	v_min3_f32 v122, v120, v118, v202
	v_add_f64 v[118:119], v[54:55], v[106:107]
	v_add_f64 v[120:121], v[52:53], v[104:105]
	v_cvt_f32_f64_e32 v120, v[120:121]
	v_cvt_f32_f64_e32 v118, v[118:119]
	v_min_f32_e32 v123, v120, v118
	v_add_f64 v[118:119], v[50:51], v[106:107]
	v_add_f64 v[120:121], v[48:49], v[104:105]
	v_cvt_f32_f64_e32 v120, v[120:121]
	v_cvt_f32_f64_e32 v118, v[118:119]
	v_min3_f32 v116, v116, v123, v117
	v_min3_f32 v120, v120, v118, v122
	v_cvt_f64_f32_e32 v[116:117], v116
	v_lshl_add_u64 v[118:119], v[128:129], 3, v[112:113]
	global_store_dwordx2 v[118:119], v[116:117], off
	s_mov_b64 s[2:3], -1
	v_max_f32_e32 v117, v120, v120
	s_mov_b64 vcc, s[4:5]
	s_cbranch_vccz .LBB157_49
; %bb.48:
	v_min_f32_e32 v116, 0, v117
	v_cvt_f64_f32_e32 v[118:119], v116
	v_lshl_add_u64 v[120:121], v[140:141], 3, v[112:113]
	global_store_dwordx2 v[120:121], v[118:119], off
	s_mov_b64 s[2:3], 0
.LBB157_49:
	s_andn2_b64 vcc, exec, s[2:3]
	v_mov_b32_e32 v116, 0
	s_cbranch_vccnz .LBB157_51
; %bb.50:
	v_lshl_add_u64 v[118:119], v[114:115], 0, v[144:145]
	global_load_dwordx2 v[118:119], v[118:119], off
	v_lshl_add_u64 v[120:121], v[112:113], 0, v[144:145]
	s_waitcnt vmcnt(0)
	v_mul_f64 v[118:119], s[6:7], v[118:119]
	v_cvt_f32_f64_e32 v116, v[118:119]
	v_min_f32_e32 v116, v116, v117
	v_cvt_f64_f32_e32 v[116:117], v116
	global_store_dwordx2 v[120:121], v[116:117], off
	v_lshl_add_u64 v[116:117], v[130:131], 3, v[114:115]
	global_load_dwordx2 v[116:117], v[116:117], off
	s_waitcnt vmcnt(0)
	v_mul_f64 v[116:117], s[6:7], v[116:117]
	v_cvt_f32_f64_e32 v116, v[116:117]
.LBB157_51:
	v_add_f64 v[118:119], v[42:43], v[110:111]
	v_add_f64 v[120:121], v[40:41], v[108:109]
	v_cvt_f32_f64_e32 v117, v[120:121]
	v_cvt_f32_f64_e32 v118, v[118:119]
	v_min3_f32 v117, v117, v118, v198
	v_add_f64 v[118:119], v[46:47], v[110:111]
	v_add_f64 v[120:121], v[44:45], v[108:109]
	v_cvt_f32_f64_e32 v120, v[120:121]
	v_cvt_f32_f64_e32 v118, v[118:119]
	v_min3_f32 v122, v120, v118, v199
	v_add_f64 v[118:119], v[38:39], v[106:107]
	v_add_f64 v[120:121], v[36:37], v[104:105]
	v_cvt_f32_f64_e32 v120, v[120:121]
	v_cvt_f32_f64_e32 v118, v[118:119]
	v_min_f32_e32 v123, v120, v118
	v_add_f64 v[118:119], v[34:35], v[106:107]
	v_add_f64 v[120:121], v[32:33], v[104:105]
	v_cvt_f32_f64_e32 v120, v[120:121]
	v_cvt_f32_f64_e32 v118, v[118:119]
	v_min3_f32 v116, v116, v123, v117
	v_min3_f32 v120, v120, v118, v122
	v_cvt_f64_f32_e32 v[116:117], v116
	v_lshl_add_u64 v[118:119], v[130:131], 3, v[112:113]
	global_store_dwordx2 v[118:119], v[116:117], off
	s_mov_b64 s[2:3], -1
	v_max_f32_e32 v117, v120, v120
	s_mov_b64 vcc, s[4:5]
	s_cbranch_vccz .LBB157_53
; %bb.52:
	v_min_f32_e32 v116, 0, v117
	v_cvt_f64_f32_e32 v[118:119], v116
	v_lshl_add_u64 v[120:121], v[142:143], 3, v[112:113]
	global_store_dwordx2 v[120:121], v[118:119], off
	s_mov_b64 s[2:3], 0
.LBB157_53:
	;; [unrolled: 54-line block ×3, first 2 shown]
	s_andn2_b64 vcc, exec, s[2:3]
	v_mov_b32_e32 v116, 0
	s_cbranch_vccnz .LBB157_59
; %bb.58:
	v_lshl_add_u64 v[118:119], v[114:115], 0, v[150:151]
	global_load_dwordx2 v[118:119], v[118:119], off
	v_lshl_add_u64 v[120:121], v[112:113], 0, v[150:151]
	v_lshl_add_u64 v[114:115], v[136:137], 3, v[114:115]
	s_waitcnt vmcnt(0)
	v_mul_f64 v[118:119], s[6:7], v[118:119]
	v_cvt_f32_f64_e32 v116, v[118:119]
	v_min_f32_e32 v116, v116, v117
	v_cvt_f64_f32_e32 v[116:117], v116
	global_store_dwordx2 v[120:121], v[116:117], off
	global_load_dwordx2 v[114:115], v[114:115], off
	s_waitcnt vmcnt(0)
	v_mul_f64 v[114:115], s[6:7], v[114:115]
	v_cvt_f32_f64_e32 v116, v[114:115]
.LBB157_59:
	v_add_f64 v[110:111], v[2:3], v[110:111]
	v_add_f64 v[108:109], v[0:1], v[108:109]
	v_cvt_f32_f64_e32 v108, v[108:109]
	v_cvt_f32_f64_e32 v109, v[110:111]
	v_add_f64 v[106:107], v[10:11], v[106:107]
	v_add_f64 v[104:105], v[8:9], v[104:105]
	v_min3_f32 v114, v108, v109, v194
	s_waitcnt lgkmcnt(9)
	v_add_f64 v[108:109], v[70:71], v[102:103]
	v_add_f64 v[110:111], v[68:69], v[100:101]
	v_cvt_f32_f64_e32 v104, v[104:105]
	v_cvt_f32_f64_e32 v105, v[106:107]
	;; [unrolled: 1-line block ×4, first 2 shown]
	v_min_f32_e32 v109, v104, v105
	s_waitcnt lgkmcnt(8)
	v_add_f64 v[104:105], v[66:67], v[98:99]
	v_add_f64 v[106:107], v[64:65], v[96:97]
	v_min3_f32 v108, v110, v108, v196
	v_cvt_f32_f64_e32 v106, v[106:107]
	v_cvt_f32_f64_e32 v104, v[104:105]
	v_min3_f32 v108, v106, v104, v108
	v_min3_f32 v104, v116, v109, v114
	v_cvt_f64_f32_e32 v[104:105], v104
	v_lshl_add_u64 v[106:107], v[136:137], 3, v[112:113]
	global_store_dwordx2 v[106:107], v[104:105], off
	v_add_u32_e32 v106, 24, v213
	v_mad_i64_i32 v[104:105], s[2:3], v106, s9, 0
	v_mad_i64_i32 v[106:107], s[2:3], v106, s8, 0
	v_lshl_add_u64 v[104:105], v[104:105], 3, s[0:1]
	s_mov_b64 s[2:3], -1
	v_max_f32_e32 v109, v108, v108
	s_mov_b64 vcc, s[4:5]
	s_cbranch_vccz .LBB157_61
; %bb.60:
	v_min_f32_e32 v108, 0, v109
	v_cvt_f64_f32_e32 v[110:111], v108
	v_lshl_add_u64 v[112:113], v[134:135], 3, v[104:105]
	global_store_dwordx2 v[112:113], v[110:111], off
	s_mov_b64 s[2:3], 0
.LBB157_61:
	v_lshl_add_u64 v[106:107], v[106:107], 3, s[12:13]
	s_andn2_b64 vcc, exec, s[2:3]
	v_mov_b32_e32 v108, 0
	s_cbranch_vccnz .LBB157_63
; %bb.62:
	v_lshl_add_u64 v[110:111], v[106:107], 0, v[138:139]
	global_load_dwordx2 v[110:111], v[110:111], off
	v_lshl_add_u64 v[112:113], v[104:105], 0, v[138:139]
	s_waitcnt vmcnt(0)
	v_mul_f64 v[110:111], s[6:7], v[110:111]
	v_cvt_f32_f64_e32 v108, v[110:111]
	v_min_f32_e32 v108, v108, v109
	v_cvt_f64_f32_e32 v[108:109], v108
	global_store_dwordx2 v[112:113], v[108:109], off
	v_lshl_add_u64 v[108:109], v[128:129], 3, v[106:107]
	global_load_dwordx2 v[108:109], v[108:109], off
	s_waitcnt vmcnt(0)
	v_mul_f64 v[108:109], s[6:7], v[108:109]
	v_cvt_f32_f64_e32 v108, v[108:109]
.LBB157_63:
	v_add_f64 v[110:111], v[62:63], v[102:103]
	v_add_f64 v[112:113], v[60:61], v[100:101]
	v_cvt_f32_f64_e32 v109, v[112:113]
	v_cvt_f32_f64_e32 v110, v[110:111]
	v_min3_f32 v109, v109, v110, v192
	v_add_f64 v[110:111], v[58:59], v[102:103]
	v_add_f64 v[112:113], v[56:57], v[100:101]
	v_cvt_f32_f64_e32 v112, v[112:113]
	v_cvt_f32_f64_e32 v110, v[110:111]
	v_min3_f32 v114, v112, v110, v193
	v_add_f64 v[110:111], v[54:55], v[98:99]
	v_add_f64 v[112:113], v[52:53], v[96:97]
	v_cvt_f32_f64_e32 v112, v[112:113]
	v_cvt_f32_f64_e32 v110, v[110:111]
	v_min_f32_e32 v115, v112, v110
	v_add_f64 v[110:111], v[50:51], v[98:99]
	v_add_f64 v[112:113], v[48:49], v[96:97]
	v_cvt_f32_f64_e32 v112, v[112:113]
	v_cvt_f32_f64_e32 v110, v[110:111]
	v_min3_f32 v108, v108, v115, v109
	v_min3_f32 v112, v112, v110, v114
	v_cvt_f64_f32_e32 v[108:109], v108
	v_lshl_add_u64 v[110:111], v[128:129], 3, v[104:105]
	global_store_dwordx2 v[110:111], v[108:109], off
	s_mov_b64 s[2:3], -1
	v_max_f32_e32 v109, v112, v112
	s_mov_b64 vcc, s[4:5]
	s_cbranch_vccz .LBB157_65
; %bb.64:
	v_min_f32_e32 v108, 0, v109
	v_cvt_f64_f32_e32 v[110:111], v108
	v_lshl_add_u64 v[112:113], v[140:141], 3, v[104:105]
	global_store_dwordx2 v[112:113], v[110:111], off
	s_mov_b64 s[2:3], 0
.LBB157_65:
	s_andn2_b64 vcc, exec, s[2:3]
	v_mov_b32_e32 v108, 0
	s_cbranch_vccnz .LBB157_67
; %bb.66:
	v_lshl_add_u64 v[110:111], v[106:107], 0, v[144:145]
	global_load_dwordx2 v[110:111], v[110:111], off
	v_lshl_add_u64 v[112:113], v[104:105], 0, v[144:145]
	s_waitcnt vmcnt(0)
	v_mul_f64 v[110:111], s[6:7], v[110:111]
	v_cvt_f32_f64_e32 v108, v[110:111]
	v_min_f32_e32 v108, v108, v109
	v_cvt_f64_f32_e32 v[108:109], v108
	global_store_dwordx2 v[112:113], v[108:109], off
	v_lshl_add_u64 v[108:109], v[130:131], 3, v[106:107]
	global_load_dwordx2 v[108:109], v[108:109], off
	s_waitcnt vmcnt(0)
	v_mul_f64 v[108:109], s[6:7], v[108:109]
	v_cvt_f32_f64_e32 v108, v[108:109]
.LBB157_67:
	v_add_f64 v[110:111], v[42:43], v[102:103]
	v_add_f64 v[112:113], v[40:41], v[100:101]
	v_cvt_f32_f64_e32 v109, v[112:113]
	v_cvt_f32_f64_e32 v110, v[110:111]
	v_min3_f32 v109, v109, v110, v190
	v_add_f64 v[110:111], v[46:47], v[102:103]
	v_add_f64 v[112:113], v[44:45], v[100:101]
	v_cvt_f32_f64_e32 v112, v[112:113]
	v_cvt_f32_f64_e32 v110, v[110:111]
	v_min3_f32 v114, v112, v110, v191
	v_add_f64 v[110:111], v[38:39], v[98:99]
	v_add_f64 v[112:113], v[36:37], v[96:97]
	v_cvt_f32_f64_e32 v112, v[112:113]
	v_cvt_f32_f64_e32 v110, v[110:111]
	v_min_f32_e32 v115, v112, v110
	v_add_f64 v[110:111], v[34:35], v[98:99]
	v_add_f64 v[112:113], v[32:33], v[96:97]
	v_cvt_f32_f64_e32 v112, v[112:113]
	v_cvt_f32_f64_e32 v110, v[110:111]
	v_min3_f32 v108, v108, v115, v109
	v_min3_f32 v112, v112, v110, v114
	v_cvt_f64_f32_e32 v[108:109], v108
	v_lshl_add_u64 v[110:111], v[130:131], 3, v[104:105]
	global_store_dwordx2 v[110:111], v[108:109], off
	s_mov_b64 s[2:3], -1
	v_max_f32_e32 v109, v112, v112
	s_mov_b64 vcc, s[4:5]
	s_cbranch_vccz .LBB157_69
; %bb.68:
	v_min_f32_e32 v108, 0, v109
	v_cvt_f64_f32_e32 v[110:111], v108
	v_lshl_add_u64 v[112:113], v[142:143], 3, v[104:105]
	global_store_dwordx2 v[112:113], v[110:111], off
	s_mov_b64 s[2:3], 0
.LBB157_69:
	;; [unrolled: 54-line block ×3, first 2 shown]
	s_andn2_b64 vcc, exec, s[2:3]
	v_mov_b32_e32 v108, 0
	s_cbranch_vccnz .LBB157_75
; %bb.74:
	v_lshl_add_u64 v[110:111], v[106:107], 0, v[150:151]
	global_load_dwordx2 v[110:111], v[110:111], off
	v_lshl_add_u64 v[112:113], v[104:105], 0, v[150:151]
	v_lshl_add_u64 v[106:107], v[136:137], 3, v[106:107]
	s_waitcnt vmcnt(0)
	v_mul_f64 v[110:111], s[6:7], v[110:111]
	v_cvt_f32_f64_e32 v108, v[110:111]
	v_min_f32_e32 v108, v108, v109
	v_cvt_f64_f32_e32 v[108:109], v108
	global_store_dwordx2 v[112:113], v[108:109], off
	global_load_dwordx2 v[106:107], v[106:107], off
	s_waitcnt vmcnt(0)
	v_mul_f64 v[106:107], s[6:7], v[106:107]
	v_cvt_f32_f64_e32 v108, v[106:107]
.LBB157_75:
	v_add_f64 v[102:103], v[2:3], v[102:103]
	v_add_f64 v[100:101], v[0:1], v[100:101]
	v_cvt_f32_f64_e32 v100, v[100:101]
	v_cvt_f32_f64_e32 v101, v[102:103]
	v_add_f64 v[98:99], v[10:11], v[98:99]
	v_add_f64 v[96:97], v[8:9], v[96:97]
	v_min3_f32 v106, v100, v101, v186
	s_waitcnt lgkmcnt(7)
	v_add_f64 v[100:101], v[70:71], v[94:95]
	v_add_f64 v[102:103], v[68:69], v[92:93]
	v_cvt_f32_f64_e32 v96, v[96:97]
	v_cvt_f32_f64_e32 v97, v[98:99]
	;; [unrolled: 1-line block ×4, first 2 shown]
	v_min_f32_e32 v101, v96, v97
	s_waitcnt lgkmcnt(6)
	v_add_f64 v[96:97], v[66:67], v[90:91]
	v_add_f64 v[98:99], v[64:65], v[88:89]
	v_min3_f32 v100, v102, v100, v188
	v_cvt_f32_f64_e32 v98, v[98:99]
	v_cvt_f32_f64_e32 v96, v[96:97]
	v_min3_f32 v100, v98, v96, v100
	v_min3_f32 v96, v108, v101, v106
	v_cvt_f64_f32_e32 v[96:97], v96
	v_lshl_add_u64 v[98:99], v[136:137], 3, v[104:105]
	global_store_dwordx2 v[98:99], v[96:97], off
	v_add_u32_e32 v98, 32, v213
	v_mad_i64_i32 v[96:97], s[2:3], v98, s9, 0
	v_mad_i64_i32 v[98:99], s[2:3], v98, s8, 0
	v_lshl_add_u64 v[96:97], v[96:97], 3, s[0:1]
	s_mov_b64 s[2:3], -1
	v_max_f32_e32 v101, v100, v100
	s_mov_b64 vcc, s[4:5]
	s_cbranch_vccz .LBB157_77
; %bb.76:
	v_min_f32_e32 v100, 0, v101
	v_cvt_f64_f32_e32 v[102:103], v100
	v_lshl_add_u64 v[104:105], v[134:135], 3, v[96:97]
	global_store_dwordx2 v[104:105], v[102:103], off
	s_mov_b64 s[2:3], 0
.LBB157_77:
	v_lshl_add_u64 v[98:99], v[98:99], 3, s[12:13]
	s_andn2_b64 vcc, exec, s[2:3]
	v_mov_b32_e32 v100, 0
	s_cbranch_vccnz .LBB157_79
; %bb.78:
	v_lshl_add_u64 v[102:103], v[98:99], 0, v[138:139]
	global_load_dwordx2 v[102:103], v[102:103], off
	v_lshl_add_u64 v[104:105], v[96:97], 0, v[138:139]
	s_waitcnt vmcnt(0)
	v_mul_f64 v[102:103], s[6:7], v[102:103]
	v_cvt_f32_f64_e32 v100, v[102:103]
	v_min_f32_e32 v100, v100, v101
	v_cvt_f64_f32_e32 v[100:101], v100
	global_store_dwordx2 v[104:105], v[100:101], off
	v_lshl_add_u64 v[100:101], v[128:129], 3, v[98:99]
	global_load_dwordx2 v[100:101], v[100:101], off
	s_waitcnt vmcnt(0)
	v_mul_f64 v[100:101], s[6:7], v[100:101]
	v_cvt_f32_f64_e32 v100, v[100:101]
.LBB157_79:
	v_add_f64 v[102:103], v[62:63], v[94:95]
	v_add_f64 v[104:105], v[60:61], v[92:93]
	v_cvt_f32_f64_e32 v101, v[104:105]
	v_cvt_f32_f64_e32 v102, v[102:103]
	v_min3_f32 v101, v101, v102, v184
	v_add_f64 v[102:103], v[58:59], v[94:95]
	v_add_f64 v[104:105], v[56:57], v[92:93]
	v_cvt_f32_f64_e32 v104, v[104:105]
	v_cvt_f32_f64_e32 v102, v[102:103]
	v_min3_f32 v106, v104, v102, v185
	v_add_f64 v[102:103], v[54:55], v[90:91]
	v_add_f64 v[104:105], v[52:53], v[88:89]
	v_cvt_f32_f64_e32 v104, v[104:105]
	v_cvt_f32_f64_e32 v102, v[102:103]
	v_min_f32_e32 v107, v104, v102
	v_add_f64 v[102:103], v[50:51], v[90:91]
	v_add_f64 v[104:105], v[48:49], v[88:89]
	v_cvt_f32_f64_e32 v104, v[104:105]
	v_cvt_f32_f64_e32 v102, v[102:103]
	v_min3_f32 v100, v100, v107, v101
	v_min3_f32 v104, v104, v102, v106
	v_cvt_f64_f32_e32 v[100:101], v100
	v_lshl_add_u64 v[102:103], v[128:129], 3, v[96:97]
	global_store_dwordx2 v[102:103], v[100:101], off
	s_mov_b64 s[2:3], -1
	v_max_f32_e32 v101, v104, v104
	s_mov_b64 vcc, s[4:5]
	s_cbranch_vccz .LBB157_81
; %bb.80:
	v_min_f32_e32 v100, 0, v101
	v_cvt_f64_f32_e32 v[102:103], v100
	v_lshl_add_u64 v[104:105], v[140:141], 3, v[96:97]
	global_store_dwordx2 v[104:105], v[102:103], off
	s_mov_b64 s[2:3], 0
.LBB157_81:
	s_andn2_b64 vcc, exec, s[2:3]
	v_mov_b32_e32 v100, 0
	s_cbranch_vccnz .LBB157_83
; %bb.82:
	v_lshl_add_u64 v[102:103], v[98:99], 0, v[144:145]
	global_load_dwordx2 v[102:103], v[102:103], off
	v_lshl_add_u64 v[104:105], v[96:97], 0, v[144:145]
	s_waitcnt vmcnt(0)
	v_mul_f64 v[102:103], s[6:7], v[102:103]
	v_cvt_f32_f64_e32 v100, v[102:103]
	v_min_f32_e32 v100, v100, v101
	v_cvt_f64_f32_e32 v[100:101], v100
	global_store_dwordx2 v[104:105], v[100:101], off
	v_lshl_add_u64 v[100:101], v[130:131], 3, v[98:99]
	global_load_dwordx2 v[100:101], v[100:101], off
	s_waitcnt vmcnt(0)
	v_mul_f64 v[100:101], s[6:7], v[100:101]
	v_cvt_f32_f64_e32 v100, v[100:101]
.LBB157_83:
	v_add_f64 v[102:103], v[42:43], v[94:95]
	v_add_f64 v[104:105], v[40:41], v[92:93]
	v_cvt_f32_f64_e32 v101, v[104:105]
	v_cvt_f32_f64_e32 v102, v[102:103]
	v_min3_f32 v101, v101, v102, v182
	v_add_f64 v[102:103], v[46:47], v[94:95]
	v_add_f64 v[104:105], v[44:45], v[92:93]
	v_cvt_f32_f64_e32 v104, v[104:105]
	v_cvt_f32_f64_e32 v102, v[102:103]
	v_min3_f32 v106, v104, v102, v183
	v_add_f64 v[102:103], v[38:39], v[90:91]
	v_add_f64 v[104:105], v[36:37], v[88:89]
	v_cvt_f32_f64_e32 v104, v[104:105]
	v_cvt_f32_f64_e32 v102, v[102:103]
	v_min_f32_e32 v107, v104, v102
	v_add_f64 v[102:103], v[34:35], v[90:91]
	v_add_f64 v[104:105], v[32:33], v[88:89]
	v_cvt_f32_f64_e32 v104, v[104:105]
	v_cvt_f32_f64_e32 v102, v[102:103]
	v_min3_f32 v100, v100, v107, v101
	v_min3_f32 v104, v104, v102, v106
	v_cvt_f64_f32_e32 v[100:101], v100
	v_lshl_add_u64 v[102:103], v[130:131], 3, v[96:97]
	global_store_dwordx2 v[102:103], v[100:101], off
	s_mov_b64 s[2:3], -1
	v_max_f32_e32 v101, v104, v104
	s_mov_b64 vcc, s[4:5]
	s_cbranch_vccz .LBB157_85
; %bb.84:
	v_min_f32_e32 v100, 0, v101
	v_cvt_f64_f32_e32 v[102:103], v100
	v_lshl_add_u64 v[104:105], v[142:143], 3, v[96:97]
	global_store_dwordx2 v[104:105], v[102:103], off
	s_mov_b64 s[2:3], 0
.LBB157_85:
	;; [unrolled: 54-line block ×3, first 2 shown]
	s_andn2_b64 vcc, exec, s[2:3]
	v_mov_b32_e32 v100, 0
	s_cbranch_vccnz .LBB157_91
; %bb.90:
	v_lshl_add_u64 v[102:103], v[98:99], 0, v[150:151]
	global_load_dwordx2 v[102:103], v[102:103], off
	v_lshl_add_u64 v[104:105], v[96:97], 0, v[150:151]
	v_lshl_add_u64 v[98:99], v[136:137], 3, v[98:99]
	s_waitcnt vmcnt(0)
	v_mul_f64 v[102:103], s[6:7], v[102:103]
	v_cvt_f32_f64_e32 v100, v[102:103]
	v_min_f32_e32 v100, v100, v101
	v_cvt_f64_f32_e32 v[100:101], v100
	global_store_dwordx2 v[104:105], v[100:101], off
	global_load_dwordx2 v[98:99], v[98:99], off
	s_waitcnt vmcnt(0)
	v_mul_f64 v[98:99], s[6:7], v[98:99]
	v_cvt_f32_f64_e32 v100, v[98:99]
.LBB157_91:
	v_add_f64 v[94:95], v[2:3], v[94:95]
	v_add_f64 v[92:93], v[0:1], v[92:93]
	v_cvt_f32_f64_e32 v92, v[92:93]
	v_cvt_f32_f64_e32 v93, v[94:95]
	v_add_f64 v[90:91], v[10:11], v[90:91]
	v_add_f64 v[88:89], v[8:9], v[88:89]
	v_min3_f32 v98, v92, v93, v178
	s_waitcnt lgkmcnt(5)
	v_add_f64 v[92:93], v[70:71], v[86:87]
	v_add_f64 v[94:95], v[68:69], v[84:85]
	v_cvt_f32_f64_e32 v88, v[88:89]
	v_cvt_f32_f64_e32 v89, v[90:91]
	;; [unrolled: 1-line block ×4, first 2 shown]
	v_min_f32_e32 v93, v88, v89
	s_waitcnt lgkmcnt(4)
	v_add_f64 v[88:89], v[66:67], v[82:83]
	v_add_f64 v[90:91], v[64:65], v[80:81]
	v_min3_f32 v92, v94, v92, v180
	v_cvt_f32_f64_e32 v90, v[90:91]
	v_cvt_f32_f64_e32 v88, v[88:89]
	v_min3_f32 v92, v90, v88, v92
	v_min3_f32 v88, v100, v93, v98
	v_cvt_f64_f32_e32 v[88:89], v88
	v_lshl_add_u64 v[90:91], v[136:137], 3, v[96:97]
	global_store_dwordx2 v[90:91], v[88:89], off
	v_add_u32_e32 v90, 40, v213
	v_mad_i64_i32 v[88:89], s[2:3], v90, s9, 0
	v_mad_i64_i32 v[90:91], s[2:3], v90, s8, 0
	v_lshl_add_u64 v[88:89], v[88:89], 3, s[0:1]
	s_mov_b64 s[2:3], -1
	v_max_f32_e32 v93, v92, v92
	s_mov_b64 vcc, s[4:5]
	s_cbranch_vccz .LBB157_93
; %bb.92:
	v_min_f32_e32 v92, 0, v93
	v_cvt_f64_f32_e32 v[94:95], v92
	v_lshl_add_u64 v[96:97], v[134:135], 3, v[88:89]
	global_store_dwordx2 v[96:97], v[94:95], off
	s_mov_b64 s[2:3], 0
.LBB157_93:
	v_lshl_add_u64 v[90:91], v[90:91], 3, s[12:13]
	s_andn2_b64 vcc, exec, s[2:3]
	v_mov_b32_e32 v92, 0
	s_cbranch_vccnz .LBB157_95
; %bb.94:
	v_lshl_add_u64 v[94:95], v[90:91], 0, v[138:139]
	global_load_dwordx2 v[94:95], v[94:95], off
	v_lshl_add_u64 v[96:97], v[88:89], 0, v[138:139]
	s_waitcnt vmcnt(0)
	v_mul_f64 v[94:95], s[6:7], v[94:95]
	v_cvt_f32_f64_e32 v92, v[94:95]
	v_min_f32_e32 v92, v92, v93
	v_cvt_f64_f32_e32 v[92:93], v92
	global_store_dwordx2 v[96:97], v[92:93], off
	v_lshl_add_u64 v[92:93], v[128:129], 3, v[90:91]
	global_load_dwordx2 v[92:93], v[92:93], off
	s_waitcnt vmcnt(0)
	v_mul_f64 v[92:93], s[6:7], v[92:93]
	v_cvt_f32_f64_e32 v92, v[92:93]
.LBB157_95:
	v_add_f64 v[94:95], v[62:63], v[86:87]
	v_add_f64 v[96:97], v[60:61], v[84:85]
	v_cvt_f32_f64_e32 v93, v[96:97]
	v_cvt_f32_f64_e32 v94, v[94:95]
	v_min3_f32 v93, v93, v94, v176
	v_add_f64 v[94:95], v[58:59], v[86:87]
	v_add_f64 v[96:97], v[56:57], v[84:85]
	v_cvt_f32_f64_e32 v96, v[96:97]
	v_cvt_f32_f64_e32 v94, v[94:95]
	v_min3_f32 v98, v96, v94, v177
	v_add_f64 v[94:95], v[54:55], v[82:83]
	v_add_f64 v[96:97], v[52:53], v[80:81]
	v_cvt_f32_f64_e32 v96, v[96:97]
	v_cvt_f32_f64_e32 v94, v[94:95]
	v_min_f32_e32 v99, v96, v94
	v_add_f64 v[94:95], v[50:51], v[82:83]
	v_add_f64 v[96:97], v[48:49], v[80:81]
	v_cvt_f32_f64_e32 v96, v[96:97]
	v_cvt_f32_f64_e32 v94, v[94:95]
	v_min3_f32 v92, v92, v99, v93
	v_min3_f32 v96, v96, v94, v98
	v_cvt_f64_f32_e32 v[92:93], v92
	v_lshl_add_u64 v[94:95], v[128:129], 3, v[88:89]
	global_store_dwordx2 v[94:95], v[92:93], off
	s_mov_b64 s[2:3], -1
	v_max_f32_e32 v93, v96, v96
	s_mov_b64 vcc, s[4:5]
	s_cbranch_vccz .LBB157_97
; %bb.96:
	v_min_f32_e32 v92, 0, v93
	v_cvt_f64_f32_e32 v[94:95], v92
	v_lshl_add_u64 v[96:97], v[140:141], 3, v[88:89]
	global_store_dwordx2 v[96:97], v[94:95], off
	s_mov_b64 s[2:3], 0
.LBB157_97:
	s_andn2_b64 vcc, exec, s[2:3]
	v_mov_b32_e32 v92, 0
	s_cbranch_vccnz .LBB157_99
; %bb.98:
	v_lshl_add_u64 v[94:95], v[90:91], 0, v[144:145]
	global_load_dwordx2 v[94:95], v[94:95], off
	v_lshl_add_u64 v[96:97], v[88:89], 0, v[144:145]
	s_waitcnt vmcnt(0)
	v_mul_f64 v[94:95], s[6:7], v[94:95]
	v_cvt_f32_f64_e32 v92, v[94:95]
	v_min_f32_e32 v92, v92, v93
	v_cvt_f64_f32_e32 v[92:93], v92
	global_store_dwordx2 v[96:97], v[92:93], off
	v_lshl_add_u64 v[92:93], v[130:131], 3, v[90:91]
	global_load_dwordx2 v[92:93], v[92:93], off
	s_waitcnt vmcnt(0)
	v_mul_f64 v[92:93], s[6:7], v[92:93]
	v_cvt_f32_f64_e32 v92, v[92:93]
.LBB157_99:
	v_add_f64 v[94:95], v[42:43], v[86:87]
	v_add_f64 v[96:97], v[40:41], v[84:85]
	v_cvt_f32_f64_e32 v93, v[96:97]
	v_cvt_f32_f64_e32 v94, v[94:95]
	v_min3_f32 v93, v93, v94, v174
	v_add_f64 v[94:95], v[46:47], v[86:87]
	v_add_f64 v[96:97], v[44:45], v[84:85]
	v_cvt_f32_f64_e32 v96, v[96:97]
	v_cvt_f32_f64_e32 v94, v[94:95]
	v_min3_f32 v98, v96, v94, v175
	v_add_f64 v[94:95], v[38:39], v[82:83]
	v_add_f64 v[96:97], v[36:37], v[80:81]
	v_cvt_f32_f64_e32 v96, v[96:97]
	v_cvt_f32_f64_e32 v94, v[94:95]
	v_min_f32_e32 v99, v96, v94
	v_add_f64 v[94:95], v[34:35], v[82:83]
	v_add_f64 v[96:97], v[32:33], v[80:81]
	v_cvt_f32_f64_e32 v96, v[96:97]
	v_cvt_f32_f64_e32 v94, v[94:95]
	v_min3_f32 v92, v92, v99, v93
	v_min3_f32 v96, v96, v94, v98
	v_cvt_f64_f32_e32 v[92:93], v92
	v_lshl_add_u64 v[94:95], v[130:131], 3, v[88:89]
	global_store_dwordx2 v[94:95], v[92:93], off
	s_mov_b64 s[2:3], -1
	v_max_f32_e32 v93, v96, v96
	s_mov_b64 vcc, s[4:5]
	s_cbranch_vccz .LBB157_101
; %bb.100:
	v_min_f32_e32 v92, 0, v93
	v_cvt_f64_f32_e32 v[94:95], v92
	v_lshl_add_u64 v[96:97], v[142:143], 3, v[88:89]
	global_store_dwordx2 v[96:97], v[94:95], off
	s_mov_b64 s[2:3], 0
.LBB157_101:
	;; [unrolled: 54-line block ×3, first 2 shown]
	s_andn2_b64 vcc, exec, s[2:3]
	v_mov_b32_e32 v92, 0
	s_cbranch_vccnz .LBB157_107
; %bb.106:
	v_lshl_add_u64 v[94:95], v[90:91], 0, v[150:151]
	global_load_dwordx2 v[94:95], v[94:95], off
	v_lshl_add_u64 v[96:97], v[88:89], 0, v[150:151]
	v_lshl_add_u64 v[90:91], v[136:137], 3, v[90:91]
	s_waitcnt vmcnt(0)
	v_mul_f64 v[94:95], s[6:7], v[94:95]
	v_cvt_f32_f64_e32 v92, v[94:95]
	v_min_f32_e32 v92, v92, v93
	v_cvt_f64_f32_e32 v[92:93], v92
	global_store_dwordx2 v[96:97], v[92:93], off
	global_load_dwordx2 v[90:91], v[90:91], off
	s_waitcnt vmcnt(0)
	v_mul_f64 v[90:91], s[6:7], v[90:91]
	v_cvt_f32_f64_e32 v92, v[90:91]
.LBB157_107:
	v_add_f64 v[86:87], v[2:3], v[86:87]
	v_add_f64 v[84:85], v[0:1], v[84:85]
	v_cvt_f32_f64_e32 v84, v[84:85]
	v_cvt_f32_f64_e32 v85, v[86:87]
	v_add_f64 v[82:83], v[10:11], v[82:83]
	v_add_f64 v[80:81], v[8:9], v[80:81]
	v_min3_f32 v90, v84, v85, v170
	s_waitcnt lgkmcnt(3)
	v_add_f64 v[84:85], v[70:71], v[78:79]
	v_add_f64 v[86:87], v[68:69], v[76:77]
	v_cvt_f32_f64_e32 v80, v[80:81]
	v_cvt_f32_f64_e32 v81, v[82:83]
	;; [unrolled: 1-line block ×4, first 2 shown]
	v_min_f32_e32 v85, v80, v81
	s_waitcnt lgkmcnt(2)
	v_add_f64 v[80:81], v[66:67], v[74:75]
	v_add_f64 v[82:83], v[64:65], v[72:73]
	v_min3_f32 v84, v86, v84, v172
	v_cvt_f32_f64_e32 v82, v[82:83]
	v_cvt_f32_f64_e32 v80, v[80:81]
	v_min3_f32 v84, v82, v80, v84
	v_min3_f32 v80, v92, v85, v90
	v_cvt_f64_f32_e32 v[80:81], v80
	v_lshl_add_u64 v[82:83], v[136:137], 3, v[88:89]
	global_store_dwordx2 v[82:83], v[80:81], off
	v_add_u32_e32 v82, 48, v213
	v_mad_i64_i32 v[80:81], s[2:3], v82, s9, 0
	v_mad_i64_i32 v[82:83], s[2:3], v82, s8, 0
	v_lshl_add_u64 v[80:81], v[80:81], 3, s[0:1]
	s_mov_b64 s[2:3], -1
	v_max_f32_e32 v85, v84, v84
	s_mov_b64 vcc, s[4:5]
	s_cbranch_vccz .LBB157_109
; %bb.108:
	v_min_f32_e32 v84, 0, v85
	v_cvt_f64_f32_e32 v[86:87], v84
	v_lshl_add_u64 v[88:89], v[134:135], 3, v[80:81]
	global_store_dwordx2 v[88:89], v[86:87], off
	s_mov_b64 s[2:3], 0
.LBB157_109:
	v_lshl_add_u64 v[82:83], v[82:83], 3, s[12:13]
	s_andn2_b64 vcc, exec, s[2:3]
	v_mov_b32_e32 v84, 0
	s_cbranch_vccnz .LBB157_111
; %bb.110:
	v_lshl_add_u64 v[86:87], v[82:83], 0, v[138:139]
	global_load_dwordx2 v[86:87], v[86:87], off
	v_lshl_add_u64 v[88:89], v[80:81], 0, v[138:139]
	s_waitcnt vmcnt(0)
	v_mul_f64 v[86:87], s[6:7], v[86:87]
	v_cvt_f32_f64_e32 v84, v[86:87]
	v_min_f32_e32 v84, v84, v85
	v_cvt_f64_f32_e32 v[84:85], v84
	global_store_dwordx2 v[88:89], v[84:85], off
	v_lshl_add_u64 v[84:85], v[128:129], 3, v[82:83]
	global_load_dwordx2 v[84:85], v[84:85], off
	s_waitcnt vmcnt(0)
	v_mul_f64 v[84:85], s[6:7], v[84:85]
	v_cvt_f32_f64_e32 v84, v[84:85]
.LBB157_111:
	v_add_f64 v[86:87], v[62:63], v[78:79]
	v_add_f64 v[88:89], v[60:61], v[76:77]
	v_cvt_f32_f64_e32 v85, v[88:89]
	v_cvt_f32_f64_e32 v86, v[86:87]
	v_min3_f32 v85, v85, v86, v168
	v_add_f64 v[86:87], v[58:59], v[78:79]
	v_add_f64 v[88:89], v[56:57], v[76:77]
	v_cvt_f32_f64_e32 v88, v[88:89]
	v_cvt_f32_f64_e32 v86, v[86:87]
	v_min3_f32 v90, v88, v86, v169
	v_add_f64 v[86:87], v[54:55], v[74:75]
	v_add_f64 v[88:89], v[52:53], v[72:73]
	v_cvt_f32_f64_e32 v88, v[88:89]
	v_cvt_f32_f64_e32 v86, v[86:87]
	v_min_f32_e32 v91, v88, v86
	v_add_f64 v[86:87], v[50:51], v[74:75]
	v_add_f64 v[88:89], v[48:49], v[72:73]
	v_cvt_f32_f64_e32 v88, v[88:89]
	v_cvt_f32_f64_e32 v86, v[86:87]
	v_min3_f32 v84, v84, v91, v85
	v_min3_f32 v88, v88, v86, v90
	v_cvt_f64_f32_e32 v[84:85], v84
	v_lshl_add_u64 v[86:87], v[128:129], 3, v[80:81]
	global_store_dwordx2 v[86:87], v[84:85], off
	s_mov_b64 s[2:3], -1
	v_max_f32_e32 v85, v88, v88
	s_mov_b64 vcc, s[4:5]
	s_cbranch_vccz .LBB157_113
; %bb.112:
	v_min_f32_e32 v84, 0, v85
	v_cvt_f64_f32_e32 v[86:87], v84
	v_lshl_add_u64 v[88:89], v[140:141], 3, v[80:81]
	global_store_dwordx2 v[88:89], v[86:87], off
	s_mov_b64 s[2:3], 0
.LBB157_113:
	s_andn2_b64 vcc, exec, s[2:3]
	v_mov_b32_e32 v84, 0
	s_cbranch_vccnz .LBB157_115
; %bb.114:
	v_lshl_add_u64 v[86:87], v[82:83], 0, v[144:145]
	global_load_dwordx2 v[86:87], v[86:87], off
	v_lshl_add_u64 v[88:89], v[80:81], 0, v[144:145]
	s_waitcnt vmcnt(0)
	v_mul_f64 v[86:87], s[6:7], v[86:87]
	v_cvt_f32_f64_e32 v84, v[86:87]
	v_min_f32_e32 v84, v84, v85
	v_cvt_f64_f32_e32 v[84:85], v84
	global_store_dwordx2 v[88:89], v[84:85], off
	v_lshl_add_u64 v[84:85], v[130:131], 3, v[82:83]
	global_load_dwordx2 v[84:85], v[84:85], off
	s_waitcnt vmcnt(0)
	v_mul_f64 v[84:85], s[6:7], v[84:85]
	v_cvt_f32_f64_e32 v84, v[84:85]
.LBB157_115:
	v_add_f64 v[86:87], v[42:43], v[78:79]
	v_add_f64 v[88:89], v[40:41], v[76:77]
	v_cvt_f32_f64_e32 v85, v[88:89]
	v_cvt_f32_f64_e32 v86, v[86:87]
	v_min3_f32 v85, v85, v86, v166
	v_add_f64 v[86:87], v[46:47], v[78:79]
	v_add_f64 v[88:89], v[44:45], v[76:77]
	v_cvt_f32_f64_e32 v88, v[88:89]
	v_cvt_f32_f64_e32 v86, v[86:87]
	v_min3_f32 v90, v88, v86, v167
	v_add_f64 v[86:87], v[38:39], v[74:75]
	v_add_f64 v[88:89], v[36:37], v[72:73]
	v_cvt_f32_f64_e32 v88, v[88:89]
	v_cvt_f32_f64_e32 v86, v[86:87]
	v_min_f32_e32 v91, v88, v86
	v_add_f64 v[86:87], v[34:35], v[74:75]
	v_add_f64 v[88:89], v[32:33], v[72:73]
	v_cvt_f32_f64_e32 v88, v[88:89]
	v_cvt_f32_f64_e32 v86, v[86:87]
	v_min3_f32 v84, v84, v91, v85
	v_min3_f32 v88, v88, v86, v90
	v_cvt_f64_f32_e32 v[84:85], v84
	v_lshl_add_u64 v[86:87], v[130:131], 3, v[80:81]
	global_store_dwordx2 v[86:87], v[84:85], off
	s_mov_b64 s[2:3], -1
	v_max_f32_e32 v85, v88, v88
	s_mov_b64 vcc, s[4:5]
	s_cbranch_vccz .LBB157_117
; %bb.116:
	v_min_f32_e32 v84, 0, v85
	v_cvt_f64_f32_e32 v[86:87], v84
	v_lshl_add_u64 v[88:89], v[142:143], 3, v[80:81]
	global_store_dwordx2 v[88:89], v[86:87], off
	s_mov_b64 s[2:3], 0
.LBB157_117:
	;; [unrolled: 54-line block ×3, first 2 shown]
	s_andn2_b64 vcc, exec, s[2:3]
	v_mov_b32_e32 v84, 0
	s_cbranch_vccnz .LBB157_123
; %bb.122:
	v_lshl_add_u64 v[86:87], v[82:83], 0, v[150:151]
	global_load_dwordx2 v[86:87], v[86:87], off
	v_lshl_add_u64 v[88:89], v[80:81], 0, v[150:151]
	v_lshl_add_u64 v[82:83], v[136:137], 3, v[82:83]
	s_waitcnt vmcnt(0)
	v_mul_f64 v[86:87], s[6:7], v[86:87]
	v_cvt_f32_f64_e32 v84, v[86:87]
	v_min_f32_e32 v84, v84, v85
	v_cvt_f64_f32_e32 v[84:85], v84
	global_store_dwordx2 v[88:89], v[84:85], off
	global_load_dwordx2 v[82:83], v[82:83], off
	s_waitcnt vmcnt(0)
	v_mul_f64 v[82:83], s[6:7], v[82:83]
	v_cvt_f32_f64_e32 v84, v[82:83]
.LBB157_123:
	v_add_f64 v[78:79], v[2:3], v[78:79]
	v_add_f64 v[76:77], v[0:1], v[76:77]
	s_waitcnt lgkmcnt(1)
	v_add_f64 v[70:71], v[70:71], v[6:7]
	v_add_f64 v[68:69], v[68:69], v[4:5]
	v_cvt_f32_f64_e32 v76, v[76:77]
	v_cvt_f32_f64_e32 v77, v[78:79]
	;; [unrolled: 1-line block ×4, first 2 shown]
	v_min3_f32 v76, v76, v77, v162
	v_min3_f32 v77, v68, v69, v163
	v_add_f64 v[68:69], v[10:11], v[74:75]
	v_add_f64 v[70:71], v[8:9], v[72:73]
	v_cvt_f32_f64_e32 v70, v[70:71]
	v_cvt_f32_f64_e32 v68, v[68:69]
	s_waitcnt lgkmcnt(0)
	v_add_f64 v[66:67], v[66:67], v[14:15]
	v_add_f64 v[64:65], v[64:65], v[12:13]
	v_min_f32_e32 v68, v70, v68
	v_cvt_f32_f64_e32 v64, v[64:65]
	v_cvt_f32_f64_e32 v65, v[66:67]
	v_min3_f32 v69, v64, v65, v77
	v_min3_f32 v64, v84, v68, v76
	v_cvt_f64_f32_e32 v[64:65], v64
	v_lshl_add_u64 v[66:67], v[136:137], 3, v[80:81]
	global_store_dwordx2 v[66:67], v[64:65], off
	v_add_u32_e32 v66, 56, v213
	v_mad_i64_i32 v[64:65], s[2:3], v66, s9, 0
	v_lshl_add_u64 v[64:65], v[64:65], 3, s[0:1]
	v_mad_i64_i32 v[66:67], s[0:1], v66, s8, 0
	s_mov_b64 s[0:1], -1
	v_max_f32_e32 v69, v69, v69
	s_mov_b64 vcc, s[4:5]
	s_cbranch_vccz .LBB157_125
; %bb.124:
	v_min_f32_e32 v68, 0, v69
	v_cvt_f64_f32_e32 v[70:71], v68
	v_lshl_add_u64 v[72:73], v[134:135], 3, v[64:65]
	global_store_dwordx2 v[72:73], v[70:71], off
	s_mov_b64 s[0:1], 0
.LBB157_125:
	v_lshl_add_u64 v[66:67], v[66:67], 3, s[12:13]
	s_andn2_b64 vcc, exec, s[0:1]
	v_mov_b32_e32 v68, 0
	s_cbranch_vccnz .LBB157_127
; %bb.126:
	v_lshl_add_u64 v[70:71], v[66:67], 0, v[138:139]
	global_load_dwordx2 v[70:71], v[70:71], off
	v_lshl_add_u64 v[72:73], v[64:65], 0, v[138:139]
	s_waitcnt vmcnt(0)
	v_mul_f64 v[70:71], s[6:7], v[70:71]
	v_cvt_f32_f64_e32 v68, v[70:71]
	v_min_f32_e32 v68, v68, v69
	v_cvt_f64_f32_e32 v[68:69], v68
	global_store_dwordx2 v[72:73], v[68:69], off
	v_lshl_add_u64 v[68:69], v[128:129], 3, v[66:67]
	global_load_dwordx2 v[68:69], v[68:69], off
	s_waitcnt vmcnt(0)
	v_mul_f64 v[68:69], s[6:7], v[68:69]
	v_cvt_f32_f64_e32 v68, v[68:69]
.LBB157_127:
	v_add_f64 v[62:63], v[62:63], v[6:7]
	v_add_f64 v[60:61], v[60:61], v[4:5]
	;; [unrolled: 1-line block ×6, first 2 shown]
	v_cvt_f32_f64_e32 v60, v[60:61]
	v_cvt_f32_f64_e32 v61, v[62:63]
	;; [unrolled: 1-line block ×6, first 2 shown]
	v_add_f64 v[50:51], v[50:51], v[14:15]
	v_add_f64 v[48:49], v[48:49], v[12:13]
	v_min3_f32 v60, v60, v61, v160
	v_min3_f32 v56, v56, v57, v161
	v_min_f32_e32 v52, v52, v53
	v_cvt_f32_f64_e32 v48, v[48:49]
	v_cvt_f32_f64_e32 v49, v[50:51]
	v_min3_f32 v53, v48, v49, v56
	v_min3_f32 v48, v68, v52, v60
	v_cvt_f64_f32_e32 v[48:49], v48
	v_lshl_add_u64 v[50:51], v[128:129], 3, v[64:65]
	global_store_dwordx2 v[50:51], v[48:49], off
	s_mov_b64 s[0:1], -1
	v_max_f32_e32 v49, v53, v53
	s_mov_b64 vcc, s[4:5]
	s_cbranch_vccz .LBB157_129
; %bb.128:
	v_min_f32_e32 v48, 0, v49
	v_cvt_f64_f32_e32 v[50:51], v48
	v_lshl_add_u64 v[52:53], v[140:141], 3, v[64:65]
	global_store_dwordx2 v[52:53], v[50:51], off
	s_mov_b64 s[0:1], 0
.LBB157_129:
	s_andn2_b64 vcc, exec, s[0:1]
	v_mov_b32_e32 v48, 0
	s_cbranch_vccnz .LBB157_131
; %bb.130:
	v_lshl_add_u64 v[50:51], v[66:67], 0, v[144:145]
	global_load_dwordx2 v[50:51], v[50:51], off
	v_lshl_add_u64 v[52:53], v[64:65], 0, v[144:145]
	s_waitcnt vmcnt(0)
	v_mul_f64 v[50:51], s[6:7], v[50:51]
	v_cvt_f32_f64_e32 v48, v[50:51]
	v_min_f32_e32 v48, v48, v49
	v_cvt_f64_f32_e32 v[48:49], v48
	global_store_dwordx2 v[52:53], v[48:49], off
	v_lshl_add_u64 v[48:49], v[130:131], 3, v[66:67]
	global_load_dwordx2 v[48:49], v[48:49], off
	s_waitcnt vmcnt(0)
	v_mul_f64 v[48:49], s[6:7], v[48:49]
	v_cvt_f32_f64_e32 v48, v[48:49]
.LBB157_131:
	v_add_f64 v[42:43], v[42:43], v[6:7]
	v_add_f64 v[40:41], v[40:41], v[4:5]
	v_cvt_f32_f64_e32 v40, v[40:41]
	v_cvt_f32_f64_e32 v41, v[42:43]
	v_min3_f32 v49, v40, v41, v158
	v_add_f64 v[40:41], v[46:47], v[6:7]
	v_add_f64 v[42:43], v[44:45], v[4:5]
	v_add_f64 v[38:39], v[38:39], v[14:15]
	v_add_f64 v[36:37], v[36:37], v[12:13]
	v_cvt_f32_f64_e32 v42, v[42:43]
	v_cvt_f32_f64_e32 v40, v[40:41]
	;; [unrolled: 1-line block ×4, first 2 shown]
	v_add_f64 v[34:35], v[34:35], v[14:15]
	v_add_f64 v[32:33], v[32:33], v[12:13]
	v_min3_f32 v40, v42, v40, v159
	v_min_f32_e32 v36, v36, v37
	v_cvt_f32_f64_e32 v32, v[32:33]
	v_cvt_f32_f64_e32 v33, v[34:35]
	v_min3_f32 v37, v32, v33, v40
	v_min3_f32 v32, v48, v36, v49
	v_cvt_f64_f32_e32 v[32:33], v32
	v_lshl_add_u64 v[34:35], v[130:131], 3, v[64:65]
	global_store_dwordx2 v[34:35], v[32:33], off
	s_mov_b64 s[0:1], -1
	v_max_f32_e32 v33, v37, v37
	s_mov_b64 vcc, s[4:5]
	s_cbranch_vccz .LBB157_133
; %bb.132:
	v_min_f32_e32 v32, 0, v33
	v_cvt_f64_f32_e32 v[34:35], v32
	v_lshl_add_u64 v[36:37], v[142:143], 3, v[64:65]
	global_store_dwordx2 v[36:37], v[34:35], off
	s_mov_b64 s[0:1], 0
.LBB157_133:
	s_andn2_b64 vcc, exec, s[0:1]
	v_mov_b32_e32 v32, 0
	s_cbranch_vccnz .LBB157_135
; %bb.134:
	v_lshl_add_u64 v[34:35], v[66:67], 0, v[148:149]
	global_load_dwordx2 v[34:35], v[34:35], off
	v_lshl_add_u64 v[36:37], v[64:65], 0, v[148:149]
	s_waitcnt vmcnt(0)
	v_mul_f64 v[34:35], s[6:7], v[34:35]
	v_cvt_f32_f64_e32 v32, v[34:35]
	v_min_f32_e32 v32, v32, v33
	v_cvt_f64_f32_e32 v[32:33], v32
	global_store_dwordx2 v[36:37], v[32:33], off
	v_lshl_add_u64 v[32:33], v[132:133], 3, v[66:67]
	global_load_dwordx2 v[32:33], v[32:33], off
	s_waitcnt vmcnt(0)
	v_mul_f64 v[32:33], s[6:7], v[32:33]
	v_cvt_f32_f64_e32 v32, v[32:33]
.LBB157_135:
	v_add_f64 v[30:31], v[30:31], v[6:7]
	v_add_f64 v[28:29], v[28:29], v[4:5]
	;; [unrolled: 1-line block ×6, first 2 shown]
	v_cvt_f32_f64_e32 v28, v[28:29]
	v_cvt_f32_f64_e32 v29, v[30:31]
	;; [unrolled: 1-line block ×6, first 2 shown]
	v_add_f64 v[18:19], v[18:19], v[14:15]
	v_add_f64 v[16:17], v[16:17], v[12:13]
	v_min3_f32 v28, v28, v29, v156
	v_min3_f32 v24, v24, v25, v157
	v_min_f32_e32 v20, v20, v21
	v_cvt_f32_f64_e32 v16, v[16:17]
	v_cvt_f32_f64_e32 v17, v[18:19]
	v_min3_f32 v21, v16, v17, v24
	v_min3_f32 v16, v32, v20, v28
	v_cvt_f64_f32_e32 v[16:17], v16
	v_lshl_add_u64 v[18:19], v[132:133], 3, v[64:65]
	global_store_dwordx2 v[18:19], v[16:17], off
	s_mov_b64 s[0:1], -1
	v_max_f32_e32 v17, v21, v21
	s_mov_b64 vcc, s[4:5]
	s_cbranch_vccz .LBB157_137
; %bb.136:
	v_min_f32_e32 v16, 0, v17
	v_cvt_f64_f32_e32 v[18:19], v16
	v_lshl_add_u64 v[20:21], v[146:147], 3, v[64:65]
	global_store_dwordx2 v[20:21], v[18:19], off
	s_mov_b64 s[0:1], 0
.LBB157_137:
	s_andn2_b64 vcc, exec, s[0:1]
	v_mov_b32_e32 v16, 0
	s_cbranch_vccnz .LBB157_139
; %bb.138:
	v_lshl_add_u64 v[18:19], v[66:67], 0, v[150:151]
	global_load_dwordx2 v[18:19], v[18:19], off
	v_lshl_add_u64 v[20:21], v[64:65], 0, v[150:151]
	s_waitcnt vmcnt(0)
	v_mul_f64 v[18:19], s[6:7], v[18:19]
	v_cvt_f32_f64_e32 v16, v[18:19]
	v_min_f32_e32 v16, v16, v17
	v_cvt_f64_f32_e32 v[16:17], v16
	global_store_dwordx2 v[20:21], v[16:17], off
	v_lshl_add_u64 v[16:17], v[136:137], 3, v[66:67]
	global_load_dwordx2 v[16:17], v[16:17], off
	s_waitcnt vmcnt(0)
	v_mul_f64 v[16:17], s[6:7], v[16:17]
	v_cvt_f32_f64_e32 v16, v[16:17]
.LBB157_139:
	v_add_f64 v[10:11], v[10:11], v[14:15]
	v_add_f64 v[8:9], v[8:9], v[12:13]
	;; [unrolled: 1-line block ×4, first 2 shown]
	v_cvt_f32_f64_e32 v8, v[8:9]
	v_cvt_f32_f64_e32 v9, v[10:11]
	;; [unrolled: 1-line block ×4, first 2 shown]
	v_min_f32_e32 v8, v8, v9
	v_min3_f32 v0, v0, v1, v200
	v_min3_f32 v0, v16, v8, v0
	v_cvt_f64_f32_e32 v[0:1], v0
	v_lshl_add_u64 v[2:3], v[136:137], 3, v[64:65]
	global_store_dwordx2 v[2:3], v[0:1], off
	s_endpgm
	.section	.rodata,"a",@progbits
	.p2align	6, 0x0
	.amdhsa_kernel _ZN12_GLOBAL__N_120geam_min_plus_kernelId15HIP_vector_typeIdLj2EEdLi32ELi8ELi256ELi64ELi4ELi64ELi4ELi4ELi64ELc78ELc78ELb1ELb0ELb1EdKddEEviiiT16_PT17_ilS6_ilS4_S6_ilPT18_ili26rocblas_geam_ex_operation_
		.amdhsa_group_segment_fixed_size 20480
		.amdhsa_private_segment_fixed_size 0
		.amdhsa_kernarg_size 136
		.amdhsa_user_sgpr_count 2
		.amdhsa_user_sgpr_dispatch_ptr 0
		.amdhsa_user_sgpr_queue_ptr 0
		.amdhsa_user_sgpr_kernarg_segment_ptr 1
		.amdhsa_user_sgpr_dispatch_id 0
		.amdhsa_user_sgpr_kernarg_preload_length 0
		.amdhsa_user_sgpr_kernarg_preload_offset 0
		.amdhsa_user_sgpr_private_segment_size 0
		.amdhsa_uses_dynamic_stack 0
		.amdhsa_enable_private_segment 0
		.amdhsa_system_sgpr_workgroup_id_x 1
		.amdhsa_system_sgpr_workgroup_id_y 0
		.amdhsa_system_sgpr_workgroup_id_z 1
		.amdhsa_system_sgpr_workgroup_info 0
		.amdhsa_system_vgpr_workitem_id 1
		.amdhsa_next_free_vgpr 220
		.amdhsa_next_free_sgpr 24
		.amdhsa_accum_offset 220
		.amdhsa_reserve_vcc 1
		.amdhsa_float_round_mode_32 0
		.amdhsa_float_round_mode_16_64 0
		.amdhsa_float_denorm_mode_32 3
		.amdhsa_float_denorm_mode_16_64 3
		.amdhsa_dx10_clamp 1
		.amdhsa_ieee_mode 1
		.amdhsa_fp16_overflow 0
		.amdhsa_tg_split 0
		.amdhsa_exception_fp_ieee_invalid_op 0
		.amdhsa_exception_fp_denorm_src 0
		.amdhsa_exception_fp_ieee_div_zero 0
		.amdhsa_exception_fp_ieee_overflow 0
		.amdhsa_exception_fp_ieee_underflow 0
		.amdhsa_exception_fp_ieee_inexact 0
		.amdhsa_exception_int_div_zero 0
	.end_amdhsa_kernel
	.section	.text._ZN12_GLOBAL__N_120geam_min_plus_kernelId15HIP_vector_typeIdLj2EEdLi32ELi8ELi256ELi64ELi4ELi64ELi4ELi4ELi64ELc78ELc78ELb1ELb0ELb1EdKddEEviiiT16_PT17_ilS6_ilS4_S6_ilPT18_ili26rocblas_geam_ex_operation_,"axG",@progbits,_ZN12_GLOBAL__N_120geam_min_plus_kernelId15HIP_vector_typeIdLj2EEdLi32ELi8ELi256ELi64ELi4ELi64ELi4ELi4ELi64ELc78ELc78ELb1ELb0ELb1EdKddEEviiiT16_PT17_ilS6_ilS4_S6_ilPT18_ili26rocblas_geam_ex_operation_,comdat
.Lfunc_end157:
	.size	_ZN12_GLOBAL__N_120geam_min_plus_kernelId15HIP_vector_typeIdLj2EEdLi32ELi8ELi256ELi64ELi4ELi64ELi4ELi4ELi64ELc78ELc78ELb1ELb0ELb1EdKddEEviiiT16_PT17_ilS6_ilS4_S6_ilPT18_ili26rocblas_geam_ex_operation_, .Lfunc_end157-_ZN12_GLOBAL__N_120geam_min_plus_kernelId15HIP_vector_typeIdLj2EEdLi32ELi8ELi256ELi64ELi4ELi64ELi4ELi4ELi64ELc78ELc78ELb1ELb0ELb1EdKddEEviiiT16_PT17_ilS6_ilS4_S6_ilPT18_ili26rocblas_geam_ex_operation_
                                        ; -- End function
	.set _ZN12_GLOBAL__N_120geam_min_plus_kernelId15HIP_vector_typeIdLj2EEdLi32ELi8ELi256ELi64ELi4ELi64ELi4ELi4ELi64ELc78ELc78ELb1ELb0ELb1EdKddEEviiiT16_PT17_ilS6_ilS4_S6_ilPT18_ili26rocblas_geam_ex_operation_.num_vgpr, 220
	.set _ZN12_GLOBAL__N_120geam_min_plus_kernelId15HIP_vector_typeIdLj2EEdLi32ELi8ELi256ELi64ELi4ELi64ELi4ELi4ELi64ELc78ELc78ELb1ELb0ELb1EdKddEEviiiT16_PT17_ilS6_ilS4_S6_ilPT18_ili26rocblas_geam_ex_operation_.num_agpr, 0
	.set _ZN12_GLOBAL__N_120geam_min_plus_kernelId15HIP_vector_typeIdLj2EEdLi32ELi8ELi256ELi64ELi4ELi64ELi4ELi4ELi64ELc78ELc78ELb1ELb0ELb1EdKddEEviiiT16_PT17_ilS6_ilS4_S6_ilPT18_ili26rocblas_geam_ex_operation_.numbered_sgpr, 24
	.set _ZN12_GLOBAL__N_120geam_min_plus_kernelId15HIP_vector_typeIdLj2EEdLi32ELi8ELi256ELi64ELi4ELi64ELi4ELi4ELi64ELc78ELc78ELb1ELb0ELb1EdKddEEviiiT16_PT17_ilS6_ilS4_S6_ilPT18_ili26rocblas_geam_ex_operation_.num_named_barrier, 0
	.set _ZN12_GLOBAL__N_120geam_min_plus_kernelId15HIP_vector_typeIdLj2EEdLi32ELi8ELi256ELi64ELi4ELi64ELi4ELi4ELi64ELc78ELc78ELb1ELb0ELb1EdKddEEviiiT16_PT17_ilS6_ilS4_S6_ilPT18_ili26rocblas_geam_ex_operation_.private_seg_size, 0
	.set _ZN12_GLOBAL__N_120geam_min_plus_kernelId15HIP_vector_typeIdLj2EEdLi32ELi8ELi256ELi64ELi4ELi64ELi4ELi4ELi64ELc78ELc78ELb1ELb0ELb1EdKddEEviiiT16_PT17_ilS6_ilS4_S6_ilPT18_ili26rocblas_geam_ex_operation_.uses_vcc, 1
	.set _ZN12_GLOBAL__N_120geam_min_plus_kernelId15HIP_vector_typeIdLj2EEdLi32ELi8ELi256ELi64ELi4ELi64ELi4ELi4ELi64ELc78ELc78ELb1ELb0ELb1EdKddEEviiiT16_PT17_ilS6_ilS4_S6_ilPT18_ili26rocblas_geam_ex_operation_.uses_flat_scratch, 0
	.set _ZN12_GLOBAL__N_120geam_min_plus_kernelId15HIP_vector_typeIdLj2EEdLi32ELi8ELi256ELi64ELi4ELi64ELi4ELi4ELi64ELc78ELc78ELb1ELb0ELb1EdKddEEviiiT16_PT17_ilS6_ilS4_S6_ilPT18_ili26rocblas_geam_ex_operation_.has_dyn_sized_stack, 0
	.set _ZN12_GLOBAL__N_120geam_min_plus_kernelId15HIP_vector_typeIdLj2EEdLi32ELi8ELi256ELi64ELi4ELi64ELi4ELi4ELi64ELc78ELc78ELb1ELb0ELb1EdKddEEviiiT16_PT17_ilS6_ilS4_S6_ilPT18_ili26rocblas_geam_ex_operation_.has_recursion, 0
	.set _ZN12_GLOBAL__N_120geam_min_plus_kernelId15HIP_vector_typeIdLj2EEdLi32ELi8ELi256ELi64ELi4ELi64ELi4ELi4ELi64ELc78ELc78ELb1ELb0ELb1EdKddEEviiiT16_PT17_ilS6_ilS4_S6_ilPT18_ili26rocblas_geam_ex_operation_.has_indirect_call, 0
	.section	.AMDGPU.csdata,"",@progbits
; Kernel info:
; codeLenInByte = 24580
; TotalNumSgprs: 30
; NumVgprs: 220
; NumAgprs: 0
; TotalNumVgprs: 220
; ScratchSize: 0
; MemoryBound: 0
; FloatMode: 240
; IeeeMode: 1
; LDSByteSize: 20480 bytes/workgroup (compile time only)
; SGPRBlocks: 3
; VGPRBlocks: 27
; NumSGPRsForWavesPerEU: 30
; NumVGPRsForWavesPerEU: 220
; AccumOffset: 220
; Occupancy: 2
; WaveLimiterHint : 1
; COMPUTE_PGM_RSRC2:SCRATCH_EN: 0
; COMPUTE_PGM_RSRC2:USER_SGPR: 2
; COMPUTE_PGM_RSRC2:TRAP_HANDLER: 0
; COMPUTE_PGM_RSRC2:TGID_X_EN: 1
; COMPUTE_PGM_RSRC2:TGID_Y_EN: 0
; COMPUTE_PGM_RSRC2:TGID_Z_EN: 1
; COMPUTE_PGM_RSRC2:TIDIG_COMP_CNT: 1
; COMPUTE_PGM_RSRC3_GFX90A:ACCUM_OFFSET: 54
; COMPUTE_PGM_RSRC3_GFX90A:TG_SPLIT: 0
	.section	.text._ZN12_GLOBAL__N_120geam_min_plus_kernelId15HIP_vector_typeIdLj2EEdLi32ELi8ELi256ELi64ELi4ELi64ELi4ELi4ELi64ELc78ELc78ELb0ELb0ELb1EdKddEEviiiT16_PT17_ilS6_ilS4_S6_ilPT18_ili26rocblas_geam_ex_operation_,"axG",@progbits,_ZN12_GLOBAL__N_120geam_min_plus_kernelId15HIP_vector_typeIdLj2EEdLi32ELi8ELi256ELi64ELi4ELi64ELi4ELi4ELi64ELc78ELc78ELb0ELb0ELb1EdKddEEviiiT16_PT17_ilS6_ilS4_S6_ilPT18_ili26rocblas_geam_ex_operation_,comdat
	.globl	_ZN12_GLOBAL__N_120geam_min_plus_kernelId15HIP_vector_typeIdLj2EEdLi32ELi8ELi256ELi64ELi4ELi64ELi4ELi4ELi64ELc78ELc78ELb0ELb0ELb1EdKddEEviiiT16_PT17_ilS6_ilS4_S6_ilPT18_ili26rocblas_geam_ex_operation_ ; -- Begin function _ZN12_GLOBAL__N_120geam_min_plus_kernelId15HIP_vector_typeIdLj2EEdLi32ELi8ELi256ELi64ELi4ELi64ELi4ELi4ELi64ELc78ELc78ELb0ELb0ELb1EdKddEEviiiT16_PT17_ilS6_ilS4_S6_ilPT18_ili26rocblas_geam_ex_operation_
	.p2align	8
	.type	_ZN12_GLOBAL__N_120geam_min_plus_kernelId15HIP_vector_typeIdLj2EEdLi32ELi8ELi256ELi64ELi4ELi64ELi4ELi4ELi64ELc78ELc78ELb0ELb0ELb1EdKddEEviiiT16_PT17_ilS6_ilS4_S6_ilPT18_ili26rocblas_geam_ex_operation_,@function
_ZN12_GLOBAL__N_120geam_min_plus_kernelId15HIP_vector_typeIdLj2EEdLi32ELi8ELi256ELi64ELi4ELi64ELi4ELi4ELi64ELc78ELc78ELb0ELb0ELb1EdKddEEviiiT16_PT17_ilS6_ilS4_S6_ilPT18_ili26rocblas_geam_ex_operation_: ; @_ZN12_GLOBAL__N_120geam_min_plus_kernelId15HIP_vector_typeIdLj2EEdLi32ELi8ELi256ELi64ELi4ELi64ELi4ELi4ELi64ELc78ELc78ELb0ELb0ELb1EdKddEEviiiT16_PT17_ilS6_ilS4_S6_ilPT18_ili26rocblas_geam_ex_operation_
; %bb.0:
	s_load_dwordx4 s[16:19], s[0:1], 0x10
	s_load_dwordx4 s[12:15], s[0:1], 0x28
	s_mov_b64 s[20:21], 0
	s_waitcnt lgkmcnt(0)
	v_cmp_eq_f64_e64 s[22:23], s[16:17], 0
	s_and_b64 s[4:5], exec, s[22:23]
	s_mov_b64 vcc, s[4:5]
	s_cbranch_vccnz .LBB158_2
; %bb.1:
	s_mul_i32 s6, s13, s3
	s_mul_hi_u32 s7, s12, s3
	s_add_i32 s7, s7, s6
	s_mul_i32 s6, s12, s3
	s_lshl_b64 s[6:7], s[6:7], 3
	s_add_u32 s20, s18, s6
	s_addc_u32 s21, s19, s7
.LBB158_2:
	s_load_dwordx4 s[8:11], s[0:1], 0x40
	s_load_dwordx2 s[6:7], s[0:1], 0x50
	s_andn2_b64 vcc, exec, s[22:23]
	s_mov_b64 s[12:13], -1
	s_cbranch_vccnz .LBB158_4
; %bb.3:
	s_mov_b64 s[12:13], 0
.LBB158_4:
	s_mov_b64 s[18:19], 0
	s_andn2_b64 vcc, exec, s[12:13]
	s_mov_b64 s[22:23], 0
	s_cbranch_vccnz .LBB158_6
; %bb.5:
	s_waitcnt lgkmcnt(0)
	s_mul_i32 s9, s9, s3
	s_mul_hi_u32 s12, s8, s3
	s_add_i32 s9, s12, s9
	s_mul_i32 s8, s8, s3
	s_lshl_b64 s[8:9], s[8:9], 3
	s_add_u32 s22, s14, s8
	s_addc_u32 s23, s15, s9
.LBB158_6:
	s_load_dwordx4 s[12:15], s[0:1], 0x60
	s_waitcnt lgkmcnt(0)
	v_cmp_eq_f64_e64 s[8:9], s[10:11], 0
	s_and_b64 s[8:9], exec, s[8:9]
	v_cmp_neq_f64_e64 s[24:25], s[16:17], 0
	s_mov_b64 vcc, s[8:9]
	s_cbranch_vccnz .LBB158_8
; %bb.7:
	s_mul_i32 s13, s13, s3
	s_mul_hi_u32 s18, s12, s3
	s_add_i32 s13, s18, s13
	s_mul_i32 s12, s12, s3
	s_lshl_b64 s[12:13], s[12:13], 3
	s_add_u32 s18, s6, s12
	s_addc_u32 s19, s7, s13
.LBB158_8:
	s_load_dword s6, s[0:1], 0x0
	s_load_dword s12, s[0:1], 0x20
	v_and_b32_e32 v152, 0x3ff, v0
	v_bfe_u32 v153, v0, 10, 10
	v_lshl_add_u32 v14, v153, 5, v152
	s_waitcnt lgkmcnt(0)
	s_add_i32 s6, s6, -1
	s_ashr_i32 s7, s6, 31
	s_lshr_b32 s7, s7, 24
	s_add_i32 s6, s6, s7
	s_ashr_i32 s13, s6, 8
	s_add_i32 s26, s13, 1
	v_cvt_f32_u32_e32 v1, s26
	v_lshrrev_b32_e32 v112, 6, v14
	v_and_b32_e32 v113, 63, v14
	v_cndmask_b32_e64 v2, 0, 1, s[24:25]
	v_rcp_iflag_f32_e32 v0, v1
	s_nop 0
	v_mul_f32_e32 v0, 0x4f7ffffe, v0
	v_cvt_u32_f32_e32 v3, v0
	v_mad_i64_i32 v[0:1], s[6:7], s12, v112, 0
	s_not_b32 s6, s13
	v_readfirstlane_b32 s7, v3
	s_mul_i32 s6, s6, s7
	s_mul_hi_u32 s6, s7, s6
	s_add_i32 s7, s7, s6
	s_mul_hi_u32 s6, s2, s7
	s_mul_i32 s7, s6, s26
	s_sub_i32 s7, s2, s7
	s_add_i32 s13, s6, 1
	s_sub_i32 s27, s7, s26
	s_cmp_ge_u32 s7, s26
	s_cselect_b32 s6, s13, s6
	s_cselect_b32 s7, s27, s7
	s_add_i32 s13, s6, 1
	s_cmp_ge_u32 s7, s26
	s_cselect_b32 s27, s13, s6
	s_mul_i32 s28, s27, s26
	s_sub_i32 s6, s2, s28
	s_lshl_b32 s26, s6, 8
	v_or_b32_e32 v4, s26, v113
	v_lshl_add_u64 v[12:13], v[0:1], 3, s[20:21]
	v_cmp_ne_u32_e64 s[6:7], 1, v2
	s_andn2_b64 vcc, exec, s[24:25]
	v_ashrrev_i32_e32 v5, 31, v4
	s_cbranch_vccnz .LBB158_11
; %bb.9:
	v_lshl_add_u64 v[0:1], v[4:5], 3, v[12:13]
	global_load_dwordx2 v[2:3], v[0:1], off
	global_load_dwordx2 v[6:7], v[0:1], off offset:512
	s_waitcnt vmcnt(1)
	v_mul_f64 v[2:3], s[16:17], v[2:3]
	s_waitcnt vmcnt(0)
	v_mul_f64 v[0:1], s[16:17], v[6:7]
	s_ashr_i32 s13, s12, 31
	s_mov_b64 vcc, s[4:5]
	s_cbranch_vccz .LBB158_12
.LBB158_10:
	s_mov_b32 s24, 0
	v_mov_b32_e32 v6, s24
	v_mov_b32_e32 v7, s24
	v_mov_b64_e32 v[8:9], 0
	v_mov_b64_e32 v[10:11], 0
	s_cbranch_execz .LBB158_13
	s_branch .LBB158_14
.LBB158_11:
	v_mov_b64_e32 v[0:1], 0
	v_mov_b64_e32 v[2:3], v[0:1]
	s_ashr_i32 s13, s12, 31
	s_mov_b64 vcc, s[4:5]
	s_cbranch_vccnz .LBB158_10
.LBB158_12:
                                        ; implicit-def: $vgpr6_vgpr7
	v_mov_b64_e32 v[8:9], 0
	v_mov_b64_e32 v[10:11], 0
.LBB158_13:
	v_lshl_add_u64 v[6:7], v[4:5], 3, v[12:13]
	global_load_dwordx2 v[10:11], v[6:7], off offset:1024
	global_load_dwordx2 v[12:13], v[6:7], off offset:1536
	s_waitcnt vmcnt(1)
	v_mul_f64 v[6:7], s[16:17], v[10:11]
	s_waitcnt vmcnt(0)
	v_mul_f64 v[10:11], s[16:17], v[12:13]
.LBB158_14:
	s_load_dword s29, s[0:1], 0x38
	v_and_b32_e32 v12, 3, v152
	v_lshrrev_b32_e32 v14, 2, v14
	s_lshl_b32 s27, s27, 6
	s_and_b64 vcc, exec, s[6:7]
	v_add_u32_e32 v114, s27, v14
	v_lshlrev_b32_e32 v100, 3, v12
	s_cbranch_vccnz .LBB158_16
; %bb.15:
	s_waitcnt lgkmcnt(0)
	v_mad_i64_i32 v[8:9], s[24:25], v114, s29, 0
	v_lshl_add_u64 v[8:9], v[8:9], 3, s[22:23]
	v_mov_b32_e32 v101, 0
	v_lshl_add_u64 v[8:9], v[8:9], 0, v[100:101]
	global_load_dwordx2 v[8:9], v[8:9], off
	s_waitcnt vmcnt(0)
	v_mul_f64 v[8:9], s[16:17], v[8:9]
.LBB158_16:
	v_add_u32_e32 v12, 4, v112
	v_mad_i64_i32 v[12:13], s[24:25], s12, v12, 0
	s_and_b64 vcc, exec, s[6:7]
	v_lshl_add_u64 v[12:13], v[12:13], 3, s[20:21]
	s_cbranch_vccnz .LBB158_19
; %bb.17:
	v_lshl_add_u64 v[16:17], v[4:5], 3, v[12:13]
	global_load_dwordx2 v[18:19], v[16:17], off
	global_load_dwordx2 v[20:21], v[16:17], off offset:512
	s_waitcnt vmcnt(1)
	v_mul_f64 v[106:107], s[16:17], v[18:19]
	s_waitcnt vmcnt(0)
	v_mul_f64 v[104:105], s[16:17], v[20:21]
	s_mov_b64 vcc, s[4:5]
	s_cbranch_vccz .LBB158_20
.LBB158_18:
	s_mov_b32 s24, 0
	v_mov_b32_e32 v108, s24
	v_mov_b32_e32 v109, s24
	v_mov_b64_e32 v[102:103], 0
	v_mov_b64_e32 v[110:111], 0
	s_cbranch_execz .LBB158_21
	s_branch .LBB158_22
.LBB158_19:
	v_mov_b64_e32 v[104:105], 0
	v_mov_b64_e32 v[106:107], v[104:105]
	s_mov_b64 vcc, s[4:5]
	s_cbranch_vccnz .LBB158_18
.LBB158_20:
                                        ; implicit-def: $vgpr108_vgpr109
	v_mov_b64_e32 v[102:103], 0
	v_mov_b64_e32 v[110:111], 0
.LBB158_21:
	v_lshl_add_u64 v[4:5], v[4:5], 3, v[12:13]
	global_load_dwordx2 v[12:13], v[4:5], off offset:1024
	global_load_dwordx2 v[16:17], v[4:5], off offset:1536
	s_waitcnt vmcnt(1)
	v_mul_f64 v[108:109], s[16:17], v[12:13]
	s_waitcnt vmcnt(0)
	v_mul_f64 v[110:111], s[16:17], v[16:17]
.LBB158_22:
	s_and_b64 vcc, exec, s[6:7]
	s_cbranch_vccnz .LBB158_24
; %bb.23:
	s_waitcnt lgkmcnt(0)
	v_mad_i64_i32 v[4:5], s[24:25], v114, s29, 0
	v_lshl_add_u64 v[4:5], v[4:5], 3, s[22:23]
	v_mov_b32_e32 v101, 0
	v_lshl_add_u64 v[4:5], v[4:5], 0, v[100:101]
	global_load_dwordx2 v[4:5], v[4:5], off offset:32
	s_waitcnt vmcnt(0)
	v_mul_f64 v[102:103], s[16:17], v[4:5]
.LBB158_24:
	v_lshlrev_b32_e32 v4, 5, v113
	v_lshl_add_u32 v154, v112, 3, v4
	v_lshl_or_b32 v101, v14, 5, v100
	v_lshlrev_b32_e32 v157, 5, v152
	ds_write2st64_b64 v154, v[2:3], v[0:1] offset1:4
	ds_write2st64_b64 v154, v[6:7], v[10:11] offset0:8 offset1:12
	ds_write_b64 v101, v[8:9] offset:16384
	s_waitcnt lgkmcnt(0)
	s_barrier
	v_lshlrev_b32_e32 v156, 5, v153
	ds_read_b128 v[32:35], v157 offset:1024
	ds_read_b128 v[28:31], v157 offset:2048
	;; [unrolled: 1-line block ×12, first 2 shown]
	ds_read_b128 v[40:43], v157
	ds_read_b128 v[96:99], v156 offset:16384
	ds_read_b128 v[44:47], v156 offset:17920
	;; [unrolled: 1-line block ×5, first 2 shown]
	s_waitcnt lgkmcnt(5)
	v_add_f64 v[116:117], v[42:43], v[94:95]
	v_add_f64 v[118:119], v[40:41], v[92:93]
	s_mov_b32 s25, 0x7f800000
	v_cvt_f32_f64_e32 v118, v[118:119]
	v_cvt_f32_f64_e32 v116, v[116:117]
	v_min3_f32 v176, v118, v116, s25
	v_add_f64 v[116:117], v[34:35], v[94:95]
	v_add_f64 v[118:119], v[32:33], v[92:93]
	v_cvt_f32_f64_e32 v118, v[118:119]
	v_cvt_f32_f64_e32 v116, v[116:117]
	v_min3_f32 v177, v118, v116, s25
	v_add_f64 v[116:117], v[30:31], v[94:95]
	v_add_f64 v[118:119], v[28:29], v[92:93]
	;; [unrolled: 5-line block ×34, first 2 shown]
	v_cvt_f32_f64_e32 v118, v[118:119]
	v_cvt_f32_f64_e32 v116, v[116:117]
	v_min3_f32 v122, v118, v116, s25
	s_waitcnt lgkmcnt(3)
	v_add_f64 v[116:117], v[42:43], v[46:47]
	v_add_f64 v[118:119], v[40:41], v[44:45]
	v_cvt_f32_f64_e32 v118, v[118:119]
	v_cvt_f32_f64_e32 v116, v[116:117]
	v_min3_f32 v128, v118, v116, s25
	v_add_f64 v[116:117], v[34:35], v[46:47]
	v_add_f64 v[118:119], v[32:33], v[44:45]
	v_cvt_f32_f64_e32 v118, v[118:119]
	v_cvt_f32_f64_e32 v116, v[116:117]
	v_min3_f32 v125, v118, v116, s25
	;; [unrolled: 5-line block ×3, first 2 shown]
	v_add_f64 v[116:117], v[26:27], v[46:47]
	v_add_f64 v[118:119], v[24:25], v[44:45]
	v_cvt_f32_f64_e32 v118, v[118:119]
	v_cvt_f32_f64_e32 v116, v[116:117]
	v_add_f64 v[56:57], v[42:43], v[98:99]
	v_add_f64 v[58:59], v[40:41], v[96:97]
	v_min3_f32 v121, v118, v116, s25
	v_add_f64 v[116:117], v[22:23], v[46:47]
	v_add_f64 v[118:119], v[20:21], v[44:45]
	v_cvt_f32_f64_e32 v58, v[58:59]
	v_cvt_f32_f64_e32 v56, v[56:57]
	;; [unrolled: 1-line block ×4, first 2 shown]
	v_min3_f32 v115, v58, v56, s25
	ds_read_b128 v[56:59], v157 offset:1040
	v_add_f64 v[60:61], v[34:35], v[98:99]
	v_add_f64 v[62:63], v[32:33], v[96:97]
	v_min3_f32 v119, v118, v116, s25
	v_add_f64 v[116:117], v[18:19], v[46:47]
	v_add_f64 v[168:169], v[16:17], v[44:45]
	v_cvt_f32_f64_e32 v62, v[62:63]
	v_cvt_f32_f64_e32 v60, v[60:61]
	v_cvt_f32_f64_e32 v118, v[168:169]
	v_cvt_f32_f64_e32 v116, v[116:117]
	v_min3_f32 v167, v62, v60, s25
	ds_read_b128 v[60:63], v157 offset:2064
	v_add_f64 v[64:65], v[30:31], v[98:99]
	v_add_f64 v[66:67], v[28:29], v[96:97]
	;; [unrolled: 1-line block ×22, first 2 shown]
	v_min3_f32 v118, v118, v116, s25
	v_add_f64 v[116:117], v[14:15], v[46:47]
	v_add_f64 v[168:169], v[12:13], v[44:45]
	;; [unrolled: 1-line block ×4, first 2 shown]
	s_waitcnt lgkmcnt(4)
	v_add_f64 v[14:15], v[14:15], v[38:39]
	v_add_f64 v[12:13], v[12:13], v[36:37]
	v_add_f64 v[10:11], v[10:11], v[38:39]
	v_add_f64 v[8:9], v[8:9], v[36:37]
	v_cvt_f32_f64_e32 v66, v[66:67]
	v_cvt_f32_f64_e32 v64, v[64:65]
	;; [unrolled: 1-line block ×6, first 2 shown]
	s_waitcnt lgkmcnt(2)
	v_add_f64 v[10:11], v[2:3], v[6:7]
	v_add_f64 v[14:15], v[0:1], v[4:5]
	v_min3_f32 v170, v66, v64, s25
	ds_read_b128 v[64:67], v157 offset:3088
	v_cvt_f32_f64_e32 v168, v[168:169]
	v_cvt_f32_f64_e32 v116, v[116:117]
	;; [unrolled: 1-line block ×4, first 2 shown]
	v_min3_f32 v8, v8, v9, s25
	v_cvt_f32_f64_e32 v9, v[14:15]
	v_cvt_f32_f64_e32 v10, v[10:11]
	;; [unrolled: 1-line block ×4, first 2 shown]
	v_min3_f32 v117, v168, v116, s25
	v_min3_f32 v116, v44, v45, s25
	ds_read_b128 v[44:47], v156 offset:18192
	v_min3_f32 v226, v9, v10, v115
	s_waitcnt lgkmcnt(3)
	v_add_f64 v[10:11], v[58:59], v[6:7]
	v_add_f64 v[14:15], v[56:57], v[4:5]
	v_min3_f32 v171, v70, v68, s25
	ds_read_b128 v[68:71], v157 offset:4112
	v_cvt_f32_f64_e32 v9, v[14:15]
	v_cvt_f32_f64_e32 v10, v[10:11]
	;; [unrolled: 1-line block ×4, first 2 shown]
	v_min3_f32 v224, v9, v10, v167
	s_waitcnt lgkmcnt(3)
	v_add_f64 v[10:11], v[62:63], v[6:7]
	v_add_f64 v[14:15], v[60:61], v[4:5]
	v_min3_f32 v172, v74, v72, s25
	ds_read_b128 v[72:75], v157 offset:5136
	v_cvt_f32_f64_e32 v9, v[14:15]
	v_cvt_f32_f64_e32 v10, v[10:11]
	;; [unrolled: 1-line block ×6, first 2 shown]
	v_min3_f32 v225, v9, v10, v170
	s_waitcnt lgkmcnt(3)
	v_add_f64 v[10:11], v[66:67], v[6:7]
	v_add_f64 v[14:15], v[64:65], v[4:5]
	v_min3_f32 v173, v78, v76, s25
	ds_read_b128 v[76:79], v157 offset:6160
	v_min3_f32 v174, v82, v80, s25
	ds_read_b128 v[80:83], v157 offset:7184
	v_cvt_f32_f64_e32 v9, v[14:15]
	v_cvt_f32_f64_e32 v10, v[10:11]
	;; [unrolled: 1-line block ×4, first 2 shown]
	v_min3_f32 v222, v9, v10, v171
	s_waitcnt lgkmcnt(3)
	v_add_f64 v[10:11], v[70:71], v[6:7]
	v_add_f64 v[14:15], v[68:69], v[4:5]
	v_min3_f32 v175, v96, v97, s25
	ds_read_b128 v[96:99], v156 offset:16656
	v_cvt_f32_f64_e32 v9, v[14:15]
	v_cvt_f32_f64_e32 v10, v[10:11]
	v_min3_f32 v223, v9, v10, v172
	s_waitcnt lgkmcnt(3)
	v_add_f64 v[10:11], v[74:75], v[6:7]
	v_add_f64 v[14:15], v[72:73], v[4:5]
	v_cvt_f32_f64_e32 v9, v[14:15]
	v_cvt_f32_f64_e32 v10, v[10:11]
	v_min3_f32 v220, v9, v10, v173
	s_waitcnt lgkmcnt(2)
	v_add_f64 v[10:11], v[78:79], v[6:7]
	v_add_f64 v[14:15], v[76:77], v[4:5]
	s_waitcnt lgkmcnt(1)
	v_add_f64 v[6:7], v[82:83], v[6:7]
	v_add_f64 v[4:5], v[80:81], v[4:5]
	v_cvt_f32_f64_e32 v92, v[92:93]
	v_cvt_f32_f64_e32 v93, v[94:95]
	;; [unrolled: 1-line block ×4, first 2 shown]
	v_min3_f32 v151, v92, v93, s25
	ds_read_b128 v[92:95], v156 offset:16912
	v_min3_f32 v215, v4, v5, v175
	s_waitcnt lgkmcnt(1)
	v_add_f64 v[4:5], v[2:3], v[98:99]
	v_add_f64 v[6:7], v[0:1], v[96:97]
	v_cvt_f32_f64_e32 v6, v[6:7]
	v_cvt_f32_f64_e32 v4, v[4:5]
	v_min3_f32 v214, v6, v4, v176
	v_add_f64 v[4:5], v[58:59], v[98:99]
	v_add_f64 v[6:7], v[56:57], v[96:97]
	v_cvt_f32_f64_e32 v6, v[6:7]
	v_cvt_f32_f64_e32 v4, v[4:5]
	v_min3_f32 v213, v6, v4, v177
	;; [unrolled: 5-line block ×8, first 2 shown]
	s_waitcnt lgkmcnt(0)
	v_add_f64 v[4:5], v[2:3], v[94:95]
	v_add_f64 v[6:7], v[0:1], v[92:93]
	v_cvt_f32_f64_e32 v6, v[6:7]
	v_cvt_f32_f64_e32 v4, v[4:5]
	v_min3_f32 v206, v6, v4, v164
	v_add_f64 v[4:5], v[58:59], v[94:95]
	v_add_f64 v[6:7], v[56:57], v[92:93]
	v_cvt_f32_f64_e32 v6, v[6:7]
	v_cvt_f32_f64_e32 v4, v[4:5]
	v_min3_f32 v204, v6, v4, v162
	;; [unrolled: 5-line block ×4, first 2 shown]
	v_add_f64 v[4:5], v[70:71], v[94:95]
	v_add_f64 v[6:7], v[68:69], v[92:93]
	v_cvt_f32_f64_e32 v6, v[6:7]
	v_cvt_f32_f64_e32 v4, v[4:5]
	v_cvt_f32_f64_e32 v88, v[88:89]
	v_cvt_f32_f64_e32 v89, v[90:91]
	v_min3_f32 v201, v6, v4, v150
	v_add_f64 v[4:5], v[74:75], v[94:95]
	v_add_f64 v[6:7], v[72:73], v[92:93]
	v_min3_f32 v143, v88, v89, s25
	ds_read_b128 v[88:91], v156 offset:17168
	v_cvt_f32_f64_e32 v6, v[6:7]
	v_cvt_f32_f64_e32 v4, v[4:5]
	v_min3_f32 v200, v6, v4, v148
	v_add_f64 v[4:5], v[78:79], v[94:95]
	v_add_f64 v[6:7], v[76:77], v[92:93]
	v_cvt_f32_f64_e32 v6, v[6:7]
	v_cvt_f32_f64_e32 v4, v[4:5]
	v_min3_f32 v199, v6, v4, v146
	v_add_f64 v[4:5], v[82:83], v[94:95]
	v_add_f64 v[6:7], v[80:81], v[92:93]
	v_cvt_f32_f64_e32 v84, v[84:85]
	v_cvt_f32_f64_e32 v85, v[86:87]
	;; [unrolled: 1-line block ×4, first 2 shown]
	v_min3_f32 v135, v84, v85, s25
	ds_read_b128 v[84:87], v156 offset:17424
	v_min3_f32 v198, v6, v4, v143
	s_waitcnt lgkmcnt(1)
	v_add_f64 v[4:5], v[2:3], v[90:91]
	v_add_f64 v[6:7], v[0:1], v[88:89]
	v_cvt_f32_f64_e32 v6, v[6:7]
	v_cvt_f32_f64_e32 v4, v[4:5]
	v_min3_f32 v197, v6, v4, v155
	v_add_f64 v[4:5], v[58:59], v[90:91]
	v_add_f64 v[6:7], v[56:57], v[88:89]
	v_cvt_f32_f64_e32 v6, v[6:7]
	v_cvt_f32_f64_e32 v4, v[4:5]
	v_min3_f32 v196, v6, v4, v149
	v_add_f64 v[4:5], v[62:63], v[90:91]
	v_add_f64 v[6:7], v[60:61], v[88:89]
	v_cvt_f32_f64_e32 v6, v[6:7]
	v_cvt_f32_f64_e32 v4, v[4:5]
	v_min3_f32 v195, v6, v4, v147
	v_add_f64 v[4:5], v[66:67], v[90:91]
	v_add_f64 v[6:7], v[64:65], v[88:89]
	v_cvt_f32_f64_e32 v6, v[6:7]
	v_cvt_f32_f64_e32 v4, v[4:5]
	v_min3_f32 v194, v6, v4, v145
	v_add_f64 v[4:5], v[70:71], v[90:91]
	v_add_f64 v[6:7], v[68:69], v[88:89]
	v_cvt_f32_f64_e32 v6, v[6:7]
	v_cvt_f32_f64_e32 v4, v[4:5]
	v_min3_f32 v193, v6, v4, v142
	v_add_f64 v[4:5], v[74:75], v[90:91]
	v_add_f64 v[6:7], v[72:73], v[88:89]
	v_cvt_f32_f64_e32 v6, v[6:7]
	v_cvt_f32_f64_e32 v4, v[4:5]
	v_min3_f32 v192, v6, v4, v140
	v_add_f64 v[4:5], v[78:79], v[90:91]
	v_add_f64 v[6:7], v[76:77], v[88:89]
	v_cvt_f32_f64_e32 v6, v[6:7]
	v_cvt_f32_f64_e32 v4, v[4:5]
	v_min3_f32 v191, v6, v4, v138
	v_add_f64 v[4:5], v[82:83], v[90:91]
	v_add_f64 v[6:7], v[80:81], v[88:89]
	v_cvt_f32_f64_e32 v6, v[6:7]
	v_cvt_f32_f64_e32 v4, v[4:5]
	v_min3_f32 v190, v6, v4, v135
	s_waitcnt lgkmcnt(0)
	v_add_f64 v[4:5], v[2:3], v[86:87]
	v_add_f64 v[6:7], v[0:1], v[84:85]
	v_cvt_f32_f64_e32 v6, v[6:7]
	v_cvt_f32_f64_e32 v4, v[4:5]
	v_min3_f32 v189, v6, v4, v144
	v_add_f64 v[4:5], v[58:59], v[86:87]
	v_add_f64 v[6:7], v[56:57], v[84:85]
	v_cvt_f32_f64_e32 v6, v[6:7]
	v_cvt_f32_f64_e32 v4, v[4:5]
	v_min3_f32 v188, v6, v4, v141
	;; [unrolled: 5-line block ×4, first 2 shown]
	v_add_f64 v[4:5], v[70:71], v[86:87]
	v_add_f64 v[6:7], v[68:69], v[84:85]
	v_cvt_f32_f64_e32 v6, v[6:7]
	v_cvt_f32_f64_e32 v4, v[4:5]
	;; [unrolled: 1-line block ×4, first 2 shown]
	v_min3_f32 v185, v6, v4, v134
	v_add_f64 v[4:5], v[74:75], v[86:87]
	v_add_f64 v[6:7], v[72:73], v[84:85]
	v_min3_f32 v127, v52, v53, s25
	ds_read_b128 v[52:55], v156 offset:17680
	v_cvt_f32_f64_e32 v6, v[6:7]
	v_cvt_f32_f64_e32 v4, v[4:5]
	v_min3_f32 v184, v6, v4, v132
	v_add_f64 v[4:5], v[78:79], v[86:87]
	v_add_f64 v[6:7], v[76:77], v[84:85]
	v_cvt_f32_f64_e32 v6, v[6:7]
	v_cvt_f32_f64_e32 v4, v[4:5]
	v_min3_f32 v183, v6, v4, v130
	v_add_f64 v[4:5], v[82:83], v[86:87]
	v_add_f64 v[6:7], v[80:81], v[84:85]
	v_cvt_f32_f64_e32 v48, v[48:49]
	v_cvt_f32_f64_e32 v49, v[50:51]
	;; [unrolled: 1-line block ×4, first 2 shown]
	v_min3_f32 v120, v48, v49, s25
	ds_read_b128 v[48:51], v156 offset:17936
	v_min3_f32 v182, v6, v4, v127
	s_waitcnt lgkmcnt(1)
	v_add_f64 v[4:5], v[2:3], v[54:55]
	v_add_f64 v[6:7], v[0:1], v[52:53]
	v_cvt_f32_f64_e32 v6, v[6:7]
	v_cvt_f32_f64_e32 v4, v[4:5]
	v_min3_f32 v181, v6, v4, v136
	v_add_f64 v[4:5], v[58:59], v[54:55]
	v_add_f64 v[6:7], v[56:57], v[52:53]
	v_cvt_f32_f64_e32 v6, v[6:7]
	v_cvt_f32_f64_e32 v4, v[4:5]
	v_min3_f32 v180, v6, v4, v133
	;; [unrolled: 5-line block ×7, first 2 shown]
	v_add_f64 v[4:5], v[82:83], v[54:55]
	v_add_f64 v[6:7], v[80:81], v[52:53]
	;; [unrolled: 1-line block ×4, first 2 shown]
	v_cvt_f32_f64_e32 v9, v[14:15]
	v_cvt_f32_f64_e32 v10, v[10:11]
	;; [unrolled: 1-line block ×6, first 2 shown]
	v_min3_f32 v221, v9, v10, v174
	v_min3_f32 v174, v6, v4, v120
	s_waitcnt lgkmcnt(0)
	v_add_f64 v[4:5], v[2:3], v[50:51]
	v_add_f64 v[6:7], v[0:1], v[48:49]
	;; [unrolled: 1-line block ×4, first 2 shown]
	v_min3_f32 v40, v40, v41, s25
	v_add_f64 v[34:35], v[34:35], v[38:39]
	v_add_f64 v[32:33], v[32:33], v[36:37]
	v_cvt_f32_f64_e32 v6, v[6:7]
	v_cvt_f32_f64_e32 v4, v[4:5]
	v_cvt_f32_f64_e32 v0, v[0:1]
	v_cvt_f32_f64_e32 v1, v[2:3]
	v_cvt_f32_f64_e32 v32, v[32:33]
	v_cvt_f32_f64_e32 v33, v[34:35]
	v_min3_f32 v173, v6, v4, v128
	v_add_f64 v[4:5], v[58:59], v[50:51]
	v_add_f64 v[6:7], v[56:57], v[48:49]
	v_min3_f32 v165, v0, v1, v40
	v_add_f64 v[0:1], v[58:59], v[46:47]
	v_add_f64 v[2:3], v[56:57], v[44:45]
	v_min3_f32 v32, v32, v33, s25
	v_add_f64 v[30:31], v[30:31], v[38:39]
	v_add_f64 v[28:29], v[28:29], v[36:37]
	v_cvt_f32_f64_e32 v6, v[6:7]
	v_cvt_f32_f64_e32 v4, v[4:5]
	v_cvt_f32_f64_e32 v2, v[2:3]
	v_cvt_f32_f64_e32 v0, v[0:1]
	v_cvt_f32_f64_e32 v28, v[28:29]
	v_cvt_f32_f64_e32 v29, v[30:31]
	v_min3_f32 v172, v6, v4, v125
	v_add_f64 v[4:5], v[62:63], v[50:51]
	v_add_f64 v[6:7], v[60:61], v[48:49]
	v_min3_f32 v164, v2, v0, v32
	v_add_f64 v[0:1], v[62:63], v[46:47]
	v_add_f64 v[2:3], v[60:61], v[44:45]
	;; [unrolled: 15-line block ×5, first 2 shown]
	s_load_dword s24, s[0:1], 0x8
	v_min3_f32 v16, v16, v17, s25
	v_cvt_f32_f64_e32 v6, v[6:7]
	v_cvt_f32_f64_e32 v4, v[4:5]
	v_cvt_f32_f64_e32 v2, v[2:3]
	v_cvt_f32_f64_e32 v0, v[0:1]
	v_min3_f32 v168, v6, v4, v118
	v_add_f64 v[4:5], v[78:79], v[50:51]
	v_add_f64 v[6:7], v[76:77], v[48:49]
	v_min3_f32 v160, v2, v0, v16
	v_add_f64 v[0:1], v[78:79], v[46:47]
	v_add_f64 v[2:3], v[76:77], v[44:45]
	v_min3_f32 v12, v12, v13, s25
	v_cvt_f32_f64_e32 v6, v[6:7]
	v_cvt_f32_f64_e32 v4, v[4:5]
	;; [unrolled: 1-line block ×4, first 2 shown]
	v_min3_f32 v167, v6, v4, v117
	v_add_f64 v[4:5], v[82:83], v[50:51]
	v_add_f64 v[6:7], v[80:81], v[48:49]
	v_min3_f32 v159, v2, v0, v12
	v_add_f64 v[0:1], v[82:83], v[46:47]
	v_add_f64 v[2:3], v[80:81], v[44:45]
	v_cvt_f32_f64_e32 v6, v[6:7]
	v_cvt_f32_f64_e32 v4, v[4:5]
	;; [unrolled: 1-line block ×4, first 2 shown]
	v_min3_f32 v166, v6, v4, v116
	v_min3_f32 v158, v2, v0, v8
	s_waitcnt lgkmcnt(0)
	s_cmp_lt_i32 s24, 9
	ds_write2st64_b64 v154, v[106:107], v[104:105] offset0:16 offset1:20
	ds_write2st64_b64 v154, v[108:109], v[110:111] offset0:24 offset1:28
	ds_write_b64 v101, v[102:103] offset:18432
	s_waitcnt lgkmcnt(0)
	s_barrier
	s_cbranch_scc1 .LBB158_47
; %bb.25:
	v_mov_b32_e32 v0, 0x2000
	v_lshl_add_u32 v218, v152, 5, v0
	v_mov_b32_e32 v0, 0x4800
	v_add_u32_e32 v155, 0x4000, v101
	v_add_u32_e32 v217, 0x4800, v101
	v_lshl_add_u32 v219, v153, 5, v0
	v_mad_i64_i32 v[0:1], s[30:31], s29, v114, 0
	v_mov_b32_e32 v101, 0
	v_lshl_add_u64 v[0:1], v[0:1], 3, v[100:101]
	v_lshl_add_u64 v[0:1], s[22:23], 0, v[0:1]
	v_lshl_add_u64 v[136:137], v[0:1], 0, 64
	v_lshl_or_b32 v0, s2, 8, v113
	s_lshl_b32 s2, s28, 8
	v_subrev_u32_e32 v0, s2, v0
	v_ashrrev_i32_e32 v1, 31, v0
	v_lshlrev_b64 v[138:139], 3, v[0:1]
	v_add_u32_e32 v0, 12, v112
	v_mad_i64_i32 v[0:1], s[22:23], v0, s12, 0
	v_lshl_add_u64 v[140:141], v[0:1], 3, s[20:21]
	v_add_u32_e32 v0, 8, v112
	s_lshl_b64 s[22:23], s[12:13], 6
	v_mad_i64_i32 v[0:1], s[12:13], v0, s12, 0
	v_add_u32_e32 v205, 0x4000, v156
	v_add_u32_e32 v216, 0x2000, v154
	s_add_i32 s24, s24, -8
	v_lshl_add_u64 v[142:143], v[0:1], 3, s[20:21]
	s_mov_b32 s2, 0
	s_mov_b32 s20, 0
	s_branch .LBB158_27
.LBB158_26:                             ;   in Loop: Header=BB158_27 Depth=1
	v_add_f64 v[2:3], v[106:107], v[134:135]
	v_add_f64 v[4:5], v[104:105], v[132:133]
	v_cvt_f32_f64_e32 v4, v[4:5]
	v_cvt_f32_f64_e32 v2, v[2:3]
	v_min3_f32 v6, v4, v2, v226
	v_add_f64 v[2:3], v[102:103], v[134:135]
	v_add_f64 v[4:5], v[100:101], v[132:133]
	v_cvt_f32_f64_e32 v4, v[4:5]
	v_cvt_f32_f64_e32 v2, v[2:3]
	v_min3_f32 v7, v4, v2, v224
	;; [unrolled: 5-line block ×128, first 2 shown]
	ds_read_b128 v[38:41], v157 offset:1024
	ds_read_b128 v[34:37], v157 offset:2048
	;; [unrolled: 1-line block ×12, first 2 shown]
	ds_read_b128 v[98:101], v205
	ds_read_b128 v[50:53], v157
	ds_read_b128 v[74:77], v205 offset:1536
	ds_read_b128 v[26:29], v205 offset:1792
	ds_read_b128 v[6:9], v205 offset:16
	ds_read_b128 v[2:5], v157 offset:16
	s_waitcnt lgkmcnt(5)
	v_add_f64 v[46:47], v[40:41], v[100:101]
	v_add_f64 v[48:49], v[38:39], v[98:99]
	;; [unrolled: 1-line block ×4, first 2 shown]
	v_cvt_f32_f64_e32 v48, v[48:49]
	v_cvt_f32_f64_e32 v46, v[46:47]
	;; [unrolled: 1-line block ×4, first 2 shown]
	v_min3_f32 v186, v48, v46, v72
	v_min3_f32 v187, v56, v54, v73
	v_add_f64 v[58:59], v[32:33], v[100:101]
	v_add_f64 v[60:61], v[30:31], v[98:99]
	;; [unrolled: 1-line block ×8, first 2 shown]
	v_cvt_f32_f64_e32 v60, v[60:61]
	v_cvt_f32_f64_e32 v58, v[58:59]
	;; [unrolled: 1-line block ×8, first 2 shown]
	v_min3_f32 v188, v60, v58, v102
	v_min3_f32 v189, v64, v62, v103
	;; [unrolled: 1-line block ×4, first 2 shown]
	s_waitcnt lgkmcnt(4)
	v_add_f64 v[102:103], v[52:53], v[96:97]
	v_add_f64 v[104:105], v[50:51], v[94:95]
	v_cvt_f32_f64_e32 v104, v[104:105]
	v_cvt_f32_f64_e32 v102, v[102:103]
	v_min3_f32 v107, v104, v102, v107
	v_add_f64 v[102:103], v[40:41], v[96:97]
	v_add_f64 v[104:105], v[38:39], v[94:95]
	v_cvt_f32_f64_e32 v104, v[104:105]
	v_cvt_f32_f64_e32 v102, v[102:103]
	v_min3_f32 v108, v104, v102, v108
	;; [unrolled: 5-line block ×35, first 2 shown]
	s_waitcnt lgkmcnt(3)
	v_add_f64 v[102:103], v[52:53], v[76:77]
	v_add_f64 v[104:105], v[50:51], v[74:75]
	v_cvt_f32_f64_e32 v104, v[104:105]
	v_cvt_f32_f64_e32 v102, v[102:103]
	v_min3_f32 v169, v104, v102, v169
	v_add_f64 v[102:103], v[40:41], v[76:77]
	v_add_f64 v[104:105], v[38:39], v[74:75]
	v_cvt_f32_f64_e32 v104, v[104:105]
	v_cvt_f32_f64_e32 v102, v[102:103]
	v_min3_f32 v170, v104, v102, v170
	;; [unrolled: 5-line block ×4, first 2 shown]
	v_add_f64 v[102:103], v[24:25], v[76:77]
	v_add_f64 v[104:105], v[22:23], v[74:75]
	;; [unrolled: 1-line block ×4, first 2 shown]
	v_cvt_f32_f64_e32 v104, v[104:105]
	v_cvt_f32_f64_e32 v102, v[102:103]
	v_cvt_f32_f64_e32 v44, v[44:45]
	v_cvt_f32_f64_e32 v42, v[42:43]
	v_min3_f32 v228, v104, v102, v173
	v_add_f64 v[102:103], v[20:21], v[76:77]
	v_add_f64 v[104:105], v[18:19], v[74:75]
	v_min3_f32 v185, v44, v42, v206
	ds_read_b128 v[42:45], v157 offset:1040
	ds_read_b128 v[46:49], v157 offset:2064
	v_cvt_f32_f64_e32 v104, v[104:105]
	v_cvt_f32_f64_e32 v102, v[102:103]
	v_add_f64 v[100:101], v[12:13], v[100:101]
	v_add_f64 v[98:99], v[10:11], v[98:99]
	;; [unrolled: 1-line block ×12, first 2 shown]
	v_min3_f32 v229, v104, v102, v174
	v_add_f64 v[102:103], v[16:17], v[76:77]
	v_add_f64 v[104:105], v[14:15], v[74:75]
	;; [unrolled: 1-line block ×4, first 2 shown]
	s_waitcnt lgkmcnt(4)
	v_add_f64 v[16:17], v[16:17], v[28:29]
	v_add_f64 v[14:15], v[14:15], v[26:27]
	;; [unrolled: 1-line block ×4, first 2 shown]
	v_cvt_f32_f64_e32 v14, v[14:15]
	v_cvt_f32_f64_e32 v15, v[16:17]
	;; [unrolled: 1-line block ×4, first 2 shown]
	v_min3_f32 v14, v14, v15, v183
	v_min3_f32 v15, v10, v11, v184
	s_waitcnt lgkmcnt(2)
	v_add_f64 v[10:11], v[4:5], v[8:9]
	v_add_f64 v[12:13], v[2:3], v[6:7]
	ds_read_b128 v[54:57], v157 offset:3088
	ds_read_b128 v[58:61], v157 offset:4112
	v_cvt_f32_f64_e32 v12, v[12:13]
	v_cvt_f32_f64_e32 v10, v[10:11]
	v_min3_f32 v226, v12, v10, v185
	s_waitcnt lgkmcnt(3)
	v_add_f64 v[10:11], v[44:45], v[8:9]
	v_add_f64 v[12:13], v[42:43], v[6:7]
	v_cvt_f32_f64_e32 v12, v[12:13]
	v_cvt_f32_f64_e32 v10, v[10:11]
	v_min3_f32 v224, v12, v10, v186
	s_waitcnt lgkmcnt(2)
	v_add_f64 v[10:11], v[48:49], v[8:9]
	v_add_f64 v[12:13], v[46:47], v[6:7]
	ds_read_b128 v[62:65], v157 offset:5136
	ds_read_b128 v[66:69], v157 offset:6160
	v_cvt_f32_f64_e32 v12, v[12:13]
	v_cvt_f32_f64_e32 v10, v[10:11]
	v_min3_f32 v225, v12, v10, v187
	s_waitcnt lgkmcnt(3)
	v_add_f64 v[10:11], v[56:57], v[8:9]
	v_add_f64 v[12:13], v[54:55], v[6:7]
	ds_read_b128 v[70:73], v157 offset:7184
	v_cvt_f32_f64_e32 v12, v[12:13]
	v_cvt_f32_f64_e32 v10, v[10:11]
	;; [unrolled: 1-line block ×4, first 2 shown]
	v_min3_f32 v222, v12, v10, v188
	s_waitcnt lgkmcnt(3)
	v_add_f64 v[10:11], v[60:61], v[8:9]
	v_add_f64 v[12:13], v[58:59], v[6:7]
	v_min3_f32 v106, v98, v99, v106
	ds_read_b128 v[98:101], v205 offset:272
	v_cvt_f32_f64_e32 v12, v[12:13]
	v_cvt_f32_f64_e32 v10, v[10:11]
	v_min3_f32 v223, v12, v10, v189
	s_waitcnt lgkmcnt(3)
	v_add_f64 v[10:11], v[64:65], v[8:9]
	v_add_f64 v[12:13], v[62:63], v[6:7]
	v_cvt_f32_f64_e32 v12, v[12:13]
	v_cvt_f32_f64_e32 v10, v[10:11]
	v_min3_f32 v220, v12, v10, v190
	s_waitcnt lgkmcnt(2)
	v_add_f64 v[10:11], v[68:69], v[8:9]
	v_add_f64 v[12:13], v[66:67], v[6:7]
	s_waitcnt lgkmcnt(1)
	v_add_f64 v[8:9], v[72:73], v[8:9]
	v_add_f64 v[6:7], v[70:71], v[6:7]
	v_cvt_f32_f64_e32 v6, v[6:7]
	v_cvt_f32_f64_e32 v7, v[8:9]
	v_min3_f32 v215, v6, v7, v106
	s_waitcnt lgkmcnt(0)
	v_add_f64 v[6:7], v[4:5], v[100:101]
	v_add_f64 v[8:9], v[2:3], v[98:99]
	v_cvt_f32_f64_e32 v8, v[8:9]
	v_cvt_f32_f64_e32 v6, v[6:7]
	v_min3_f32 v214, v8, v6, v107
	v_add_f64 v[6:7], v[44:45], v[100:101]
	v_add_f64 v[8:9], v[42:43], v[98:99]
	v_cvt_f32_f64_e32 v8, v[8:9]
	v_cvt_f32_f64_e32 v6, v[6:7]
	v_min3_f32 v213, v8, v6, v108
	;; [unrolled: 5-line block ×4, first 2 shown]
	v_add_f64 v[6:7], v[60:61], v[100:101]
	v_add_f64 v[8:9], v[58:59], v[98:99]
	v_cvt_f32_f64_e32 v8, v[8:9]
	v_cvt_f32_f64_e32 v6, v[6:7]
	;; [unrolled: 1-line block ×4, first 2 shown]
	v_min3_f32 v210, v8, v6, v111
	v_add_f64 v[6:7], v[64:65], v[100:101]
	v_add_f64 v[8:9], v[62:63], v[98:99]
	v_min3_f32 v114, v94, v95, v114
	ds_read_b128 v[94:97], v205 offset:528
	v_cvt_f32_f64_e32 v8, v[8:9]
	v_cvt_f32_f64_e32 v6, v[6:7]
	v_min3_f32 v209, v8, v6, v112
	v_add_f64 v[6:7], v[68:69], v[100:101]
	v_add_f64 v[8:9], v[66:67], v[98:99]
	v_cvt_f32_f64_e32 v8, v[8:9]
	v_cvt_f32_f64_e32 v6, v[6:7]
	v_min3_f32 v208, v8, v6, v113
	v_add_f64 v[6:7], v[72:73], v[100:101]
	v_add_f64 v[8:9], v[70:71], v[98:99]
	v_cvt_f32_f64_e32 v90, v[90:91]
	v_cvt_f32_f64_e32 v91, v[92:93]
	v_cvt_f32_f64_e32 v8, v[8:9]
	v_cvt_f32_f64_e32 v6, v[6:7]
	v_min3_f32 v122, v90, v91, v122
	ds_read_b128 v[90:93], v205 offset:784
	v_min3_f32 v207, v8, v6, v114
	s_waitcnt lgkmcnt(1)
	v_add_f64 v[6:7], v[4:5], v[96:97]
	v_add_f64 v[8:9], v[2:3], v[94:95]
	v_cvt_f32_f64_e32 v8, v[8:9]
	v_cvt_f32_f64_e32 v6, v[6:7]
	v_min3_f32 v206, v8, v6, v115
	v_add_f64 v[6:7], v[44:45], v[96:97]
	v_add_f64 v[8:9], v[42:43], v[94:95]
	v_cvt_f32_f64_e32 v8, v[8:9]
	v_cvt_f32_f64_e32 v6, v[6:7]
	v_min3_f32 v204, v8, v6, v116
	;; [unrolled: 5-line block ×8, first 2 shown]
	s_waitcnt lgkmcnt(0)
	v_add_f64 v[6:7], v[4:5], v[92:93]
	v_add_f64 v[8:9], v[2:3], v[90:91]
	v_cvt_f32_f64_e32 v8, v[8:9]
	v_cvt_f32_f64_e32 v6, v[6:7]
	v_min3_f32 v197, v8, v6, v123
	v_add_f64 v[6:7], v[44:45], v[92:93]
	v_add_f64 v[8:9], v[42:43], v[90:91]
	v_cvt_f32_f64_e32 v8, v[8:9]
	v_cvt_f32_f64_e32 v6, v[6:7]
	v_min3_f32 v196, v8, v6, v124
	v_add_f64 v[6:7], v[48:49], v[92:93]
	v_add_f64 v[8:9], v[46:47], v[90:91]
	v_cvt_f32_f64_e32 v8, v[8:9]
	v_cvt_f32_f64_e32 v6, v[6:7]
	v_min3_f32 v195, v8, v6, v125
	v_add_f64 v[6:7], v[56:57], v[92:93]
	v_add_f64 v[8:9], v[54:55], v[90:91]
	v_cvt_f32_f64_e32 v8, v[8:9]
	v_cvt_f32_f64_e32 v6, v[6:7]
	v_min3_f32 v194, v8, v6, v126
	v_add_f64 v[6:7], v[60:61], v[92:93]
	v_add_f64 v[8:9], v[58:59], v[90:91]
	v_cvt_f32_f64_e32 v8, v[8:9]
	v_cvt_f32_f64_e32 v6, v[6:7]
	;; [unrolled: 1-line block ×4, first 2 shown]
	v_min3_f32 v193, v8, v6, v127
	v_add_f64 v[6:7], v[64:65], v[92:93]
	v_add_f64 v[8:9], v[62:63], v[90:91]
	v_min3_f32 v130, v86, v87, v130
	ds_read_b128 v[86:89], v205 offset:1040
	v_cvt_f32_f64_e32 v8, v[8:9]
	v_cvt_f32_f64_e32 v6, v[6:7]
	v_min3_f32 v192, v8, v6, v128
	v_add_f64 v[6:7], v[68:69], v[92:93]
	v_add_f64 v[8:9], v[66:67], v[90:91]
	v_cvt_f32_f64_e32 v12, v[12:13]
	v_cvt_f32_f64_e32 v10, v[10:11]
	;; [unrolled: 1-line block ×4, first 2 shown]
	v_min3_f32 v221, v12, v10, v191
	v_min3_f32 v191, v8, v6, v129
	v_add_f64 v[6:7], v[72:73], v[92:93]
	v_add_f64 v[8:9], v[70:71], v[90:91]
	v_cvt_f32_f64_e32 v82, v[82:83]
	v_cvt_f32_f64_e32 v83, v[84:85]
	;; [unrolled: 1-line block ×4, first 2 shown]
	v_min3_f32 v160, v82, v83, v160
	ds_read_b128 v[82:85], v205 offset:1296
	v_min3_f32 v190, v8, v6, v130
	s_waitcnt lgkmcnt(1)
	v_add_f64 v[6:7], v[4:5], v[88:89]
	v_add_f64 v[8:9], v[2:3], v[86:87]
	v_cvt_f32_f64_e32 v8, v[8:9]
	v_cvt_f32_f64_e32 v6, v[6:7]
	v_min3_f32 v189, v8, v6, v131
	v_add_f64 v[6:7], v[44:45], v[88:89]
	v_add_f64 v[8:9], v[42:43], v[86:87]
	v_cvt_f32_f64_e32 v8, v[8:9]
	v_cvt_f32_f64_e32 v6, v[6:7]
	v_min3_f32 v188, v8, v6, v132
	;; [unrolled: 5-line block ×6, first 2 shown]
	v_add_f64 v[6:7], v[68:69], v[88:89]
	v_add_f64 v[8:9], v[66:67], v[86:87]
	v_cvt_f32_f64_e32 v8, v[8:9]
	v_cvt_f32_f64_e32 v6, v[6:7]
	v_add_f64 v[20:21], v[20:21], v[28:29]
	v_add_f64 v[18:19], v[18:19], v[26:27]
	v_min3_f32 v183, v8, v6, v159
	v_add_f64 v[6:7], v[72:73], v[88:89]
	v_add_f64 v[8:9], v[70:71], v[86:87]
	v_cvt_f32_f64_e32 v18, v[18:19]
	v_cvt_f32_f64_e32 v19, v[20:21]
	;; [unrolled: 1-line block ×4, first 2 shown]
	v_add_f64 v[24:25], v[24:25], v[28:29]
	v_add_f64 v[22:23], v[22:23], v[26:27]
	v_min3_f32 v18, v18, v19, v182
	v_min3_f32 v182, v8, v6, v160
	s_waitcnt lgkmcnt(0)
	v_add_f64 v[6:7], v[4:5], v[84:85]
	v_add_f64 v[8:9], v[2:3], v[82:83]
	v_cvt_f32_f64_e32 v22, v[22:23]
	v_cvt_f32_f64_e32 v23, v[24:25]
	v_cvt_f32_f64_e32 v8, v[8:9]
	v_cvt_f32_f64_e32 v6, v[6:7]
	v_add_f64 v[32:33], v[32:33], v[28:29]
	v_add_f64 v[30:31], v[30:31], v[26:27]
	v_min3_f32 v22, v22, v23, v181
	v_min3_f32 v181, v8, v6, v161
	v_add_f64 v[6:7], v[44:45], v[84:85]
	v_add_f64 v[8:9], v[42:43], v[82:83]
	v_cvt_f32_f64_e32 v30, v[30:31]
	v_cvt_f32_f64_e32 v31, v[32:33]
	v_cvt_f32_f64_e32 v8, v[8:9]
	v_cvt_f32_f64_e32 v6, v[6:7]
	v_add_f64 v[36:37], v[36:37], v[28:29]
	v_add_f64 v[34:35], v[34:35], v[26:27]
	v_min3_f32 v30, v30, v31, v180
	v_min3_f32 v180, v8, v6, v162
	;; [unrolled: 10-line block ×4, first 2 shown]
	v_add_f64 v[6:7], v[60:61], v[84:85]
	v_add_f64 v[8:9], v[58:59], v[82:83]
	v_cvt_f32_f64_e32 v50, v[50:51]
	v_cvt_f32_f64_e32 v51, v[52:53]
	;; [unrolled: 1-line block ×8, first 2 shown]
	v_min3_f32 v50, v50, v51, v177
	v_min3_f32 v177, v8, v6, v165
	v_add_f64 v[6:7], v[64:65], v[84:85]
	v_add_f64 v[8:9], v[62:63], v[82:83]
	v_min3_f32 v168, v78, v79, v168
	ds_read_b128 v[78:81], v205 offset:1552
	v_cvt_f32_f64_e32 v102, v[102:103]
	v_min3_f32 v103, v74, v75, v176
	ds_read_b128 v[74:77], v205 offset:1808
	v_cvt_f32_f64_e32 v8, v[8:9]
	v_cvt_f32_f64_e32 v6, v[6:7]
	v_min3_f32 v176, v8, v6, v166
	v_add_f64 v[6:7], v[68:69], v[84:85]
	v_add_f64 v[8:9], v[66:67], v[82:83]
	v_cvt_f32_f64_e32 v104, v[104:105]
	v_cvt_f32_f64_e32 v8, v[8:9]
	;; [unrolled: 1-line block ×3, first 2 shown]
	v_min3_f32 v102, v104, v102, v175
	v_min3_f32 v175, v8, v6, v167
	v_add_f64 v[6:7], v[72:73], v[84:85]
	v_add_f64 v[8:9], v[70:71], v[82:83]
	v_cvt_f32_f64_e32 v8, v[8:9]
	v_cvt_f32_f64_e32 v6, v[6:7]
	v_min3_f32 v174, v8, v6, v168
	s_waitcnt lgkmcnt(1)
	v_add_f64 v[6:7], v[4:5], v[80:81]
	v_add_f64 v[8:9], v[2:3], v[78:79]
	s_waitcnt lgkmcnt(0)
	v_add_f64 v[4:5], v[4:5], v[76:77]
	v_add_f64 v[2:3], v[2:3], v[74:75]
	v_cvt_f32_f64_e32 v8, v[8:9]
	v_cvt_f32_f64_e32 v6, v[6:7]
	v_cvt_f32_f64_e32 v2, v[2:3]
	v_cvt_f32_f64_e32 v3, v[4:5]
	v_min3_f32 v173, v8, v6, v169
	v_add_f64 v[6:7], v[44:45], v[80:81]
	v_add_f64 v[8:9], v[42:43], v[78:79]
	v_min3_f32 v165, v2, v3, v50
	v_add_f64 v[2:3], v[44:45], v[76:77]
	v_add_f64 v[4:5], v[42:43], v[74:75]
	v_cvt_f32_f64_e32 v8, v[8:9]
	v_cvt_f32_f64_e32 v6, v[6:7]
	v_cvt_f32_f64_e32 v4, v[4:5]
	v_cvt_f32_f64_e32 v2, v[2:3]
	v_min3_f32 v172, v8, v6, v170
	v_add_f64 v[6:7], v[48:49], v[80:81]
	v_add_f64 v[8:9], v[46:47], v[78:79]
	v_min3_f32 v164, v4, v2, v38
	;; [unrolled: 10-line block ×7, first 2 shown]
	v_add_f64 v[2:3], v[72:73], v[76:77]
	v_add_f64 v[4:5], v[70:71], v[74:75]
	v_cvt_f32_f64_e32 v8, v[8:9]
	v_cvt_f32_f64_e32 v6, v[6:7]
	;; [unrolled: 1-line block ×4, first 2 shown]
	s_add_i32 s20, s20, 8
	v_min3_f32 v166, v8, v6, v103
	v_min3_f32 v158, v4, v2, v15
	v_lshl_add_u64 v[136:137], v[136:137], 0, 64
	v_lshl_add_u64 v[140:141], v[140:141], 0, s[22:23]
	s_cmp_ge_i32 s20, s24
	v_lshl_add_u64 v[142:143], v[142:143], 0, s[22:23]
	ds_write2st64_b64 v216, v[0:1], v[144:145] offset1:4
	ds_write2st64_b64 v216, v[146:147], v[150:151] offset0:8 offset1:12
	ds_write_b64 v217, v[148:149]
	s_waitcnt lgkmcnt(0)
	s_barrier
	s_cbranch_scc1 .LBB158_47
.LBB158_27:                             ; =>This Inner Loop Header: Depth=1
	s_mov_b64 s[12:13], -1
	s_mov_b64 vcc, s[4:5]
                                        ; implicit-def: $vgpr0_vgpr1_vgpr2_vgpr3_vgpr4_vgpr5_vgpr6_vgpr7
	s_cbranch_vccnz .LBB158_38
; %bb.28:                               ;   in Loop: Header=BB158_27 Depth=1
	v_mov_b64_e32 v[2:3], 0
	s_andn2_b64 vcc, exec, s[12:13]
	v_lshl_add_u64 v[8:9], v[142:143], 0, v[138:139]
	s_cbranch_vccz .LBB158_39
.LBB158_29:                             ;   in Loop: Header=BB158_27 Depth=1
	s_mov_b64 s[12:13], -1
	s_mov_b64 vcc, s[4:5]
                                        ; implicit-def: $vgpr4_vgpr5
	s_cbranch_vccnz .LBB158_40
.LBB158_30:                             ;   in Loop: Header=BB158_27 Depth=1
	v_mov_b64_e32 v[6:7], 0
	s_andn2_b64 vcc, exec, s[12:13]
	v_mov_b64_e32 v[144:145], 0
	s_cbranch_vccz .LBB158_41
.LBB158_31:                             ;   in Loop: Header=BB158_27 Depth=1
	s_and_b64 vcc, exec, s[6:7]
	s_cbranch_vccnz .LBB158_33
.LBB158_32:                             ;   in Loop: Header=BB158_27 Depth=1
	global_load_dwordx2 v[6:7], v[136:137], off
	s_waitcnt vmcnt(0)
	v_mul_f64 v[6:7], s[16:17], v[6:7]
.LBB158_33:                             ;   in Loop: Header=BB158_27 Depth=1
	ds_read_b128 v[132:135], v219
	ds_read_b128 v[68:71], v219 offset:16
	ds_read_b128 v[104:107], v218
	ds_read_b128 v[40:43], v218 offset:16
	ds_read_b128 v[100:103], v218 offset:1024
	;; [unrolled: 1-line block ×29, first 2 shown]
	s_mov_b64 s[12:13], -1
	s_mov_b64 vcc, s[4:5]
	ds_write2st64_b64 v154, v[0:1], v[2:3] offset1:4
	ds_write2st64_b64 v154, v[4:5], v[144:145] offset0:8 offset1:12
	ds_write_b64 v155, v[6:7]
	s_waitcnt lgkmcnt(0)
	s_barrier
                                        ; implicit-def: $vgpr0_vgpr1_vgpr2_vgpr3_vgpr4_vgpr5_vgpr6_vgpr7
	s_cbranch_vccnz .LBB158_42
; %bb.34:                               ;   in Loop: Header=BB158_27 Depth=1
	v_mov_b64_e32 v[144:145], 0
	s_andn2_b64 vcc, exec, s[12:13]
	v_lshl_add_u64 v[2:3], v[140:141], 0, v[138:139]
	s_cbranch_vccz .LBB158_43
.LBB158_35:                             ;   in Loop: Header=BB158_27 Depth=1
	s_mov_b64 s[12:13], -1
	s_mov_b64 vcc, s[4:5]
                                        ; implicit-def: $vgpr146_vgpr147
	s_cbranch_vccnz .LBB158_44
.LBB158_36:                             ;   in Loop: Header=BB158_27 Depth=1
	v_mov_b64_e32 v[148:149], 0
	s_andn2_b64 vcc, exec, s[12:13]
	v_mov_b64_e32 v[150:151], 0
	s_cbranch_vccz .LBB158_45
.LBB158_37:                             ;   in Loop: Header=BB158_27 Depth=1
	s_and_b64 vcc, exec, s[6:7]
	s_cbranch_vccz .LBB158_46
	s_branch .LBB158_26
.LBB158_38:                             ;   in Loop: Header=BB158_27 Depth=1
	v_mov_b32_e32 v0, s2
	v_mov_b32_e32 v1, s2
	v_mov_b64_e32 v[2:3], 0
	v_lshl_add_u64 v[8:9], v[142:143], 0, v[138:139]
	s_cbranch_execnz .LBB158_29
.LBB158_39:                             ;   in Loop: Header=BB158_27 Depth=1
	global_load_dwordx2 v[0:1], v[8:9], off
	global_load_dwordx2 v[2:3], v[8:9], off offset:512
	s_waitcnt vmcnt(1)
	v_mul_f64 v[0:1], s[16:17], v[0:1]
	s_waitcnt vmcnt(0)
	v_mul_f64 v[2:3], s[16:17], v[2:3]
	s_mov_b64 s[12:13], -1
	s_mov_b64 vcc, s[4:5]
                                        ; implicit-def: $vgpr4_vgpr5
	s_cbranch_vccz .LBB158_30
.LBB158_40:                             ;   in Loop: Header=BB158_27 Depth=1
	v_mov_b32_e32 v4, s2
	v_mov_b32_e32 v5, s2
	v_mov_b64_e32 v[6:7], 0
	v_mov_b64_e32 v[144:145], 0
	s_cbranch_execnz .LBB158_31
.LBB158_41:                             ;   in Loop: Header=BB158_27 Depth=1
	global_load_dwordx2 v[4:5], v[8:9], off offset:1024
	global_load_dwordx2 v[10:11], v[8:9], off offset:1536
	s_waitcnt vmcnt(1)
	v_mul_f64 v[4:5], s[16:17], v[4:5]
	s_waitcnt vmcnt(0)
	v_mul_f64 v[144:145], s[16:17], v[10:11]
	s_and_b64 vcc, exec, s[6:7]
	s_cbranch_vccz .LBB158_32
	s_branch .LBB158_33
.LBB158_42:                             ;   in Loop: Header=BB158_27 Depth=1
	v_mov_b32_e32 v0, s2
	v_mov_b32_e32 v1, s2
	v_mov_b64_e32 v[144:145], 0
	v_lshl_add_u64 v[2:3], v[140:141], 0, v[138:139]
	s_cbranch_execnz .LBB158_35
.LBB158_43:                             ;   in Loop: Header=BB158_27 Depth=1
	global_load_dwordx2 v[0:1], v[2:3], off
	global_load_dwordx2 v[4:5], v[2:3], off offset:512
	s_waitcnt vmcnt(1)
	v_mul_f64 v[0:1], s[16:17], v[0:1]
	s_waitcnt vmcnt(0)
	v_mul_f64 v[144:145], s[16:17], v[4:5]
	s_mov_b64 s[12:13], -1
	s_mov_b64 vcc, s[4:5]
                                        ; implicit-def: $vgpr146_vgpr147
	s_cbranch_vccz .LBB158_36
.LBB158_44:                             ;   in Loop: Header=BB158_27 Depth=1
	v_mov_b32_e32 v146, s2
	v_mov_b32_e32 v147, s2
	v_mov_b64_e32 v[148:149], 0
	v_mov_b64_e32 v[150:151], 0
	s_cbranch_execnz .LBB158_37
.LBB158_45:                             ;   in Loop: Header=BB158_27 Depth=1
	global_load_dwordx2 v[4:5], v[2:3], off offset:1024
	s_nop 0
	global_load_dwordx2 v[2:3], v[2:3], off offset:1536
	s_waitcnt vmcnt(1)
	v_mul_f64 v[146:147], s[16:17], v[4:5]
	s_waitcnt vmcnt(0)
	v_mul_f64 v[150:151], s[16:17], v[2:3]
	s_and_b64 vcc, exec, s[6:7]
	s_cbranch_vccnz .LBB158_26
.LBB158_46:                             ;   in Loop: Header=BB158_27 Depth=1
	global_load_dwordx2 v[2:3], v[136:137], off offset:32
	s_waitcnt vmcnt(0)
	v_mul_f64 v[148:149], s[16:17], v[2:3]
	s_branch .LBB158_26
.LBB158_47:
	s_load_dwordx2 s[6:7], s[0:1], 0x78
	s_load_dword s4, s[0:1], 0x58
	s_load_dword s5, s[0:1], 0x70
	ds_read_b128 v[68:71], v157 offset:8192
	ds_read_b128 v[124:127], v156 offset:18432
	;; [unrolled: 1-line block ×4, first 2 shown]
	s_waitcnt lgkmcnt(0)
	s_mul_i32 s1, s7, s3
	s_mul_hi_u32 s2, s6, s3
	s_mul_i32 s0, s6, s3
	v_add_f64 v[0:1], v[70:71], v[126:127]
	v_add_f64 v[2:3], v[68:69], v[124:125]
	s_add_i32 s1, s2, s1
	v_cvt_f32_f64_e32 v2, v[2:3]
	v_cvt_f32_f64_e32 v0, v[0:1]
	s_lshl_b64 s[0:1], s[0:1], 3
	v_min3_f32 v4, v2, v0, v226
	v_add_f64 v[0:1], v[66:67], v[122:123]
	v_add_f64 v[2:3], v[64:65], v[120:121]
	s_add_u32 s0, s14, s0
	v_cvt_f32_f64_e32 v2, v[2:3]
	v_cvt_f32_f64_e32 v0, v[0:1]
	v_add_u32_e32 v205, s27, v153
	s_addc_u32 s1, s15, s1
	v_min3_f32 v2, v2, v0, v4
	v_add_u32_e32 v134, s26, v152
	v_mad_i64_i32 v[0:1], s[2:3], v205, s5, 0
	v_add_u32_e32 v128, 32, v134
	v_lshl_add_u64 v[152:153], v[0:1], 3, s[0:1]
	v_mad_i64_i32 v[0:1], s[2:3], v205, s4, 0
	v_ashrrev_i32_e32 v135, 31, v134
	v_ashrrev_i32_e32 v129, 31, v128
	s_mov_b64 s[2:3], -1
	v_max_f32_e32 v2, v2, v2
	s_mov_b64 vcc, s[8:9]
	s_cbranch_vccz .LBB158_49
; %bb.48:
	v_min_f32_e32 v3, 0, v2
	v_cvt_f64_f32_e32 v[4:5], v3
	v_lshl_add_u64 v[6:7], v[134:135], 3, v[152:153]
	global_store_dwordx2 v[6:7], v[4:5], off
	s_mov_b64 s[2:3], 0
.LBB158_49:
	ds_read_b128 v[60:63], v157 offset:9216
	ds_read_b128 v[52:55], v157 offset:9232
	ds_read_b128 v[56:59], v157 offset:10240
	ds_read_b128 v[48:51], v157 offset:10256
	v_lshl_add_u64 v[154:155], v[0:1], 3, s[18:19]
	v_mov_b32_e32 v132, 0
	s_andn2_b64 vcc, exec, s[2:3]
	v_lshlrev_b64 v[138:139], 3, v[134:135]
	s_cbranch_vccnz .LBB158_51
; %bb.50:
	v_lshl_add_u64 v[0:1], v[154:155], 0, v[138:139]
	global_load_dwordx2 v[0:1], v[0:1], off
	v_lshl_add_u64 v[4:5], v[152:153], 0, v[138:139]
	s_waitcnt vmcnt(0)
	v_mul_f64 v[0:1], s[10:11], v[0:1]
	v_cvt_f32_f64_e32 v0, v[0:1]
	v_min_f32_e32 v0, v0, v2
	v_cvt_f64_f32_e32 v[0:1], v0
	global_store_dwordx2 v[4:5], v[0:1], off
	v_lshl_add_u64 v[0:1], v[128:129], 3, v[154:155]
	global_load_dwordx2 v[0:1], v[0:1], off
	s_waitcnt vmcnt(0)
	v_mul_f64 v[0:1], s[10:11], v[0:1]
	v_cvt_f32_f64_e32 v132, v[0:1]
.LBB158_51:
	ds_read_b128 v[40:43], v157 offset:11264
	ds_read_b128 v[36:39], v157 offset:11280
	;; [unrolled: 1-line block ×24, first 2 shown]
	s_waitcnt lgkmcnt(14)
	v_add_f64 v[130:131], v[62:63], v[126:127]
	v_add_f64 v[136:137], v[60:61], v[124:125]
	v_cvt_f32_f64_e32 v133, v[136:137]
	v_cvt_f32_f64_e32 v130, v[130:131]
	v_min3_f32 v133, v133, v130, v224
	v_add_f64 v[130:131], v[58:59], v[126:127]
	v_add_f64 v[136:137], v[56:57], v[124:125]
	v_cvt_f32_f64_e32 v136, v[136:137]
	v_cvt_f32_f64_e32 v130, v[130:131]
	v_min3_f32 v140, v136, v130, v225
	v_add_f64 v[130:131], v[54:55], v[122:123]
	v_add_f64 v[136:137], v[52:53], v[120:121]
	v_cvt_f32_f64_e32 v136, v[136:137]
	v_cvt_f32_f64_e32 v130, v[130:131]
	v_min_f32_e32 v142, v136, v130
	v_add_f64 v[130:131], v[50:51], v[122:123]
	v_add_f64 v[136:137], v[48:49], v[120:121]
	v_cvt_f32_f64_e32 v136, v[136:137]
	v_cvt_f32_f64_e32 v130, v[130:131]
	v_min3_f32 v132, v132, v142, v133
	v_min3_f32 v143, v136, v130, v140
	v_add_u32_e32 v140, 64, v134
	v_add_u32_e32 v130, 0x60, v134
	v_cvt_f64_f32_e32 v[132:133], v132
	v_lshl_add_u64 v[136:137], v[128:129], 3, v[152:153]
	v_ashrrev_i32_e32 v141, 31, v140
	v_ashrrev_i32_e32 v131, 31, v130
	global_store_dwordx2 v[136:137], v[132:133], off
	s_mov_b64 s[2:3], -1
	v_max_f32_e32 v132, v143, v143
	s_mov_b64 vcc, s[8:9]
	s_cbranch_vccz .LBB158_53
; %bb.52:
	v_min_f32_e32 v133, 0, v132
	v_cvt_f64_f32_e32 v[136:137], v133
	v_lshl_add_u64 v[142:143], v[140:141], 3, v[152:153]
	global_store_dwordx2 v[142:143], v[136:137], off
	s_mov_b64 s[2:3], 0
.LBB158_53:
	v_mov_b32_e32 v136, 0
	s_andn2_b64 vcc, exec, s[2:3]
	v_lshlrev_b64 v[144:145], 3, v[140:141]
	s_cbranch_vccnz .LBB158_55
; %bb.54:
	v_lshl_add_u64 v[136:137], v[154:155], 0, v[144:145]
	global_load_dwordx2 v[136:137], v[136:137], off
	v_lshl_add_u64 v[142:143], v[152:153], 0, v[144:145]
	s_waitcnt vmcnt(0)
	v_mul_f64 v[136:137], s[10:11], v[136:137]
	v_cvt_f32_f64_e32 v133, v[136:137]
	v_min_f32_e32 v132, v133, v132
	v_cvt_f64_f32_e32 v[132:133], v132
	global_store_dwordx2 v[142:143], v[132:133], off
	v_lshl_add_u64 v[132:133], v[130:131], 3, v[154:155]
	global_load_dwordx2 v[132:133], v[132:133], off
	s_waitcnt vmcnt(0)
	v_mul_f64 v[132:133], s[10:11], v[132:133]
	v_cvt_f32_f64_e32 v136, v[132:133]
.LBB158_55:
	v_add_f64 v[132:133], v[42:43], v[126:127]
	v_add_f64 v[142:143], v[40:41], v[124:125]
	v_cvt_f32_f64_e32 v137, v[142:143]
	v_cvt_f32_f64_e32 v132, v[132:133]
	v_min3_f32 v137, v137, v132, v222
	v_add_f64 v[132:133], v[46:47], v[126:127]
	v_add_f64 v[142:143], v[44:45], v[124:125]
	v_cvt_f32_f64_e32 v142, v[142:143]
	v_cvt_f32_f64_e32 v132, v[132:133]
	v_min3_f32 v146, v142, v132, v223
	v_add_f64 v[132:133], v[38:39], v[122:123]
	v_add_f64 v[142:143], v[36:37], v[120:121]
	v_cvt_f32_f64_e32 v142, v[142:143]
	v_cvt_f32_f64_e32 v132, v[132:133]
	v_min_f32_e32 v147, v142, v132
	v_add_f64 v[132:133], v[34:35], v[122:123]
	v_add_f64 v[142:143], v[32:33], v[120:121]
	v_cvt_f32_f64_e32 v142, v[142:143]
	v_cvt_f32_f64_e32 v132, v[132:133]
	v_min3_f32 v136, v136, v147, v137
	v_min3_f32 v148, v142, v132, v146
	v_add_u32_e32 v142, 0x80, v134
	v_add_u32_e32 v132, 0xa0, v134
	v_cvt_f64_f32_e32 v[136:137], v136
	v_lshl_add_u64 v[146:147], v[130:131], 3, v[152:153]
	v_ashrrev_i32_e32 v143, 31, v142
	v_ashrrev_i32_e32 v133, 31, v132
	global_store_dwordx2 v[146:147], v[136:137], off
	s_mov_b64 s[2:3], -1
	v_max_f32_e32 v136, v148, v148
	s_mov_b64 vcc, s[8:9]
	s_cbranch_vccz .LBB158_57
; %bb.56:
	v_min_f32_e32 v137, 0, v136
	v_cvt_f64_f32_e32 v[146:147], v137
	v_lshl_add_u64 v[148:149], v[142:143], 3, v[152:153]
	global_store_dwordx2 v[148:149], v[146:147], off
	s_mov_b64 s[2:3], 0
.LBB158_57:
	v_mov_b32_e32 v150, 0
	s_andn2_b64 vcc, exec, s[2:3]
	v_lshlrev_b64 v[148:149], 3, v[142:143]
	s_cbranch_vccnz .LBB158_59
; %bb.58:
	v_lshl_add_u64 v[146:147], v[154:155], 0, v[148:149]
	global_load_dwordx2 v[146:147], v[146:147], off
	v_lshl_add_u64 v[150:151], v[152:153], 0, v[148:149]
	s_waitcnt vmcnt(0)
	v_mul_f64 v[146:147], s[10:11], v[146:147]
	v_cvt_f32_f64_e32 v137, v[146:147]
	v_min_f32_e32 v136, v137, v136
	v_cvt_f64_f32_e32 v[136:137], v136
	global_store_dwordx2 v[150:151], v[136:137], off
	v_lshl_add_u64 v[136:137], v[132:133], 3, v[154:155]
	global_load_dwordx2 v[136:137], v[136:137], off
	s_waitcnt vmcnt(0)
	v_mul_f64 v[136:137], s[10:11], v[136:137]
	v_cvt_f32_f64_e32 v150, v[136:137]
.LBB158_59:
	v_add_f64 v[136:137], v[30:31], v[126:127]
	v_add_f64 v[146:147], v[28:29], v[124:125]
	v_cvt_f32_f64_e32 v146, v[146:147]
	v_cvt_f32_f64_e32 v136, v[136:137]
	v_min3_f32 v151, v146, v136, v220
	v_add_f64 v[136:137], v[26:27], v[126:127]
	v_add_f64 v[146:147], v[24:25], v[124:125]
	v_cvt_f32_f64_e32 v146, v[146:147]
	v_cvt_f32_f64_e32 v136, v[136:137]
	v_min3_f32 v156, v146, v136, v221
	v_add_f64 v[136:137], v[22:23], v[122:123]
	v_add_f64 v[146:147], v[20:21], v[120:121]
	v_cvt_f32_f64_e32 v146, v[146:147]
	v_cvt_f32_f64_e32 v136, v[136:137]
	v_min_f32_e32 v157, v146, v136
	v_add_f64 v[136:137], v[18:19], v[122:123]
	v_add_f64 v[146:147], v[16:17], v[120:121]
	v_cvt_f32_f64_e32 v146, v[146:147]
	v_cvt_f32_f64_e32 v136, v[136:137]
	v_min3_f32 v150, v150, v157, v151
	v_min3_f32 v216, v146, v136, v156
	v_add_u32_e32 v146, 0xc0, v134
	v_add_u32_e32 v136, 0xe0, v134
	v_cvt_f64_f32_e32 v[150:151], v150
	v_lshl_add_u64 v[156:157], v[132:133], 3, v[152:153]
	v_ashrrev_i32_e32 v147, 31, v146
	v_ashrrev_i32_e32 v137, 31, v136
	global_store_dwordx2 v[156:157], v[150:151], off
	s_mov_b64 s[2:3], -1
	v_max_f32_e32 v157, v216, v216
	s_mov_b64 vcc, s[8:9]
	s_cbranch_vccz .LBB158_61
; %bb.60:
	v_min_f32_e32 v150, 0, v157
	v_cvt_f64_f32_e32 v[150:151], v150
	v_lshl_add_u64 v[216:217], v[146:147], 3, v[152:153]
	global_store_dwordx2 v[216:217], v[150:151], off
	s_mov_b64 s[2:3], 0
.LBB158_61:
	v_mov_b32_e32 v156, 0
	s_andn2_b64 vcc, exec, s[2:3]
	v_lshlrev_b64 v[150:151], 3, v[146:147]
	s_cbranch_vccnz .LBB158_63
; %bb.62:
	v_lshl_add_u64 v[216:217], v[154:155], 0, v[150:151]
	global_load_dwordx2 v[216:217], v[216:217], off
	v_lshl_add_u64 v[218:219], v[152:153], 0, v[150:151]
	v_lshl_add_u64 v[154:155], v[136:137], 3, v[154:155]
	s_waitcnt vmcnt(0)
	v_mul_f64 v[216:217], s[10:11], v[216:217]
	v_cvt_f32_f64_e32 v156, v[216:217]
	v_min_f32_e32 v156, v156, v157
	v_cvt_f64_f32_e32 v[156:157], v156
	global_store_dwordx2 v[218:219], v[156:157], off
	global_load_dwordx2 v[154:155], v[154:155], off
	s_waitcnt vmcnt(0)
	v_mul_f64 v[154:155], s[10:11], v[154:155]
	v_cvt_f32_f64_e32 v156, v[154:155]
.LBB158_63:
	v_add_f64 v[126:127], v[2:3], v[126:127]
	v_add_f64 v[124:125], v[0:1], v[124:125]
	v_cvt_f32_f64_e32 v124, v[124:125]
	v_cvt_f32_f64_e32 v125, v[126:127]
	v_add_f64 v[122:123], v[10:11], v[122:123]
	v_add_f64 v[120:121], v[8:9], v[120:121]
	v_min3_f32 v154, v124, v125, v215
	s_waitcnt lgkmcnt(13)
	v_add_f64 v[124:125], v[70:71], v[118:119]
	v_add_f64 v[126:127], v[68:69], v[116:117]
	v_cvt_f32_f64_e32 v120, v[120:121]
	v_cvt_f32_f64_e32 v121, v[122:123]
	v_cvt_f32_f64_e32 v126, v[126:127]
	v_cvt_f32_f64_e32 v124, v[124:125]
	v_min_f32_e32 v125, v120, v121
	s_waitcnt lgkmcnt(12)
	v_add_f64 v[120:121], v[66:67], v[114:115]
	v_add_f64 v[122:123], v[64:65], v[112:113]
	v_min3_f32 v124, v126, v124, v214
	v_cvt_f32_f64_e32 v122, v[122:123]
	v_cvt_f32_f64_e32 v120, v[120:121]
	v_min3_f32 v124, v122, v120, v124
	v_min3_f32 v120, v156, v125, v154
	v_cvt_f64_f32_e32 v[120:121], v120
	v_lshl_add_u64 v[122:123], v[136:137], 3, v[152:153]
	global_store_dwordx2 v[122:123], v[120:121], off
	v_add_u32_e32 v122, 8, v205
	v_mad_i64_i32 v[120:121], s[2:3], v122, s5, 0
	v_mad_i64_i32 v[122:123], s[2:3], v122, s4, 0
	v_lshl_add_u64 v[120:121], v[120:121], 3, s[0:1]
	s_mov_b64 s[2:3], -1
	v_max_f32_e32 v125, v124, v124
	s_mov_b64 vcc, s[8:9]
	s_cbranch_vccz .LBB158_65
; %bb.64:
	v_min_f32_e32 v124, 0, v125
	v_cvt_f64_f32_e32 v[126:127], v124
	v_lshl_add_u64 v[152:153], v[134:135], 3, v[120:121]
	global_store_dwordx2 v[152:153], v[126:127], off
	s_mov_b64 s[2:3], 0
.LBB158_65:
	v_lshl_add_u64 v[122:123], v[122:123], 3, s[18:19]
	s_andn2_b64 vcc, exec, s[2:3]
	v_mov_b32_e32 v124, 0
	s_cbranch_vccnz .LBB158_67
; %bb.66:
	v_lshl_add_u64 v[126:127], v[122:123], 0, v[138:139]
	global_load_dwordx2 v[126:127], v[126:127], off
	v_lshl_add_u64 v[152:153], v[120:121], 0, v[138:139]
	s_waitcnt vmcnt(0)
	v_mul_f64 v[126:127], s[10:11], v[126:127]
	v_cvt_f32_f64_e32 v124, v[126:127]
	v_min_f32_e32 v124, v124, v125
	v_cvt_f64_f32_e32 v[124:125], v124
	global_store_dwordx2 v[152:153], v[124:125], off
	v_lshl_add_u64 v[124:125], v[128:129], 3, v[122:123]
	global_load_dwordx2 v[124:125], v[124:125], off
	s_waitcnt vmcnt(0)
	v_mul_f64 v[124:125], s[10:11], v[124:125]
	v_cvt_f32_f64_e32 v124, v[124:125]
.LBB158_67:
	v_add_f64 v[126:127], v[62:63], v[118:119]
	v_add_f64 v[152:153], v[60:61], v[116:117]
	v_cvt_f32_f64_e32 v125, v[152:153]
	v_cvt_f32_f64_e32 v126, v[126:127]
	v_min3_f32 v125, v125, v126, v213
	v_add_f64 v[126:127], v[58:59], v[118:119]
	v_add_f64 v[152:153], v[56:57], v[116:117]
	v_cvt_f32_f64_e32 v152, v[152:153]
	v_cvt_f32_f64_e32 v126, v[126:127]
	v_min3_f32 v154, v152, v126, v212
	v_add_f64 v[126:127], v[54:55], v[114:115]
	v_add_f64 v[152:153], v[52:53], v[112:113]
	v_cvt_f32_f64_e32 v152, v[152:153]
	v_cvt_f32_f64_e32 v126, v[126:127]
	v_min_f32_e32 v155, v152, v126
	v_add_f64 v[126:127], v[50:51], v[114:115]
	v_add_f64 v[152:153], v[48:49], v[112:113]
	v_cvt_f32_f64_e32 v152, v[152:153]
	v_cvt_f32_f64_e32 v126, v[126:127]
	v_min3_f32 v124, v124, v155, v125
	v_min3_f32 v152, v152, v126, v154
	v_cvt_f64_f32_e32 v[124:125], v124
	v_lshl_add_u64 v[126:127], v[128:129], 3, v[120:121]
	global_store_dwordx2 v[126:127], v[124:125], off
	s_mov_b64 s[2:3], -1
	v_max_f32_e32 v125, v152, v152
	s_mov_b64 vcc, s[8:9]
	s_cbranch_vccz .LBB158_69
; %bb.68:
	v_min_f32_e32 v124, 0, v125
	v_cvt_f64_f32_e32 v[126:127], v124
	v_lshl_add_u64 v[152:153], v[140:141], 3, v[120:121]
	global_store_dwordx2 v[152:153], v[126:127], off
	s_mov_b64 s[2:3], 0
.LBB158_69:
	s_andn2_b64 vcc, exec, s[2:3]
	v_mov_b32_e32 v124, 0
	s_cbranch_vccnz .LBB158_71
; %bb.70:
	v_lshl_add_u64 v[126:127], v[122:123], 0, v[144:145]
	global_load_dwordx2 v[126:127], v[126:127], off
	v_lshl_add_u64 v[152:153], v[120:121], 0, v[144:145]
	s_waitcnt vmcnt(0)
	v_mul_f64 v[126:127], s[10:11], v[126:127]
	v_cvt_f32_f64_e32 v124, v[126:127]
	v_min_f32_e32 v124, v124, v125
	v_cvt_f64_f32_e32 v[124:125], v124
	global_store_dwordx2 v[152:153], v[124:125], off
	v_lshl_add_u64 v[124:125], v[130:131], 3, v[122:123]
	global_load_dwordx2 v[124:125], v[124:125], off
	s_waitcnt vmcnt(0)
	v_mul_f64 v[124:125], s[10:11], v[124:125]
	v_cvt_f32_f64_e32 v124, v[124:125]
.LBB158_71:
	v_add_f64 v[126:127], v[42:43], v[118:119]
	v_add_f64 v[152:153], v[40:41], v[116:117]
	v_cvt_f32_f64_e32 v125, v[152:153]
	v_cvt_f32_f64_e32 v126, v[126:127]
	v_min3_f32 v125, v125, v126, v211
	v_add_f64 v[126:127], v[46:47], v[118:119]
	v_add_f64 v[152:153], v[44:45], v[116:117]
	v_cvt_f32_f64_e32 v152, v[152:153]
	v_cvt_f32_f64_e32 v126, v[126:127]
	v_min3_f32 v154, v152, v126, v210
	v_add_f64 v[126:127], v[38:39], v[114:115]
	v_add_f64 v[152:153], v[36:37], v[112:113]
	v_cvt_f32_f64_e32 v152, v[152:153]
	v_cvt_f32_f64_e32 v126, v[126:127]
	v_min_f32_e32 v155, v152, v126
	v_add_f64 v[126:127], v[34:35], v[114:115]
	v_add_f64 v[152:153], v[32:33], v[112:113]
	v_cvt_f32_f64_e32 v152, v[152:153]
	v_cvt_f32_f64_e32 v126, v[126:127]
	v_min3_f32 v124, v124, v155, v125
	v_min3_f32 v152, v152, v126, v154
	v_cvt_f64_f32_e32 v[124:125], v124
	v_lshl_add_u64 v[126:127], v[130:131], 3, v[120:121]
	global_store_dwordx2 v[126:127], v[124:125], off
	s_mov_b64 s[2:3], -1
	v_max_f32_e32 v125, v152, v152
	s_mov_b64 vcc, s[8:9]
	s_cbranch_vccz .LBB158_73
; %bb.72:
	v_min_f32_e32 v124, 0, v125
	v_cvt_f64_f32_e32 v[126:127], v124
	v_lshl_add_u64 v[152:153], v[142:143], 3, v[120:121]
	global_store_dwordx2 v[152:153], v[126:127], off
	s_mov_b64 s[2:3], 0
.LBB158_73:
	;; [unrolled: 54-line block ×3, first 2 shown]
	s_andn2_b64 vcc, exec, s[2:3]
	v_mov_b32_e32 v124, 0
	s_cbranch_vccnz .LBB158_79
; %bb.78:
	v_lshl_add_u64 v[126:127], v[122:123], 0, v[150:151]
	global_load_dwordx2 v[126:127], v[126:127], off
	v_lshl_add_u64 v[152:153], v[120:121], 0, v[150:151]
	v_lshl_add_u64 v[122:123], v[136:137], 3, v[122:123]
	s_waitcnt vmcnt(0)
	v_mul_f64 v[126:127], s[10:11], v[126:127]
	v_cvt_f32_f64_e32 v124, v[126:127]
	v_min_f32_e32 v124, v124, v125
	v_cvt_f64_f32_e32 v[124:125], v124
	global_store_dwordx2 v[152:153], v[124:125], off
	global_load_dwordx2 v[122:123], v[122:123], off
	s_waitcnt vmcnt(0)
	v_mul_f64 v[122:123], s[10:11], v[122:123]
	v_cvt_f32_f64_e32 v124, v[122:123]
.LBB158_79:
	v_add_f64 v[118:119], v[2:3], v[118:119]
	v_add_f64 v[116:117], v[0:1], v[116:117]
	v_cvt_f32_f64_e32 v116, v[116:117]
	v_cvt_f32_f64_e32 v117, v[118:119]
	v_add_f64 v[114:115], v[10:11], v[114:115]
	v_add_f64 v[112:113], v[8:9], v[112:113]
	v_min3_f32 v122, v116, v117, v207
	s_waitcnt lgkmcnt(11)
	v_add_f64 v[116:117], v[70:71], v[110:111]
	v_add_f64 v[118:119], v[68:69], v[108:109]
	v_cvt_f32_f64_e32 v112, v[112:113]
	v_cvt_f32_f64_e32 v113, v[114:115]
	;; [unrolled: 1-line block ×4, first 2 shown]
	v_min_f32_e32 v117, v112, v113
	s_waitcnt lgkmcnt(10)
	v_add_f64 v[112:113], v[66:67], v[106:107]
	v_add_f64 v[114:115], v[64:65], v[104:105]
	v_min3_f32 v116, v118, v116, v206
	v_cvt_f32_f64_e32 v114, v[114:115]
	v_cvt_f32_f64_e32 v112, v[112:113]
	v_min3_f32 v116, v114, v112, v116
	v_min3_f32 v112, v124, v117, v122
	v_cvt_f64_f32_e32 v[112:113], v112
	v_lshl_add_u64 v[114:115], v[136:137], 3, v[120:121]
	global_store_dwordx2 v[114:115], v[112:113], off
	v_add_u32_e32 v114, 16, v205
	v_mad_i64_i32 v[112:113], s[2:3], v114, s5, 0
	v_mad_i64_i32 v[114:115], s[2:3], v114, s4, 0
	v_lshl_add_u64 v[112:113], v[112:113], 3, s[0:1]
	s_mov_b64 s[2:3], -1
	v_max_f32_e32 v117, v116, v116
	s_mov_b64 vcc, s[8:9]
	s_cbranch_vccz .LBB158_81
; %bb.80:
	v_min_f32_e32 v116, 0, v117
	v_cvt_f64_f32_e32 v[118:119], v116
	v_lshl_add_u64 v[120:121], v[134:135], 3, v[112:113]
	global_store_dwordx2 v[120:121], v[118:119], off
	s_mov_b64 s[2:3], 0
.LBB158_81:
	v_lshl_add_u64 v[114:115], v[114:115], 3, s[18:19]
	s_andn2_b64 vcc, exec, s[2:3]
	v_mov_b32_e32 v116, 0
	s_cbranch_vccnz .LBB158_83
; %bb.82:
	v_lshl_add_u64 v[118:119], v[114:115], 0, v[138:139]
	global_load_dwordx2 v[118:119], v[118:119], off
	v_lshl_add_u64 v[120:121], v[112:113], 0, v[138:139]
	s_waitcnt vmcnt(0)
	v_mul_f64 v[118:119], s[10:11], v[118:119]
	v_cvt_f32_f64_e32 v116, v[118:119]
	v_min_f32_e32 v116, v116, v117
	v_cvt_f64_f32_e32 v[116:117], v116
	global_store_dwordx2 v[120:121], v[116:117], off
	v_lshl_add_u64 v[116:117], v[128:129], 3, v[114:115]
	global_load_dwordx2 v[116:117], v[116:117], off
	s_waitcnt vmcnt(0)
	v_mul_f64 v[116:117], s[10:11], v[116:117]
	v_cvt_f32_f64_e32 v116, v[116:117]
.LBB158_83:
	v_add_f64 v[118:119], v[62:63], v[110:111]
	v_add_f64 v[120:121], v[60:61], v[108:109]
	v_cvt_f32_f64_e32 v117, v[120:121]
	v_cvt_f32_f64_e32 v118, v[118:119]
	v_min3_f32 v117, v117, v118, v204
	v_add_f64 v[118:119], v[58:59], v[110:111]
	v_add_f64 v[120:121], v[56:57], v[108:109]
	v_cvt_f32_f64_e32 v120, v[120:121]
	v_cvt_f32_f64_e32 v118, v[118:119]
	v_min3_f32 v122, v120, v118, v203
	v_add_f64 v[118:119], v[54:55], v[106:107]
	v_add_f64 v[120:121], v[52:53], v[104:105]
	v_cvt_f32_f64_e32 v120, v[120:121]
	v_cvt_f32_f64_e32 v118, v[118:119]
	v_min_f32_e32 v123, v120, v118
	v_add_f64 v[118:119], v[50:51], v[106:107]
	v_add_f64 v[120:121], v[48:49], v[104:105]
	v_cvt_f32_f64_e32 v120, v[120:121]
	v_cvt_f32_f64_e32 v118, v[118:119]
	v_min3_f32 v116, v116, v123, v117
	v_min3_f32 v120, v120, v118, v122
	v_cvt_f64_f32_e32 v[116:117], v116
	v_lshl_add_u64 v[118:119], v[128:129], 3, v[112:113]
	global_store_dwordx2 v[118:119], v[116:117], off
	s_mov_b64 s[2:3], -1
	v_max_f32_e32 v117, v120, v120
	s_mov_b64 vcc, s[8:9]
	s_cbranch_vccz .LBB158_85
; %bb.84:
	v_min_f32_e32 v116, 0, v117
	v_cvt_f64_f32_e32 v[118:119], v116
	v_lshl_add_u64 v[120:121], v[140:141], 3, v[112:113]
	global_store_dwordx2 v[120:121], v[118:119], off
	s_mov_b64 s[2:3], 0
.LBB158_85:
	s_andn2_b64 vcc, exec, s[2:3]
	v_mov_b32_e32 v116, 0
	s_cbranch_vccnz .LBB158_87
; %bb.86:
	v_lshl_add_u64 v[118:119], v[114:115], 0, v[144:145]
	global_load_dwordx2 v[118:119], v[118:119], off
	v_lshl_add_u64 v[120:121], v[112:113], 0, v[144:145]
	s_waitcnt vmcnt(0)
	v_mul_f64 v[118:119], s[10:11], v[118:119]
	v_cvt_f32_f64_e32 v116, v[118:119]
	v_min_f32_e32 v116, v116, v117
	v_cvt_f64_f32_e32 v[116:117], v116
	global_store_dwordx2 v[120:121], v[116:117], off
	v_lshl_add_u64 v[116:117], v[130:131], 3, v[114:115]
	global_load_dwordx2 v[116:117], v[116:117], off
	s_waitcnt vmcnt(0)
	v_mul_f64 v[116:117], s[10:11], v[116:117]
	v_cvt_f32_f64_e32 v116, v[116:117]
.LBB158_87:
	v_add_f64 v[118:119], v[42:43], v[110:111]
	v_add_f64 v[120:121], v[40:41], v[108:109]
	v_cvt_f32_f64_e32 v117, v[120:121]
	v_cvt_f32_f64_e32 v118, v[118:119]
	v_min3_f32 v117, v117, v118, v202
	v_add_f64 v[118:119], v[46:47], v[110:111]
	v_add_f64 v[120:121], v[44:45], v[108:109]
	v_cvt_f32_f64_e32 v120, v[120:121]
	v_cvt_f32_f64_e32 v118, v[118:119]
	v_min3_f32 v122, v120, v118, v201
	v_add_f64 v[118:119], v[38:39], v[106:107]
	v_add_f64 v[120:121], v[36:37], v[104:105]
	v_cvt_f32_f64_e32 v120, v[120:121]
	v_cvt_f32_f64_e32 v118, v[118:119]
	v_min_f32_e32 v123, v120, v118
	v_add_f64 v[118:119], v[34:35], v[106:107]
	v_add_f64 v[120:121], v[32:33], v[104:105]
	v_cvt_f32_f64_e32 v120, v[120:121]
	v_cvt_f32_f64_e32 v118, v[118:119]
	v_min3_f32 v116, v116, v123, v117
	v_min3_f32 v120, v120, v118, v122
	v_cvt_f64_f32_e32 v[116:117], v116
	v_lshl_add_u64 v[118:119], v[130:131], 3, v[112:113]
	global_store_dwordx2 v[118:119], v[116:117], off
	s_mov_b64 s[2:3], -1
	v_max_f32_e32 v117, v120, v120
	s_mov_b64 vcc, s[8:9]
	s_cbranch_vccz .LBB158_89
; %bb.88:
	v_min_f32_e32 v116, 0, v117
	v_cvt_f64_f32_e32 v[118:119], v116
	v_lshl_add_u64 v[120:121], v[142:143], 3, v[112:113]
	global_store_dwordx2 v[120:121], v[118:119], off
	s_mov_b64 s[2:3], 0
.LBB158_89:
	;; [unrolled: 54-line block ×3, first 2 shown]
	s_andn2_b64 vcc, exec, s[2:3]
	v_mov_b32_e32 v116, 0
	s_cbranch_vccnz .LBB158_95
; %bb.94:
	v_lshl_add_u64 v[118:119], v[114:115], 0, v[150:151]
	global_load_dwordx2 v[118:119], v[118:119], off
	v_lshl_add_u64 v[120:121], v[112:113], 0, v[150:151]
	v_lshl_add_u64 v[114:115], v[136:137], 3, v[114:115]
	s_waitcnt vmcnt(0)
	v_mul_f64 v[118:119], s[10:11], v[118:119]
	v_cvt_f32_f64_e32 v116, v[118:119]
	v_min_f32_e32 v116, v116, v117
	v_cvt_f64_f32_e32 v[116:117], v116
	global_store_dwordx2 v[120:121], v[116:117], off
	global_load_dwordx2 v[114:115], v[114:115], off
	s_waitcnt vmcnt(0)
	v_mul_f64 v[114:115], s[10:11], v[114:115]
	v_cvt_f32_f64_e32 v116, v[114:115]
.LBB158_95:
	v_add_f64 v[110:111], v[2:3], v[110:111]
	v_add_f64 v[108:109], v[0:1], v[108:109]
	v_cvt_f32_f64_e32 v108, v[108:109]
	v_cvt_f32_f64_e32 v109, v[110:111]
	v_add_f64 v[106:107], v[10:11], v[106:107]
	v_add_f64 v[104:105], v[8:9], v[104:105]
	v_min3_f32 v114, v108, v109, v198
	s_waitcnt lgkmcnt(9)
	v_add_f64 v[108:109], v[70:71], v[102:103]
	v_add_f64 v[110:111], v[68:69], v[100:101]
	v_cvt_f32_f64_e32 v104, v[104:105]
	v_cvt_f32_f64_e32 v105, v[106:107]
	;; [unrolled: 1-line block ×4, first 2 shown]
	v_min_f32_e32 v109, v104, v105
	s_waitcnt lgkmcnt(8)
	v_add_f64 v[104:105], v[66:67], v[98:99]
	v_add_f64 v[106:107], v[64:65], v[96:97]
	v_min3_f32 v108, v110, v108, v197
	v_cvt_f32_f64_e32 v106, v[106:107]
	v_cvt_f32_f64_e32 v104, v[104:105]
	v_min3_f32 v108, v106, v104, v108
	v_min3_f32 v104, v116, v109, v114
	v_cvt_f64_f32_e32 v[104:105], v104
	v_lshl_add_u64 v[106:107], v[136:137], 3, v[112:113]
	global_store_dwordx2 v[106:107], v[104:105], off
	v_add_u32_e32 v106, 24, v205
	v_mad_i64_i32 v[104:105], s[2:3], v106, s5, 0
	v_mad_i64_i32 v[106:107], s[2:3], v106, s4, 0
	v_lshl_add_u64 v[104:105], v[104:105], 3, s[0:1]
	s_mov_b64 s[2:3], -1
	v_max_f32_e32 v109, v108, v108
	s_mov_b64 vcc, s[8:9]
	s_cbranch_vccz .LBB158_97
; %bb.96:
	v_min_f32_e32 v108, 0, v109
	v_cvt_f64_f32_e32 v[110:111], v108
	v_lshl_add_u64 v[112:113], v[134:135], 3, v[104:105]
	global_store_dwordx2 v[112:113], v[110:111], off
	s_mov_b64 s[2:3], 0
.LBB158_97:
	v_lshl_add_u64 v[106:107], v[106:107], 3, s[18:19]
	s_andn2_b64 vcc, exec, s[2:3]
	v_mov_b32_e32 v108, 0
	s_cbranch_vccnz .LBB158_99
; %bb.98:
	v_lshl_add_u64 v[110:111], v[106:107], 0, v[138:139]
	global_load_dwordx2 v[110:111], v[110:111], off
	v_lshl_add_u64 v[112:113], v[104:105], 0, v[138:139]
	s_waitcnt vmcnt(0)
	v_mul_f64 v[110:111], s[10:11], v[110:111]
	v_cvt_f32_f64_e32 v108, v[110:111]
	v_min_f32_e32 v108, v108, v109
	v_cvt_f64_f32_e32 v[108:109], v108
	global_store_dwordx2 v[112:113], v[108:109], off
	v_lshl_add_u64 v[108:109], v[128:129], 3, v[106:107]
	global_load_dwordx2 v[108:109], v[108:109], off
	s_waitcnt vmcnt(0)
	v_mul_f64 v[108:109], s[10:11], v[108:109]
	v_cvt_f32_f64_e32 v108, v[108:109]
.LBB158_99:
	v_add_f64 v[110:111], v[62:63], v[102:103]
	v_add_f64 v[112:113], v[60:61], v[100:101]
	v_cvt_f32_f64_e32 v109, v[112:113]
	v_cvt_f32_f64_e32 v110, v[110:111]
	v_min3_f32 v109, v109, v110, v196
	v_add_f64 v[110:111], v[58:59], v[102:103]
	v_add_f64 v[112:113], v[56:57], v[100:101]
	v_cvt_f32_f64_e32 v112, v[112:113]
	v_cvt_f32_f64_e32 v110, v[110:111]
	v_min3_f32 v114, v112, v110, v195
	v_add_f64 v[110:111], v[54:55], v[98:99]
	v_add_f64 v[112:113], v[52:53], v[96:97]
	v_cvt_f32_f64_e32 v112, v[112:113]
	v_cvt_f32_f64_e32 v110, v[110:111]
	v_min_f32_e32 v115, v112, v110
	v_add_f64 v[110:111], v[50:51], v[98:99]
	v_add_f64 v[112:113], v[48:49], v[96:97]
	v_cvt_f32_f64_e32 v112, v[112:113]
	v_cvt_f32_f64_e32 v110, v[110:111]
	v_min3_f32 v108, v108, v115, v109
	v_min3_f32 v112, v112, v110, v114
	v_cvt_f64_f32_e32 v[108:109], v108
	v_lshl_add_u64 v[110:111], v[128:129], 3, v[104:105]
	global_store_dwordx2 v[110:111], v[108:109], off
	s_mov_b64 s[2:3], -1
	v_max_f32_e32 v109, v112, v112
	s_mov_b64 vcc, s[8:9]
	s_cbranch_vccz .LBB158_101
; %bb.100:
	v_min_f32_e32 v108, 0, v109
	v_cvt_f64_f32_e32 v[110:111], v108
	v_lshl_add_u64 v[112:113], v[140:141], 3, v[104:105]
	global_store_dwordx2 v[112:113], v[110:111], off
	s_mov_b64 s[2:3], 0
.LBB158_101:
	s_andn2_b64 vcc, exec, s[2:3]
	v_mov_b32_e32 v108, 0
	s_cbranch_vccnz .LBB158_103
; %bb.102:
	v_lshl_add_u64 v[110:111], v[106:107], 0, v[144:145]
	global_load_dwordx2 v[110:111], v[110:111], off
	v_lshl_add_u64 v[112:113], v[104:105], 0, v[144:145]
	s_waitcnt vmcnt(0)
	v_mul_f64 v[110:111], s[10:11], v[110:111]
	v_cvt_f32_f64_e32 v108, v[110:111]
	v_min_f32_e32 v108, v108, v109
	v_cvt_f64_f32_e32 v[108:109], v108
	global_store_dwordx2 v[112:113], v[108:109], off
	v_lshl_add_u64 v[108:109], v[130:131], 3, v[106:107]
	global_load_dwordx2 v[108:109], v[108:109], off
	s_waitcnt vmcnt(0)
	v_mul_f64 v[108:109], s[10:11], v[108:109]
	v_cvt_f32_f64_e32 v108, v[108:109]
.LBB158_103:
	v_add_f64 v[110:111], v[42:43], v[102:103]
	v_add_f64 v[112:113], v[40:41], v[100:101]
	v_cvt_f32_f64_e32 v109, v[112:113]
	v_cvt_f32_f64_e32 v110, v[110:111]
	v_min3_f32 v109, v109, v110, v194
	v_add_f64 v[110:111], v[46:47], v[102:103]
	v_add_f64 v[112:113], v[44:45], v[100:101]
	v_cvt_f32_f64_e32 v112, v[112:113]
	v_cvt_f32_f64_e32 v110, v[110:111]
	v_min3_f32 v114, v112, v110, v193
	v_add_f64 v[110:111], v[38:39], v[98:99]
	v_add_f64 v[112:113], v[36:37], v[96:97]
	v_cvt_f32_f64_e32 v112, v[112:113]
	v_cvt_f32_f64_e32 v110, v[110:111]
	v_min_f32_e32 v115, v112, v110
	v_add_f64 v[110:111], v[34:35], v[98:99]
	v_add_f64 v[112:113], v[32:33], v[96:97]
	v_cvt_f32_f64_e32 v112, v[112:113]
	v_cvt_f32_f64_e32 v110, v[110:111]
	v_min3_f32 v108, v108, v115, v109
	v_min3_f32 v112, v112, v110, v114
	v_cvt_f64_f32_e32 v[108:109], v108
	v_lshl_add_u64 v[110:111], v[130:131], 3, v[104:105]
	global_store_dwordx2 v[110:111], v[108:109], off
	s_mov_b64 s[2:3], -1
	v_max_f32_e32 v109, v112, v112
	s_mov_b64 vcc, s[8:9]
	s_cbranch_vccz .LBB158_105
; %bb.104:
	v_min_f32_e32 v108, 0, v109
	v_cvt_f64_f32_e32 v[110:111], v108
	v_lshl_add_u64 v[112:113], v[142:143], 3, v[104:105]
	global_store_dwordx2 v[112:113], v[110:111], off
	s_mov_b64 s[2:3], 0
.LBB158_105:
	s_andn2_b64 vcc, exec, s[2:3]
	v_mov_b32_e32 v108, 0
	s_cbranch_vccnz .LBB158_107
; %bb.106:
	v_lshl_add_u64 v[110:111], v[106:107], 0, v[148:149]
	global_load_dwordx2 v[110:111], v[110:111], off
	v_lshl_add_u64 v[112:113], v[104:105], 0, v[148:149]
	s_waitcnt vmcnt(0)
	v_mul_f64 v[110:111], s[10:11], v[110:111]
	v_cvt_f32_f64_e32 v108, v[110:111]
	v_min_f32_e32 v108, v108, v109
	v_cvt_f64_f32_e32 v[108:109], v108
	global_store_dwordx2 v[112:113], v[108:109], off
	v_lshl_add_u64 v[108:109], v[132:133], 3, v[106:107]
	global_load_dwordx2 v[108:109], v[108:109], off
	s_waitcnt vmcnt(0)
	v_mul_f64 v[108:109], s[10:11], v[108:109]
	v_cvt_f32_f64_e32 v108, v[108:109]
.LBB158_107:
	v_add_f64 v[110:111], v[30:31], v[102:103]
	v_add_f64 v[112:113], v[28:29], v[100:101]
	v_cvt_f32_f64_e32 v109, v[112:113]
	v_cvt_f32_f64_e32 v110, v[110:111]
	v_min3_f32 v109, v109, v110, v192
	v_add_f64 v[110:111], v[26:27], v[102:103]
	v_add_f64 v[112:113], v[24:25], v[100:101]
	v_cvt_f32_f64_e32 v112, v[112:113]
	v_cvt_f32_f64_e32 v110, v[110:111]
	v_min3_f32 v114, v112, v110, v191
	v_add_f64 v[110:111], v[22:23], v[98:99]
	v_add_f64 v[112:113], v[20:21], v[96:97]
	v_cvt_f32_f64_e32 v112, v[112:113]
	v_cvt_f32_f64_e32 v110, v[110:111]
	v_min_f32_e32 v115, v112, v110
	v_add_f64 v[110:111], v[18:19], v[98:99]
	v_add_f64 v[112:113], v[16:17], v[96:97]
	v_cvt_f32_f64_e32 v112, v[112:113]
	v_cvt_f32_f64_e32 v110, v[110:111]
	v_min3_f32 v108, v108, v115, v109
	v_min3_f32 v112, v112, v110, v114
	v_cvt_f64_f32_e32 v[108:109], v108
	v_lshl_add_u64 v[110:111], v[132:133], 3, v[104:105]
	global_store_dwordx2 v[110:111], v[108:109], off
	s_mov_b64 s[2:3], -1
	v_max_f32_e32 v109, v112, v112
	s_mov_b64 vcc, s[8:9]
	s_cbranch_vccz .LBB158_109
; %bb.108:
	v_min_f32_e32 v108, 0, v109
	v_cvt_f64_f32_e32 v[110:111], v108
	v_lshl_add_u64 v[112:113], v[146:147], 3, v[104:105]
	global_store_dwordx2 v[112:113], v[110:111], off
	s_mov_b64 s[2:3], 0
.LBB158_109:
	s_andn2_b64 vcc, exec, s[2:3]
	v_mov_b32_e32 v108, 0
	s_cbranch_vccnz .LBB158_111
; %bb.110:
	v_lshl_add_u64 v[110:111], v[106:107], 0, v[150:151]
	global_load_dwordx2 v[110:111], v[110:111], off
	v_lshl_add_u64 v[112:113], v[104:105], 0, v[150:151]
	v_lshl_add_u64 v[106:107], v[136:137], 3, v[106:107]
	s_waitcnt vmcnt(0)
	v_mul_f64 v[110:111], s[10:11], v[110:111]
	v_cvt_f32_f64_e32 v108, v[110:111]
	v_min_f32_e32 v108, v108, v109
	v_cvt_f64_f32_e32 v[108:109], v108
	global_store_dwordx2 v[112:113], v[108:109], off
	global_load_dwordx2 v[106:107], v[106:107], off
	s_waitcnt vmcnt(0)
	v_mul_f64 v[106:107], s[10:11], v[106:107]
	v_cvt_f32_f64_e32 v108, v[106:107]
.LBB158_111:
	v_add_f64 v[102:103], v[2:3], v[102:103]
	v_add_f64 v[100:101], v[0:1], v[100:101]
	v_cvt_f32_f64_e32 v100, v[100:101]
	v_cvt_f32_f64_e32 v101, v[102:103]
	v_add_f64 v[98:99], v[10:11], v[98:99]
	v_add_f64 v[96:97], v[8:9], v[96:97]
	v_min3_f32 v106, v100, v101, v190
	s_waitcnt lgkmcnt(7)
	v_add_f64 v[100:101], v[70:71], v[94:95]
	v_add_f64 v[102:103], v[68:69], v[92:93]
	v_cvt_f32_f64_e32 v96, v[96:97]
	v_cvt_f32_f64_e32 v97, v[98:99]
	;; [unrolled: 1-line block ×4, first 2 shown]
	v_min_f32_e32 v101, v96, v97
	s_waitcnt lgkmcnt(6)
	v_add_f64 v[96:97], v[66:67], v[90:91]
	v_add_f64 v[98:99], v[64:65], v[88:89]
	v_min3_f32 v100, v102, v100, v189
	v_cvt_f32_f64_e32 v98, v[98:99]
	v_cvt_f32_f64_e32 v96, v[96:97]
	v_min3_f32 v100, v98, v96, v100
	v_min3_f32 v96, v108, v101, v106
	v_cvt_f64_f32_e32 v[96:97], v96
	v_lshl_add_u64 v[98:99], v[136:137], 3, v[104:105]
	global_store_dwordx2 v[98:99], v[96:97], off
	v_add_u32_e32 v98, 32, v205
	v_mad_i64_i32 v[96:97], s[2:3], v98, s5, 0
	v_mad_i64_i32 v[98:99], s[2:3], v98, s4, 0
	v_lshl_add_u64 v[96:97], v[96:97], 3, s[0:1]
	s_mov_b64 s[2:3], -1
	v_max_f32_e32 v101, v100, v100
	s_mov_b64 vcc, s[8:9]
	s_cbranch_vccz .LBB158_113
; %bb.112:
	v_min_f32_e32 v100, 0, v101
	v_cvt_f64_f32_e32 v[102:103], v100
	v_lshl_add_u64 v[104:105], v[134:135], 3, v[96:97]
	global_store_dwordx2 v[104:105], v[102:103], off
	s_mov_b64 s[2:3], 0
.LBB158_113:
	v_lshl_add_u64 v[98:99], v[98:99], 3, s[18:19]
	s_andn2_b64 vcc, exec, s[2:3]
	v_mov_b32_e32 v100, 0
	s_cbranch_vccnz .LBB158_115
; %bb.114:
	v_lshl_add_u64 v[102:103], v[98:99], 0, v[138:139]
	global_load_dwordx2 v[102:103], v[102:103], off
	v_lshl_add_u64 v[104:105], v[96:97], 0, v[138:139]
	s_waitcnt vmcnt(0)
	v_mul_f64 v[102:103], s[10:11], v[102:103]
	v_cvt_f32_f64_e32 v100, v[102:103]
	v_min_f32_e32 v100, v100, v101
	v_cvt_f64_f32_e32 v[100:101], v100
	global_store_dwordx2 v[104:105], v[100:101], off
	v_lshl_add_u64 v[100:101], v[128:129], 3, v[98:99]
	global_load_dwordx2 v[100:101], v[100:101], off
	s_waitcnt vmcnt(0)
	v_mul_f64 v[100:101], s[10:11], v[100:101]
	v_cvt_f32_f64_e32 v100, v[100:101]
.LBB158_115:
	v_add_f64 v[102:103], v[62:63], v[94:95]
	v_add_f64 v[104:105], v[60:61], v[92:93]
	v_cvt_f32_f64_e32 v101, v[104:105]
	v_cvt_f32_f64_e32 v102, v[102:103]
	v_min3_f32 v101, v101, v102, v188
	v_add_f64 v[102:103], v[58:59], v[94:95]
	v_add_f64 v[104:105], v[56:57], v[92:93]
	v_cvt_f32_f64_e32 v104, v[104:105]
	v_cvt_f32_f64_e32 v102, v[102:103]
	v_min3_f32 v106, v104, v102, v187
	v_add_f64 v[102:103], v[54:55], v[90:91]
	v_add_f64 v[104:105], v[52:53], v[88:89]
	v_cvt_f32_f64_e32 v104, v[104:105]
	v_cvt_f32_f64_e32 v102, v[102:103]
	v_min_f32_e32 v107, v104, v102
	v_add_f64 v[102:103], v[50:51], v[90:91]
	v_add_f64 v[104:105], v[48:49], v[88:89]
	v_cvt_f32_f64_e32 v104, v[104:105]
	v_cvt_f32_f64_e32 v102, v[102:103]
	v_min3_f32 v100, v100, v107, v101
	v_min3_f32 v104, v104, v102, v106
	v_cvt_f64_f32_e32 v[100:101], v100
	v_lshl_add_u64 v[102:103], v[128:129], 3, v[96:97]
	global_store_dwordx2 v[102:103], v[100:101], off
	s_mov_b64 s[2:3], -1
	v_max_f32_e32 v101, v104, v104
	s_mov_b64 vcc, s[8:9]
	s_cbranch_vccz .LBB158_117
; %bb.116:
	v_min_f32_e32 v100, 0, v101
	v_cvt_f64_f32_e32 v[102:103], v100
	v_lshl_add_u64 v[104:105], v[140:141], 3, v[96:97]
	global_store_dwordx2 v[104:105], v[102:103], off
	s_mov_b64 s[2:3], 0
.LBB158_117:
	s_andn2_b64 vcc, exec, s[2:3]
	v_mov_b32_e32 v100, 0
	s_cbranch_vccnz .LBB158_119
; %bb.118:
	v_lshl_add_u64 v[102:103], v[98:99], 0, v[144:145]
	global_load_dwordx2 v[102:103], v[102:103], off
	v_lshl_add_u64 v[104:105], v[96:97], 0, v[144:145]
	s_waitcnt vmcnt(0)
	v_mul_f64 v[102:103], s[10:11], v[102:103]
	v_cvt_f32_f64_e32 v100, v[102:103]
	v_min_f32_e32 v100, v100, v101
	v_cvt_f64_f32_e32 v[100:101], v100
	global_store_dwordx2 v[104:105], v[100:101], off
	v_lshl_add_u64 v[100:101], v[130:131], 3, v[98:99]
	global_load_dwordx2 v[100:101], v[100:101], off
	s_waitcnt vmcnt(0)
	v_mul_f64 v[100:101], s[10:11], v[100:101]
	v_cvt_f32_f64_e32 v100, v[100:101]
.LBB158_119:
	v_add_f64 v[102:103], v[42:43], v[94:95]
	v_add_f64 v[104:105], v[40:41], v[92:93]
	v_cvt_f32_f64_e32 v101, v[104:105]
	v_cvt_f32_f64_e32 v102, v[102:103]
	v_min3_f32 v101, v101, v102, v186
	v_add_f64 v[102:103], v[46:47], v[94:95]
	v_add_f64 v[104:105], v[44:45], v[92:93]
	v_cvt_f32_f64_e32 v104, v[104:105]
	v_cvt_f32_f64_e32 v102, v[102:103]
	v_min3_f32 v106, v104, v102, v185
	v_add_f64 v[102:103], v[38:39], v[90:91]
	v_add_f64 v[104:105], v[36:37], v[88:89]
	v_cvt_f32_f64_e32 v104, v[104:105]
	v_cvt_f32_f64_e32 v102, v[102:103]
	v_min_f32_e32 v107, v104, v102
	v_add_f64 v[102:103], v[34:35], v[90:91]
	v_add_f64 v[104:105], v[32:33], v[88:89]
	v_cvt_f32_f64_e32 v104, v[104:105]
	v_cvt_f32_f64_e32 v102, v[102:103]
	v_min3_f32 v100, v100, v107, v101
	v_min3_f32 v104, v104, v102, v106
	v_cvt_f64_f32_e32 v[100:101], v100
	v_lshl_add_u64 v[102:103], v[130:131], 3, v[96:97]
	global_store_dwordx2 v[102:103], v[100:101], off
	s_mov_b64 s[2:3], -1
	v_max_f32_e32 v101, v104, v104
	s_mov_b64 vcc, s[8:9]
	s_cbranch_vccz .LBB158_121
; %bb.120:
	v_min_f32_e32 v100, 0, v101
	v_cvt_f64_f32_e32 v[102:103], v100
	v_lshl_add_u64 v[104:105], v[142:143], 3, v[96:97]
	global_store_dwordx2 v[104:105], v[102:103], off
	s_mov_b64 s[2:3], 0
.LBB158_121:
	;; [unrolled: 54-line block ×3, first 2 shown]
	s_andn2_b64 vcc, exec, s[2:3]
	v_mov_b32_e32 v100, 0
	s_cbranch_vccnz .LBB158_127
; %bb.126:
	v_lshl_add_u64 v[102:103], v[98:99], 0, v[150:151]
	global_load_dwordx2 v[102:103], v[102:103], off
	v_lshl_add_u64 v[104:105], v[96:97], 0, v[150:151]
	v_lshl_add_u64 v[98:99], v[136:137], 3, v[98:99]
	s_waitcnt vmcnt(0)
	v_mul_f64 v[102:103], s[10:11], v[102:103]
	v_cvt_f32_f64_e32 v100, v[102:103]
	v_min_f32_e32 v100, v100, v101
	v_cvt_f64_f32_e32 v[100:101], v100
	global_store_dwordx2 v[104:105], v[100:101], off
	global_load_dwordx2 v[98:99], v[98:99], off
	s_waitcnt vmcnt(0)
	v_mul_f64 v[98:99], s[10:11], v[98:99]
	v_cvt_f32_f64_e32 v100, v[98:99]
.LBB158_127:
	v_add_f64 v[94:95], v[2:3], v[94:95]
	v_add_f64 v[92:93], v[0:1], v[92:93]
	v_cvt_f32_f64_e32 v92, v[92:93]
	v_cvt_f32_f64_e32 v93, v[94:95]
	v_add_f64 v[90:91], v[10:11], v[90:91]
	v_add_f64 v[88:89], v[8:9], v[88:89]
	v_min3_f32 v98, v92, v93, v182
	s_waitcnt lgkmcnt(5)
	v_add_f64 v[92:93], v[70:71], v[86:87]
	v_add_f64 v[94:95], v[68:69], v[84:85]
	v_cvt_f32_f64_e32 v88, v[88:89]
	v_cvt_f32_f64_e32 v89, v[90:91]
	;; [unrolled: 1-line block ×4, first 2 shown]
	v_min_f32_e32 v93, v88, v89
	s_waitcnt lgkmcnt(4)
	v_add_f64 v[88:89], v[66:67], v[82:83]
	v_add_f64 v[90:91], v[64:65], v[80:81]
	v_min3_f32 v92, v94, v92, v181
	v_cvt_f32_f64_e32 v90, v[90:91]
	v_cvt_f32_f64_e32 v88, v[88:89]
	v_min3_f32 v92, v90, v88, v92
	v_min3_f32 v88, v100, v93, v98
	v_cvt_f64_f32_e32 v[88:89], v88
	v_lshl_add_u64 v[90:91], v[136:137], 3, v[96:97]
	global_store_dwordx2 v[90:91], v[88:89], off
	v_add_u32_e32 v90, 40, v205
	v_mad_i64_i32 v[88:89], s[2:3], v90, s5, 0
	v_mad_i64_i32 v[90:91], s[2:3], v90, s4, 0
	v_lshl_add_u64 v[88:89], v[88:89], 3, s[0:1]
	s_mov_b64 s[2:3], -1
	v_max_f32_e32 v93, v92, v92
	s_mov_b64 vcc, s[8:9]
	s_cbranch_vccz .LBB158_129
; %bb.128:
	v_min_f32_e32 v92, 0, v93
	v_cvt_f64_f32_e32 v[94:95], v92
	v_lshl_add_u64 v[96:97], v[134:135], 3, v[88:89]
	global_store_dwordx2 v[96:97], v[94:95], off
	s_mov_b64 s[2:3], 0
.LBB158_129:
	v_lshl_add_u64 v[90:91], v[90:91], 3, s[18:19]
	s_andn2_b64 vcc, exec, s[2:3]
	v_mov_b32_e32 v92, 0
	s_cbranch_vccnz .LBB158_131
; %bb.130:
	v_lshl_add_u64 v[94:95], v[90:91], 0, v[138:139]
	global_load_dwordx2 v[94:95], v[94:95], off
	v_lshl_add_u64 v[96:97], v[88:89], 0, v[138:139]
	s_waitcnt vmcnt(0)
	v_mul_f64 v[94:95], s[10:11], v[94:95]
	v_cvt_f32_f64_e32 v92, v[94:95]
	v_min_f32_e32 v92, v92, v93
	v_cvt_f64_f32_e32 v[92:93], v92
	global_store_dwordx2 v[96:97], v[92:93], off
	v_lshl_add_u64 v[92:93], v[128:129], 3, v[90:91]
	global_load_dwordx2 v[92:93], v[92:93], off
	s_waitcnt vmcnt(0)
	v_mul_f64 v[92:93], s[10:11], v[92:93]
	v_cvt_f32_f64_e32 v92, v[92:93]
.LBB158_131:
	v_add_f64 v[94:95], v[62:63], v[86:87]
	v_add_f64 v[96:97], v[60:61], v[84:85]
	v_cvt_f32_f64_e32 v93, v[96:97]
	v_cvt_f32_f64_e32 v94, v[94:95]
	v_min3_f32 v93, v93, v94, v180
	v_add_f64 v[94:95], v[58:59], v[86:87]
	v_add_f64 v[96:97], v[56:57], v[84:85]
	v_cvt_f32_f64_e32 v96, v[96:97]
	v_cvt_f32_f64_e32 v94, v[94:95]
	v_min3_f32 v98, v96, v94, v179
	v_add_f64 v[94:95], v[54:55], v[82:83]
	v_add_f64 v[96:97], v[52:53], v[80:81]
	v_cvt_f32_f64_e32 v96, v[96:97]
	v_cvt_f32_f64_e32 v94, v[94:95]
	v_min_f32_e32 v99, v96, v94
	v_add_f64 v[94:95], v[50:51], v[82:83]
	v_add_f64 v[96:97], v[48:49], v[80:81]
	v_cvt_f32_f64_e32 v96, v[96:97]
	v_cvt_f32_f64_e32 v94, v[94:95]
	v_min3_f32 v92, v92, v99, v93
	v_min3_f32 v96, v96, v94, v98
	v_cvt_f64_f32_e32 v[92:93], v92
	v_lshl_add_u64 v[94:95], v[128:129], 3, v[88:89]
	global_store_dwordx2 v[94:95], v[92:93], off
	s_mov_b64 s[2:3], -1
	v_max_f32_e32 v93, v96, v96
	s_mov_b64 vcc, s[8:9]
	s_cbranch_vccz .LBB158_133
; %bb.132:
	v_min_f32_e32 v92, 0, v93
	v_cvt_f64_f32_e32 v[94:95], v92
	v_lshl_add_u64 v[96:97], v[140:141], 3, v[88:89]
	global_store_dwordx2 v[96:97], v[94:95], off
	s_mov_b64 s[2:3], 0
.LBB158_133:
	s_andn2_b64 vcc, exec, s[2:3]
	v_mov_b32_e32 v92, 0
	s_cbranch_vccnz .LBB158_135
; %bb.134:
	v_lshl_add_u64 v[94:95], v[90:91], 0, v[144:145]
	global_load_dwordx2 v[94:95], v[94:95], off
	v_lshl_add_u64 v[96:97], v[88:89], 0, v[144:145]
	s_waitcnt vmcnt(0)
	v_mul_f64 v[94:95], s[10:11], v[94:95]
	v_cvt_f32_f64_e32 v92, v[94:95]
	v_min_f32_e32 v92, v92, v93
	v_cvt_f64_f32_e32 v[92:93], v92
	global_store_dwordx2 v[96:97], v[92:93], off
	v_lshl_add_u64 v[92:93], v[130:131], 3, v[90:91]
	global_load_dwordx2 v[92:93], v[92:93], off
	s_waitcnt vmcnt(0)
	v_mul_f64 v[92:93], s[10:11], v[92:93]
	v_cvt_f32_f64_e32 v92, v[92:93]
.LBB158_135:
	v_add_f64 v[94:95], v[42:43], v[86:87]
	v_add_f64 v[96:97], v[40:41], v[84:85]
	v_cvt_f32_f64_e32 v93, v[96:97]
	v_cvt_f32_f64_e32 v94, v[94:95]
	v_min3_f32 v93, v93, v94, v178
	v_add_f64 v[94:95], v[46:47], v[86:87]
	v_add_f64 v[96:97], v[44:45], v[84:85]
	v_cvt_f32_f64_e32 v96, v[96:97]
	v_cvt_f32_f64_e32 v94, v[94:95]
	v_min3_f32 v98, v96, v94, v177
	v_add_f64 v[94:95], v[38:39], v[82:83]
	v_add_f64 v[96:97], v[36:37], v[80:81]
	v_cvt_f32_f64_e32 v96, v[96:97]
	v_cvt_f32_f64_e32 v94, v[94:95]
	v_min_f32_e32 v99, v96, v94
	v_add_f64 v[94:95], v[34:35], v[82:83]
	v_add_f64 v[96:97], v[32:33], v[80:81]
	v_cvt_f32_f64_e32 v96, v[96:97]
	v_cvt_f32_f64_e32 v94, v[94:95]
	v_min3_f32 v92, v92, v99, v93
	v_min3_f32 v96, v96, v94, v98
	v_cvt_f64_f32_e32 v[92:93], v92
	v_lshl_add_u64 v[94:95], v[130:131], 3, v[88:89]
	global_store_dwordx2 v[94:95], v[92:93], off
	s_mov_b64 s[2:3], -1
	v_max_f32_e32 v93, v96, v96
	s_mov_b64 vcc, s[8:9]
	s_cbranch_vccz .LBB158_137
; %bb.136:
	v_min_f32_e32 v92, 0, v93
	v_cvt_f64_f32_e32 v[94:95], v92
	v_lshl_add_u64 v[96:97], v[142:143], 3, v[88:89]
	global_store_dwordx2 v[96:97], v[94:95], off
	s_mov_b64 s[2:3], 0
.LBB158_137:
	;; [unrolled: 54-line block ×3, first 2 shown]
	s_andn2_b64 vcc, exec, s[2:3]
	v_mov_b32_e32 v92, 0
	s_cbranch_vccnz .LBB158_143
; %bb.142:
	v_lshl_add_u64 v[94:95], v[90:91], 0, v[150:151]
	global_load_dwordx2 v[94:95], v[94:95], off
	v_lshl_add_u64 v[96:97], v[88:89], 0, v[150:151]
	v_lshl_add_u64 v[90:91], v[136:137], 3, v[90:91]
	s_waitcnt vmcnt(0)
	v_mul_f64 v[94:95], s[10:11], v[94:95]
	v_cvt_f32_f64_e32 v92, v[94:95]
	v_min_f32_e32 v92, v92, v93
	v_cvt_f64_f32_e32 v[92:93], v92
	global_store_dwordx2 v[96:97], v[92:93], off
	global_load_dwordx2 v[90:91], v[90:91], off
	s_waitcnt vmcnt(0)
	v_mul_f64 v[90:91], s[10:11], v[90:91]
	v_cvt_f32_f64_e32 v92, v[90:91]
.LBB158_143:
	v_add_f64 v[86:87], v[2:3], v[86:87]
	v_add_f64 v[84:85], v[0:1], v[84:85]
	v_cvt_f32_f64_e32 v84, v[84:85]
	v_cvt_f32_f64_e32 v85, v[86:87]
	v_add_f64 v[82:83], v[10:11], v[82:83]
	v_add_f64 v[80:81], v[8:9], v[80:81]
	v_min3_f32 v90, v84, v85, v174
	s_waitcnt lgkmcnt(3)
	v_add_f64 v[84:85], v[70:71], v[78:79]
	v_add_f64 v[86:87], v[68:69], v[76:77]
	v_cvt_f32_f64_e32 v80, v[80:81]
	v_cvt_f32_f64_e32 v81, v[82:83]
	;; [unrolled: 1-line block ×4, first 2 shown]
	v_min_f32_e32 v85, v80, v81
	s_waitcnt lgkmcnt(2)
	v_add_f64 v[80:81], v[66:67], v[74:75]
	v_add_f64 v[82:83], v[64:65], v[72:73]
	v_min3_f32 v84, v86, v84, v173
	v_cvt_f32_f64_e32 v82, v[82:83]
	v_cvt_f32_f64_e32 v80, v[80:81]
	v_min3_f32 v84, v82, v80, v84
	v_min3_f32 v80, v92, v85, v90
	v_cvt_f64_f32_e32 v[80:81], v80
	v_lshl_add_u64 v[82:83], v[136:137], 3, v[88:89]
	global_store_dwordx2 v[82:83], v[80:81], off
	v_add_u32_e32 v82, 48, v205
	v_mad_i64_i32 v[80:81], s[2:3], v82, s5, 0
	v_mad_i64_i32 v[82:83], s[2:3], v82, s4, 0
	v_lshl_add_u64 v[80:81], v[80:81], 3, s[0:1]
	s_mov_b64 s[2:3], -1
	v_max_f32_e32 v85, v84, v84
	s_mov_b64 vcc, s[8:9]
	s_cbranch_vccz .LBB158_145
; %bb.144:
	v_min_f32_e32 v84, 0, v85
	v_cvt_f64_f32_e32 v[86:87], v84
	v_lshl_add_u64 v[88:89], v[134:135], 3, v[80:81]
	global_store_dwordx2 v[88:89], v[86:87], off
	s_mov_b64 s[2:3], 0
.LBB158_145:
	v_lshl_add_u64 v[82:83], v[82:83], 3, s[18:19]
	s_andn2_b64 vcc, exec, s[2:3]
	v_mov_b32_e32 v84, 0
	s_cbranch_vccnz .LBB158_147
; %bb.146:
	v_lshl_add_u64 v[86:87], v[82:83], 0, v[138:139]
	global_load_dwordx2 v[86:87], v[86:87], off
	v_lshl_add_u64 v[88:89], v[80:81], 0, v[138:139]
	s_waitcnt vmcnt(0)
	v_mul_f64 v[86:87], s[10:11], v[86:87]
	v_cvt_f32_f64_e32 v84, v[86:87]
	v_min_f32_e32 v84, v84, v85
	v_cvt_f64_f32_e32 v[84:85], v84
	global_store_dwordx2 v[88:89], v[84:85], off
	v_lshl_add_u64 v[84:85], v[128:129], 3, v[82:83]
	global_load_dwordx2 v[84:85], v[84:85], off
	s_waitcnt vmcnt(0)
	v_mul_f64 v[84:85], s[10:11], v[84:85]
	v_cvt_f32_f64_e32 v84, v[84:85]
.LBB158_147:
	v_add_f64 v[86:87], v[62:63], v[78:79]
	v_add_f64 v[88:89], v[60:61], v[76:77]
	v_cvt_f32_f64_e32 v85, v[88:89]
	v_cvt_f32_f64_e32 v86, v[86:87]
	v_min3_f32 v85, v85, v86, v172
	v_add_f64 v[86:87], v[58:59], v[78:79]
	v_add_f64 v[88:89], v[56:57], v[76:77]
	v_cvt_f32_f64_e32 v88, v[88:89]
	v_cvt_f32_f64_e32 v86, v[86:87]
	v_min3_f32 v90, v88, v86, v171
	v_add_f64 v[86:87], v[54:55], v[74:75]
	v_add_f64 v[88:89], v[52:53], v[72:73]
	v_cvt_f32_f64_e32 v88, v[88:89]
	v_cvt_f32_f64_e32 v86, v[86:87]
	v_min_f32_e32 v91, v88, v86
	v_add_f64 v[86:87], v[50:51], v[74:75]
	v_add_f64 v[88:89], v[48:49], v[72:73]
	v_cvt_f32_f64_e32 v88, v[88:89]
	v_cvt_f32_f64_e32 v86, v[86:87]
	v_min3_f32 v84, v84, v91, v85
	v_min3_f32 v88, v88, v86, v90
	v_cvt_f64_f32_e32 v[84:85], v84
	v_lshl_add_u64 v[86:87], v[128:129], 3, v[80:81]
	global_store_dwordx2 v[86:87], v[84:85], off
	s_mov_b64 s[2:3], -1
	v_max_f32_e32 v85, v88, v88
	s_mov_b64 vcc, s[8:9]
	s_cbranch_vccz .LBB158_149
; %bb.148:
	v_min_f32_e32 v84, 0, v85
	v_cvt_f64_f32_e32 v[86:87], v84
	v_lshl_add_u64 v[88:89], v[140:141], 3, v[80:81]
	global_store_dwordx2 v[88:89], v[86:87], off
	s_mov_b64 s[2:3], 0
.LBB158_149:
	s_andn2_b64 vcc, exec, s[2:3]
	v_mov_b32_e32 v84, 0
	s_cbranch_vccnz .LBB158_151
; %bb.150:
	v_lshl_add_u64 v[86:87], v[82:83], 0, v[144:145]
	global_load_dwordx2 v[86:87], v[86:87], off
	v_lshl_add_u64 v[88:89], v[80:81], 0, v[144:145]
	s_waitcnt vmcnt(0)
	v_mul_f64 v[86:87], s[10:11], v[86:87]
	v_cvt_f32_f64_e32 v84, v[86:87]
	v_min_f32_e32 v84, v84, v85
	v_cvt_f64_f32_e32 v[84:85], v84
	global_store_dwordx2 v[88:89], v[84:85], off
	v_lshl_add_u64 v[84:85], v[130:131], 3, v[82:83]
	global_load_dwordx2 v[84:85], v[84:85], off
	s_waitcnt vmcnt(0)
	v_mul_f64 v[84:85], s[10:11], v[84:85]
	v_cvt_f32_f64_e32 v84, v[84:85]
.LBB158_151:
	v_add_f64 v[86:87], v[42:43], v[78:79]
	v_add_f64 v[88:89], v[40:41], v[76:77]
	v_cvt_f32_f64_e32 v85, v[88:89]
	v_cvt_f32_f64_e32 v86, v[86:87]
	v_min3_f32 v85, v85, v86, v170
	v_add_f64 v[86:87], v[46:47], v[78:79]
	v_add_f64 v[88:89], v[44:45], v[76:77]
	v_cvt_f32_f64_e32 v88, v[88:89]
	v_cvt_f32_f64_e32 v86, v[86:87]
	v_min3_f32 v90, v88, v86, v169
	v_add_f64 v[86:87], v[38:39], v[74:75]
	v_add_f64 v[88:89], v[36:37], v[72:73]
	v_cvt_f32_f64_e32 v88, v[88:89]
	v_cvt_f32_f64_e32 v86, v[86:87]
	v_min_f32_e32 v91, v88, v86
	v_add_f64 v[86:87], v[34:35], v[74:75]
	v_add_f64 v[88:89], v[32:33], v[72:73]
	v_cvt_f32_f64_e32 v88, v[88:89]
	v_cvt_f32_f64_e32 v86, v[86:87]
	v_min3_f32 v84, v84, v91, v85
	v_min3_f32 v88, v88, v86, v90
	v_cvt_f64_f32_e32 v[84:85], v84
	v_lshl_add_u64 v[86:87], v[130:131], 3, v[80:81]
	global_store_dwordx2 v[86:87], v[84:85], off
	s_mov_b64 s[2:3], -1
	v_max_f32_e32 v85, v88, v88
	s_mov_b64 vcc, s[8:9]
	s_cbranch_vccz .LBB158_153
; %bb.152:
	v_min_f32_e32 v84, 0, v85
	v_cvt_f64_f32_e32 v[86:87], v84
	v_lshl_add_u64 v[88:89], v[142:143], 3, v[80:81]
	global_store_dwordx2 v[88:89], v[86:87], off
	s_mov_b64 s[2:3], 0
.LBB158_153:
	s_andn2_b64 vcc, exec, s[2:3]
	v_mov_b32_e32 v84, 0
	s_cbranch_vccnz .LBB158_155
; %bb.154:
	v_lshl_add_u64 v[86:87], v[82:83], 0, v[148:149]
	global_load_dwordx2 v[86:87], v[86:87], off
	v_lshl_add_u64 v[88:89], v[80:81], 0, v[148:149]
	s_waitcnt vmcnt(0)
	v_mul_f64 v[86:87], s[10:11], v[86:87]
	v_cvt_f32_f64_e32 v84, v[86:87]
	v_min_f32_e32 v84, v84, v85
	v_cvt_f64_f32_e32 v[84:85], v84
	global_store_dwordx2 v[88:89], v[84:85], off
	v_lshl_add_u64 v[84:85], v[132:133], 3, v[82:83]
	global_load_dwordx2 v[84:85], v[84:85], off
	s_waitcnt vmcnt(0)
	v_mul_f64 v[84:85], s[10:11], v[84:85]
	v_cvt_f32_f64_e32 v84, v[84:85]
.LBB158_155:
	v_add_f64 v[86:87], v[30:31], v[78:79]
	v_add_f64 v[88:89], v[28:29], v[76:77]
	v_cvt_f32_f64_e32 v85, v[88:89]
	v_cvt_f32_f64_e32 v86, v[86:87]
	v_min3_f32 v85, v85, v86, v168
	v_add_f64 v[86:87], v[26:27], v[78:79]
	v_add_f64 v[88:89], v[24:25], v[76:77]
	v_cvt_f32_f64_e32 v88, v[88:89]
	v_cvt_f32_f64_e32 v86, v[86:87]
	v_min3_f32 v90, v88, v86, v167
	v_add_f64 v[86:87], v[22:23], v[74:75]
	v_add_f64 v[88:89], v[20:21], v[72:73]
	v_cvt_f32_f64_e32 v88, v[88:89]
	v_cvt_f32_f64_e32 v86, v[86:87]
	v_min_f32_e32 v91, v88, v86
	v_add_f64 v[86:87], v[18:19], v[74:75]
	v_add_f64 v[88:89], v[16:17], v[72:73]
	v_cvt_f32_f64_e32 v88, v[88:89]
	v_cvt_f32_f64_e32 v86, v[86:87]
	v_min3_f32 v84, v84, v91, v85
	v_min3_f32 v88, v88, v86, v90
	v_cvt_f64_f32_e32 v[84:85], v84
	v_lshl_add_u64 v[86:87], v[132:133], 3, v[80:81]
	global_store_dwordx2 v[86:87], v[84:85], off
	s_mov_b64 s[2:3], -1
	v_max_f32_e32 v85, v88, v88
	s_mov_b64 vcc, s[8:9]
	s_cbranch_vccz .LBB158_157
; %bb.156:
	v_min_f32_e32 v84, 0, v85
	v_cvt_f64_f32_e32 v[86:87], v84
	v_lshl_add_u64 v[88:89], v[146:147], 3, v[80:81]
	global_store_dwordx2 v[88:89], v[86:87], off
	s_mov_b64 s[2:3], 0
.LBB158_157:
	s_andn2_b64 vcc, exec, s[2:3]
	v_mov_b32_e32 v84, 0
	s_cbranch_vccnz .LBB158_159
; %bb.158:
	v_lshl_add_u64 v[86:87], v[82:83], 0, v[150:151]
	global_load_dwordx2 v[86:87], v[86:87], off
	v_lshl_add_u64 v[88:89], v[80:81], 0, v[150:151]
	v_lshl_add_u64 v[82:83], v[136:137], 3, v[82:83]
	s_waitcnt vmcnt(0)
	v_mul_f64 v[86:87], s[10:11], v[86:87]
	v_cvt_f32_f64_e32 v84, v[86:87]
	v_min_f32_e32 v84, v84, v85
	v_cvt_f64_f32_e32 v[84:85], v84
	global_store_dwordx2 v[88:89], v[84:85], off
	global_load_dwordx2 v[82:83], v[82:83], off
	s_waitcnt vmcnt(0)
	v_mul_f64 v[82:83], s[10:11], v[82:83]
	v_cvt_f32_f64_e32 v84, v[82:83]
.LBB158_159:
	v_add_f64 v[78:79], v[2:3], v[78:79]
	v_add_f64 v[76:77], v[0:1], v[76:77]
	s_waitcnt lgkmcnt(1)
	v_add_f64 v[70:71], v[70:71], v[6:7]
	v_add_f64 v[68:69], v[68:69], v[4:5]
	v_cvt_f32_f64_e32 v76, v[76:77]
	v_cvt_f32_f64_e32 v77, v[78:79]
	;; [unrolled: 1-line block ×4, first 2 shown]
	v_min3_f32 v76, v76, v77, v166
	v_min3_f32 v77, v68, v69, v165
	v_add_f64 v[68:69], v[10:11], v[74:75]
	v_add_f64 v[70:71], v[8:9], v[72:73]
	v_cvt_f32_f64_e32 v70, v[70:71]
	v_cvt_f32_f64_e32 v68, v[68:69]
	s_waitcnt lgkmcnt(0)
	v_add_f64 v[66:67], v[66:67], v[14:15]
	v_add_f64 v[64:65], v[64:65], v[12:13]
	v_min_f32_e32 v68, v70, v68
	v_cvt_f32_f64_e32 v64, v[64:65]
	v_cvt_f32_f64_e32 v65, v[66:67]
	v_min3_f32 v69, v64, v65, v77
	v_min3_f32 v64, v84, v68, v76
	v_cvt_f64_f32_e32 v[64:65], v64
	v_lshl_add_u64 v[66:67], v[136:137], 3, v[80:81]
	global_store_dwordx2 v[66:67], v[64:65], off
	v_add_u32_e32 v66, 56, v205
	v_mad_i64_i32 v[64:65], s[2:3], v66, s5, 0
	v_lshl_add_u64 v[64:65], v[64:65], 3, s[0:1]
	v_mad_i64_i32 v[66:67], s[0:1], v66, s4, 0
	s_mov_b64 s[0:1], -1
	v_max_f32_e32 v69, v69, v69
	s_mov_b64 vcc, s[8:9]
	s_cbranch_vccz .LBB158_161
; %bb.160:
	v_min_f32_e32 v68, 0, v69
	v_cvt_f64_f32_e32 v[70:71], v68
	v_lshl_add_u64 v[72:73], v[134:135], 3, v[64:65]
	global_store_dwordx2 v[72:73], v[70:71], off
	s_mov_b64 s[0:1], 0
.LBB158_161:
	v_lshl_add_u64 v[66:67], v[66:67], 3, s[18:19]
	s_andn2_b64 vcc, exec, s[0:1]
	v_mov_b32_e32 v68, 0
	s_cbranch_vccnz .LBB158_163
; %bb.162:
	v_lshl_add_u64 v[70:71], v[66:67], 0, v[138:139]
	global_load_dwordx2 v[70:71], v[70:71], off
	v_lshl_add_u64 v[72:73], v[64:65], 0, v[138:139]
	s_waitcnt vmcnt(0)
	v_mul_f64 v[70:71], s[10:11], v[70:71]
	v_cvt_f32_f64_e32 v68, v[70:71]
	v_min_f32_e32 v68, v68, v69
	v_cvt_f64_f32_e32 v[68:69], v68
	global_store_dwordx2 v[72:73], v[68:69], off
	v_lshl_add_u64 v[68:69], v[128:129], 3, v[66:67]
	global_load_dwordx2 v[68:69], v[68:69], off
	s_waitcnt vmcnt(0)
	v_mul_f64 v[68:69], s[10:11], v[68:69]
	v_cvt_f32_f64_e32 v68, v[68:69]
.LBB158_163:
	v_add_f64 v[62:63], v[62:63], v[6:7]
	v_add_f64 v[60:61], v[60:61], v[4:5]
	;; [unrolled: 1-line block ×6, first 2 shown]
	v_cvt_f32_f64_e32 v60, v[60:61]
	v_cvt_f32_f64_e32 v61, v[62:63]
	;; [unrolled: 1-line block ×6, first 2 shown]
	v_add_f64 v[50:51], v[50:51], v[14:15]
	v_add_f64 v[48:49], v[48:49], v[12:13]
	v_min3_f32 v60, v60, v61, v164
	v_min3_f32 v56, v56, v57, v163
	v_min_f32_e32 v52, v52, v53
	v_cvt_f32_f64_e32 v48, v[48:49]
	v_cvt_f32_f64_e32 v49, v[50:51]
	v_min3_f32 v53, v48, v49, v56
	v_min3_f32 v48, v68, v52, v60
	v_cvt_f64_f32_e32 v[48:49], v48
	v_lshl_add_u64 v[50:51], v[128:129], 3, v[64:65]
	global_store_dwordx2 v[50:51], v[48:49], off
	s_mov_b64 s[0:1], -1
	v_max_f32_e32 v49, v53, v53
	s_mov_b64 vcc, s[8:9]
	s_cbranch_vccz .LBB158_165
; %bb.164:
	v_min_f32_e32 v48, 0, v49
	v_cvt_f64_f32_e32 v[50:51], v48
	v_lshl_add_u64 v[52:53], v[140:141], 3, v[64:65]
	global_store_dwordx2 v[52:53], v[50:51], off
	s_mov_b64 s[0:1], 0
.LBB158_165:
	s_andn2_b64 vcc, exec, s[0:1]
	v_mov_b32_e32 v48, 0
	s_cbranch_vccnz .LBB158_167
; %bb.166:
	v_lshl_add_u64 v[50:51], v[66:67], 0, v[144:145]
	global_load_dwordx2 v[50:51], v[50:51], off
	v_lshl_add_u64 v[52:53], v[64:65], 0, v[144:145]
	s_waitcnt vmcnt(0)
	v_mul_f64 v[50:51], s[10:11], v[50:51]
	v_cvt_f32_f64_e32 v48, v[50:51]
	v_min_f32_e32 v48, v48, v49
	v_cvt_f64_f32_e32 v[48:49], v48
	global_store_dwordx2 v[52:53], v[48:49], off
	v_lshl_add_u64 v[48:49], v[130:131], 3, v[66:67]
	global_load_dwordx2 v[48:49], v[48:49], off
	s_waitcnt vmcnt(0)
	v_mul_f64 v[48:49], s[10:11], v[48:49]
	v_cvt_f32_f64_e32 v48, v[48:49]
.LBB158_167:
	v_add_f64 v[42:43], v[42:43], v[6:7]
	v_add_f64 v[40:41], v[40:41], v[4:5]
	v_cvt_f32_f64_e32 v40, v[40:41]
	v_cvt_f32_f64_e32 v41, v[42:43]
	v_min3_f32 v49, v40, v41, v162
	v_add_f64 v[40:41], v[46:47], v[6:7]
	v_add_f64 v[42:43], v[44:45], v[4:5]
	;; [unrolled: 1-line block ×4, first 2 shown]
	v_cvt_f32_f64_e32 v42, v[42:43]
	v_cvt_f32_f64_e32 v40, v[40:41]
	;; [unrolled: 1-line block ×4, first 2 shown]
	v_add_f64 v[34:35], v[34:35], v[14:15]
	v_add_f64 v[32:33], v[32:33], v[12:13]
	v_min3_f32 v40, v42, v40, v161
	v_min_f32_e32 v36, v36, v37
	v_cvt_f32_f64_e32 v32, v[32:33]
	v_cvt_f32_f64_e32 v33, v[34:35]
	v_min3_f32 v37, v32, v33, v40
	v_min3_f32 v32, v48, v36, v49
	v_cvt_f64_f32_e32 v[32:33], v32
	v_lshl_add_u64 v[34:35], v[130:131], 3, v[64:65]
	global_store_dwordx2 v[34:35], v[32:33], off
	s_mov_b64 s[0:1], -1
	v_max_f32_e32 v33, v37, v37
	s_mov_b64 vcc, s[8:9]
	s_cbranch_vccz .LBB158_169
; %bb.168:
	v_min_f32_e32 v32, 0, v33
	v_cvt_f64_f32_e32 v[34:35], v32
	v_lshl_add_u64 v[36:37], v[142:143], 3, v[64:65]
	global_store_dwordx2 v[36:37], v[34:35], off
	s_mov_b64 s[0:1], 0
.LBB158_169:
	s_andn2_b64 vcc, exec, s[0:1]
	v_mov_b32_e32 v32, 0
	s_cbranch_vccnz .LBB158_171
; %bb.170:
	v_lshl_add_u64 v[34:35], v[66:67], 0, v[148:149]
	global_load_dwordx2 v[34:35], v[34:35], off
	v_lshl_add_u64 v[36:37], v[64:65], 0, v[148:149]
	s_waitcnt vmcnt(0)
	v_mul_f64 v[34:35], s[10:11], v[34:35]
	v_cvt_f32_f64_e32 v32, v[34:35]
	v_min_f32_e32 v32, v32, v33
	v_cvt_f64_f32_e32 v[32:33], v32
	global_store_dwordx2 v[36:37], v[32:33], off
	v_lshl_add_u64 v[32:33], v[132:133], 3, v[66:67]
	global_load_dwordx2 v[32:33], v[32:33], off
	s_waitcnt vmcnt(0)
	v_mul_f64 v[32:33], s[10:11], v[32:33]
	v_cvt_f32_f64_e32 v32, v[32:33]
.LBB158_171:
	v_add_f64 v[30:31], v[30:31], v[6:7]
	v_add_f64 v[28:29], v[28:29], v[4:5]
	;; [unrolled: 1-line block ×6, first 2 shown]
	v_cvt_f32_f64_e32 v28, v[28:29]
	v_cvt_f32_f64_e32 v29, v[30:31]
	;; [unrolled: 1-line block ×6, first 2 shown]
	v_add_f64 v[18:19], v[18:19], v[14:15]
	v_add_f64 v[16:17], v[16:17], v[12:13]
	v_min3_f32 v28, v28, v29, v160
	v_min3_f32 v24, v24, v25, v159
	v_min_f32_e32 v20, v20, v21
	v_cvt_f32_f64_e32 v16, v[16:17]
	v_cvt_f32_f64_e32 v17, v[18:19]
	v_min3_f32 v21, v16, v17, v24
	v_min3_f32 v16, v32, v20, v28
	v_cvt_f64_f32_e32 v[16:17], v16
	v_lshl_add_u64 v[18:19], v[132:133], 3, v[64:65]
	global_store_dwordx2 v[18:19], v[16:17], off
	s_mov_b64 s[0:1], -1
	v_max_f32_e32 v17, v21, v21
	s_mov_b64 vcc, s[8:9]
	s_cbranch_vccz .LBB158_173
; %bb.172:
	v_min_f32_e32 v16, 0, v17
	v_cvt_f64_f32_e32 v[18:19], v16
	v_lshl_add_u64 v[20:21], v[146:147], 3, v[64:65]
	global_store_dwordx2 v[20:21], v[18:19], off
	s_mov_b64 s[0:1], 0
.LBB158_173:
	s_andn2_b64 vcc, exec, s[0:1]
	v_mov_b32_e32 v16, 0
	s_cbranch_vccnz .LBB158_175
; %bb.174:
	v_lshl_add_u64 v[18:19], v[66:67], 0, v[150:151]
	global_load_dwordx2 v[18:19], v[18:19], off
	v_lshl_add_u64 v[20:21], v[64:65], 0, v[150:151]
	s_waitcnt vmcnt(0)
	v_mul_f64 v[18:19], s[10:11], v[18:19]
	v_cvt_f32_f64_e32 v16, v[18:19]
	v_min_f32_e32 v16, v16, v17
	v_cvt_f64_f32_e32 v[16:17], v16
	global_store_dwordx2 v[20:21], v[16:17], off
	v_lshl_add_u64 v[16:17], v[136:137], 3, v[66:67]
	global_load_dwordx2 v[16:17], v[16:17], off
	s_waitcnt vmcnt(0)
	v_mul_f64 v[16:17], s[10:11], v[16:17]
	v_cvt_f32_f64_e32 v16, v[16:17]
.LBB158_175:
	v_add_f64 v[10:11], v[10:11], v[14:15]
	v_add_f64 v[8:9], v[8:9], v[12:13]
	v_add_f64 v[2:3], v[2:3], v[6:7]
	v_add_f64 v[0:1], v[0:1], v[4:5]
	v_cvt_f32_f64_e32 v8, v[8:9]
	v_cvt_f32_f64_e32 v9, v[10:11]
	;; [unrolled: 1-line block ×4, first 2 shown]
	v_min_f32_e32 v8, v8, v9
	v_min3_f32 v0, v0, v1, v158
	v_min3_f32 v0, v16, v8, v0
	v_cvt_f64_f32_e32 v[0:1], v0
	v_lshl_add_u64 v[2:3], v[136:137], 3, v[64:65]
	global_store_dwordx2 v[2:3], v[0:1], off
	s_endpgm
	.section	.rodata,"a",@progbits
	.p2align	6, 0x0
	.amdhsa_kernel _ZN12_GLOBAL__N_120geam_min_plus_kernelId15HIP_vector_typeIdLj2EEdLi32ELi8ELi256ELi64ELi4ELi64ELi4ELi4ELi64ELc78ELc78ELb0ELb0ELb1EdKddEEviiiT16_PT17_ilS6_ilS4_S6_ilPT18_ili26rocblas_geam_ex_operation_
		.amdhsa_group_segment_fixed_size 20480
		.amdhsa_private_segment_fixed_size 0
		.amdhsa_kernarg_size 136
		.amdhsa_user_sgpr_count 2
		.amdhsa_user_sgpr_dispatch_ptr 0
		.amdhsa_user_sgpr_queue_ptr 0
		.amdhsa_user_sgpr_kernarg_segment_ptr 1
		.amdhsa_user_sgpr_dispatch_id 0
		.amdhsa_user_sgpr_kernarg_preload_length 0
		.amdhsa_user_sgpr_kernarg_preload_offset 0
		.amdhsa_user_sgpr_private_segment_size 0
		.amdhsa_uses_dynamic_stack 0
		.amdhsa_enable_private_segment 0
		.amdhsa_system_sgpr_workgroup_id_x 1
		.amdhsa_system_sgpr_workgroup_id_y 0
		.amdhsa_system_sgpr_workgroup_id_z 1
		.amdhsa_system_sgpr_workgroup_info 0
		.amdhsa_system_vgpr_workitem_id 1
		.amdhsa_next_free_vgpr 230
		.amdhsa_next_free_sgpr 32
		.amdhsa_accum_offset 232
		.amdhsa_reserve_vcc 1
		.amdhsa_float_round_mode_32 0
		.amdhsa_float_round_mode_16_64 0
		.amdhsa_float_denorm_mode_32 3
		.amdhsa_float_denorm_mode_16_64 3
		.amdhsa_dx10_clamp 1
		.amdhsa_ieee_mode 1
		.amdhsa_fp16_overflow 0
		.amdhsa_tg_split 0
		.amdhsa_exception_fp_ieee_invalid_op 0
		.amdhsa_exception_fp_denorm_src 0
		.amdhsa_exception_fp_ieee_div_zero 0
		.amdhsa_exception_fp_ieee_overflow 0
		.amdhsa_exception_fp_ieee_underflow 0
		.amdhsa_exception_fp_ieee_inexact 0
		.amdhsa_exception_int_div_zero 0
	.end_amdhsa_kernel
	.section	.text._ZN12_GLOBAL__N_120geam_min_plus_kernelId15HIP_vector_typeIdLj2EEdLi32ELi8ELi256ELi64ELi4ELi64ELi4ELi4ELi64ELc78ELc78ELb0ELb0ELb1EdKddEEviiiT16_PT17_ilS6_ilS4_S6_ilPT18_ili26rocblas_geam_ex_operation_,"axG",@progbits,_ZN12_GLOBAL__N_120geam_min_plus_kernelId15HIP_vector_typeIdLj2EEdLi32ELi8ELi256ELi64ELi4ELi64ELi4ELi4ELi64ELc78ELc78ELb0ELb0ELb1EdKddEEviiiT16_PT17_ilS6_ilS4_S6_ilPT18_ili26rocblas_geam_ex_operation_,comdat
.Lfunc_end158:
	.size	_ZN12_GLOBAL__N_120geam_min_plus_kernelId15HIP_vector_typeIdLj2EEdLi32ELi8ELi256ELi64ELi4ELi64ELi4ELi4ELi64ELc78ELc78ELb0ELb0ELb1EdKddEEviiiT16_PT17_ilS6_ilS4_S6_ilPT18_ili26rocblas_geam_ex_operation_, .Lfunc_end158-_ZN12_GLOBAL__N_120geam_min_plus_kernelId15HIP_vector_typeIdLj2EEdLi32ELi8ELi256ELi64ELi4ELi64ELi4ELi4ELi64ELc78ELc78ELb0ELb0ELb1EdKddEEviiiT16_PT17_ilS6_ilS4_S6_ilPT18_ili26rocblas_geam_ex_operation_
                                        ; -- End function
	.set _ZN12_GLOBAL__N_120geam_min_plus_kernelId15HIP_vector_typeIdLj2EEdLi32ELi8ELi256ELi64ELi4ELi64ELi4ELi4ELi64ELc78ELc78ELb0ELb0ELb1EdKddEEviiiT16_PT17_ilS6_ilS4_S6_ilPT18_ili26rocblas_geam_ex_operation_.num_vgpr, 230
	.set _ZN12_GLOBAL__N_120geam_min_plus_kernelId15HIP_vector_typeIdLj2EEdLi32ELi8ELi256ELi64ELi4ELi64ELi4ELi4ELi64ELc78ELc78ELb0ELb0ELb1EdKddEEviiiT16_PT17_ilS6_ilS4_S6_ilPT18_ili26rocblas_geam_ex_operation_.num_agpr, 0
	.set _ZN12_GLOBAL__N_120geam_min_plus_kernelId15HIP_vector_typeIdLj2EEdLi32ELi8ELi256ELi64ELi4ELi64ELi4ELi4ELi64ELc78ELc78ELb0ELb0ELb1EdKddEEviiiT16_PT17_ilS6_ilS4_S6_ilPT18_ili26rocblas_geam_ex_operation_.numbered_sgpr, 32
	.set _ZN12_GLOBAL__N_120geam_min_plus_kernelId15HIP_vector_typeIdLj2EEdLi32ELi8ELi256ELi64ELi4ELi64ELi4ELi4ELi64ELc78ELc78ELb0ELb0ELb1EdKddEEviiiT16_PT17_ilS6_ilS4_S6_ilPT18_ili26rocblas_geam_ex_operation_.num_named_barrier, 0
	.set _ZN12_GLOBAL__N_120geam_min_plus_kernelId15HIP_vector_typeIdLj2EEdLi32ELi8ELi256ELi64ELi4ELi64ELi4ELi4ELi64ELc78ELc78ELb0ELb0ELb1EdKddEEviiiT16_PT17_ilS6_ilS4_S6_ilPT18_ili26rocblas_geam_ex_operation_.private_seg_size, 0
	.set _ZN12_GLOBAL__N_120geam_min_plus_kernelId15HIP_vector_typeIdLj2EEdLi32ELi8ELi256ELi64ELi4ELi64ELi4ELi4ELi64ELc78ELc78ELb0ELb0ELb1EdKddEEviiiT16_PT17_ilS6_ilS4_S6_ilPT18_ili26rocblas_geam_ex_operation_.uses_vcc, 1
	.set _ZN12_GLOBAL__N_120geam_min_plus_kernelId15HIP_vector_typeIdLj2EEdLi32ELi8ELi256ELi64ELi4ELi64ELi4ELi4ELi64ELc78ELc78ELb0ELb0ELb1EdKddEEviiiT16_PT17_ilS6_ilS4_S6_ilPT18_ili26rocblas_geam_ex_operation_.uses_flat_scratch, 0
	.set _ZN12_GLOBAL__N_120geam_min_plus_kernelId15HIP_vector_typeIdLj2EEdLi32ELi8ELi256ELi64ELi4ELi64ELi4ELi4ELi64ELc78ELc78ELb0ELb0ELb1EdKddEEviiiT16_PT17_ilS6_ilS4_S6_ilPT18_ili26rocblas_geam_ex_operation_.has_dyn_sized_stack, 0
	.set _ZN12_GLOBAL__N_120geam_min_plus_kernelId15HIP_vector_typeIdLj2EEdLi32ELi8ELi256ELi64ELi4ELi64ELi4ELi4ELi64ELc78ELc78ELb0ELb0ELb1EdKddEEviiiT16_PT17_ilS6_ilS4_S6_ilPT18_ili26rocblas_geam_ex_operation_.has_recursion, 0
	.set _ZN12_GLOBAL__N_120geam_min_plus_kernelId15HIP_vector_typeIdLj2EEdLi32ELi8ELi256ELi64ELi4ELi64ELi4ELi4ELi64ELc78ELc78ELb0ELb0ELb1EdKddEEviiiT16_PT17_ilS6_ilS4_S6_ilPT18_ili26rocblas_geam_ex_operation_.has_indirect_call, 0
	.section	.AMDGPU.csdata,"",@progbits
; Kernel info:
; codeLenInByte = 25280
; TotalNumSgprs: 38
; NumVgprs: 230
; NumAgprs: 0
; TotalNumVgprs: 230
; ScratchSize: 0
; MemoryBound: 1
; FloatMode: 240
; IeeeMode: 1
; LDSByteSize: 20480 bytes/workgroup (compile time only)
; SGPRBlocks: 4
; VGPRBlocks: 28
; NumSGPRsForWavesPerEU: 38
; NumVGPRsForWavesPerEU: 230
; AccumOffset: 232
; Occupancy: 2
; WaveLimiterHint : 1
; COMPUTE_PGM_RSRC2:SCRATCH_EN: 0
; COMPUTE_PGM_RSRC2:USER_SGPR: 2
; COMPUTE_PGM_RSRC2:TRAP_HANDLER: 0
; COMPUTE_PGM_RSRC2:TGID_X_EN: 1
; COMPUTE_PGM_RSRC2:TGID_Y_EN: 0
; COMPUTE_PGM_RSRC2:TGID_Z_EN: 1
; COMPUTE_PGM_RSRC2:TIDIG_COMP_CNT: 1
; COMPUTE_PGM_RSRC3_GFX90A:ACCUM_OFFSET: 57
; COMPUTE_PGM_RSRC3_GFX90A:TG_SPLIT: 0
	.section	.text._ZN12_GLOBAL__N_120geam_min_plus_kernelId15HIP_vector_typeIdLj2EEdLi32ELi8ELi256ELi64ELi4ELi64ELi4ELi4ELi64ELc78ELc78ELb0ELb1ELb1EPKdS3_dEEviiiT16_PT17_ilS7_ilS5_S7_ilPT18_ili26rocblas_geam_ex_operation_,"axG",@progbits,_ZN12_GLOBAL__N_120geam_min_plus_kernelId15HIP_vector_typeIdLj2EEdLi32ELi8ELi256ELi64ELi4ELi64ELi4ELi4ELi64ELc78ELc78ELb0ELb1ELb1EPKdS3_dEEviiiT16_PT17_ilS7_ilS5_S7_ilPT18_ili26rocblas_geam_ex_operation_,comdat
	.globl	_ZN12_GLOBAL__N_120geam_min_plus_kernelId15HIP_vector_typeIdLj2EEdLi32ELi8ELi256ELi64ELi4ELi64ELi4ELi4ELi64ELc78ELc78ELb0ELb1ELb1EPKdS3_dEEviiiT16_PT17_ilS7_ilS5_S7_ilPT18_ili26rocblas_geam_ex_operation_ ; -- Begin function _ZN12_GLOBAL__N_120geam_min_plus_kernelId15HIP_vector_typeIdLj2EEdLi32ELi8ELi256ELi64ELi4ELi64ELi4ELi4ELi64ELc78ELc78ELb0ELb1ELb1EPKdS3_dEEviiiT16_PT17_ilS7_ilS5_S7_ilPT18_ili26rocblas_geam_ex_operation_
	.p2align	8
	.type	_ZN12_GLOBAL__N_120geam_min_plus_kernelId15HIP_vector_typeIdLj2EEdLi32ELi8ELi256ELi64ELi4ELi64ELi4ELi4ELi64ELc78ELc78ELb0ELb1ELb1EPKdS3_dEEviiiT16_PT17_ilS7_ilS5_S7_ilPT18_ili26rocblas_geam_ex_operation_,@function
_ZN12_GLOBAL__N_120geam_min_plus_kernelId15HIP_vector_typeIdLj2EEdLi32ELi8ELi256ELi64ELi4ELi64ELi4ELi4ELi64ELc78ELc78ELb0ELb1ELb1EPKdS3_dEEviiiT16_PT17_ilS7_ilS5_S7_ilPT18_ili26rocblas_geam_ex_operation_: ; @_ZN12_GLOBAL__N_120geam_min_plus_kernelId15HIP_vector_typeIdLj2EEdLi32ELi8ELi256ELi64ELi4ELi64ELi4ELi4ELi64ELc78ELc78ELb0ELb1ELb1EPKdS3_dEEviiiT16_PT17_ilS7_ilS5_S7_ilPT18_ili26rocblas_geam_ex_operation_
; %bb.0:
	s_load_dwordx4 s[12:15], s[0:1], 0x10
	s_load_dwordx4 s[4:7], s[0:1], 0x28
	;; [unrolled: 1-line block ×3, first 2 shown]
	s_mov_b32 s18, s3
	s_mov_b32 s19, 0
	s_lshl_b64 s[16:17], s[18:19], 3
	s_waitcnt lgkmcnt(0)
	s_add_u32 s12, s12, s16
	s_addc_u32 s13, s13, s17
	s_load_dwordx2 s[28:29], s[12:13], 0x0
	s_load_dwordx2 s[20:21], s[0:1], 0x50
	s_add_u32 s10, s10, s16
	s_addc_u32 s11, s11, s17
	s_mov_b64 s[36:37], 0
	s_waitcnt lgkmcnt(0)
	v_cmp_eq_f64_e64 s[16:17], s[28:29], 0
	v_cmp_neq_f64_e64 s[12:13], s[28:29], 0
	s_and_b64 vcc, exec, s[16:17]
	s_mov_b64 s[30:31], 0
	s_cbranch_vccnz .LBB159_2
; %bb.1:
	s_mul_i32 s3, s5, s18
	s_mul_hi_u32 s5, s4, s18
	s_add_i32 s5, s5, s3
	s_mul_i32 s4, s4, s18
	s_lshl_b64 s[4:5], s[4:5], 3
	s_add_u32 s30, s14, s4
	s_addc_u32 s31, s15, s5
.LBB159_2:
	s_load_dwordx2 s[24:25], s[10:11], 0x0
	s_andn2_b64 vcc, exec, s[12:13]
	s_cbranch_vccnz .LBB159_4
; %bb.3:
	s_mul_i32 s3, s9, s18
	s_mul_hi_u32 s4, s8, s18
	s_add_i32 s5, s4, s3
	s_mul_i32 s4, s8, s18
	s_lshl_b64 s[4:5], s[4:5], 3
	s_add_u32 s36, s6, s4
	s_addc_u32 s37, s7, s5
.LBB159_4:
	s_load_dwordx4 s[12:15], s[0:1], 0x60
	s_waitcnt lgkmcnt(0)
	v_cmp_eq_f64_e64 s[4:5], s[24:25], 0
	s_mov_b64 s[26:27], 0
	v_cmp_neq_f64_e64 s[16:17], s[24:25], 0
	s_and_b64 vcc, exec, s[4:5]
	s_cbranch_vccnz .LBB159_6
; %bb.5:
	s_mul_i32 s3, s13, s18
	s_mul_hi_u32 s4, s12, s18
	s_add_i32 s5, s4, s3
	s_mul_i32 s4, s12, s18
	s_lshl_b64 s[4:5], s[4:5], 3
	s_add_u32 s26, s20, s4
	s_addc_u32 s27, s21, s5
.LBB159_6:
	s_load_dwordx4 s[20:23], s[0:1], 0x0
	v_and_b32_e32 v142, 0x3ff, v0
	v_bfe_u32 v143, v0, 10, 10
	s_waitcnt lgkmcnt(0)
	s_load_dword s23, s[0:1], 0x20
	v_lshl_add_u32 v10, v143, 5, v142
	s_add_i32 s3, s20, -1
	s_ashr_i32 s4, s3, 31
	s_lshr_b32 s4, s4, 24
	s_add_i32 s3, s3, s4
	s_ashr_i32 s3, s3, 8
	s_add_i32 s4, s3, 1
	v_cvt_f32_u32_e32 v1, s4
	s_not_b32 s3, s3
	v_and_b32_e32 v12, 63, v10
	v_lshrrev_b32_e32 v144, 6, v10
	v_rcp_iflag_f32_e32 v0, v1
	v_cmp_le_i32_e64 s[8:9], s22, v144
	v_cmp_eq_f64_e64 s[34:35], s[28:29], 0
	v_mov_b32_e32 v2, 0x7fefffff
	v_mul_f32_e32 v0, 0x4f7ffffe, v0
	v_cvt_u32_f32_e32 v0, v0
	s_nop 0
	v_readfirstlane_b32 s5, v0
	s_mul_i32 s3, s3, s5
	s_mul_hi_u32 s3, s5, s3
	s_add_i32 s5, s5, s3
	s_mul_hi_u32 s3, s2, s5
	s_mul_i32 s5, s3, s4
	s_sub_i32 s5, s2, s5
	s_add_i32 s6, s3, 1
	s_sub_i32 s7, s5, s4
	s_cmp_ge_u32 s5, s4
	s_cselect_b32 s3, s6, s3
	s_cselect_b32 s5, s7, s5
	s_add_i32 s6, s3, 1
	s_cmp_ge_u32 s5, s4
	s_cselect_b32 s10, s6, s3
	s_mul_i32 s3, s10, s4
	s_sub_i32 s2, s2, s3
	s_add_i32 s38, s22, -1
	s_lshl_b32 s19, s2, 8
	v_min_i32_e32 v0, s38, v144
	v_or_b32_e32 v128, s19, v12
	s_waitcnt lgkmcnt(0)
	v_mad_i64_i32 v[0:1], s[2:3], s23, v0, 0
	v_cmp_le_i32_e32 vcc, s20, v128
	s_or_b64 s[2:3], vcc, s[8:9]
	v_lshl_add_u64 v[8:9], v[0:1], 3, s[30:31]
	v_cndmask_b32_e64 v1, 0, v2, s[2:3]
	s_nor_b64 s[4:5], s[34:35], s[2:3]
	v_cndmask_b32_e64 v0, 0, -1, s[2:3]
	v_ashrrev_i32_e32 v129, 31, v128
	s_and_saveexec_b64 s[2:3], s[4:5]
	s_cbranch_execz .LBB159_8
; %bb.7:
	v_lshl_add_u64 v[0:1], v[128:129], 3, v[8:9]
	global_load_dwordx2 v[0:1], v[0:1], off
	s_waitcnt vmcnt(0)
	v_mul_f64 v[0:1], s[28:29], v[0:1]
.LBB159_8:
	s_or_b64 exec, exec, s[2:3]
	v_or_b32_e32 v3, 64, v128
	v_cmp_le_i32_e64 s[2:3], s20, v3
	s_or_b64 s[4:5], s[2:3], s[8:9]
	v_cndmask_b32_e64 v3, 0, v2, s[4:5]
	s_nor_b64 s[6:7], s[34:35], s[4:5]
	v_cndmask_b32_e64 v2, 0, -1, s[4:5]
	s_and_saveexec_b64 s[4:5], s[6:7]
	s_cbranch_execz .LBB159_10
; %bb.9:
	v_lshl_add_u64 v[2:3], v[128:129], 3, v[8:9]
	global_load_dwordx2 v[2:3], v[2:3], off offset:512
	s_waitcnt vmcnt(0)
	v_mul_f64 v[2:3], s[28:29], v[2:3]
.LBB159_10:
	s_or_b64 exec, exec, s[4:5]
	v_or_b32_e32 v4, 0x80, v128
	v_cmp_le_i32_e64 s[4:5], s20, v4
	v_mov_b32_e32 v6, 0x7fefffff
	s_or_b64 s[6:7], s[4:5], s[8:9]
	v_cndmask_b32_e64 v5, 0, v6, s[6:7]
	s_nor_b64 s[12:13], s[34:35], s[6:7]
	v_cndmask_b32_e64 v4, 0, -1, s[6:7]
	s_and_saveexec_b64 s[6:7], s[12:13]
	s_cbranch_execz .LBB159_12
; %bb.11:
	v_lshl_add_u64 v[4:5], v[128:129], 3, v[8:9]
	global_load_dwordx2 v[4:5], v[4:5], off offset:1024
	s_waitcnt vmcnt(0)
	v_mul_f64 v[4:5], s[28:29], v[4:5]
.LBB159_12:
	s_or_b64 exec, exec, s[6:7]
	v_or_b32_e32 v7, 0xc0, v128
	v_cmp_le_i32_e64 s[6:7], s20, v7
	s_or_b64 s[8:9], s[6:7], s[8:9]
	v_cndmask_b32_e64 v7, 0, v6, s[8:9]
	s_nor_b64 s[12:13], s[34:35], s[8:9]
	v_cndmask_b32_e64 v6, 0, -1, s[8:9]
	s_and_saveexec_b64 s[8:9], s[12:13]
	s_cbranch_execz .LBB159_14
; %bb.13:
	v_lshl_add_u64 v[6:7], v[128:129], 3, v[8:9]
	global_load_dwordx2 v[6:7], v[6:7], off offset:1536
	s_waitcnt vmcnt(0)
	v_mul_f64 v[6:7], s[28:29], v[6:7]
.LBB159_14:
	s_or_b64 exec, exec, s[8:9]
	s_load_dword s40, s[0:1], 0x38
	v_lshrrev_b32_e32 v13, 2, v10
	s_lshl_b32 s33, s10, 6
	v_and_b32_e32 v147, 3, v142
	v_add_u32_e32 v101, s33, v13
	v_cmp_le_i32_e64 s[10:11], s22, v147
	v_cmp_le_i32_e64 s[8:9], s21, v101
	v_mov_b32_e32 v14, 0x7fefffff
	s_or_b64 s[10:11], s[10:11], s[8:9]
	v_cndmask_b32_e64 v9, 0, v14, s[10:11]
	s_nor_b64 s[12:13], s[34:35], s[10:11]
	v_cndmask_b32_e64 v8, 0, -1, s[10:11]
	s_and_saveexec_b64 s[10:11], s[12:13]
	s_cbranch_execz .LBB159_16
; %bb.15:
	s_waitcnt lgkmcnt(0)
	v_mad_i64_i32 v[8:9], s[12:13], v101, s40, 0
	v_min_u32_e32 v10, s38, v147
	v_lshl_add_u64 v[8:9], v[8:9], 3, s[36:37]
	v_lshlrev_b32_e32 v10, 3, v10
	v_mov_b32_e32 v11, 0
	v_lshl_add_u64 v[8:9], v[8:9], 0, v[10:11]
	global_load_dwordx2 v[8:9], v[8:9], off
	s_waitcnt vmcnt(0)
	v_mul_f64 v[8:9], s[28:29], v[8:9]
.LBB159_16:
	s_or_b64 exec, exec, s[10:11]
	v_add_u32_e32 v10, 4, v144
	v_cmp_le_i32_e64 s[10:11], s22, v10
	v_min_i32_e32 v10, s38, v10
	v_mad_i64_i32 v[10:11], s[12:13], s23, v10, 0
	s_or_b64 s[12:13], vcc, s[10:11]
	v_lshl_add_u64 v[10:11], v[10:11], 3, s[30:31]
	v_cndmask_b32_e64 v105, 0, v14, s[12:13]
	s_nor_b64 s[42:43], s[34:35], s[12:13]
	v_cndmask_b32_e64 v104, 0, -1, s[12:13]
	s_and_saveexec_b64 s[12:13], s[42:43]
	s_cbranch_execz .LBB159_18
; %bb.17:
	v_lshl_add_u64 v[14:15], v[128:129], 3, v[10:11]
	global_load_dwordx2 v[14:15], v[14:15], off
	s_waitcnt vmcnt(0)
	v_mul_f64 v[104:105], s[28:29], v[14:15]
.LBB159_18:
	s_or_b64 exec, exec, s[12:13]
	v_mov_b32_e32 v14, 0x7fefffff
	s_or_b64 s[12:13], s[2:3], s[10:11]
	v_cndmask_b32_e64 v107, 0, v14, s[12:13]
	s_nor_b64 s[42:43], s[34:35], s[12:13]
	v_cndmask_b32_e64 v106, 0, -1, s[12:13]
	s_and_saveexec_b64 s[12:13], s[42:43]
	s_cbranch_execz .LBB159_20
; %bb.19:
	v_lshl_add_u64 v[16:17], v[128:129], 3, v[10:11]
	global_load_dwordx2 v[16:17], v[16:17], off offset:512
	s_waitcnt vmcnt(0)
	v_mul_f64 v[106:107], s[28:29], v[16:17]
.LBB159_20:
	s_or_b64 exec, exec, s[12:13]
	s_or_b64 s[12:13], s[4:5], s[10:11]
	v_cndmask_b32_e64 v109, 0, v14, s[12:13]
	s_nor_b64 s[42:43], s[34:35], s[12:13]
	v_cndmask_b32_e64 v108, 0, -1, s[12:13]
	s_and_saveexec_b64 s[12:13], s[42:43]
	s_cbranch_execz .LBB159_22
; %bb.21:
	v_lshl_add_u64 v[14:15], v[128:129], 3, v[10:11]
	global_load_dwordx2 v[14:15], v[14:15], off offset:1024
	s_waitcnt vmcnt(0)
	v_mul_f64 v[108:109], s[28:29], v[14:15]
.LBB159_22:
	s_or_b64 exec, exec, s[12:13]
	v_mov_b32_e32 v14, 0x7fefffff
	s_or_b64 s[10:11], s[6:7], s[10:11]
	v_cndmask_b32_e64 v111, 0, v14, s[10:11]
	s_nor_b64 s[12:13], s[34:35], s[10:11]
	v_cndmask_b32_e64 v110, 0, -1, s[10:11]
	s_and_saveexec_b64 s[10:11], s[12:13]
	s_cbranch_execz .LBB159_24
; %bb.23:
	v_lshl_add_u64 v[10:11], v[128:129], 3, v[10:11]
	global_load_dwordx2 v[10:11], v[10:11], off offset:1536
	s_waitcnt vmcnt(0)
	v_mul_f64 v[110:111], s[28:29], v[10:11]
.LBB159_24:
	s_or_b64 exec, exec, s[10:11]
	v_or_b32_e32 v10, 4, v147
	v_cmp_le_i32_e64 s[10:11], s22, v10
	s_or_b64 s[10:11], s[10:11], s[8:9]
	s_nor_b64 s[12:13], s[34:35], s[10:11]
	v_cndmask_b32_e64 v103, 0, v14, s[10:11]
	v_cndmask_b32_e64 v102, 0, -1, s[10:11]
	s_and_saveexec_b64 s[10:11], s[12:13]
	s_cbranch_execz .LBB159_26
; %bb.25:
	s_waitcnt lgkmcnt(0)
	v_mad_i64_i32 v[14:15], s[12:13], v101, s40, 0
	v_min_u32_e32 v10, s38, v10
	v_lshl_add_u64 v[14:15], v[14:15], 3, s[36:37]
	v_lshlrev_b32_e32 v10, 3, v10
	v_mov_b32_e32 v11, 0
	v_lshl_add_u64 v[10:11], v[14:15], 0, v[10:11]
	global_load_dwordx2 v[10:11], v[10:11], off
	s_waitcnt vmcnt(0)
	v_mul_f64 v[102:103], s[28:29], v[10:11]
.LBB159_26:
	s_or_b64 exec, exec, s[10:11]
	v_lshlrev_b32_e32 v10, 5, v12
	v_lshlrev_b32_e32 v100, 3, v147
	v_lshl_add_u32 v163, v144, 3, v10
	v_lshl_or_b32 v112, v13, 5, v100
	v_lshlrev_b32_e32 v146, 5, v142
	ds_write2st64_b64 v163, v[0:1], v[2:3] offset1:4
	ds_write2st64_b64 v163, v[4:5], v[6:7] offset0:8 offset1:12
	ds_write_b64 v112, v[8:9] offset:16384
	s_waitcnt lgkmcnt(0)
	s_barrier
	v_lshlrev_b32_e32 v145, 5, v143
	ds_read_b128 v[32:35], v146 offset:1024
	ds_read_b128 v[28:31], v146 offset:2048
	ds_read_b128 v[24:27], v146 offset:3072
	ds_read_b128 v[20:23], v146 offset:4096
	ds_read_b128 v[16:19], v146 offset:5120
	ds_read_b128 v[12:15], v146 offset:6144
	ds_read_b128 v[8:11], v146 offset:7168
	ds_read_b128 v[92:95], v145 offset:16640
	ds_read_b128 v[88:91], v145 offset:16896
	ds_read_b128 v[84:87], v145 offset:17152
	ds_read_b128 v[52:55], v145 offset:17408
	ds_read_b128 v[48:51], v145 offset:17664
	ds_read_b128 v[40:43], v146
	ds_read_b128 v[96:99], v145 offset:16384
	ds_read_b128 v[44:47], v145 offset:17920
	;; [unrolled: 1-line block ×5, first 2 shown]
	s_waitcnt lgkmcnt(5)
	v_add_f64 v[114:115], v[42:43], v[94:95]
	v_add_f64 v[116:117], v[40:41], v[92:93]
	s_mov_b32 s10, 0x7f800000
	v_cvt_f32_f64_e32 v116, v[116:117]
	v_cvt_f32_f64_e32 v114, v[114:115]
	v_min3_f32 v178, v116, v114, s10
	v_add_f64 v[114:115], v[34:35], v[94:95]
	v_add_f64 v[116:117], v[32:33], v[92:93]
	v_cvt_f32_f64_e32 v116, v[116:117]
	v_cvt_f32_f64_e32 v114, v[114:115]
	v_min3_f32 v179, v116, v114, s10
	v_add_f64 v[114:115], v[30:31], v[94:95]
	v_add_f64 v[116:117], v[28:29], v[92:93]
	;; [unrolled: 5-line block ×34, first 2 shown]
	v_cvt_f32_f64_e32 v116, v[116:117]
	v_cvt_f32_f64_e32 v114, v[114:115]
	v_min3_f32 v120, v116, v114, s10
	s_waitcnt lgkmcnt(3)
	v_add_f64 v[114:115], v[42:43], v[46:47]
	v_add_f64 v[116:117], v[40:41], v[44:45]
	v_cvt_f32_f64_e32 v116, v[116:117]
	v_cvt_f32_f64_e32 v114, v[114:115]
	v_min3_f32 v126, v116, v114, s10
	v_add_f64 v[114:115], v[34:35], v[46:47]
	v_add_f64 v[116:117], v[32:33], v[44:45]
	v_cvt_f32_f64_e32 v116, v[116:117]
	v_cvt_f32_f64_e32 v114, v[114:115]
	v_min3_f32 v123, v116, v114, s10
	;; [unrolled: 5-line block ×3, first 2 shown]
	v_add_f64 v[114:115], v[26:27], v[46:47]
	v_add_f64 v[116:117], v[24:25], v[44:45]
	v_cvt_f32_f64_e32 v116, v[116:117]
	v_cvt_f32_f64_e32 v114, v[114:115]
	v_add_f64 v[56:57], v[42:43], v[98:99]
	v_add_f64 v[58:59], v[40:41], v[96:97]
	v_min3_f32 v119, v116, v114, s10
	v_add_f64 v[114:115], v[22:23], v[46:47]
	v_add_f64 v[116:117], v[20:21], v[44:45]
	v_cvt_f32_f64_e32 v58, v[58:59]
	v_cvt_f32_f64_e32 v56, v[56:57]
	;; [unrolled: 1-line block ×4, first 2 shown]
	v_min3_f32 v113, v58, v56, s10
	ds_read_b128 v[56:59], v146 offset:1040
	v_add_f64 v[60:61], v[34:35], v[98:99]
	v_add_f64 v[62:63], v[32:33], v[96:97]
	v_min3_f32 v117, v116, v114, s10
	v_add_f64 v[114:115], v[18:19], v[46:47]
	v_add_f64 v[170:171], v[16:17], v[44:45]
	v_cvt_f32_f64_e32 v62, v[62:63]
	v_cvt_f32_f64_e32 v60, v[60:61]
	;; [unrolled: 1-line block ×4, first 2 shown]
	v_min3_f32 v169, v62, v60, s10
	ds_read_b128 v[60:63], v146 offset:2064
	v_add_f64 v[64:65], v[30:31], v[98:99]
	v_add_f64 v[66:67], v[28:29], v[96:97]
	;; [unrolled: 1-line block ×22, first 2 shown]
	v_min3_f32 v116, v116, v114, s10
	v_add_f64 v[114:115], v[14:15], v[46:47]
	v_add_f64 v[170:171], v[12:13], v[44:45]
	;; [unrolled: 1-line block ×4, first 2 shown]
	s_waitcnt lgkmcnt(4)
	v_add_f64 v[14:15], v[14:15], v[38:39]
	v_add_f64 v[12:13], v[12:13], v[36:37]
	v_add_f64 v[10:11], v[10:11], v[38:39]
	v_add_f64 v[8:9], v[8:9], v[36:37]
	v_cvt_f32_f64_e32 v66, v[66:67]
	v_cvt_f32_f64_e32 v64, v[64:65]
	v_cvt_f32_f64_e32 v12, v[12:13]
	v_cvt_f32_f64_e32 v13, v[14:15]
	v_cvt_f32_f64_e32 v8, v[8:9]
	v_cvt_f32_f64_e32 v9, v[10:11]
	s_waitcnt lgkmcnt(2)
	v_add_f64 v[10:11], v[2:3], v[6:7]
	v_add_f64 v[14:15], v[0:1], v[4:5]
	v_min3_f32 v172, v66, v64, s10
	ds_read_b128 v[64:67], v146 offset:3088
	v_cvt_f32_f64_e32 v170, v[170:171]
	v_cvt_f32_f64_e32 v114, v[114:115]
	;; [unrolled: 1-line block ×4, first 2 shown]
	v_min3_f32 v8, v8, v9, s10
	v_cvt_f32_f64_e32 v9, v[14:15]
	v_cvt_f32_f64_e32 v10, v[10:11]
	;; [unrolled: 1-line block ×4, first 2 shown]
	v_min3_f32 v115, v170, v114, s10
	v_min3_f32 v114, v44, v45, s10
	ds_read_b128 v[44:47], v145 offset:18192
	v_min3_f32 v219, v9, v10, v113
	s_waitcnt lgkmcnt(3)
	v_add_f64 v[10:11], v[58:59], v[6:7]
	v_add_f64 v[14:15], v[56:57], v[4:5]
	v_min3_f32 v173, v70, v68, s10
	ds_read_b128 v[68:71], v146 offset:4112
	v_cvt_f32_f64_e32 v9, v[14:15]
	v_cvt_f32_f64_e32 v10, v[10:11]
	;; [unrolled: 1-line block ×4, first 2 shown]
	v_min3_f32 v218, v9, v10, v169
	s_waitcnt lgkmcnt(3)
	v_add_f64 v[10:11], v[62:63], v[6:7]
	v_add_f64 v[14:15], v[60:61], v[4:5]
	v_min3_f32 v174, v74, v72, s10
	ds_read_b128 v[72:75], v146 offset:5136
	v_cvt_f32_f64_e32 v9, v[14:15]
	v_cvt_f32_f64_e32 v10, v[10:11]
	;; [unrolled: 1-line block ×6, first 2 shown]
	v_min3_f32 v217, v9, v10, v172
	s_waitcnt lgkmcnt(3)
	v_add_f64 v[10:11], v[66:67], v[6:7]
	v_add_f64 v[14:15], v[64:65], v[4:5]
	v_min3_f32 v175, v78, v76, s10
	ds_read_b128 v[76:79], v146 offset:6160
	v_min3_f32 v176, v82, v80, s10
	ds_read_b128 v[80:83], v146 offset:7184
	v_cvt_f32_f64_e32 v9, v[14:15]
	v_cvt_f32_f64_e32 v10, v[10:11]
	;; [unrolled: 1-line block ×4, first 2 shown]
	v_min3_f32 v216, v9, v10, v173
	s_waitcnt lgkmcnt(3)
	v_add_f64 v[10:11], v[70:71], v[6:7]
	v_add_f64 v[14:15], v[68:69], v[4:5]
	v_min3_f32 v177, v96, v97, s10
	ds_read_b128 v[96:99], v145 offset:16656
	v_cvt_f32_f64_e32 v9, v[14:15]
	v_cvt_f32_f64_e32 v10, v[10:11]
	v_min3_f32 v215, v9, v10, v174
	s_waitcnt lgkmcnt(3)
	v_add_f64 v[10:11], v[74:75], v[6:7]
	v_add_f64 v[14:15], v[72:73], v[4:5]
	v_cvt_f32_f64_e32 v9, v[14:15]
	v_cvt_f32_f64_e32 v10, v[10:11]
	v_min3_f32 v207, v9, v10, v175
	s_waitcnt lgkmcnt(2)
	v_add_f64 v[10:11], v[78:79], v[6:7]
	v_add_f64 v[14:15], v[76:77], v[4:5]
	s_waitcnt lgkmcnt(1)
	v_add_f64 v[6:7], v[82:83], v[6:7]
	v_add_f64 v[4:5], v[80:81], v[4:5]
	v_cvt_f32_f64_e32 v92, v[92:93]
	v_cvt_f32_f64_e32 v93, v[94:95]
	;; [unrolled: 1-line block ×4, first 2 shown]
	v_min3_f32 v157, v92, v93, s10
	ds_read_b128 v[92:95], v145 offset:16912
	v_min3_f32 v205, v4, v5, v177
	s_waitcnt lgkmcnt(1)
	v_add_f64 v[4:5], v[2:3], v[98:99]
	v_add_f64 v[6:7], v[0:1], v[96:97]
	v_cvt_f32_f64_e32 v6, v[6:7]
	v_cvt_f32_f64_e32 v4, v[4:5]
	v_min3_f32 v204, v6, v4, v178
	v_add_f64 v[4:5], v[58:59], v[98:99]
	v_add_f64 v[6:7], v[56:57], v[96:97]
	v_cvt_f32_f64_e32 v6, v[6:7]
	v_cvt_f32_f64_e32 v4, v[4:5]
	v_min3_f32 v203, v6, v4, v179
	;; [unrolled: 5-line block ×8, first 2 shown]
	s_waitcnt lgkmcnt(0)
	v_add_f64 v[4:5], v[2:3], v[94:95]
	v_add_f64 v[6:7], v[0:1], v[92:93]
	v_cvt_f32_f64_e32 v6, v[6:7]
	v_cvt_f32_f64_e32 v4, v[4:5]
	v_min3_f32 v196, v6, v4, v166
	v_add_f64 v[4:5], v[58:59], v[94:95]
	v_add_f64 v[6:7], v[56:57], v[92:93]
	v_cvt_f32_f64_e32 v6, v[6:7]
	v_cvt_f32_f64_e32 v4, v[4:5]
	v_min3_f32 v195, v6, v4, v164
	;; [unrolled: 5-line block ×4, first 2 shown]
	v_add_f64 v[4:5], v[70:71], v[94:95]
	v_add_f64 v[6:7], v[68:69], v[92:93]
	v_cvt_f32_f64_e32 v6, v[6:7]
	v_cvt_f32_f64_e32 v4, v[4:5]
	;; [unrolled: 1-line block ×4, first 2 shown]
	v_min3_f32 v192, v6, v4, v156
	v_add_f64 v[4:5], v[74:75], v[94:95]
	v_add_f64 v[6:7], v[72:73], v[92:93]
	v_min3_f32 v149, v88, v89, s10
	ds_read_b128 v[88:91], v145 offset:17168
	v_cvt_f32_f64_e32 v6, v[6:7]
	v_cvt_f32_f64_e32 v4, v[4:5]
	v_min3_f32 v191, v6, v4, v154
	v_add_f64 v[4:5], v[78:79], v[94:95]
	v_add_f64 v[6:7], v[76:77], v[92:93]
	v_cvt_f32_f64_e32 v6, v[6:7]
	v_cvt_f32_f64_e32 v4, v[4:5]
	v_min3_f32 v190, v6, v4, v152
	v_add_f64 v[4:5], v[82:83], v[94:95]
	v_add_f64 v[6:7], v[80:81], v[92:93]
	v_cvt_f32_f64_e32 v84, v[84:85]
	v_cvt_f32_f64_e32 v85, v[86:87]
	;; [unrolled: 1-line block ×4, first 2 shown]
	v_min3_f32 v135, v84, v85, s10
	ds_read_b128 v[84:87], v145 offset:17424
	v_min3_f32 v189, v6, v4, v149
	s_waitcnt lgkmcnt(1)
	v_add_f64 v[4:5], v[2:3], v[90:91]
	v_add_f64 v[6:7], v[0:1], v[88:89]
	v_cvt_f32_f64_e32 v6, v[6:7]
	v_cvt_f32_f64_e32 v4, v[4:5]
	v_min3_f32 v188, v6, v4, v158
	v_add_f64 v[4:5], v[58:59], v[90:91]
	v_add_f64 v[6:7], v[56:57], v[88:89]
	v_cvt_f32_f64_e32 v6, v[6:7]
	v_cvt_f32_f64_e32 v4, v[4:5]
	v_min3_f32 v187, v6, v4, v155
	;; [unrolled: 5-line block ×8, first 2 shown]
	s_waitcnt lgkmcnt(0)
	v_add_f64 v[4:5], v[2:3], v[86:87]
	v_add_f64 v[6:7], v[0:1], v[84:85]
	v_cvt_f32_f64_e32 v6, v[6:7]
	v_cvt_f32_f64_e32 v4, v[4:5]
	v_min3_f32 v180, v6, v4, v150
	v_add_f64 v[4:5], v[58:59], v[86:87]
	v_add_f64 v[6:7], v[56:57], v[84:85]
	v_cvt_f32_f64_e32 v6, v[6:7]
	v_cvt_f32_f64_e32 v4, v[4:5]
	v_min3_f32 v179, v6, v4, v141
	;; [unrolled: 5-line block ×4, first 2 shown]
	v_add_f64 v[4:5], v[70:71], v[86:87]
	v_add_f64 v[6:7], v[68:69], v[84:85]
	v_cvt_f32_f64_e32 v9, v[14:15]
	v_cvt_f32_f64_e32 v10, v[10:11]
	;; [unrolled: 1-line block ×6, first 2 shown]
	v_min3_f32 v206, v9, v10, v176
	v_min3_f32 v176, v6, v4, v134
	v_add_f64 v[4:5], v[74:75], v[86:87]
	v_add_f64 v[6:7], v[72:73], v[84:85]
	v_min3_f32 v125, v52, v53, s10
	ds_read_b128 v[52:55], v145 offset:17680
	v_cvt_f32_f64_e32 v6, v[6:7]
	v_cvt_f32_f64_e32 v4, v[4:5]
	v_min3_f32 v175, v6, v4, v132
	v_add_f64 v[4:5], v[78:79], v[86:87]
	v_add_f64 v[6:7], v[76:77], v[84:85]
	v_cvt_f32_f64_e32 v6, v[6:7]
	v_cvt_f32_f64_e32 v4, v[4:5]
	v_min3_f32 v174, v6, v4, v130
	v_add_f64 v[4:5], v[82:83], v[86:87]
	v_add_f64 v[6:7], v[80:81], v[84:85]
	v_cvt_f32_f64_e32 v48, v[48:49]
	v_cvt_f32_f64_e32 v49, v[50:51]
	;; [unrolled: 1-line block ×4, first 2 shown]
	v_min3_f32 v118, v48, v49, s10
	ds_read_b128 v[48:51], v145 offset:17936
	v_min3_f32 v173, v6, v4, v125
	s_waitcnt lgkmcnt(1)
	v_add_f64 v[4:5], v[2:3], v[54:55]
	v_add_f64 v[6:7], v[0:1], v[52:53]
	v_cvt_f32_f64_e32 v6, v[6:7]
	v_cvt_f32_f64_e32 v4, v[4:5]
	v_min3_f32 v172, v6, v4, v136
	v_add_f64 v[4:5], v[58:59], v[54:55]
	v_add_f64 v[6:7], v[56:57], v[52:53]
	v_cvt_f32_f64_e32 v6, v[6:7]
	v_cvt_f32_f64_e32 v4, v[4:5]
	v_min3_f32 v171, v6, v4, v133
	v_add_f64 v[4:5], v[62:63], v[54:55]
	v_add_f64 v[6:7], v[60:61], v[52:53]
	v_cvt_f32_f64_e32 v6, v[6:7]
	v_cvt_f32_f64_e32 v4, v[4:5]
	v_min3_f32 v170, v6, v4, v131
	v_add_f64 v[4:5], v[66:67], v[54:55]
	v_add_f64 v[6:7], v[64:65], v[52:53]
	v_cvt_f32_f64_e32 v6, v[6:7]
	v_cvt_f32_f64_e32 v4, v[4:5]
	v_min3_f32 v169, v6, v4, v127
	v_add_f64 v[4:5], v[70:71], v[54:55]
	v_add_f64 v[6:7], v[68:69], v[52:53]
	v_cvt_f32_f64_e32 v6, v[6:7]
	v_cvt_f32_f64_e32 v4, v[4:5]
	v_min3_f32 v168, v6, v4, v124
	v_add_f64 v[4:5], v[74:75], v[54:55]
	v_add_f64 v[6:7], v[72:73], v[52:53]
	v_cvt_f32_f64_e32 v6, v[6:7]
	v_cvt_f32_f64_e32 v4, v[4:5]
	v_min3_f32 v167, v6, v4, v122
	v_add_f64 v[4:5], v[78:79], v[54:55]
	v_add_f64 v[6:7], v[76:77], v[52:53]
	v_cvt_f32_f64_e32 v6, v[6:7]
	v_cvt_f32_f64_e32 v4, v[4:5]
	v_min3_f32 v166, v6, v4, v120
	v_add_f64 v[4:5], v[82:83], v[54:55]
	v_add_f64 v[6:7], v[80:81], v[52:53]
	;; [unrolled: 1-line block ×4, first 2 shown]
	v_cvt_f32_f64_e32 v6, v[6:7]
	v_cvt_f32_f64_e32 v4, v[4:5]
	;; [unrolled: 1-line block ×4, first 2 shown]
	v_min3_f32 v165, v6, v4, v118
	s_waitcnt lgkmcnt(0)
	v_add_f64 v[4:5], v[2:3], v[50:51]
	v_add_f64 v[6:7], v[0:1], v[48:49]
	;; [unrolled: 1-line block ×4, first 2 shown]
	v_min3_f32 v40, v40, v41, s10
	v_add_f64 v[34:35], v[34:35], v[38:39]
	v_add_f64 v[32:33], v[32:33], v[36:37]
	v_cvt_f32_f64_e32 v6, v[6:7]
	v_cvt_f32_f64_e32 v4, v[4:5]
	v_cvt_f32_f64_e32 v0, v[0:1]
	v_cvt_f32_f64_e32 v1, v[2:3]
	v_cvt_f32_f64_e32 v32, v[32:33]
	v_cvt_f32_f64_e32 v33, v[34:35]
	v_min3_f32 v164, v6, v4, v126
	v_add_f64 v[4:5], v[58:59], v[50:51]
	v_add_f64 v[6:7], v[56:57], v[48:49]
	v_min3_f32 v155, v0, v1, v40
	v_add_f64 v[0:1], v[58:59], v[46:47]
	v_add_f64 v[2:3], v[56:57], v[44:45]
	v_min3_f32 v32, v32, v33, s10
	v_add_f64 v[30:31], v[30:31], v[38:39]
	v_add_f64 v[28:29], v[28:29], v[36:37]
	v_cvt_f32_f64_e32 v6, v[6:7]
	v_cvt_f32_f64_e32 v4, v[4:5]
	v_cvt_f32_f64_e32 v2, v[2:3]
	v_cvt_f32_f64_e32 v0, v[0:1]
	v_cvt_f32_f64_e32 v28, v[28:29]
	v_cvt_f32_f64_e32 v29, v[30:31]
	v_min3_f32 v162, v6, v4, v123
	v_add_f64 v[4:5], v[62:63], v[50:51]
	v_add_f64 v[6:7], v[60:61], v[48:49]
	v_min3_f32 v154, v2, v0, v32
	v_add_f64 v[0:1], v[62:63], v[46:47]
	v_add_f64 v[2:3], v[60:61], v[44:45]
	;; [unrolled: 15-line block ×5, first 2 shown]
	v_min3_f32 v16, v16, v17, s10
	v_cvt_f32_f64_e32 v6, v[6:7]
	v_cvt_f32_f64_e32 v4, v[4:5]
	v_cvt_f32_f64_e32 v2, v[2:3]
	v_cvt_f32_f64_e32 v0, v[0:1]
	v_min3_f32 v158, v6, v4, v116
	v_add_f64 v[4:5], v[78:79], v[50:51]
	v_add_f64 v[6:7], v[76:77], v[48:49]
	v_min3_f32 v150, v2, v0, v16
	v_add_f64 v[0:1], v[78:79], v[46:47]
	v_add_f64 v[2:3], v[76:77], v[44:45]
	v_min3_f32 v12, v12, v13, s10
	v_cvt_f32_f64_e32 v6, v[6:7]
	v_cvt_f32_f64_e32 v4, v[4:5]
	;; [unrolled: 1-line block ×4, first 2 shown]
	v_min3_f32 v157, v6, v4, v115
	v_add_f64 v[4:5], v[82:83], v[50:51]
	v_add_f64 v[6:7], v[80:81], v[48:49]
	v_min3_f32 v149, v2, v0, v12
	v_add_f64 v[0:1], v[82:83], v[46:47]
	v_add_f64 v[2:3], v[80:81], v[44:45]
	v_cvt_f32_f64_e32 v6, v[6:7]
	v_cvt_f32_f64_e32 v4, v[4:5]
	;; [unrolled: 1-line block ×4, first 2 shown]
	v_min3_f32 v156, v6, v4, v114
	v_min3_f32 v148, v2, v0, v8
	s_cmp_lt_i32 s22, 9
	ds_write2st64_b64 v163, v[104:105], v[106:107] offset0:16 offset1:20
	ds_write2st64_b64 v163, v[108:109], v[110:111] offset0:24 offset1:28
	ds_write_b64 v112, v[102:103] offset:18432
	s_waitcnt lgkmcnt(0)
	s_barrier
	s_cbranch_scc1 .LBB159_49
; %bb.27:
	v_mov_b32_e32 v0, 0x2000
	v_lshl_add_u32 v212, v142, 5, v0
	v_mov_b32_e32 v0, 0x4800
	v_lshl_add_u32 v213, v143, 5, v0
	v_mad_i64_i32 v[0:1], s[10:11], s40, v101, 0
	v_mov_b32_e32 v101, 0
	v_lshl_add_u64 v[0:1], v[0:1], 3, v[100:101]
	v_lshl_add_u64 v[0:1], s[36:37], 0, v[0:1]
	v_add_u32_e32 v208, 0x4000, v112
	v_add_u32_e32 v209, 0x4000, v145
	;; [unrolled: 1-line block ×4, first 2 shown]
	s_add_i32 s39, s22, -8
	v_lshl_add_u64 v[130:131], v[0:1], 0, 64
	s_mov_b32 s36, 0
	v_mov_b32_e32 v214, 0x7fefffff
	s_branch .LBB159_29
.LBB159_28:                             ;   in Loop: Header=BB159_29 Depth=1
	s_or_b64 exec, exec, s[10:11]
	v_add_f64 v[220:221], v[98:99], v[126:127]
	v_add_f64 v[222:223], v[96:97], v[124:125]
	v_cvt_f32_f64_e32 v222, v[222:223]
	v_cvt_f32_f64_e32 v220, v[220:221]
	v_min3_f32 v224, v222, v220, v219
	v_add_f64 v[220:221], v[94:95], v[126:127]
	v_add_f64 v[222:223], v[92:93], v[124:125]
	v_cvt_f32_f64_e32 v219, v[222:223]
	v_cvt_f32_f64_e32 v220, v[220:221]
	v_min3_f32 v222, v219, v220, v218
	;; [unrolled: 5-line block ×6, first 2 shown]
	v_add_f64 v[216:217], v[70:71], v[126:127]
	v_add_f64 v[218:219], v[68:69], v[124:125]
	v_add_f64 v[126:127], v[66:67], v[126:127]
	v_add_f64 v[124:125], v[64:65], v[124:125]
	v_cvt_f32_f64_e32 v124, v[124:125]
	v_cvt_f32_f64_e32 v125, v[126:127]
	v_min3_f32 v205, v124, v125, v205
	v_add_f64 v[124:125], v[98:99], v[122:123]
	v_add_f64 v[126:127], v[96:97], v[120:121]
	v_cvt_f32_f64_e32 v126, v[126:127]
	v_cvt_f32_f64_e32 v124, v[124:125]
	v_min3_f32 v204, v126, v124, v204
	v_add_f64 v[124:125], v[94:95], v[122:123]
	v_add_f64 v[126:127], v[92:93], v[120:121]
	;; [unrolled: 5-line block ×7, first 2 shown]
	v_add_f64 v[122:123], v[66:67], v[122:123]
	v_add_f64 v[120:121], v[64:65], v[120:121]
	v_cvt_f32_f64_e32 v120, v[120:121]
	v_cvt_f32_f64_e32 v121, v[122:123]
	;; [unrolled: 1-line block ×3, first 2 shown]
	v_min3_f32 v125, v120, v121, v197
	v_add_f64 v[120:121], v[98:99], v[118:119]
	v_add_f64 v[122:123], v[96:97], v[116:117]
	v_cvt_f32_f64_e32 v126, v[126:127]
	v_cvt_f32_f64_e32 v122, v[122:123]
	;; [unrolled: 1-line block ×3, first 2 shown]
	v_min3_f32 v124, v126, v124, v198
	v_min3_f32 v126, v122, v120, v196
	v_add_f64 v[120:121], v[94:95], v[118:119]
	v_add_f64 v[122:123], v[92:93], v[116:117]
	v_cvt_f32_f64_e32 v122, v[122:123]
	v_cvt_f32_f64_e32 v120, v[120:121]
	v_min3_f32 v127, v122, v120, v195
	v_add_f64 v[120:121], v[90:91], v[118:119]
	v_add_f64 v[122:123], v[88:89], v[116:117]
	v_cvt_f32_f64_e32 v122, v[122:123]
	v_cvt_f32_f64_e32 v120, v[120:121]
	v_min3_f32 v194, v122, v120, v194
	v_add_f64 v[120:121], v[82:83], v[118:119]
	v_add_f64 v[122:123], v[80:81], v[116:117]
	v_cvt_f32_f64_e32 v122, v[122:123]
	v_cvt_f32_f64_e32 v120, v[120:121]
	v_min3_f32 v193, v122, v120, v193
	v_add_f64 v[120:121], v[78:79], v[118:119]
	v_add_f64 v[122:123], v[76:77], v[116:117]
	v_cvt_f32_f64_e32 v122, v[122:123]
	v_cvt_f32_f64_e32 v120, v[120:121]
	v_min3_f32 v192, v122, v120, v192
	v_add_f64 v[120:121], v[74:75], v[118:119]
	v_add_f64 v[122:123], v[72:73], v[116:117]
	v_cvt_f32_f64_e32 v122, v[122:123]
	v_cvt_f32_f64_e32 v120, v[120:121]
	v_min3_f32 v191, v122, v120, v191
	v_add_f64 v[120:121], v[70:71], v[118:119]
	v_add_f64 v[122:123], v[68:69], v[116:117]
	;; [unrolled: 1-line block ×4, first 2 shown]
	v_cvt_f32_f64_e32 v116, v[116:117]
	v_cvt_f32_f64_e32 v117, v[118:119]
	;; [unrolled: 1-line block ×3, first 2 shown]
	v_min3_f32 v121, v116, v117, v189
	v_add_f64 v[116:117], v[98:99], v[114:115]
	v_add_f64 v[118:119], v[96:97], v[112:113]
	v_cvt_f32_f64_e32 v122, v[122:123]
	v_cvt_f32_f64_e32 v118, v[118:119]
	;; [unrolled: 1-line block ×3, first 2 shown]
	v_min3_f32 v120, v122, v120, v190
	v_min3_f32 v122, v118, v116, v188
	v_add_f64 v[116:117], v[94:95], v[114:115]
	v_add_f64 v[118:119], v[92:93], v[112:113]
	v_cvt_f32_f64_e32 v118, v[118:119]
	v_cvt_f32_f64_e32 v116, v[116:117]
	v_min3_f32 v123, v118, v116, v187
	v_add_f64 v[116:117], v[90:91], v[114:115]
	v_add_f64 v[118:119], v[88:89], v[112:113]
	v_cvt_f32_f64_e32 v118, v[118:119]
	v_cvt_f32_f64_e32 v116, v[116:117]
	v_min3_f32 v186, v118, v116, v186
	v_add_f64 v[116:117], v[82:83], v[114:115]
	v_add_f64 v[118:119], v[80:81], v[112:113]
	v_cvt_f32_f64_e32 v118, v[118:119]
	v_cvt_f32_f64_e32 v116, v[116:117]
	v_min3_f32 v185, v118, v116, v185
	v_add_f64 v[116:117], v[78:79], v[114:115]
	v_add_f64 v[118:119], v[76:77], v[112:113]
	v_cvt_f32_f64_e32 v118, v[118:119]
	v_cvt_f32_f64_e32 v116, v[116:117]
	v_min3_f32 v184, v118, v116, v184
	v_add_f64 v[116:117], v[74:75], v[114:115]
	v_add_f64 v[118:119], v[72:73], v[112:113]
	v_cvt_f32_f64_e32 v118, v[118:119]
	v_cvt_f32_f64_e32 v116, v[116:117]
	v_min3_f32 v183, v118, v116, v183
	v_add_f64 v[116:117], v[70:71], v[114:115]
	v_add_f64 v[118:119], v[68:69], v[112:113]
	v_add_f64 v[114:115], v[66:67], v[114:115]
	v_add_f64 v[112:113], v[64:65], v[112:113]
	v_cvt_f32_f64_e32 v112, v[112:113]
	v_cvt_f32_f64_e32 v113, v[114:115]
	v_min3_f32 v181, v112, v113, v181
	v_add_f64 v[112:113], v[98:99], v[110:111]
	v_add_f64 v[114:115], v[96:97], v[108:109]
	v_cvt_f32_f64_e32 v114, v[114:115]
	v_cvt_f32_f64_e32 v112, v[112:113]
	v_min3_f32 v180, v114, v112, v180
	v_add_f64 v[112:113], v[94:95], v[110:111]
	v_add_f64 v[114:115], v[92:93], v[108:109]
	v_cvt_f32_f64_e32 v114, v[114:115]
	v_cvt_f32_f64_e32 v112, v[112:113]
	v_min3_f32 v179, v114, v112, v179
	v_add_f64 v[112:113], v[90:91], v[110:111]
	v_add_f64 v[114:115], v[88:89], v[108:109]
	v_cvt_f32_f64_e32 v114, v[114:115]
	v_cvt_f32_f64_e32 v112, v[112:113]
	v_min3_f32 v178, v114, v112, v178
	v_add_f64 v[112:113], v[82:83], v[110:111]
	v_add_f64 v[114:115], v[80:81], v[108:109]
	v_cvt_f32_f64_e32 v114, v[114:115]
	v_cvt_f32_f64_e32 v112, v[112:113]
	v_min3_f32 v177, v114, v112, v177
	v_add_f64 v[112:113], v[78:79], v[110:111]
	v_add_f64 v[114:115], v[76:77], v[108:109]
	v_cvt_f32_f64_e32 v114, v[114:115]
	v_cvt_f32_f64_e32 v112, v[112:113]
	v_min3_f32 v176, v114, v112, v176
	v_add_f64 v[112:113], v[74:75], v[110:111]
	v_add_f64 v[114:115], v[72:73], v[108:109]
	v_cvt_f32_f64_e32 v114, v[114:115]
	v_cvt_f32_f64_e32 v112, v[112:113]
	v_min3_f32 v175, v114, v112, v175
	v_add_f64 v[112:113], v[70:71], v[110:111]
	v_add_f64 v[114:115], v[68:69], v[108:109]
	v_add_f64 v[110:111], v[66:67], v[110:111]
	v_add_f64 v[108:109], v[64:65], v[108:109]
	v_cvt_f32_f64_e32 v108, v[108:109]
	v_cvt_f32_f64_e32 v109, v[110:111]
	v_min3_f32 v173, v108, v109, v173
	v_add_f64 v[108:109], v[98:99], v[106:107]
	v_add_f64 v[110:111], v[96:97], v[104:105]
	v_cvt_f32_f64_e32 v110, v[110:111]
	v_cvt_f32_f64_e32 v108, v[108:109]
	;; [unrolled: 37-line block ×3, first 2 shown]
	v_min3_f32 v164, v106, v104, v164
	v_add_f64 v[104:105], v[94:95], v[102:103]
	v_add_f64 v[106:107], v[92:93], v[100:101]
	v_cvt_f32_f64_e32 v106, v[106:107]
	v_cvt_f32_f64_e32 v104, v[104:105]
	v_min3_f32 v162, v106, v104, v162
	v_add_f64 v[104:105], v[90:91], v[102:103]
	v_add_f64 v[106:107], v[88:89], v[100:101]
	v_cvt_f32_f64_e32 v106, v[106:107]
	v_cvt_f32_f64_e32 v104, v[104:105]
	;; [unrolled: 5-line block ×5, first 2 shown]
	v_min3_f32 v190, v106, v104, v158
	v_add_f64 v[104:105], v[70:71], v[102:103]
	v_add_f64 v[106:107], v[68:69], v[100:101]
	;; [unrolled: 1-line block ×8, first 2 shown]
	v_cvt_f32_f64_e32 v76, v[76:77]
	v_cvt_f32_f64_e32 v77, v[78:79]
	;; [unrolled: 1-line block ×4, first 2 shown]
	v_min3_f32 v76, v76, v77, v151
	v_min3_f32 v77, v64, v65, v148
	v_add_f64 v[64:65], v[34:35], v[62:63]
	v_add_f64 v[66:67], v[32:33], v[60:61]
	v_cvt_f32_f64_e32 v66, v[66:67]
	v_cvt_f32_f64_e32 v64, v[64:65]
	v_add_f64 v[70:71], v[70:71], v[86:87]
	v_add_f64 v[68:69], v[68:69], v[84:85]
	v_min3_f32 v197, v66, v64, v224
	v_add_f64 v[64:65], v[30:31], v[62:63]
	v_add_f64 v[66:67], v[28:29], v[60:61]
	;; [unrolled: 1-line block ×4, first 2 shown]
	v_cvt_f32_f64_e32 v68, v[68:69]
	v_cvt_f32_f64_e32 v69, v[70:71]
	;; [unrolled: 1-line block ×6, first 2 shown]
	v_min3_f32 v75, v68, v69, v149
	v_min3_f32 v64, v66, v64, v222
	v_add_f64 v[66:67], v[26:27], v[62:63]
	v_add_f64 v[68:69], v[24:25], v[60:61]
	v_cvt_f32_f64_e32 v65, v[68:69]
	v_cvt_f32_f64_e32 v66, v[66:67]
	v_min3_f32 v65, v65, v66, v223
	v_add_f64 v[66:67], v[18:19], v[62:63]
	v_add_f64 v[68:69], v[16:17], v[60:61]
	v_cvt_f32_f64_e32 v68, v[68:69]
	v_cvt_f32_f64_e32 v66, v[66:67]
	v_min3_f32 v66, v68, v66, v220
	v_add_f64 v[68:69], v[14:15], v[62:63]
	v_add_f64 v[70:71], v[12:13], v[60:61]
	v_cvt_f32_f64_e32 v67, v[70:71]
	v_cvt_f32_f64_e32 v68, v[68:69]
	v_min3_f32 v67, v67, v68, v215
	v_add_f64 v[68:69], v[10:11], v[62:63]
	v_add_f64 v[70:71], v[8:9], v[60:61]
	v_cvt_f32_f64_e32 v70, v[70:71]
	v_cvt_f32_f64_e32 v68, v[68:69]
	v_min3_f32 v74, v72, v73, v150
	v_min3_f32 v68, v70, v68, v207
	v_add_f64 v[70:71], v[6:7], v[62:63]
	v_add_f64 v[72:73], v[4:5], v[60:61]
	v_add_f64 v[62:63], v[2:3], v[62:63]
	v_add_f64 v[60:61], v[0:1], v[60:61]
	v_cvt_f32_f64_e32 v100, v[100:101]
	v_cvt_f32_f64_e32 v101, v[102:103]
	v_cvt_f32_f64_e32 v60, v[60:61]
	v_cvt_f32_f64_e32 v61, v[62:63]
	v_min3_f32 v196, v100, v101, v156
	v_min3_f32 v100, v60, v61, v205
	v_add_f64 v[60:61], v[34:35], v[58:59]
	v_add_f64 v[62:63], v[32:33], v[56:57]
	v_cvt_f32_f64_e32 v62, v[62:63]
	v_cvt_f32_f64_e32 v60, v[60:61]
	v_min3_f32 v101, v62, v60, v204
	v_add_f64 v[60:61], v[30:31], v[58:59]
	v_add_f64 v[62:63], v[28:29], v[56:57]
	v_cvt_f32_f64_e32 v62, v[62:63]
	v_cvt_f32_f64_e32 v60, v[60:61]
	v_min3_f32 v102, v62, v60, v203
	v_add_f64 v[60:61], v[26:27], v[58:59]
	v_add_f64 v[62:63], v[24:25], v[56:57]
	v_cvt_f32_f64_e32 v62, v[62:63]
	v_cvt_f32_f64_e32 v60, v[60:61]
	v_min3_f32 v103, v62, v60, v202
	v_add_f64 v[60:61], v[18:19], v[58:59]
	v_add_f64 v[62:63], v[16:17], v[56:57]
	v_cvt_f32_f64_e32 v106, v[106:107]
	v_cvt_f32_f64_e32 v104, v[104:105]
	v_cvt_f32_f64_e32 v62, v[62:63]
	v_cvt_f32_f64_e32 v60, v[60:61]
	v_min3_f32 v195, v106, v104, v157
	v_min3_f32 v104, v62, v60, v201
	v_add_f64 v[60:61], v[14:15], v[58:59]
	v_add_f64 v[62:63], v[12:13], v[56:57]
	v_cvt_f32_f64_e32 v62, v[62:63]
	v_cvt_f32_f64_e32 v60, v[60:61]
	v_min3_f32 v105, v62, v60, v200
	v_add_f64 v[60:61], v[10:11], v[58:59]
	v_add_f64 v[62:63], v[8:9], v[56:57]
	v_cvt_f32_f64_e32 v62, v[62:63]
	v_cvt_f32_f64_e32 v60, v[60:61]
	v_min3_f32 v106, v62, v60, v199
	v_add_f64 v[60:61], v[6:7], v[58:59]
	v_add_f64 v[62:63], v[4:5], v[56:57]
	v_add_f64 v[58:59], v[2:3], v[58:59]
	v_add_f64 v[56:57], v[0:1], v[56:57]
	v_cvt_f32_f64_e32 v110, v[110:111]
	v_cvt_f32_f64_e32 v108, v[108:109]
	v_cvt_f32_f64_e32 v56, v[56:57]
	v_cvt_f32_f64_e32 v57, v[58:59]
	v_min3_f32 v166, v110, v108, v166
	v_min3_f32 v108, v56, v57, v125
	v_add_f64 v[56:57], v[34:35], v[54:55]
	v_add_f64 v[58:59], v[32:33], v[52:53]
	v_cvt_f32_f64_e32 v58, v[58:59]
	v_cvt_f32_f64_e32 v56, v[56:57]
	v_min3_f32 v109, v58, v56, v126
	v_add_f64 v[56:57], v[30:31], v[54:55]
	v_add_f64 v[58:59], v[28:29], v[52:53]
	v_cvt_f32_f64_e32 v58, v[58:59]
	v_cvt_f32_f64_e32 v56, v[56:57]
	v_min3_f32 v110, v58, v56, v127
	v_add_f64 v[56:57], v[26:27], v[54:55]
	v_add_f64 v[58:59], v[24:25], v[52:53]
	v_cvt_f32_f64_e32 v58, v[58:59]
	v_cvt_f32_f64_e32 v56, v[56:57]
	v_min3_f32 v111, v58, v56, v194
	v_add_f64 v[56:57], v[18:19], v[54:55]
	v_add_f64 v[58:59], v[16:17], v[52:53]
	v_cvt_f32_f64_e32 v114, v[114:115]
	v_cvt_f32_f64_e32 v112, v[112:113]
	v_cvt_f32_f64_e32 v58, v[58:59]
	v_cvt_f32_f64_e32 v56, v[56:57]
	v_min3_f32 v174, v114, v112, v174
	v_min3_f32 v112, v58, v56, v193
	v_add_f64 v[56:57], v[14:15], v[54:55]
	v_add_f64 v[58:59], v[12:13], v[52:53]
	v_cvt_f32_f64_e32 v58, v[58:59]
	v_cvt_f32_f64_e32 v56, v[56:57]
	v_min3_f32 v113, v58, v56, v192
	v_add_f64 v[56:57], v[10:11], v[54:55]
	v_add_f64 v[58:59], v[8:9], v[52:53]
	v_cvt_f32_f64_e32 v58, v[58:59]
	v_cvt_f32_f64_e32 v56, v[56:57]
	;; [unrolled: 43-line block ×3, first 2 shown]
	v_min3_f32 v122, v54, v52, v183
	v_add_f64 v[52:53], v[6:7], v[50:51]
	v_add_f64 v[54:55], v[4:5], v[48:49]
	;; [unrolled: 1-line block ×4, first 2 shown]
	v_cvt_f32_f64_e32 v62, v[62:63]
	v_cvt_f32_f64_e32 v60, v[60:61]
	;; [unrolled: 1-line block ×4, first 2 shown]
	v_min3_f32 v107, v62, v60, v124
	v_min3_f32 v124, v48, v49, v181
	v_add_f64 v[48:49], v[34:35], v[46:47]
	v_add_f64 v[50:51], v[32:33], v[44:45]
	v_cvt_f32_f64_e32 v50, v[50:51]
	v_cvt_f32_f64_e32 v48, v[48:49]
	v_min3_f32 v125, v50, v48, v180
	v_add_f64 v[48:49], v[30:31], v[46:47]
	v_add_f64 v[50:51], v[28:29], v[44:45]
	v_cvt_f32_f64_e32 v50, v[50:51]
	v_cvt_f32_f64_e32 v48, v[48:49]
	;; [unrolled: 5-line block ×6, first 2 shown]
	v_add_f64 v[82:83], v[82:83], v[86:87]
	v_add_f64 v[80:81], v[80:81], v[84:85]
	v_min3_f32 v150, v50, v48, v175
	v_add_f64 v[48:49], v[6:7], v[46:47]
	v_add_f64 v[50:51], v[4:5], v[44:45]
	;; [unrolled: 1-line block ×4, first 2 shown]
	v_cvt_f32_f64_e32 v80, v[80:81]
	v_cvt_f32_f64_e32 v81, v[82:83]
	v_cvt_f32_f64_e32 v44, v[44:45]
	v_cvt_f32_f64_e32 v45, v[46:47]
	v_add_f64 v[90:91], v[90:91], v[86:87]
	v_add_f64 v[88:89], v[88:89], v[84:85]
	v_min3_f32 v80, v80, v81, v152
	v_min3_f32 v152, v44, v45, v173
	v_add_f64 v[44:45], v[34:35], v[42:43]
	v_add_f64 v[46:47], v[32:33], v[40:41]
	v_cvt_f32_f64_e32 v88, v[88:89]
	v_cvt_f32_f64_e32 v89, v[90:91]
	v_cvt_f32_f64_e32 v46, v[46:47]
	v_cvt_f32_f64_e32 v44, v[44:45]
	v_add_f64 v[94:95], v[94:95], v[86:87]
	v_add_f64 v[92:93], v[92:93], v[84:85]
	v_min3_f32 v88, v88, v89, v153
	v_min3_f32 v153, v46, v44, v172
	v_add_f64 v[44:45], v[30:31], v[42:43]
	v_add_f64 v[46:47], v[28:29], v[40:41]
	;; [unrolled: 10-line block ×3, first 2 shown]
	v_cvt_f32_f64_e32 v96, v[96:97]
	v_cvt_f32_f64_e32 v97, v[98:99]
	;; [unrolled: 1-line block ×4, first 2 shown]
	v_min3_f32 v96, v96, v97, v155
	v_min3_f32 v155, v46, v44, v170
	v_add_f64 v[44:45], v[18:19], v[42:43]
	v_add_f64 v[46:47], v[16:17], v[40:41]
	v_cvt_f32_f64_e32 v46, v[46:47]
	v_cvt_f32_f64_e32 v44, v[44:45]
	v_min3_f32 v156, v46, v44, v169
	v_add_f64 v[44:45], v[14:15], v[42:43]
	v_add_f64 v[46:47], v[12:13], v[40:41]
	v_cvt_f32_f64_e32 v46, v[46:47]
	v_cvt_f32_f64_e32 v44, v[44:45]
	;; [unrolled: 5-line block ×3, first 2 shown]
	v_min3_f32 v158, v46, v44, v167
	v_add_f64 v[44:45], v[6:7], v[42:43]
	v_add_f64 v[46:47], v[4:5], v[40:41]
	;; [unrolled: 1-line block ×4, first 2 shown]
	v_cvt_f32_f64_e32 v40, v[40:41]
	v_cvt_f32_f64_e32 v41, v[42:43]
	v_min3_f32 v160, v40, v41, v165
	v_add_f64 v[40:41], v[34:35], v[38:39]
	v_add_f64 v[42:43], v[32:33], v[36:37]
	v_cvt_f32_f64_e32 v42, v[42:43]
	v_cvt_f32_f64_e32 v40, v[40:41]
	v_min3_f32 v161, v42, v40, v164
	v_add_f64 v[40:41], v[30:31], v[38:39]
	v_add_f64 v[42:43], v[28:29], v[36:37]
	;; [unrolled: 5-line block ×5, first 2 shown]
	v_cvt_f32_f64_e32 v46, v[46:47]
	v_cvt_f32_f64_e32 v44, v[44:45]
	;; [unrolled: 1-line block ×4, first 2 shown]
	v_min3_f32 v159, v46, v44, v166
	v_min3_f32 v166, v42, v40, v189
	v_add_f64 v[40:41], v[10:11], v[38:39]
	v_add_f64 v[42:43], v[8:9], v[36:37]
	v_cvt_f32_f64_e32 v42, v[42:43]
	v_cvt_f32_f64_e32 v40, v[40:41]
	v_min3_f32 v167, v42, v40, v190
	v_add_f64 v[40:41], v[6:7], v[38:39]
	v_add_f64 v[42:43], v[4:5], v[36:37]
	;; [unrolled: 1-line block ×20, first 2 shown]
	v_cvt_f32_f64_e32 v54, v[54:55]
	v_cvt_f32_f64_e32 v52, v[52:53]
	;; [unrolled: 1-line block ×23, first 2 shown]
	v_min3_f32 v123, v54, v52, v182
	v_min3_f32 v151, v50, v48, v174
	;; [unrolled: 1-line block ×11, first 2 shown]
	ds_read_b128 v[36:39], v146 offset:1024
	ds_read_b128 v[32:35], v146 offset:2048
	;; [unrolled: 1-line block ×12, first 2 shown]
	ds_read_b128 v[96:99], v209
	ds_read_b128 v[48:51], v146
	ds_read_b128 v[72:75], v209 offset:1536
	ds_read_b128 v[24:27], v209 offset:1792
	;; [unrolled: 1-line block ×4, first 2 shown]
	s_waitcnt lgkmcnt(5)
	v_add_f64 v[44:45], v[38:39], v[98:99]
	v_add_f64 v[46:47], v[36:37], v[96:97]
	v_add_f64 v[52:53], v[34:35], v[98:99]
	v_add_f64 v[54:55], v[32:33], v[96:97]
	v_add_f64 v[56:57], v[30:31], v[98:99]
	v_add_f64 v[58:59], v[28:29], v[96:97]
	v_add_f64 v[60:61], v[22:23], v[98:99]
	v_add_f64 v[62:63], v[20:21], v[96:97]
	v_cvt_f32_f64_e32 v218, v[218:219]
	v_cvt_f32_f64_e32 v216, v[216:217]
	;; [unrolled: 1-line block ×10, first 2 shown]
	v_min3_f32 v206, v218, v216, v206
	v_cvt_f32_f64_e32 v70, v[70:71]
	v_cvt_f32_f64_e32 v42, v[42:43]
	;; [unrolled: 1-line block ×3, first 2 shown]
	v_min3_f32 v179, v46, v44, v64
	v_min3_f32 v184, v54, v52, v65
	;; [unrolled: 1-line block ×4, first 2 shown]
	v_add_f64 v[64:65], v[18:19], v[98:99]
	v_add_f64 v[66:67], v[16:17], v[96:97]
	v_min3_f32 v69, v69, v70, v206
	v_min3_f32 v168, v42, v40, v195
	s_waitcnt lgkmcnt(4)
	v_add_f64 v[40:41], v[50:51], v[98:99]
	v_add_f64 v[42:43], v[48:49], v[96:97]
	v_cvt_f32_f64_e32 v66, v[66:67]
	v_cvt_f32_f64_e32 v64, v[64:65]
	v_add_f64 v[70:71], v[14:15], v[98:99]
	v_add_f64 v[180:181], v[12:13], v[96:97]
	;; [unrolled: 1-line block ×4, first 2 shown]
	v_min3_f32 v187, v66, v64, v68
	v_cvt_f32_f64_e32 v68, v[180:181]
	v_cvt_f32_f64_e32 v96, v[96:97]
	;; [unrolled: 1-line block ×3, first 2 shown]
	v_add_f64 v[180:181], v[50:51], v[94:95]
	v_add_f64 v[182:183], v[48:49], v[92:93]
	v_min3_f32 v189, v96, v97, v100
	v_cvt_f32_f64_e32 v100, v[182:183]
	v_cvt_f32_f64_e32 v180, v[180:181]
	v_min3_f32 v182, v100, v180, v101
	v_add_f64 v[100:101], v[38:39], v[94:95]
	v_add_f64 v[180:181], v[36:37], v[92:93]
	v_cvt_f32_f64_e32 v180, v[180:181]
	v_cvt_f32_f64_e32 v100, v[100:101]
	v_min3_f32 v183, v180, v100, v102
	v_add_f64 v[100:101], v[34:35], v[94:95]
	v_add_f64 v[180:181], v[32:33], v[92:93]
	;; [unrolled: 5-line block ×34, first 2 shown]
	v_cvt_f32_f64_e32 v102, v[102:103]
	v_cvt_f32_f64_e32 v100, v[100:101]
	v_min3_f32 v159, v102, v100, v159
	s_waitcnt lgkmcnt(3)
	v_add_f64 v[100:101], v[50:51], v[74:75]
	v_add_f64 v[102:103], v[48:49], v[72:73]
	v_cvt_f32_f64_e32 v102, v[102:103]
	v_cvt_f32_f64_e32 v100, v[100:101]
	v_min3_f32 v161, v102, v100, v161
	v_add_f64 v[100:101], v[38:39], v[74:75]
	v_add_f64 v[102:103], v[36:37], v[72:73]
	v_cvt_f32_f64_e32 v102, v[102:103]
	v_cvt_f32_f64_e32 v100, v[100:101]
	v_min3_f32 v162, v102, v100, v162
	;; [unrolled: 5-line block ×4, first 2 shown]
	v_add_f64 v[100:101], v[22:23], v[74:75]
	v_add_f64 v[102:103], v[20:21], v[72:73]
	v_cvt_f32_f64_e32 v102, v[102:103]
	v_cvt_f32_f64_e32 v100, v[100:101]
	;; [unrolled: 1-line block ×4, first 2 shown]
	v_min3_f32 v222, v102, v100, v166
	v_add_f64 v[100:101], v[18:19], v[74:75]
	v_add_f64 v[102:103], v[16:17], v[72:73]
	v_min3_f32 v178, v42, v40, v197
	ds_read_b128 v[40:43], v146 offset:1040
	ds_read_b128 v[44:47], v146 offset:2064
	v_cvt_f32_f64_e32 v102, v[102:103]
	v_cvt_f32_f64_e32 v100, v[100:101]
	v_add_f64 v[94:95], v[10:11], v[94:95]
	v_add_f64 v[92:93], v[8:9], v[92:93]
	;; [unrolled: 1-line block ×10, first 2 shown]
	v_min3_f32 v223, v102, v100, v167
	v_add_f64 v[100:101], v[14:15], v[74:75]
	v_add_f64 v[102:103], v[12:13], v[72:73]
	v_add_f64 v[74:75], v[10:11], v[74:75]
	v_add_f64 v[72:73], v[8:9], v[72:73]
	s_waitcnt lgkmcnt(4)
	v_add_f64 v[14:15], v[14:15], v[26:27]
	v_add_f64 v[12:13], v[12:13], v[24:25]
	;; [unrolled: 1-line block ×4, first 2 shown]
	v_cvt_f32_f64_e32 v12, v[12:13]
	v_cvt_f32_f64_e32 v13, v[14:15]
	;; [unrolled: 1-line block ×4, first 2 shown]
	v_min3_f32 v12, v12, v13, v176
	v_min3_f32 v13, v8, v9, v177
	s_waitcnt lgkmcnt(2)
	v_add_f64 v[8:9], v[2:3], v[6:7]
	v_add_f64 v[10:11], v[0:1], v[4:5]
	ds_read_b128 v[52:55], v146 offset:3088
	ds_read_b128 v[56:59], v146 offset:4112
	v_cvt_f32_f64_e32 v10, v[10:11]
	v_cvt_f32_f64_e32 v8, v[8:9]
	v_min3_f32 v219, v10, v8, v178
	s_waitcnt lgkmcnt(3)
	v_add_f64 v[8:9], v[42:43], v[6:7]
	v_add_f64 v[10:11], v[40:41], v[4:5]
	v_cvt_f32_f64_e32 v10, v[10:11]
	v_cvt_f32_f64_e32 v8, v[8:9]
	v_min3_f32 v218, v10, v8, v179
	s_waitcnt lgkmcnt(2)
	v_add_f64 v[8:9], v[46:47], v[6:7]
	v_add_f64 v[10:11], v[44:45], v[4:5]
	ds_read_b128 v[60:63], v146 offset:5136
	ds_read_b128 v[64:67], v146 offset:6160
	v_cvt_f32_f64_e32 v10, v[10:11]
	v_cvt_f32_f64_e32 v8, v[8:9]
	;; [unrolled: 1-line block ×3, first 2 shown]
	v_min3_f32 v217, v10, v8, v184
	s_waitcnt lgkmcnt(3)
	v_add_f64 v[8:9], v[54:55], v[6:7]
	v_add_f64 v[10:11], v[52:53], v[4:5]
	v_min3_f32 v188, v68, v70, v69
	ds_read_b128 v[68:71], v146 offset:7184
	ds_read_b128 v[96:99], v209 offset:272
	v_cvt_f32_f64_e32 v10, v[10:11]
	v_cvt_f32_f64_e32 v8, v[8:9]
	v_min3_f32 v216, v10, v8, v185
	s_waitcnt lgkmcnt(4)
	v_add_f64 v[8:9], v[58:59], v[6:7]
	v_add_f64 v[10:11], v[56:57], v[4:5]
	v_cvt_f32_f64_e32 v10, v[10:11]
	v_cvt_f32_f64_e32 v8, v[8:9]
	v_min3_f32 v215, v10, v8, v186
	s_waitcnt lgkmcnt(3)
	v_add_f64 v[8:9], v[62:63], v[6:7]
	v_add_f64 v[10:11], v[60:61], v[4:5]
	;; [unrolled: 6-line block ×3, first 2 shown]
	s_waitcnt lgkmcnt(1)
	v_add_f64 v[6:7], v[70:71], v[6:7]
	v_add_f64 v[4:5], v[68:69], v[4:5]
	v_cvt_f32_f64_e32 v4, v[4:5]
	v_cvt_f32_f64_e32 v5, v[6:7]
	v_min3_f32 v205, v4, v5, v189
	s_waitcnt lgkmcnt(0)
	v_add_f64 v[4:5], v[2:3], v[98:99]
	v_add_f64 v[6:7], v[0:1], v[96:97]
	v_cvt_f32_f64_e32 v6, v[6:7]
	v_cvt_f32_f64_e32 v4, v[4:5]
	v_min3_f32 v204, v6, v4, v182
	v_add_f64 v[4:5], v[42:43], v[98:99]
	v_add_f64 v[6:7], v[40:41], v[96:97]
	v_cvt_f32_f64_e32 v6, v[6:7]
	v_cvt_f32_f64_e32 v4, v[4:5]
	v_min3_f32 v203, v6, v4, v183
	;; [unrolled: 5-line block ×4, first 2 shown]
	v_add_f64 v[4:5], v[58:59], v[98:99]
	v_add_f64 v[6:7], v[56:57], v[96:97]
	v_cvt_f32_f64_e32 v6, v[6:7]
	v_cvt_f32_f64_e32 v4, v[4:5]
	;; [unrolled: 1-line block ×4, first 2 shown]
	v_min3_f32 v200, v6, v4, v105
	v_add_f64 v[4:5], v[62:63], v[98:99]
	v_add_f64 v[6:7], v[60:61], v[96:97]
	v_min3_f32 v108, v92, v93, v108
	ds_read_b128 v[92:95], v209 offset:528
	v_cvt_f32_f64_e32 v6, v[6:7]
	v_cvt_f32_f64_e32 v4, v[4:5]
	v_min3_f32 v199, v6, v4, v106
	v_add_f64 v[4:5], v[66:67], v[98:99]
	v_add_f64 v[6:7], v[64:65], v[96:97]
	v_cvt_f32_f64_e32 v6, v[6:7]
	v_cvt_f32_f64_e32 v4, v[4:5]
	v_min3_f32 v198, v6, v4, v107
	v_add_f64 v[4:5], v[70:71], v[98:99]
	v_add_f64 v[6:7], v[68:69], v[96:97]
	v_cvt_f32_f64_e32 v88, v[88:89]
	v_cvt_f32_f64_e32 v89, v[90:91]
	;; [unrolled: 1-line block ×4, first 2 shown]
	v_min3_f32 v116, v88, v89, v116
	ds_read_b128 v[88:91], v209 offset:784
	v_min3_f32 v197, v6, v4, v108
	s_waitcnt lgkmcnt(1)
	v_add_f64 v[4:5], v[2:3], v[94:95]
	v_add_f64 v[6:7], v[0:1], v[92:93]
	v_cvt_f32_f64_e32 v6, v[6:7]
	v_cvt_f32_f64_e32 v4, v[4:5]
	v_min3_f32 v196, v6, v4, v109
	v_add_f64 v[4:5], v[42:43], v[94:95]
	v_add_f64 v[6:7], v[40:41], v[92:93]
	v_cvt_f32_f64_e32 v6, v[6:7]
	v_cvt_f32_f64_e32 v4, v[4:5]
	v_min3_f32 v195, v6, v4, v110
	;; [unrolled: 5-line block ×8, first 2 shown]
	s_waitcnt lgkmcnt(0)
	v_add_f64 v[4:5], v[2:3], v[90:91]
	v_add_f64 v[6:7], v[0:1], v[88:89]
	v_cvt_f32_f64_e32 v10, v[10:11]
	v_cvt_f32_f64_e32 v8, v[8:9]
	;; [unrolled: 1-line block ×4, first 2 shown]
	v_min3_f32 v206, v10, v8, v188
	v_min3_f32 v188, v6, v4, v117
	v_add_f64 v[4:5], v[42:43], v[90:91]
	v_add_f64 v[6:7], v[40:41], v[88:89]
	v_cvt_f32_f64_e32 v6, v[6:7]
	v_cvt_f32_f64_e32 v4, v[4:5]
	v_min3_f32 v187, v6, v4, v118
	v_add_f64 v[4:5], v[46:47], v[90:91]
	v_add_f64 v[6:7], v[44:45], v[88:89]
	v_cvt_f32_f64_e32 v6, v[6:7]
	v_cvt_f32_f64_e32 v4, v[4:5]
	;; [unrolled: 5-line block ×4, first 2 shown]
	v_cvt_f32_f64_e32 v84, v[84:85]
	v_cvt_f32_f64_e32 v85, v[86:87]
	v_min3_f32 v184, v6, v4, v121
	v_add_f64 v[4:5], v[62:63], v[90:91]
	v_add_f64 v[6:7], v[60:61], v[88:89]
	v_min3_f32 v124, v84, v85, v124
	ds_read_b128 v[84:87], v209 offset:1040
	v_cvt_f32_f64_e32 v6, v[6:7]
	v_cvt_f32_f64_e32 v4, v[4:5]
	v_min3_f32 v183, v6, v4, v122
	v_add_f64 v[4:5], v[66:67], v[90:91]
	v_add_f64 v[6:7], v[64:65], v[88:89]
	v_cvt_f32_f64_e32 v6, v[6:7]
	v_cvt_f32_f64_e32 v4, v[4:5]
	v_min3_f32 v182, v6, v4, v123
	v_add_f64 v[4:5], v[70:71], v[90:91]
	v_add_f64 v[6:7], v[68:69], v[88:89]
	v_cvt_f32_f64_e32 v80, v[80:81]
	v_cvt_f32_f64_e32 v81, v[82:83]
	;; [unrolled: 1-line block ×4, first 2 shown]
	v_min3_f32 v152, v80, v81, v152
	ds_read_b128 v[80:83], v209 offset:1296
	v_min3_f32 v181, v6, v4, v124
	s_waitcnt lgkmcnt(1)
	v_add_f64 v[4:5], v[2:3], v[86:87]
	v_add_f64 v[6:7], v[0:1], v[84:85]
	v_cvt_f32_f64_e32 v6, v[6:7]
	v_cvt_f32_f64_e32 v4, v[4:5]
	v_min3_f32 v180, v6, v4, v125
	v_add_f64 v[4:5], v[42:43], v[86:87]
	v_add_f64 v[6:7], v[40:41], v[84:85]
	v_cvt_f32_f64_e32 v6, v[6:7]
	v_cvt_f32_f64_e32 v4, v[4:5]
	v_min3_f32 v179, v6, v4, v126
	;; [unrolled: 5-line block ×4, first 2 shown]
	v_add_f64 v[4:5], v[58:59], v[86:87]
	v_add_f64 v[6:7], v[56:57], v[84:85]
	v_cvt_f32_f64_e32 v6, v[6:7]
	v_cvt_f32_f64_e32 v4, v[4:5]
	v_add_f64 v[18:19], v[18:19], v[26:27]
	v_add_f64 v[16:17], v[16:17], v[24:25]
	v_min3_f32 v176, v6, v4, v149
	v_add_f64 v[4:5], v[62:63], v[86:87]
	v_add_f64 v[6:7], v[60:61], v[84:85]
	v_cvt_f32_f64_e32 v16, v[16:17]
	v_cvt_f32_f64_e32 v17, v[18:19]
	v_cvt_f32_f64_e32 v6, v[6:7]
	v_cvt_f32_f64_e32 v4, v[4:5]
	v_add_f64 v[22:23], v[22:23], v[26:27]
	v_add_f64 v[20:21], v[20:21], v[24:25]
	v_min3_f32 v16, v16, v17, v175
	v_min3_f32 v175, v6, v4, v150
	v_add_f64 v[4:5], v[66:67], v[86:87]
	v_add_f64 v[6:7], v[64:65], v[84:85]
	v_cvt_f32_f64_e32 v20, v[20:21]
	v_cvt_f32_f64_e32 v21, v[22:23]
	v_cvt_f32_f64_e32 v6, v[6:7]
	v_cvt_f32_f64_e32 v4, v[4:5]
	v_add_f64 v[30:31], v[30:31], v[26:27]
	v_add_f64 v[28:29], v[28:29], v[24:25]
	v_min3_f32 v20, v20, v21, v174
	;; [unrolled: 10-line block ×3, first 2 shown]
	v_min3_f32 v173, v6, v4, v152
	s_waitcnt lgkmcnt(0)
	v_add_f64 v[4:5], v[2:3], v[82:83]
	v_add_f64 v[6:7], v[0:1], v[80:81]
	v_cvt_f32_f64_e32 v32, v[32:33]
	v_cvt_f32_f64_e32 v33, v[34:35]
	;; [unrolled: 1-line block ×4, first 2 shown]
	v_add_f64 v[38:39], v[38:39], v[26:27]
	v_add_f64 v[36:37], v[36:37], v[24:25]
	v_min3_f32 v32, v32, v33, v172
	v_min3_f32 v172, v6, v4, v153
	v_add_f64 v[4:5], v[42:43], v[82:83]
	v_add_f64 v[6:7], v[40:41], v[80:81]
	v_cvt_f32_f64_e32 v36, v[36:37]
	v_cvt_f32_f64_e32 v37, v[38:39]
	v_cvt_f32_f64_e32 v6, v[6:7]
	v_cvt_f32_f64_e32 v4, v[4:5]
	v_add_f64 v[50:51], v[50:51], v[26:27]
	v_add_f64 v[48:49], v[48:49], v[24:25]
	v_min3_f32 v36, v36, v37, v171
	v_min3_f32 v171, v6, v4, v154
	v_add_f64 v[4:5], v[46:47], v[82:83]
	v_add_f64 v[6:7], v[44:45], v[80:81]
	v_cvt_f32_f64_e32 v48, v[48:49]
	v_cvt_f32_f64_e32 v49, v[50:51]
	;; [unrolled: 1-line block ×4, first 2 shown]
	v_min3_f32 v48, v48, v49, v170
	v_min3_f32 v170, v6, v4, v155
	v_add_f64 v[4:5], v[54:55], v[82:83]
	v_add_f64 v[6:7], v[52:53], v[80:81]
	v_cvt_f32_f64_e32 v72, v[72:73]
	v_cvt_f32_f64_e32 v73, v[74:75]
	;; [unrolled: 1-line block ×5, first 2 shown]
	v_min3_f32 v101, v72, v73, v169
	v_min3_f32 v169, v6, v4, v156
	v_add_f64 v[4:5], v[58:59], v[82:83]
	v_add_f64 v[6:7], v[56:57], v[80:81]
	v_cvt_f32_f64_e32 v102, v[102:103]
	v_cvt_f32_f64_e32 v6, v[6:7]
	;; [unrolled: 1-line block ×5, first 2 shown]
	v_min3_f32 v100, v102, v100, v168
	v_min3_f32 v168, v6, v4, v157
	v_add_f64 v[4:5], v[62:63], v[82:83]
	v_add_f64 v[6:7], v[60:61], v[80:81]
	v_min3_f32 v160, v76, v77, v160
	ds_read_b128 v[76:79], v209 offset:1552
	ds_read_b128 v[72:75], v209 offset:1808
	v_cvt_f32_f64_e32 v6, v[6:7]
	v_cvt_f32_f64_e32 v4, v[4:5]
	v_min3_f32 v167, v6, v4, v158
	v_add_f64 v[4:5], v[66:67], v[82:83]
	v_add_f64 v[6:7], v[64:65], v[80:81]
	v_cvt_f32_f64_e32 v6, v[6:7]
	v_cvt_f32_f64_e32 v4, v[4:5]
	v_min3_f32 v166, v6, v4, v159
	v_add_f64 v[4:5], v[70:71], v[82:83]
	v_add_f64 v[6:7], v[68:69], v[80:81]
	v_cvt_f32_f64_e32 v6, v[6:7]
	v_cvt_f32_f64_e32 v4, v[4:5]
	v_min3_f32 v165, v6, v4, v160
	s_waitcnt lgkmcnt(1)
	v_add_f64 v[4:5], v[2:3], v[78:79]
	v_add_f64 v[6:7], v[0:1], v[76:77]
	s_waitcnt lgkmcnt(0)
	v_add_f64 v[2:3], v[2:3], v[74:75]
	v_add_f64 v[0:1], v[0:1], v[72:73]
	v_cvt_f32_f64_e32 v6, v[6:7]
	v_cvt_f32_f64_e32 v4, v[4:5]
	v_cvt_f32_f64_e32 v0, v[0:1]
	v_cvt_f32_f64_e32 v1, v[2:3]
	v_min3_f32 v164, v6, v4, v161
	v_add_f64 v[4:5], v[42:43], v[78:79]
	v_add_f64 v[6:7], v[40:41], v[76:77]
	v_min3_f32 v155, v0, v1, v48
	v_add_f64 v[0:1], v[42:43], v[74:75]
	v_add_f64 v[2:3], v[40:41], v[72:73]
	v_cvt_f32_f64_e32 v6, v[6:7]
	v_cvt_f32_f64_e32 v4, v[4:5]
	v_cvt_f32_f64_e32 v2, v[2:3]
	v_cvt_f32_f64_e32 v0, v[0:1]
	v_min3_f32 v162, v6, v4, v162
	v_add_f64 v[4:5], v[46:47], v[78:79]
	v_add_f64 v[6:7], v[44:45], v[76:77]
	v_min3_f32 v154, v2, v0, v36
	;; [unrolled: 10-line block ×7, first 2 shown]
	v_add_f64 v[0:1], v[70:71], v[74:75]
	v_add_f64 v[2:3], v[68:69], v[72:73]
	v_cvt_f32_f64_e32 v6, v[6:7]
	v_cvt_f32_f64_e32 v4, v[4:5]
	;; [unrolled: 1-line block ×4, first 2 shown]
	s_add_i32 s36, s36, 8
	v_min3_f32 v156, v6, v4, v101
	v_min3_f32 v148, v2, v0, v13
	s_cmp_ge_i32 s36, s39
	v_lshl_add_u64 v[130:131], v[130:131], 0, 64
	ds_write2st64_b64 v210, v[132:133], v[134:135] offset1:4
	ds_write2st64_b64 v210, v[136:137], v[138:139] offset0:8 offset1:12
	ds_write_b64 v211, v[140:141]
	s_waitcnt lgkmcnt(0)
	s_barrier
	s_cbranch_scc1 .LBB159_49
.LBB159_29:                             ; =>This Inner Loop Header: Depth=1
	v_add_u32_e32 v220, s36, v144
	v_add_u32_e32 v0, 8, v220
	v_cmp_le_i32_e64 s[10:11], s22, v0
	v_min_i32_e32 v0, s38, v0
	v_mad_i64_i32 v[0:1], s[12:13], v0, s23, 0
	v_lshl_add_u64 v[0:1], v[0:1], 3, s[30:31]
	s_or_b64 s[12:13], vcc, s[10:11]
	v_cndmask_b32_e64 v133, 0, v214, s[12:13]
	s_nor_b64 s[40:41], s[34:35], s[12:13]
	v_cndmask_b32_e64 v132, 0, -1, s[12:13]
	v_lshl_add_u64 v[0:1], v[128:129], 3, v[0:1]
	s_and_saveexec_b64 s[12:13], s[40:41]
	s_cbranch_execz .LBB159_31
; %bb.30:                               ;   in Loop: Header=BB159_29 Depth=1
	global_load_dwordx2 v[2:3], v[0:1], off
	s_waitcnt vmcnt(0)
	v_mul_f64 v[132:133], s[28:29], v[2:3]
.LBB159_31:                             ;   in Loop: Header=BB159_29 Depth=1
	s_or_b64 exec, exec, s[12:13]
	s_or_b64 s[12:13], s[2:3], s[10:11]
	v_cndmask_b32_e64 v135, 0, v214, s[12:13]
	s_nor_b64 s[40:41], s[34:35], s[12:13]
	v_cndmask_b32_e64 v134, 0, -1, s[12:13]
	s_and_saveexec_b64 s[12:13], s[40:41]
	s_cbranch_execz .LBB159_33
; %bb.32:                               ;   in Loop: Header=BB159_29 Depth=1
	global_load_dwordx2 v[2:3], v[0:1], off offset:512
	s_waitcnt vmcnt(0)
	v_mul_f64 v[134:135], s[28:29], v[2:3]
.LBB159_33:                             ;   in Loop: Header=BB159_29 Depth=1
	s_or_b64 exec, exec, s[12:13]
	s_or_b64 s[12:13], s[4:5], s[10:11]
	v_cndmask_b32_e64 v137, 0, v214, s[12:13]
	s_nor_b64 s[40:41], s[34:35], s[12:13]
	v_cndmask_b32_e64 v136, 0, -1, s[12:13]
	s_and_saveexec_b64 s[12:13], s[40:41]
	s_cbranch_execz .LBB159_35
; %bb.34:                               ;   in Loop: Header=BB159_29 Depth=1
	global_load_dwordx2 v[2:3], v[0:1], off offset:1024
	s_waitcnt vmcnt(0)
	v_mul_f64 v[136:137], s[28:29], v[2:3]
.LBB159_35:                             ;   in Loop: Header=BB159_29 Depth=1
	s_or_b64 exec, exec, s[12:13]
	s_or_b64 s[10:11], s[6:7], s[10:11]
	v_cndmask_b32_e64 v139, 0, v214, s[10:11]
	s_nor_b64 s[12:13], s[34:35], s[10:11]
	v_cndmask_b32_e64 v138, 0, -1, s[10:11]
	s_and_saveexec_b64 s[10:11], s[12:13]
	s_cbranch_execz .LBB159_37
; %bb.36:                               ;   in Loop: Header=BB159_29 Depth=1
	global_load_dwordx2 v[0:1], v[0:1], off offset:1536
	s_waitcnt vmcnt(0)
	v_mul_f64 v[138:139], s[28:29], v[0:1]
.LBB159_37:                             ;   in Loop: Header=BB159_29 Depth=1
	s_or_b64 exec, exec, s[10:11]
	v_add_u32_e32 v221, s36, v147
	v_add_u32_e32 v0, 8, v221
	v_cmp_le_i32_e64 s[10:11], s22, v0
	s_or_b64 s[10:11], s[10:11], s[8:9]
	s_nor_b64 s[12:13], s[34:35], s[10:11]
	v_cndmask_b32_e64 v141, 0, v214, s[10:11]
	v_cndmask_b32_e64 v140, 0, -1, s[10:11]
	s_and_saveexec_b64 s[10:11], s[12:13]
	s_cbranch_execz .LBB159_39
; %bb.38:                               ;   in Loop: Header=BB159_29 Depth=1
	global_load_dwordx2 v[0:1], v[130:131], off
	s_waitcnt vmcnt(0)
	v_mul_f64 v[140:141], s[28:29], v[0:1]
.LBB159_39:                             ;   in Loop: Header=BB159_29 Depth=1
	s_or_b64 exec, exec, s[10:11]
	ds_read_b128 v[124:127], v213
	ds_read_b128 v[60:63], v213 offset:16
	ds_read_b128 v[96:99], v212
	ds_read_b128 v[32:35], v212 offset:16
	ds_read_b128 v[92:95], v212 offset:1024
	;; [unrolled: 1-line block ×29, first 2 shown]
	ds_write2st64_b64 v163, v[132:133], v[134:135] offset1:4
	ds_write2st64_b64 v163, v[136:137], v[138:139] offset0:8 offset1:12
	ds_write_b64 v208, v[140:141]
	v_add_u32_e32 v132, 12, v220
	v_cmp_le_i32_e64 s[10:11], s22, v132
	v_min_i32_e32 v132, s38, v132
	v_mad_i64_i32 v[132:133], s[12:13], v132, s23, 0
	v_lshl_add_u64 v[134:135], v[132:133], 3, s[30:31]
	s_or_b64 s[12:13], vcc, s[10:11]
	v_cndmask_b32_e64 v133, 0, v214, s[12:13]
	s_nor_b64 s[40:41], s[34:35], s[12:13]
	v_cndmask_b32_e64 v132, 0, -1, s[12:13]
	v_lshl_add_u64 v[140:141], v[128:129], 3, v[134:135]
	s_waitcnt lgkmcnt(0)
	s_barrier
	s_and_saveexec_b64 s[12:13], s[40:41]
	s_cbranch_execz .LBB159_41
; %bb.40:                               ;   in Loop: Header=BB159_29 Depth=1
	global_load_dwordx2 v[132:133], v[140:141], off
	s_waitcnt vmcnt(0)
	v_mul_f64 v[132:133], s[28:29], v[132:133]
.LBB159_41:                             ;   in Loop: Header=BB159_29 Depth=1
	s_or_b64 exec, exec, s[12:13]
	s_or_b64 s[12:13], s[2:3], s[10:11]
	v_cndmask_b32_e64 v135, 0, v214, s[12:13]
	s_nor_b64 s[40:41], s[34:35], s[12:13]
	v_cndmask_b32_e64 v134, 0, -1, s[12:13]
	s_and_saveexec_b64 s[12:13], s[40:41]
	s_cbranch_execz .LBB159_43
; %bb.42:                               ;   in Loop: Header=BB159_29 Depth=1
	global_load_dwordx2 v[134:135], v[140:141], off offset:512
	s_waitcnt vmcnt(0)
	v_mul_f64 v[134:135], s[28:29], v[134:135]
.LBB159_43:                             ;   in Loop: Header=BB159_29 Depth=1
	s_or_b64 exec, exec, s[12:13]
	s_or_b64 s[12:13], s[4:5], s[10:11]
	v_cndmask_b32_e64 v137, 0, v214, s[12:13]
	s_nor_b64 s[40:41], s[34:35], s[12:13]
	v_cndmask_b32_e64 v136, 0, -1, s[12:13]
	s_and_saveexec_b64 s[12:13], s[40:41]
	s_cbranch_execz .LBB159_45
; %bb.44:                               ;   in Loop: Header=BB159_29 Depth=1
	global_load_dwordx2 v[136:137], v[140:141], off offset:1024
	s_waitcnt vmcnt(0)
	v_mul_f64 v[136:137], s[28:29], v[136:137]
.LBB159_45:                             ;   in Loop: Header=BB159_29 Depth=1
	;; [unrolled: 12-line block ×3, first 2 shown]
	s_or_b64 exec, exec, s[10:11]
	v_add_u32_e32 v140, 12, v221
	v_cmp_le_i32_e64 s[10:11], s22, v140
	s_or_b64 s[10:11], s[10:11], s[8:9]
	s_nor_b64 s[12:13], s[34:35], s[10:11]
	v_cndmask_b32_e64 v141, 0, v214, s[10:11]
	v_cndmask_b32_e64 v140, 0, -1, s[10:11]
	s_and_saveexec_b64 s[10:11], s[12:13]
	s_cbranch_execz .LBB159_28
; %bb.48:                               ;   in Loop: Header=BB159_29 Depth=1
	global_load_dwordx2 v[140:141], v[130:131], off offset:32
	s_waitcnt vmcnt(0)
	v_mul_f64 v[140:141], s[28:29], v[140:141]
	s_branch .LBB159_28
.LBB159_49:
	s_load_dwordx2 s[2:3], s[0:1], 0x78
	s_load_dword s31, s[0:1], 0x58
	s_load_dword s30, s[0:1], 0x70
	ds_read_b128 v[68:71], v146 offset:8192
	ds_read_b128 v[64:67], v146 offset:8208
	;; [unrolled: 1-line block ×32, first 2 shown]
	v_add_u32_e32 v163, s33, v143
	s_waitcnt lgkmcnt(0)
	s_mul_i32 s1, s3, s18
	s_mul_hi_u32 s3, s2, s18
	s_mul_i32 s0, s2, s18
	s_add_i32 s1, s3, s1
	s_lshl_b64 s[0:1], s[0:1], 3
	s_add_u32 s22, s14, s0
	s_addc_u32 s23, s15, s1
	v_mad_i64_i32 v[130:131], s[0:1], v163, s31, 0
	v_add_u32_e32 v128, s19, v142
	v_lshl_add_u64 v[146:147], v[130:131], 3, s[26:27]
	v_mad_i64_i32 v[130:131], s[0:1], v163, s30, 0
	v_cmp_gt_i32_e64 s[2:3], s20, v128
	v_cmp_gt_i32_e64 s[18:19], s21, v163
	v_lshl_add_u64 v[144:145], v[130:131], 3, s[22:23]
	v_cndmask_b32_e64 v130, 0, 1, s[16:17]
	v_ashrrev_i32_e32 v129, 31, v128
	s_and_b64 s[6:7], s[2:3], s[18:19]
	v_cmp_ne_u32_e64 s[0:1], 1, v130
	s_and_saveexec_b64 s[4:5], s[6:7]
	s_cbranch_execz .LBB159_54
; %bb.50:
	s_and_b64 vcc, exec, s[0:1]
	s_cbranch_vccnz .LBB159_52
; %bb.51:
	v_lshl_add_u64 v[130:131], v[128:129], 3, v[146:147]
	global_load_dwordx2 v[130:131], v[130:131], off
	s_waitcnt vmcnt(0)
	v_mul_f64 v[130:131], s[24:25], v[130:131]
	v_cvt_f32_f64_e32 v130, v[130:131]
	s_branch .LBB159_53
.LBB159_52:
	v_mov_b32_e32 v130, 0
.LBB159_53:
	v_add_f64 v[132:133], v[70:71], v[126:127]
	v_add_f64 v[134:135], v[68:69], v[124:125]
	v_cvt_f32_f64_e32 v131, v[134:135]
	v_cvt_f32_f64_e32 v132, v[132:133]
	v_min3_f32 v131, v131, v132, v219
	v_add_f64 v[132:133], v[66:67], v[122:123]
	v_add_f64 v[134:135], v[64:65], v[120:121]
	v_cvt_f32_f64_e32 v134, v[134:135]
	v_cvt_f32_f64_e32 v132, v[132:133]
	v_min_f32_e32 v132, v134, v132
	v_min3_f32 v130, v130, v132, v131
	v_cvt_f64_f32_e32 v[130:131], v130
	v_lshl_add_u64 v[132:133], v[128:129], 3, v[144:145]
	global_store_dwordx2 v[132:133], v[130:131], off
.LBB159_54:
	s_or_b64 exec, exec, s[4:5]
	v_add_u32_e32 v130, 32, v128
	v_cmp_gt_i32_e64 s[4:5], s20, v130
	v_ashrrev_i32_e32 v131, 31, v130
	s_and_b64 s[8:9], s[4:5], s[18:19]
	s_and_saveexec_b64 s[6:7], s[8:9]
	s_cbranch_execz .LBB159_59
; %bb.55:
	s_and_b64 vcc, exec, s[0:1]
	s_cbranch_vccnz .LBB159_57
; %bb.56:
	v_lshl_add_u64 v[132:133], v[130:131], 3, v[146:147]
	global_load_dwordx2 v[132:133], v[132:133], off
	s_waitcnt vmcnt(0)
	v_mul_f64 v[132:133], s[24:25], v[132:133]
	v_cvt_f32_f64_e32 v132, v[132:133]
	s_branch .LBB159_58
.LBB159_57:
	v_mov_b32_e32 v132, 0
.LBB159_58:
	v_add_f64 v[134:135], v[62:63], v[126:127]
	v_add_f64 v[136:137], v[60:61], v[124:125]
	v_cvt_f32_f64_e32 v133, v[136:137]
	v_cvt_f32_f64_e32 v134, v[134:135]
	v_min3_f32 v133, v133, v134, v218
	v_add_f64 v[134:135], v[58:59], v[122:123]
	v_add_f64 v[136:137], v[56:57], v[120:121]
	v_cvt_f32_f64_e32 v136, v[136:137]
	v_cvt_f32_f64_e32 v134, v[134:135]
	v_min_f32_e32 v134, v136, v134
	v_min3_f32 v132, v132, v134, v133
	v_cvt_f64_f32_e32 v[132:133], v132
	v_lshl_add_u64 v[134:135], v[130:131], 3, v[144:145]
	global_store_dwordx2 v[134:135], v[132:133], off
.LBB159_59:
	s_or_b64 exec, exec, s[6:7]
	v_add_u32_e32 v132, 64, v128
	v_cmp_gt_i32_e64 s[6:7], s20, v132
	v_ashrrev_i32_e32 v133, 31, v132
	s_and_b64 s[10:11], s[6:7], s[18:19]
	;; [unrolled: 35-line block ×7, first 2 shown]
	s_and_saveexec_b64 s[18:19], s[28:29]
	s_cbranch_execz .LBB159_89
; %bb.85:
	s_and_b64 vcc, exec, s[0:1]
	s_cbranch_vccnz .LBB159_87
; %bb.86:
	v_lshl_add_u64 v[146:147], v[142:143], 3, v[146:147]
	global_load_dwordx2 v[146:147], v[146:147], off
	s_waitcnt vmcnt(0)
	v_mul_f64 v[146:147], s[24:25], v[146:147]
	v_cvt_f32_f64_e32 v146, v[146:147]
	s_branch .LBB159_88
.LBB159_87:
	v_mov_b32_e32 v146, 0
.LBB159_88:
	v_add_f64 v[126:127], v[6:7], v[126:127]
	v_add_f64 v[124:125], v[4:5], v[124:125]
	;; [unrolled: 1-line block ×4, first 2 shown]
	v_cvt_f32_f64_e32 v124, v[124:125]
	v_cvt_f32_f64_e32 v125, v[126:127]
	;; [unrolled: 1-line block ×4, first 2 shown]
	v_min3_f32 v124, v124, v125, v205
	v_min_f32_e32 v120, v120, v121
	v_min3_f32 v120, v146, v120, v124
	v_cvt_f64_f32_e32 v[120:121], v120
	v_lshl_add_u64 v[122:123], v[142:143], 3, v[144:145]
	global_store_dwordx2 v[122:123], v[120:121], off
.LBB159_89:
	s_or_b64 exec, exec, s[18:19]
	v_add_u32_e32 v124, 8, v163
	v_mad_i64_i32 v[120:121], s[28:29], v124, s31, 0
	v_cmp_gt_i32_e64 s[18:19], s21, v124
	v_lshl_add_u64 v[122:123], v[120:121], 3, s[26:27]
	v_mad_i64_i32 v[120:121], s[28:29], v124, s30, 0
	v_lshl_add_u64 v[120:121], v[120:121], 3, s[22:23]
	s_and_b64 s[34:35], s[2:3], s[18:19]
	s_and_saveexec_b64 s[28:29], s[34:35]
	s_cbranch_execnz .LBB159_97
; %bb.90:
	s_or_b64 exec, exec, s[28:29]
	s_and_b64 s[34:35], s[4:5], s[18:19]
	s_and_saveexec_b64 s[28:29], s[34:35]
	s_cbranch_execnz .LBB159_101
.LBB159_91:
	s_or_b64 exec, exec, s[28:29]
	s_and_b64 s[34:35], s[6:7], s[18:19]
	s_and_saveexec_b64 s[28:29], s[34:35]
	s_cbranch_execnz .LBB159_105
.LBB159_92:
	s_or_b64 exec, exec, s[28:29]
	s_and_b64 s[34:35], s[8:9], s[18:19]
	s_and_saveexec_b64 s[28:29], s[34:35]
	s_cbranch_execnz .LBB159_109
.LBB159_93:
	s_or_b64 exec, exec, s[28:29]
	s_and_b64 s[34:35], s[10:11], s[18:19]
	s_and_saveexec_b64 s[28:29], s[34:35]
	s_cbranch_execnz .LBB159_113
.LBB159_94:
	s_or_b64 exec, exec, s[28:29]
	s_and_b64 s[34:35], s[12:13], s[18:19]
	s_and_saveexec_b64 s[28:29], s[34:35]
	s_cbranch_execnz .LBB159_117
.LBB159_95:
	s_or_b64 exec, exec, s[28:29]
	s_and_b64 s[34:35], s[14:15], s[18:19]
	s_and_saveexec_b64 s[28:29], s[34:35]
	s_cbranch_execnz .LBB159_121
.LBB159_96:
	s_or_b64 exec, exec, s[28:29]
	s_and_b64 s[28:29], s[16:17], s[18:19]
	s_and_saveexec_b64 s[18:19], s[28:29]
	s_cbranch_execnz .LBB159_125
	s_branch .LBB159_129
.LBB159_97:
	s_and_b64 vcc, exec, s[0:1]
	s_cbranch_vccnz .LBB159_99
; %bb.98:
	v_lshl_add_u64 v[124:125], v[128:129], 3, v[122:123]
	global_load_dwordx2 v[124:125], v[124:125], off
	s_waitcnt vmcnt(0)
	v_mul_f64 v[124:125], s[24:25], v[124:125]
	v_cvt_f32_f64_e32 v124, v[124:125]
	s_branch .LBB159_100
.LBB159_99:
	v_mov_b32_e32 v124, 0
.LBB159_100:
	v_add_f64 v[126:127], v[70:71], v[118:119]
	v_add_f64 v[144:145], v[68:69], v[116:117]
	v_cvt_f32_f64_e32 v125, v[144:145]
	v_cvt_f32_f64_e32 v126, v[126:127]
	v_min3_f32 v125, v125, v126, v204
	v_add_f64 v[126:127], v[66:67], v[114:115]
	v_add_f64 v[144:145], v[64:65], v[112:113]
	v_cvt_f32_f64_e32 v144, v[144:145]
	v_cvt_f32_f64_e32 v126, v[126:127]
	v_min_f32_e32 v126, v144, v126
	v_min3_f32 v124, v124, v126, v125
	v_cvt_f64_f32_e32 v[124:125], v124
	v_lshl_add_u64 v[126:127], v[128:129], 3, v[120:121]
	global_store_dwordx2 v[126:127], v[124:125], off
	s_or_b64 exec, exec, s[28:29]
	s_and_b64 s[34:35], s[4:5], s[18:19]
	s_and_saveexec_b64 s[28:29], s[34:35]
	s_cbranch_execz .LBB159_91
.LBB159_101:
	s_and_b64 vcc, exec, s[0:1]
	s_cbranch_vccnz .LBB159_103
; %bb.102:
	v_lshl_add_u64 v[124:125], v[130:131], 3, v[122:123]
	global_load_dwordx2 v[124:125], v[124:125], off
	s_waitcnt vmcnt(0)
	v_mul_f64 v[124:125], s[24:25], v[124:125]
	v_cvt_f32_f64_e32 v124, v[124:125]
	s_branch .LBB159_104
.LBB159_103:
	v_mov_b32_e32 v124, 0
.LBB159_104:
	v_add_f64 v[126:127], v[62:63], v[118:119]
	v_add_f64 v[144:145], v[60:61], v[116:117]
	v_cvt_f32_f64_e32 v125, v[144:145]
	v_cvt_f32_f64_e32 v126, v[126:127]
	v_min3_f32 v125, v125, v126, v203
	v_add_f64 v[126:127], v[58:59], v[114:115]
	v_add_f64 v[144:145], v[56:57], v[112:113]
	v_cvt_f32_f64_e32 v144, v[144:145]
	v_cvt_f32_f64_e32 v126, v[126:127]
	v_min_f32_e32 v126, v144, v126
	v_min3_f32 v124, v124, v126, v125
	v_cvt_f64_f32_e32 v[124:125], v124
	v_lshl_add_u64 v[126:127], v[130:131], 3, v[120:121]
	global_store_dwordx2 v[126:127], v[124:125], off
	s_or_b64 exec, exec, s[28:29]
	s_and_b64 s[34:35], s[6:7], s[18:19]
	s_and_saveexec_b64 s[28:29], s[34:35]
	s_cbranch_execz .LBB159_92
.LBB159_105:
	s_and_b64 vcc, exec, s[0:1]
	s_cbranch_vccnz .LBB159_107
; %bb.106:
	v_lshl_add_u64 v[124:125], v[132:133], 3, v[122:123]
	global_load_dwordx2 v[124:125], v[124:125], off
	s_waitcnt vmcnt(0)
	v_mul_f64 v[124:125], s[24:25], v[124:125]
	v_cvt_f32_f64_e32 v124, v[124:125]
	s_branch .LBB159_108
.LBB159_107:
	v_mov_b32_e32 v124, 0
.LBB159_108:
	v_add_f64 v[126:127], v[54:55], v[118:119]
	v_add_f64 v[144:145], v[52:53], v[116:117]
	v_cvt_f32_f64_e32 v125, v[144:145]
	v_cvt_f32_f64_e32 v126, v[126:127]
	v_min3_f32 v125, v125, v126, v202
	v_add_f64 v[126:127], v[50:51], v[114:115]
	v_add_f64 v[144:145], v[48:49], v[112:113]
	v_cvt_f32_f64_e32 v144, v[144:145]
	v_cvt_f32_f64_e32 v126, v[126:127]
	v_min_f32_e32 v126, v144, v126
	v_min3_f32 v124, v124, v126, v125
	v_cvt_f64_f32_e32 v[124:125], v124
	v_lshl_add_u64 v[126:127], v[132:133], 3, v[120:121]
	global_store_dwordx2 v[126:127], v[124:125], off
	s_or_b64 exec, exec, s[28:29]
	s_and_b64 s[34:35], s[8:9], s[18:19]
	s_and_saveexec_b64 s[28:29], s[34:35]
	s_cbranch_execz .LBB159_93
.LBB159_109:
	s_and_b64 vcc, exec, s[0:1]
	s_cbranch_vccnz .LBB159_111
; %bb.110:
	v_lshl_add_u64 v[124:125], v[134:135], 3, v[122:123]
	global_load_dwordx2 v[124:125], v[124:125], off
	s_waitcnt vmcnt(0)
	v_mul_f64 v[124:125], s[24:25], v[124:125]
	v_cvt_f32_f64_e32 v124, v[124:125]
	s_branch .LBB159_112
.LBB159_111:
	v_mov_b32_e32 v124, 0
.LBB159_112:
	v_add_f64 v[126:127], v[46:47], v[118:119]
	v_add_f64 v[144:145], v[44:45], v[116:117]
	v_cvt_f32_f64_e32 v125, v[144:145]
	v_cvt_f32_f64_e32 v126, v[126:127]
	v_min3_f32 v125, v125, v126, v201
	v_add_f64 v[126:127], v[42:43], v[114:115]
	v_add_f64 v[144:145], v[40:41], v[112:113]
	v_cvt_f32_f64_e32 v144, v[144:145]
	v_cvt_f32_f64_e32 v126, v[126:127]
	v_min_f32_e32 v126, v144, v126
	v_min3_f32 v124, v124, v126, v125
	v_cvt_f64_f32_e32 v[124:125], v124
	v_lshl_add_u64 v[126:127], v[134:135], 3, v[120:121]
	global_store_dwordx2 v[126:127], v[124:125], off
	s_or_b64 exec, exec, s[28:29]
	s_and_b64 s[34:35], s[10:11], s[18:19]
	s_and_saveexec_b64 s[28:29], s[34:35]
	s_cbranch_execz .LBB159_94
.LBB159_113:
	s_and_b64 vcc, exec, s[0:1]
	s_cbranch_vccnz .LBB159_115
; %bb.114:
	v_lshl_add_u64 v[124:125], v[136:137], 3, v[122:123]
	global_load_dwordx2 v[124:125], v[124:125], off
	s_waitcnt vmcnt(0)
	v_mul_f64 v[124:125], s[24:25], v[124:125]
	v_cvt_f32_f64_e32 v124, v[124:125]
	s_branch .LBB159_116
.LBB159_115:
	v_mov_b32_e32 v124, 0
.LBB159_116:
	v_add_f64 v[126:127], v[38:39], v[118:119]
	v_add_f64 v[144:145], v[36:37], v[116:117]
	v_cvt_f32_f64_e32 v125, v[144:145]
	v_cvt_f32_f64_e32 v126, v[126:127]
	v_min3_f32 v125, v125, v126, v200
	v_add_f64 v[126:127], v[34:35], v[114:115]
	v_add_f64 v[144:145], v[32:33], v[112:113]
	v_cvt_f32_f64_e32 v144, v[144:145]
	v_cvt_f32_f64_e32 v126, v[126:127]
	v_min_f32_e32 v126, v144, v126
	v_min3_f32 v124, v124, v126, v125
	v_cvt_f64_f32_e32 v[124:125], v124
	v_lshl_add_u64 v[126:127], v[136:137], 3, v[120:121]
	global_store_dwordx2 v[126:127], v[124:125], off
	s_or_b64 exec, exec, s[28:29]
	s_and_b64 s[34:35], s[12:13], s[18:19]
	s_and_saveexec_b64 s[28:29], s[34:35]
	s_cbranch_execz .LBB159_95
.LBB159_117:
	s_and_b64 vcc, exec, s[0:1]
	s_cbranch_vccnz .LBB159_119
; %bb.118:
	v_lshl_add_u64 v[124:125], v[138:139], 3, v[122:123]
	global_load_dwordx2 v[124:125], v[124:125], off
	s_waitcnt vmcnt(0)
	v_mul_f64 v[124:125], s[24:25], v[124:125]
	v_cvt_f32_f64_e32 v124, v[124:125]
	s_branch .LBB159_120
.LBB159_119:
	v_mov_b32_e32 v124, 0
.LBB159_120:
	v_add_f64 v[126:127], v[30:31], v[118:119]
	v_add_f64 v[144:145], v[28:29], v[116:117]
	v_cvt_f32_f64_e32 v125, v[144:145]
	v_cvt_f32_f64_e32 v126, v[126:127]
	v_min3_f32 v125, v125, v126, v199
	v_add_f64 v[126:127], v[26:27], v[114:115]
	v_add_f64 v[144:145], v[24:25], v[112:113]
	v_cvt_f32_f64_e32 v144, v[144:145]
	v_cvt_f32_f64_e32 v126, v[126:127]
	v_min_f32_e32 v126, v144, v126
	v_min3_f32 v124, v124, v126, v125
	v_cvt_f64_f32_e32 v[124:125], v124
	v_lshl_add_u64 v[126:127], v[138:139], 3, v[120:121]
	global_store_dwordx2 v[126:127], v[124:125], off
	s_or_b64 exec, exec, s[28:29]
	s_and_b64 s[34:35], s[14:15], s[18:19]
	s_and_saveexec_b64 s[28:29], s[34:35]
	s_cbranch_execz .LBB159_96
.LBB159_121:
	s_and_b64 vcc, exec, s[0:1]
	s_cbranch_vccnz .LBB159_123
; %bb.122:
	v_lshl_add_u64 v[124:125], v[140:141], 3, v[122:123]
	global_load_dwordx2 v[124:125], v[124:125], off
	s_waitcnt vmcnt(0)
	v_mul_f64 v[124:125], s[24:25], v[124:125]
	v_cvt_f32_f64_e32 v124, v[124:125]
	s_branch .LBB159_124
.LBB159_123:
	v_mov_b32_e32 v124, 0
.LBB159_124:
	v_add_f64 v[126:127], v[22:23], v[118:119]
	v_add_f64 v[144:145], v[20:21], v[116:117]
	v_cvt_f32_f64_e32 v125, v[144:145]
	v_cvt_f32_f64_e32 v126, v[126:127]
	v_min3_f32 v125, v125, v126, v198
	v_add_f64 v[126:127], v[18:19], v[114:115]
	v_add_f64 v[144:145], v[16:17], v[112:113]
	v_cvt_f32_f64_e32 v144, v[144:145]
	v_cvt_f32_f64_e32 v126, v[126:127]
	v_min_f32_e32 v126, v144, v126
	v_min3_f32 v124, v124, v126, v125
	v_cvt_f64_f32_e32 v[124:125], v124
	v_lshl_add_u64 v[126:127], v[140:141], 3, v[120:121]
	global_store_dwordx2 v[126:127], v[124:125], off
	s_or_b64 exec, exec, s[28:29]
	s_and_b64 s[28:29], s[16:17], s[18:19]
	s_and_saveexec_b64 s[18:19], s[28:29]
	s_cbranch_execz .LBB159_129
.LBB159_125:
	s_and_b64 vcc, exec, s[0:1]
	s_cbranch_vccnz .LBB159_127
; %bb.126:
	v_lshl_add_u64 v[122:123], v[142:143], 3, v[122:123]
	global_load_dwordx2 v[122:123], v[122:123], off
	s_waitcnt vmcnt(0)
	v_mul_f64 v[122:123], s[24:25], v[122:123]
	v_cvt_f32_f64_e32 v122, v[122:123]
	s_branch .LBB159_128
.LBB159_127:
	v_mov_b32_e32 v122, 0
.LBB159_128:
	v_add_f64 v[118:119], v[6:7], v[118:119]
	v_add_f64 v[116:117], v[4:5], v[116:117]
	v_add_f64 v[114:115], v[2:3], v[114:115]
	v_add_f64 v[112:113], v[0:1], v[112:113]
	v_cvt_f32_f64_e32 v116, v[116:117]
	v_cvt_f32_f64_e32 v117, v[118:119]
	;; [unrolled: 1-line block ×4, first 2 shown]
	v_min3_f32 v116, v116, v117, v197
	v_min_f32_e32 v112, v112, v113
	v_min3_f32 v112, v122, v112, v116
	v_cvt_f64_f32_e32 v[112:113], v112
	v_lshl_add_u64 v[114:115], v[142:143], 3, v[120:121]
	global_store_dwordx2 v[114:115], v[112:113], off
.LBB159_129:
	s_or_b64 exec, exec, s[18:19]
	v_add_u32_e32 v116, 16, v163
	v_mad_i64_i32 v[112:113], s[28:29], v116, s31, 0
	v_cmp_gt_i32_e64 s[18:19], s21, v116
	v_lshl_add_u64 v[114:115], v[112:113], 3, s[26:27]
	v_mad_i64_i32 v[112:113], s[28:29], v116, s30, 0
	v_lshl_add_u64 v[112:113], v[112:113], 3, s[22:23]
	s_and_b64 s[34:35], s[2:3], s[18:19]
	s_and_saveexec_b64 s[28:29], s[34:35]
	s_cbranch_execnz .LBB159_137
; %bb.130:
	s_or_b64 exec, exec, s[28:29]
	s_and_b64 s[34:35], s[4:5], s[18:19]
	s_and_saveexec_b64 s[28:29], s[34:35]
	s_cbranch_execnz .LBB159_141
.LBB159_131:
	s_or_b64 exec, exec, s[28:29]
	s_and_b64 s[34:35], s[6:7], s[18:19]
	s_and_saveexec_b64 s[28:29], s[34:35]
	s_cbranch_execnz .LBB159_145
.LBB159_132:
	s_or_b64 exec, exec, s[28:29]
	s_and_b64 s[34:35], s[8:9], s[18:19]
	s_and_saveexec_b64 s[28:29], s[34:35]
	s_cbranch_execnz .LBB159_149
.LBB159_133:
	s_or_b64 exec, exec, s[28:29]
	s_and_b64 s[34:35], s[10:11], s[18:19]
	s_and_saveexec_b64 s[28:29], s[34:35]
	s_cbranch_execnz .LBB159_153
.LBB159_134:
	s_or_b64 exec, exec, s[28:29]
	s_and_b64 s[34:35], s[12:13], s[18:19]
	s_and_saveexec_b64 s[28:29], s[34:35]
	s_cbranch_execnz .LBB159_157
.LBB159_135:
	s_or_b64 exec, exec, s[28:29]
	s_and_b64 s[34:35], s[14:15], s[18:19]
	s_and_saveexec_b64 s[28:29], s[34:35]
	s_cbranch_execnz .LBB159_161
.LBB159_136:
	s_or_b64 exec, exec, s[28:29]
	s_and_b64 s[28:29], s[16:17], s[18:19]
	s_and_saveexec_b64 s[18:19], s[28:29]
	s_cbranch_execnz .LBB159_165
	s_branch .LBB159_169
.LBB159_137:
	s_and_b64 vcc, exec, s[0:1]
	s_cbranch_vccnz .LBB159_139
; %bb.138:
	v_lshl_add_u64 v[116:117], v[128:129], 3, v[114:115]
	global_load_dwordx2 v[116:117], v[116:117], off
	s_waitcnt vmcnt(0)
	v_mul_f64 v[116:117], s[24:25], v[116:117]
	v_cvt_f32_f64_e32 v116, v[116:117]
	s_branch .LBB159_140
.LBB159_139:
	v_mov_b32_e32 v116, 0
.LBB159_140:
	v_add_f64 v[118:119], v[70:71], v[110:111]
	v_add_f64 v[120:121], v[68:69], v[108:109]
	v_cvt_f32_f64_e32 v117, v[120:121]
	v_cvt_f32_f64_e32 v118, v[118:119]
	v_min3_f32 v117, v117, v118, v196
	v_add_f64 v[118:119], v[66:67], v[106:107]
	v_add_f64 v[120:121], v[64:65], v[104:105]
	v_cvt_f32_f64_e32 v120, v[120:121]
	v_cvt_f32_f64_e32 v118, v[118:119]
	v_min_f32_e32 v118, v120, v118
	v_min3_f32 v116, v116, v118, v117
	v_cvt_f64_f32_e32 v[116:117], v116
	v_lshl_add_u64 v[118:119], v[128:129], 3, v[112:113]
	global_store_dwordx2 v[118:119], v[116:117], off
	s_or_b64 exec, exec, s[28:29]
	s_and_b64 s[34:35], s[4:5], s[18:19]
	s_and_saveexec_b64 s[28:29], s[34:35]
	s_cbranch_execz .LBB159_131
.LBB159_141:
	s_and_b64 vcc, exec, s[0:1]
	s_cbranch_vccnz .LBB159_143
; %bb.142:
	v_lshl_add_u64 v[116:117], v[130:131], 3, v[114:115]
	global_load_dwordx2 v[116:117], v[116:117], off
	s_waitcnt vmcnt(0)
	v_mul_f64 v[116:117], s[24:25], v[116:117]
	v_cvt_f32_f64_e32 v116, v[116:117]
	s_branch .LBB159_144
.LBB159_143:
	v_mov_b32_e32 v116, 0
.LBB159_144:
	v_add_f64 v[118:119], v[62:63], v[110:111]
	v_add_f64 v[120:121], v[60:61], v[108:109]
	v_cvt_f32_f64_e32 v117, v[120:121]
	v_cvt_f32_f64_e32 v118, v[118:119]
	v_min3_f32 v117, v117, v118, v195
	v_add_f64 v[118:119], v[58:59], v[106:107]
	v_add_f64 v[120:121], v[56:57], v[104:105]
	v_cvt_f32_f64_e32 v120, v[120:121]
	v_cvt_f32_f64_e32 v118, v[118:119]
	v_min_f32_e32 v118, v120, v118
	v_min3_f32 v116, v116, v118, v117
	v_cvt_f64_f32_e32 v[116:117], v116
	v_lshl_add_u64 v[118:119], v[130:131], 3, v[112:113]
	global_store_dwordx2 v[118:119], v[116:117], off
	s_or_b64 exec, exec, s[28:29]
	s_and_b64 s[34:35], s[6:7], s[18:19]
	s_and_saveexec_b64 s[28:29], s[34:35]
	s_cbranch_execz .LBB159_132
.LBB159_145:
	s_and_b64 vcc, exec, s[0:1]
	s_cbranch_vccnz .LBB159_147
; %bb.146:
	v_lshl_add_u64 v[116:117], v[132:133], 3, v[114:115]
	global_load_dwordx2 v[116:117], v[116:117], off
	s_waitcnt vmcnt(0)
	v_mul_f64 v[116:117], s[24:25], v[116:117]
	v_cvt_f32_f64_e32 v116, v[116:117]
	s_branch .LBB159_148
.LBB159_147:
	v_mov_b32_e32 v116, 0
.LBB159_148:
	v_add_f64 v[118:119], v[54:55], v[110:111]
	v_add_f64 v[120:121], v[52:53], v[108:109]
	v_cvt_f32_f64_e32 v117, v[120:121]
	v_cvt_f32_f64_e32 v118, v[118:119]
	v_min3_f32 v117, v117, v118, v194
	v_add_f64 v[118:119], v[50:51], v[106:107]
	v_add_f64 v[120:121], v[48:49], v[104:105]
	v_cvt_f32_f64_e32 v120, v[120:121]
	v_cvt_f32_f64_e32 v118, v[118:119]
	v_min_f32_e32 v118, v120, v118
	v_min3_f32 v116, v116, v118, v117
	v_cvt_f64_f32_e32 v[116:117], v116
	v_lshl_add_u64 v[118:119], v[132:133], 3, v[112:113]
	global_store_dwordx2 v[118:119], v[116:117], off
	s_or_b64 exec, exec, s[28:29]
	s_and_b64 s[34:35], s[8:9], s[18:19]
	s_and_saveexec_b64 s[28:29], s[34:35]
	s_cbranch_execz .LBB159_133
.LBB159_149:
	s_and_b64 vcc, exec, s[0:1]
	s_cbranch_vccnz .LBB159_151
; %bb.150:
	v_lshl_add_u64 v[116:117], v[134:135], 3, v[114:115]
	global_load_dwordx2 v[116:117], v[116:117], off
	s_waitcnt vmcnt(0)
	v_mul_f64 v[116:117], s[24:25], v[116:117]
	v_cvt_f32_f64_e32 v116, v[116:117]
	s_branch .LBB159_152
.LBB159_151:
	v_mov_b32_e32 v116, 0
.LBB159_152:
	v_add_f64 v[118:119], v[46:47], v[110:111]
	v_add_f64 v[120:121], v[44:45], v[108:109]
	v_cvt_f32_f64_e32 v117, v[120:121]
	v_cvt_f32_f64_e32 v118, v[118:119]
	v_min3_f32 v117, v117, v118, v193
	v_add_f64 v[118:119], v[42:43], v[106:107]
	v_add_f64 v[120:121], v[40:41], v[104:105]
	v_cvt_f32_f64_e32 v120, v[120:121]
	v_cvt_f32_f64_e32 v118, v[118:119]
	v_min_f32_e32 v118, v120, v118
	v_min3_f32 v116, v116, v118, v117
	v_cvt_f64_f32_e32 v[116:117], v116
	v_lshl_add_u64 v[118:119], v[134:135], 3, v[112:113]
	global_store_dwordx2 v[118:119], v[116:117], off
	s_or_b64 exec, exec, s[28:29]
	s_and_b64 s[34:35], s[10:11], s[18:19]
	s_and_saveexec_b64 s[28:29], s[34:35]
	s_cbranch_execz .LBB159_134
.LBB159_153:
	s_and_b64 vcc, exec, s[0:1]
	s_cbranch_vccnz .LBB159_155
; %bb.154:
	v_lshl_add_u64 v[116:117], v[136:137], 3, v[114:115]
	global_load_dwordx2 v[116:117], v[116:117], off
	s_waitcnt vmcnt(0)
	v_mul_f64 v[116:117], s[24:25], v[116:117]
	v_cvt_f32_f64_e32 v116, v[116:117]
	s_branch .LBB159_156
.LBB159_155:
	v_mov_b32_e32 v116, 0
.LBB159_156:
	v_add_f64 v[118:119], v[38:39], v[110:111]
	v_add_f64 v[120:121], v[36:37], v[108:109]
	v_cvt_f32_f64_e32 v117, v[120:121]
	v_cvt_f32_f64_e32 v118, v[118:119]
	v_min3_f32 v117, v117, v118, v192
	v_add_f64 v[118:119], v[34:35], v[106:107]
	v_add_f64 v[120:121], v[32:33], v[104:105]
	v_cvt_f32_f64_e32 v120, v[120:121]
	v_cvt_f32_f64_e32 v118, v[118:119]
	v_min_f32_e32 v118, v120, v118
	v_min3_f32 v116, v116, v118, v117
	v_cvt_f64_f32_e32 v[116:117], v116
	v_lshl_add_u64 v[118:119], v[136:137], 3, v[112:113]
	global_store_dwordx2 v[118:119], v[116:117], off
	s_or_b64 exec, exec, s[28:29]
	s_and_b64 s[34:35], s[12:13], s[18:19]
	s_and_saveexec_b64 s[28:29], s[34:35]
	s_cbranch_execz .LBB159_135
.LBB159_157:
	s_and_b64 vcc, exec, s[0:1]
	s_cbranch_vccnz .LBB159_159
; %bb.158:
	v_lshl_add_u64 v[116:117], v[138:139], 3, v[114:115]
	global_load_dwordx2 v[116:117], v[116:117], off
	s_waitcnt vmcnt(0)
	v_mul_f64 v[116:117], s[24:25], v[116:117]
	v_cvt_f32_f64_e32 v116, v[116:117]
	s_branch .LBB159_160
.LBB159_159:
	v_mov_b32_e32 v116, 0
.LBB159_160:
	v_add_f64 v[118:119], v[30:31], v[110:111]
	v_add_f64 v[120:121], v[28:29], v[108:109]
	v_cvt_f32_f64_e32 v117, v[120:121]
	v_cvt_f32_f64_e32 v118, v[118:119]
	v_min3_f32 v117, v117, v118, v191
	v_add_f64 v[118:119], v[26:27], v[106:107]
	v_add_f64 v[120:121], v[24:25], v[104:105]
	v_cvt_f32_f64_e32 v120, v[120:121]
	v_cvt_f32_f64_e32 v118, v[118:119]
	v_min_f32_e32 v118, v120, v118
	v_min3_f32 v116, v116, v118, v117
	v_cvt_f64_f32_e32 v[116:117], v116
	v_lshl_add_u64 v[118:119], v[138:139], 3, v[112:113]
	global_store_dwordx2 v[118:119], v[116:117], off
	s_or_b64 exec, exec, s[28:29]
	s_and_b64 s[34:35], s[14:15], s[18:19]
	s_and_saveexec_b64 s[28:29], s[34:35]
	s_cbranch_execz .LBB159_136
.LBB159_161:
	s_and_b64 vcc, exec, s[0:1]
	s_cbranch_vccnz .LBB159_163
; %bb.162:
	v_lshl_add_u64 v[116:117], v[140:141], 3, v[114:115]
	global_load_dwordx2 v[116:117], v[116:117], off
	s_waitcnt vmcnt(0)
	v_mul_f64 v[116:117], s[24:25], v[116:117]
	v_cvt_f32_f64_e32 v116, v[116:117]
	s_branch .LBB159_164
.LBB159_163:
	v_mov_b32_e32 v116, 0
.LBB159_164:
	v_add_f64 v[118:119], v[22:23], v[110:111]
	v_add_f64 v[120:121], v[20:21], v[108:109]
	v_cvt_f32_f64_e32 v117, v[120:121]
	v_cvt_f32_f64_e32 v118, v[118:119]
	v_min3_f32 v117, v117, v118, v190
	v_add_f64 v[118:119], v[18:19], v[106:107]
	v_add_f64 v[120:121], v[16:17], v[104:105]
	v_cvt_f32_f64_e32 v120, v[120:121]
	v_cvt_f32_f64_e32 v118, v[118:119]
	v_min_f32_e32 v118, v120, v118
	v_min3_f32 v116, v116, v118, v117
	v_cvt_f64_f32_e32 v[116:117], v116
	v_lshl_add_u64 v[118:119], v[140:141], 3, v[112:113]
	global_store_dwordx2 v[118:119], v[116:117], off
	s_or_b64 exec, exec, s[28:29]
	s_and_b64 s[28:29], s[16:17], s[18:19]
	s_and_saveexec_b64 s[18:19], s[28:29]
	s_cbranch_execz .LBB159_169
.LBB159_165:
	s_and_b64 vcc, exec, s[0:1]
	s_cbranch_vccnz .LBB159_167
; %bb.166:
	v_lshl_add_u64 v[114:115], v[142:143], 3, v[114:115]
	global_load_dwordx2 v[114:115], v[114:115], off
	s_waitcnt vmcnt(0)
	v_mul_f64 v[114:115], s[24:25], v[114:115]
	v_cvt_f32_f64_e32 v114, v[114:115]
	s_branch .LBB159_168
.LBB159_167:
	v_mov_b32_e32 v114, 0
.LBB159_168:
	v_add_f64 v[110:111], v[6:7], v[110:111]
	v_add_f64 v[108:109], v[4:5], v[108:109]
	;; [unrolled: 1-line block ×4, first 2 shown]
	v_cvt_f32_f64_e32 v108, v[108:109]
	v_cvt_f32_f64_e32 v109, v[110:111]
	;; [unrolled: 1-line block ×4, first 2 shown]
	v_min3_f32 v108, v108, v109, v189
	v_min_f32_e32 v104, v104, v105
	v_min3_f32 v104, v114, v104, v108
	v_cvt_f64_f32_e32 v[104:105], v104
	v_lshl_add_u64 v[106:107], v[142:143], 3, v[112:113]
	global_store_dwordx2 v[106:107], v[104:105], off
.LBB159_169:
	s_or_b64 exec, exec, s[18:19]
	v_add_u32_e32 v108, 24, v163
	v_mad_i64_i32 v[104:105], s[28:29], v108, s31, 0
	v_cmp_gt_i32_e64 s[18:19], s21, v108
	v_lshl_add_u64 v[106:107], v[104:105], 3, s[26:27]
	v_mad_i64_i32 v[104:105], s[28:29], v108, s30, 0
	v_lshl_add_u64 v[104:105], v[104:105], 3, s[22:23]
	s_and_b64 s[34:35], s[2:3], s[18:19]
	s_and_saveexec_b64 s[28:29], s[34:35]
	s_cbranch_execnz .LBB159_177
; %bb.170:
	s_or_b64 exec, exec, s[28:29]
	s_and_b64 s[34:35], s[4:5], s[18:19]
	s_and_saveexec_b64 s[28:29], s[34:35]
	s_cbranch_execnz .LBB159_181
.LBB159_171:
	s_or_b64 exec, exec, s[28:29]
	s_and_b64 s[34:35], s[6:7], s[18:19]
	s_and_saveexec_b64 s[28:29], s[34:35]
	s_cbranch_execnz .LBB159_185
.LBB159_172:
	s_or_b64 exec, exec, s[28:29]
	s_and_b64 s[34:35], s[8:9], s[18:19]
	s_and_saveexec_b64 s[28:29], s[34:35]
	s_cbranch_execnz .LBB159_189
.LBB159_173:
	s_or_b64 exec, exec, s[28:29]
	s_and_b64 s[34:35], s[10:11], s[18:19]
	s_and_saveexec_b64 s[28:29], s[34:35]
	s_cbranch_execnz .LBB159_193
.LBB159_174:
	s_or_b64 exec, exec, s[28:29]
	s_and_b64 s[34:35], s[12:13], s[18:19]
	s_and_saveexec_b64 s[28:29], s[34:35]
	s_cbranch_execnz .LBB159_197
.LBB159_175:
	s_or_b64 exec, exec, s[28:29]
	s_and_b64 s[34:35], s[14:15], s[18:19]
	s_and_saveexec_b64 s[28:29], s[34:35]
	s_cbranch_execnz .LBB159_201
.LBB159_176:
	s_or_b64 exec, exec, s[28:29]
	s_and_b64 s[28:29], s[16:17], s[18:19]
	s_and_saveexec_b64 s[18:19], s[28:29]
	s_cbranch_execnz .LBB159_205
	s_branch .LBB159_209
.LBB159_177:
	s_and_b64 vcc, exec, s[0:1]
	s_cbranch_vccnz .LBB159_179
; %bb.178:
	v_lshl_add_u64 v[108:109], v[128:129], 3, v[106:107]
	global_load_dwordx2 v[108:109], v[108:109], off
	s_waitcnt vmcnt(0)
	v_mul_f64 v[108:109], s[24:25], v[108:109]
	v_cvt_f32_f64_e32 v108, v[108:109]
	s_branch .LBB159_180
.LBB159_179:
	v_mov_b32_e32 v108, 0
.LBB159_180:
	v_add_f64 v[110:111], v[70:71], v[102:103]
	v_add_f64 v[112:113], v[68:69], v[100:101]
	v_cvt_f32_f64_e32 v109, v[112:113]
	v_cvt_f32_f64_e32 v110, v[110:111]
	v_min3_f32 v109, v109, v110, v188
	v_add_f64 v[110:111], v[66:67], v[98:99]
	v_add_f64 v[112:113], v[64:65], v[96:97]
	v_cvt_f32_f64_e32 v112, v[112:113]
	v_cvt_f32_f64_e32 v110, v[110:111]
	v_min_f32_e32 v110, v112, v110
	v_min3_f32 v108, v108, v110, v109
	v_cvt_f64_f32_e32 v[108:109], v108
	v_lshl_add_u64 v[110:111], v[128:129], 3, v[104:105]
	global_store_dwordx2 v[110:111], v[108:109], off
	s_or_b64 exec, exec, s[28:29]
	s_and_b64 s[34:35], s[4:5], s[18:19]
	s_and_saveexec_b64 s[28:29], s[34:35]
	s_cbranch_execz .LBB159_171
.LBB159_181:
	s_and_b64 vcc, exec, s[0:1]
	s_cbranch_vccnz .LBB159_183
; %bb.182:
	v_lshl_add_u64 v[108:109], v[130:131], 3, v[106:107]
	global_load_dwordx2 v[108:109], v[108:109], off
	s_waitcnt vmcnt(0)
	v_mul_f64 v[108:109], s[24:25], v[108:109]
	v_cvt_f32_f64_e32 v108, v[108:109]
	s_branch .LBB159_184
.LBB159_183:
	v_mov_b32_e32 v108, 0
.LBB159_184:
	v_add_f64 v[110:111], v[62:63], v[102:103]
	v_add_f64 v[112:113], v[60:61], v[100:101]
	v_cvt_f32_f64_e32 v109, v[112:113]
	v_cvt_f32_f64_e32 v110, v[110:111]
	v_min3_f32 v109, v109, v110, v187
	v_add_f64 v[110:111], v[58:59], v[98:99]
	v_add_f64 v[112:113], v[56:57], v[96:97]
	v_cvt_f32_f64_e32 v112, v[112:113]
	v_cvt_f32_f64_e32 v110, v[110:111]
	v_min_f32_e32 v110, v112, v110
	v_min3_f32 v108, v108, v110, v109
	v_cvt_f64_f32_e32 v[108:109], v108
	v_lshl_add_u64 v[110:111], v[130:131], 3, v[104:105]
	global_store_dwordx2 v[110:111], v[108:109], off
	s_or_b64 exec, exec, s[28:29]
	s_and_b64 s[34:35], s[6:7], s[18:19]
	s_and_saveexec_b64 s[28:29], s[34:35]
	s_cbranch_execz .LBB159_172
.LBB159_185:
	s_and_b64 vcc, exec, s[0:1]
	s_cbranch_vccnz .LBB159_187
; %bb.186:
	v_lshl_add_u64 v[108:109], v[132:133], 3, v[106:107]
	global_load_dwordx2 v[108:109], v[108:109], off
	s_waitcnt vmcnt(0)
	v_mul_f64 v[108:109], s[24:25], v[108:109]
	v_cvt_f32_f64_e32 v108, v[108:109]
	s_branch .LBB159_188
.LBB159_187:
	v_mov_b32_e32 v108, 0
.LBB159_188:
	v_add_f64 v[110:111], v[54:55], v[102:103]
	v_add_f64 v[112:113], v[52:53], v[100:101]
	v_cvt_f32_f64_e32 v109, v[112:113]
	v_cvt_f32_f64_e32 v110, v[110:111]
	v_min3_f32 v109, v109, v110, v186
	v_add_f64 v[110:111], v[50:51], v[98:99]
	v_add_f64 v[112:113], v[48:49], v[96:97]
	v_cvt_f32_f64_e32 v112, v[112:113]
	v_cvt_f32_f64_e32 v110, v[110:111]
	v_min_f32_e32 v110, v112, v110
	v_min3_f32 v108, v108, v110, v109
	v_cvt_f64_f32_e32 v[108:109], v108
	v_lshl_add_u64 v[110:111], v[132:133], 3, v[104:105]
	global_store_dwordx2 v[110:111], v[108:109], off
	s_or_b64 exec, exec, s[28:29]
	s_and_b64 s[34:35], s[8:9], s[18:19]
	s_and_saveexec_b64 s[28:29], s[34:35]
	s_cbranch_execz .LBB159_173
.LBB159_189:
	s_and_b64 vcc, exec, s[0:1]
	s_cbranch_vccnz .LBB159_191
; %bb.190:
	v_lshl_add_u64 v[108:109], v[134:135], 3, v[106:107]
	global_load_dwordx2 v[108:109], v[108:109], off
	s_waitcnt vmcnt(0)
	v_mul_f64 v[108:109], s[24:25], v[108:109]
	v_cvt_f32_f64_e32 v108, v[108:109]
	s_branch .LBB159_192
.LBB159_191:
	v_mov_b32_e32 v108, 0
.LBB159_192:
	v_add_f64 v[110:111], v[46:47], v[102:103]
	v_add_f64 v[112:113], v[44:45], v[100:101]
	v_cvt_f32_f64_e32 v109, v[112:113]
	v_cvt_f32_f64_e32 v110, v[110:111]
	v_min3_f32 v109, v109, v110, v185
	v_add_f64 v[110:111], v[42:43], v[98:99]
	v_add_f64 v[112:113], v[40:41], v[96:97]
	v_cvt_f32_f64_e32 v112, v[112:113]
	v_cvt_f32_f64_e32 v110, v[110:111]
	v_min_f32_e32 v110, v112, v110
	v_min3_f32 v108, v108, v110, v109
	v_cvt_f64_f32_e32 v[108:109], v108
	v_lshl_add_u64 v[110:111], v[134:135], 3, v[104:105]
	global_store_dwordx2 v[110:111], v[108:109], off
	s_or_b64 exec, exec, s[28:29]
	s_and_b64 s[34:35], s[10:11], s[18:19]
	s_and_saveexec_b64 s[28:29], s[34:35]
	s_cbranch_execz .LBB159_174
.LBB159_193:
	s_and_b64 vcc, exec, s[0:1]
	s_cbranch_vccnz .LBB159_195
; %bb.194:
	v_lshl_add_u64 v[108:109], v[136:137], 3, v[106:107]
	global_load_dwordx2 v[108:109], v[108:109], off
	s_waitcnt vmcnt(0)
	v_mul_f64 v[108:109], s[24:25], v[108:109]
	v_cvt_f32_f64_e32 v108, v[108:109]
	s_branch .LBB159_196
.LBB159_195:
	v_mov_b32_e32 v108, 0
.LBB159_196:
	v_add_f64 v[110:111], v[38:39], v[102:103]
	v_add_f64 v[112:113], v[36:37], v[100:101]
	v_cvt_f32_f64_e32 v109, v[112:113]
	v_cvt_f32_f64_e32 v110, v[110:111]
	v_min3_f32 v109, v109, v110, v184
	v_add_f64 v[110:111], v[34:35], v[98:99]
	v_add_f64 v[112:113], v[32:33], v[96:97]
	v_cvt_f32_f64_e32 v112, v[112:113]
	v_cvt_f32_f64_e32 v110, v[110:111]
	v_min_f32_e32 v110, v112, v110
	v_min3_f32 v108, v108, v110, v109
	v_cvt_f64_f32_e32 v[108:109], v108
	v_lshl_add_u64 v[110:111], v[136:137], 3, v[104:105]
	global_store_dwordx2 v[110:111], v[108:109], off
	s_or_b64 exec, exec, s[28:29]
	s_and_b64 s[34:35], s[12:13], s[18:19]
	s_and_saveexec_b64 s[28:29], s[34:35]
	s_cbranch_execz .LBB159_175
.LBB159_197:
	s_and_b64 vcc, exec, s[0:1]
	s_cbranch_vccnz .LBB159_199
; %bb.198:
	v_lshl_add_u64 v[108:109], v[138:139], 3, v[106:107]
	global_load_dwordx2 v[108:109], v[108:109], off
	s_waitcnt vmcnt(0)
	v_mul_f64 v[108:109], s[24:25], v[108:109]
	v_cvt_f32_f64_e32 v108, v[108:109]
	s_branch .LBB159_200
.LBB159_199:
	v_mov_b32_e32 v108, 0
.LBB159_200:
	v_add_f64 v[110:111], v[30:31], v[102:103]
	v_add_f64 v[112:113], v[28:29], v[100:101]
	v_cvt_f32_f64_e32 v109, v[112:113]
	v_cvt_f32_f64_e32 v110, v[110:111]
	v_min3_f32 v109, v109, v110, v183
	v_add_f64 v[110:111], v[26:27], v[98:99]
	v_add_f64 v[112:113], v[24:25], v[96:97]
	v_cvt_f32_f64_e32 v112, v[112:113]
	v_cvt_f32_f64_e32 v110, v[110:111]
	v_min_f32_e32 v110, v112, v110
	v_min3_f32 v108, v108, v110, v109
	v_cvt_f64_f32_e32 v[108:109], v108
	v_lshl_add_u64 v[110:111], v[138:139], 3, v[104:105]
	global_store_dwordx2 v[110:111], v[108:109], off
	s_or_b64 exec, exec, s[28:29]
	s_and_b64 s[34:35], s[14:15], s[18:19]
	s_and_saveexec_b64 s[28:29], s[34:35]
	s_cbranch_execz .LBB159_176
.LBB159_201:
	s_and_b64 vcc, exec, s[0:1]
	s_cbranch_vccnz .LBB159_203
; %bb.202:
	v_lshl_add_u64 v[108:109], v[140:141], 3, v[106:107]
	global_load_dwordx2 v[108:109], v[108:109], off
	s_waitcnt vmcnt(0)
	v_mul_f64 v[108:109], s[24:25], v[108:109]
	v_cvt_f32_f64_e32 v108, v[108:109]
	s_branch .LBB159_204
.LBB159_203:
	v_mov_b32_e32 v108, 0
.LBB159_204:
	v_add_f64 v[110:111], v[22:23], v[102:103]
	v_add_f64 v[112:113], v[20:21], v[100:101]
	v_cvt_f32_f64_e32 v109, v[112:113]
	v_cvt_f32_f64_e32 v110, v[110:111]
	v_min3_f32 v109, v109, v110, v182
	v_add_f64 v[110:111], v[18:19], v[98:99]
	v_add_f64 v[112:113], v[16:17], v[96:97]
	v_cvt_f32_f64_e32 v112, v[112:113]
	v_cvt_f32_f64_e32 v110, v[110:111]
	v_min_f32_e32 v110, v112, v110
	v_min3_f32 v108, v108, v110, v109
	v_cvt_f64_f32_e32 v[108:109], v108
	v_lshl_add_u64 v[110:111], v[140:141], 3, v[104:105]
	global_store_dwordx2 v[110:111], v[108:109], off
	s_or_b64 exec, exec, s[28:29]
	s_and_b64 s[28:29], s[16:17], s[18:19]
	s_and_saveexec_b64 s[18:19], s[28:29]
	s_cbranch_execz .LBB159_209
.LBB159_205:
	s_and_b64 vcc, exec, s[0:1]
	s_cbranch_vccnz .LBB159_207
; %bb.206:
	v_lshl_add_u64 v[106:107], v[142:143], 3, v[106:107]
	global_load_dwordx2 v[106:107], v[106:107], off
	s_waitcnt vmcnt(0)
	v_mul_f64 v[106:107], s[24:25], v[106:107]
	v_cvt_f32_f64_e32 v106, v[106:107]
	s_branch .LBB159_208
.LBB159_207:
	v_mov_b32_e32 v106, 0
.LBB159_208:
	v_add_f64 v[102:103], v[6:7], v[102:103]
	v_add_f64 v[100:101], v[4:5], v[100:101]
	;; [unrolled: 1-line block ×4, first 2 shown]
	v_cvt_f32_f64_e32 v100, v[100:101]
	v_cvt_f32_f64_e32 v101, v[102:103]
	;; [unrolled: 1-line block ×4, first 2 shown]
	v_min3_f32 v100, v100, v101, v181
	v_min_f32_e32 v96, v96, v97
	v_min3_f32 v96, v106, v96, v100
	v_cvt_f64_f32_e32 v[96:97], v96
	v_lshl_add_u64 v[98:99], v[142:143], 3, v[104:105]
	global_store_dwordx2 v[98:99], v[96:97], off
.LBB159_209:
	s_or_b64 exec, exec, s[18:19]
	v_add_u32_e32 v100, 32, v163
	v_mad_i64_i32 v[96:97], s[28:29], v100, s31, 0
	v_cmp_gt_i32_e64 s[18:19], s21, v100
	v_lshl_add_u64 v[98:99], v[96:97], 3, s[26:27]
	v_mad_i64_i32 v[96:97], s[28:29], v100, s30, 0
	v_lshl_add_u64 v[96:97], v[96:97], 3, s[22:23]
	s_and_b64 s[34:35], s[2:3], s[18:19]
	s_and_saveexec_b64 s[28:29], s[34:35]
	s_cbranch_execnz .LBB159_217
; %bb.210:
	s_or_b64 exec, exec, s[28:29]
	s_and_b64 s[34:35], s[4:5], s[18:19]
	s_and_saveexec_b64 s[28:29], s[34:35]
	s_cbranch_execnz .LBB159_221
.LBB159_211:
	s_or_b64 exec, exec, s[28:29]
	s_and_b64 s[34:35], s[6:7], s[18:19]
	s_and_saveexec_b64 s[28:29], s[34:35]
	s_cbranch_execnz .LBB159_225
.LBB159_212:
	s_or_b64 exec, exec, s[28:29]
	s_and_b64 s[34:35], s[8:9], s[18:19]
	s_and_saveexec_b64 s[28:29], s[34:35]
	s_cbranch_execnz .LBB159_229
.LBB159_213:
	s_or_b64 exec, exec, s[28:29]
	s_and_b64 s[34:35], s[10:11], s[18:19]
	s_and_saveexec_b64 s[28:29], s[34:35]
	s_cbranch_execnz .LBB159_233
.LBB159_214:
	s_or_b64 exec, exec, s[28:29]
	s_and_b64 s[34:35], s[12:13], s[18:19]
	s_and_saveexec_b64 s[28:29], s[34:35]
	s_cbranch_execnz .LBB159_237
.LBB159_215:
	s_or_b64 exec, exec, s[28:29]
	s_and_b64 s[34:35], s[14:15], s[18:19]
	s_and_saveexec_b64 s[28:29], s[34:35]
	s_cbranch_execnz .LBB159_241
.LBB159_216:
	s_or_b64 exec, exec, s[28:29]
	s_and_b64 s[28:29], s[16:17], s[18:19]
	s_and_saveexec_b64 s[18:19], s[28:29]
	s_cbranch_execnz .LBB159_245
	s_branch .LBB159_249
.LBB159_217:
	s_and_b64 vcc, exec, s[0:1]
	s_cbranch_vccnz .LBB159_219
; %bb.218:
	v_lshl_add_u64 v[100:101], v[128:129], 3, v[98:99]
	global_load_dwordx2 v[100:101], v[100:101], off
	s_waitcnt vmcnt(0)
	v_mul_f64 v[100:101], s[24:25], v[100:101]
	v_cvt_f32_f64_e32 v100, v[100:101]
	s_branch .LBB159_220
.LBB159_219:
	v_mov_b32_e32 v100, 0
.LBB159_220:
	v_add_f64 v[102:103], v[70:71], v[94:95]
	v_add_f64 v[104:105], v[68:69], v[92:93]
	v_cvt_f32_f64_e32 v101, v[104:105]
	v_cvt_f32_f64_e32 v102, v[102:103]
	v_min3_f32 v101, v101, v102, v180
	v_add_f64 v[102:103], v[66:67], v[90:91]
	v_add_f64 v[104:105], v[64:65], v[88:89]
	v_cvt_f32_f64_e32 v104, v[104:105]
	v_cvt_f32_f64_e32 v102, v[102:103]
	v_min_f32_e32 v102, v104, v102
	v_min3_f32 v100, v100, v102, v101
	v_cvt_f64_f32_e32 v[100:101], v100
	v_lshl_add_u64 v[102:103], v[128:129], 3, v[96:97]
	global_store_dwordx2 v[102:103], v[100:101], off
	s_or_b64 exec, exec, s[28:29]
	s_and_b64 s[34:35], s[4:5], s[18:19]
	s_and_saveexec_b64 s[28:29], s[34:35]
	s_cbranch_execz .LBB159_211
.LBB159_221:
	s_and_b64 vcc, exec, s[0:1]
	s_cbranch_vccnz .LBB159_223
; %bb.222:
	v_lshl_add_u64 v[100:101], v[130:131], 3, v[98:99]
	global_load_dwordx2 v[100:101], v[100:101], off
	s_waitcnt vmcnt(0)
	v_mul_f64 v[100:101], s[24:25], v[100:101]
	v_cvt_f32_f64_e32 v100, v[100:101]
	s_branch .LBB159_224
.LBB159_223:
	v_mov_b32_e32 v100, 0
.LBB159_224:
	v_add_f64 v[102:103], v[62:63], v[94:95]
	v_add_f64 v[104:105], v[60:61], v[92:93]
	v_cvt_f32_f64_e32 v101, v[104:105]
	v_cvt_f32_f64_e32 v102, v[102:103]
	v_min3_f32 v101, v101, v102, v179
	v_add_f64 v[102:103], v[58:59], v[90:91]
	v_add_f64 v[104:105], v[56:57], v[88:89]
	v_cvt_f32_f64_e32 v104, v[104:105]
	v_cvt_f32_f64_e32 v102, v[102:103]
	v_min_f32_e32 v102, v104, v102
	v_min3_f32 v100, v100, v102, v101
	v_cvt_f64_f32_e32 v[100:101], v100
	v_lshl_add_u64 v[102:103], v[130:131], 3, v[96:97]
	global_store_dwordx2 v[102:103], v[100:101], off
	s_or_b64 exec, exec, s[28:29]
	s_and_b64 s[34:35], s[6:7], s[18:19]
	s_and_saveexec_b64 s[28:29], s[34:35]
	s_cbranch_execz .LBB159_212
.LBB159_225:
	s_and_b64 vcc, exec, s[0:1]
	s_cbranch_vccnz .LBB159_227
; %bb.226:
	v_lshl_add_u64 v[100:101], v[132:133], 3, v[98:99]
	global_load_dwordx2 v[100:101], v[100:101], off
	s_waitcnt vmcnt(0)
	v_mul_f64 v[100:101], s[24:25], v[100:101]
	v_cvt_f32_f64_e32 v100, v[100:101]
	s_branch .LBB159_228
.LBB159_227:
	v_mov_b32_e32 v100, 0
.LBB159_228:
	v_add_f64 v[102:103], v[54:55], v[94:95]
	v_add_f64 v[104:105], v[52:53], v[92:93]
	v_cvt_f32_f64_e32 v101, v[104:105]
	v_cvt_f32_f64_e32 v102, v[102:103]
	v_min3_f32 v101, v101, v102, v178
	v_add_f64 v[102:103], v[50:51], v[90:91]
	v_add_f64 v[104:105], v[48:49], v[88:89]
	v_cvt_f32_f64_e32 v104, v[104:105]
	v_cvt_f32_f64_e32 v102, v[102:103]
	v_min_f32_e32 v102, v104, v102
	v_min3_f32 v100, v100, v102, v101
	v_cvt_f64_f32_e32 v[100:101], v100
	v_lshl_add_u64 v[102:103], v[132:133], 3, v[96:97]
	global_store_dwordx2 v[102:103], v[100:101], off
	s_or_b64 exec, exec, s[28:29]
	s_and_b64 s[34:35], s[8:9], s[18:19]
	s_and_saveexec_b64 s[28:29], s[34:35]
	s_cbranch_execz .LBB159_213
.LBB159_229:
	s_and_b64 vcc, exec, s[0:1]
	s_cbranch_vccnz .LBB159_231
; %bb.230:
	v_lshl_add_u64 v[100:101], v[134:135], 3, v[98:99]
	global_load_dwordx2 v[100:101], v[100:101], off
	s_waitcnt vmcnt(0)
	v_mul_f64 v[100:101], s[24:25], v[100:101]
	v_cvt_f32_f64_e32 v100, v[100:101]
	s_branch .LBB159_232
.LBB159_231:
	v_mov_b32_e32 v100, 0
.LBB159_232:
	v_add_f64 v[102:103], v[46:47], v[94:95]
	v_add_f64 v[104:105], v[44:45], v[92:93]
	v_cvt_f32_f64_e32 v101, v[104:105]
	v_cvt_f32_f64_e32 v102, v[102:103]
	v_min3_f32 v101, v101, v102, v177
	v_add_f64 v[102:103], v[42:43], v[90:91]
	v_add_f64 v[104:105], v[40:41], v[88:89]
	v_cvt_f32_f64_e32 v104, v[104:105]
	v_cvt_f32_f64_e32 v102, v[102:103]
	v_min_f32_e32 v102, v104, v102
	v_min3_f32 v100, v100, v102, v101
	v_cvt_f64_f32_e32 v[100:101], v100
	v_lshl_add_u64 v[102:103], v[134:135], 3, v[96:97]
	global_store_dwordx2 v[102:103], v[100:101], off
	s_or_b64 exec, exec, s[28:29]
	s_and_b64 s[34:35], s[10:11], s[18:19]
	s_and_saveexec_b64 s[28:29], s[34:35]
	s_cbranch_execz .LBB159_214
.LBB159_233:
	s_and_b64 vcc, exec, s[0:1]
	s_cbranch_vccnz .LBB159_235
; %bb.234:
	v_lshl_add_u64 v[100:101], v[136:137], 3, v[98:99]
	global_load_dwordx2 v[100:101], v[100:101], off
	s_waitcnt vmcnt(0)
	v_mul_f64 v[100:101], s[24:25], v[100:101]
	v_cvt_f32_f64_e32 v100, v[100:101]
	s_branch .LBB159_236
.LBB159_235:
	v_mov_b32_e32 v100, 0
.LBB159_236:
	v_add_f64 v[102:103], v[38:39], v[94:95]
	v_add_f64 v[104:105], v[36:37], v[92:93]
	v_cvt_f32_f64_e32 v101, v[104:105]
	v_cvt_f32_f64_e32 v102, v[102:103]
	v_min3_f32 v101, v101, v102, v176
	v_add_f64 v[102:103], v[34:35], v[90:91]
	v_add_f64 v[104:105], v[32:33], v[88:89]
	v_cvt_f32_f64_e32 v104, v[104:105]
	v_cvt_f32_f64_e32 v102, v[102:103]
	v_min_f32_e32 v102, v104, v102
	v_min3_f32 v100, v100, v102, v101
	v_cvt_f64_f32_e32 v[100:101], v100
	v_lshl_add_u64 v[102:103], v[136:137], 3, v[96:97]
	global_store_dwordx2 v[102:103], v[100:101], off
	s_or_b64 exec, exec, s[28:29]
	s_and_b64 s[34:35], s[12:13], s[18:19]
	s_and_saveexec_b64 s[28:29], s[34:35]
	s_cbranch_execz .LBB159_215
.LBB159_237:
	s_and_b64 vcc, exec, s[0:1]
	s_cbranch_vccnz .LBB159_239
; %bb.238:
	v_lshl_add_u64 v[100:101], v[138:139], 3, v[98:99]
	global_load_dwordx2 v[100:101], v[100:101], off
	s_waitcnt vmcnt(0)
	v_mul_f64 v[100:101], s[24:25], v[100:101]
	v_cvt_f32_f64_e32 v100, v[100:101]
	s_branch .LBB159_240
.LBB159_239:
	v_mov_b32_e32 v100, 0
.LBB159_240:
	v_add_f64 v[102:103], v[30:31], v[94:95]
	v_add_f64 v[104:105], v[28:29], v[92:93]
	v_cvt_f32_f64_e32 v101, v[104:105]
	v_cvt_f32_f64_e32 v102, v[102:103]
	v_min3_f32 v101, v101, v102, v175
	v_add_f64 v[102:103], v[26:27], v[90:91]
	v_add_f64 v[104:105], v[24:25], v[88:89]
	v_cvt_f32_f64_e32 v104, v[104:105]
	v_cvt_f32_f64_e32 v102, v[102:103]
	v_min_f32_e32 v102, v104, v102
	v_min3_f32 v100, v100, v102, v101
	v_cvt_f64_f32_e32 v[100:101], v100
	v_lshl_add_u64 v[102:103], v[138:139], 3, v[96:97]
	global_store_dwordx2 v[102:103], v[100:101], off
	s_or_b64 exec, exec, s[28:29]
	s_and_b64 s[34:35], s[14:15], s[18:19]
	s_and_saveexec_b64 s[28:29], s[34:35]
	s_cbranch_execz .LBB159_216
.LBB159_241:
	s_and_b64 vcc, exec, s[0:1]
	s_cbranch_vccnz .LBB159_243
; %bb.242:
	v_lshl_add_u64 v[100:101], v[140:141], 3, v[98:99]
	global_load_dwordx2 v[100:101], v[100:101], off
	s_waitcnt vmcnt(0)
	v_mul_f64 v[100:101], s[24:25], v[100:101]
	v_cvt_f32_f64_e32 v100, v[100:101]
	s_branch .LBB159_244
.LBB159_243:
	v_mov_b32_e32 v100, 0
.LBB159_244:
	v_add_f64 v[102:103], v[22:23], v[94:95]
	v_add_f64 v[104:105], v[20:21], v[92:93]
	v_cvt_f32_f64_e32 v101, v[104:105]
	v_cvt_f32_f64_e32 v102, v[102:103]
	v_min3_f32 v101, v101, v102, v174
	v_add_f64 v[102:103], v[18:19], v[90:91]
	v_add_f64 v[104:105], v[16:17], v[88:89]
	v_cvt_f32_f64_e32 v104, v[104:105]
	v_cvt_f32_f64_e32 v102, v[102:103]
	v_min_f32_e32 v102, v104, v102
	v_min3_f32 v100, v100, v102, v101
	v_cvt_f64_f32_e32 v[100:101], v100
	v_lshl_add_u64 v[102:103], v[140:141], 3, v[96:97]
	global_store_dwordx2 v[102:103], v[100:101], off
	s_or_b64 exec, exec, s[28:29]
	s_and_b64 s[28:29], s[16:17], s[18:19]
	s_and_saveexec_b64 s[18:19], s[28:29]
	s_cbranch_execz .LBB159_249
.LBB159_245:
	s_and_b64 vcc, exec, s[0:1]
	s_cbranch_vccnz .LBB159_247
; %bb.246:
	v_lshl_add_u64 v[98:99], v[142:143], 3, v[98:99]
	global_load_dwordx2 v[98:99], v[98:99], off
	s_waitcnt vmcnt(0)
	v_mul_f64 v[98:99], s[24:25], v[98:99]
	v_cvt_f32_f64_e32 v98, v[98:99]
	s_branch .LBB159_248
.LBB159_247:
	v_mov_b32_e32 v98, 0
.LBB159_248:
	v_add_f64 v[94:95], v[6:7], v[94:95]
	v_add_f64 v[92:93], v[4:5], v[92:93]
	;; [unrolled: 1-line block ×4, first 2 shown]
	v_cvt_f32_f64_e32 v92, v[92:93]
	v_cvt_f32_f64_e32 v93, v[94:95]
	v_cvt_f32_f64_e32 v88, v[88:89]
	v_cvt_f32_f64_e32 v89, v[90:91]
	v_min3_f32 v92, v92, v93, v173
	v_min_f32_e32 v88, v88, v89
	v_min3_f32 v88, v98, v88, v92
	v_cvt_f64_f32_e32 v[88:89], v88
	v_lshl_add_u64 v[90:91], v[142:143], 3, v[96:97]
	global_store_dwordx2 v[90:91], v[88:89], off
.LBB159_249:
	s_or_b64 exec, exec, s[18:19]
	v_add_u32_e32 v92, 40, v163
	v_mad_i64_i32 v[88:89], s[28:29], v92, s31, 0
	v_cmp_gt_i32_e64 s[18:19], s21, v92
	v_lshl_add_u64 v[90:91], v[88:89], 3, s[26:27]
	v_mad_i64_i32 v[88:89], s[28:29], v92, s30, 0
	v_lshl_add_u64 v[88:89], v[88:89], 3, s[22:23]
	s_and_b64 s[34:35], s[2:3], s[18:19]
	s_and_saveexec_b64 s[28:29], s[34:35]
	s_cbranch_execnz .LBB159_257
; %bb.250:
	s_or_b64 exec, exec, s[28:29]
	s_and_b64 s[34:35], s[4:5], s[18:19]
	s_and_saveexec_b64 s[28:29], s[34:35]
	s_cbranch_execnz .LBB159_261
.LBB159_251:
	s_or_b64 exec, exec, s[28:29]
	s_and_b64 s[34:35], s[6:7], s[18:19]
	s_and_saveexec_b64 s[28:29], s[34:35]
	s_cbranch_execnz .LBB159_265
.LBB159_252:
	s_or_b64 exec, exec, s[28:29]
	s_and_b64 s[34:35], s[8:9], s[18:19]
	s_and_saveexec_b64 s[28:29], s[34:35]
	s_cbranch_execnz .LBB159_269
.LBB159_253:
	s_or_b64 exec, exec, s[28:29]
	s_and_b64 s[34:35], s[10:11], s[18:19]
	s_and_saveexec_b64 s[28:29], s[34:35]
	s_cbranch_execnz .LBB159_273
.LBB159_254:
	s_or_b64 exec, exec, s[28:29]
	s_and_b64 s[34:35], s[12:13], s[18:19]
	s_and_saveexec_b64 s[28:29], s[34:35]
	s_cbranch_execnz .LBB159_277
.LBB159_255:
	s_or_b64 exec, exec, s[28:29]
	s_and_b64 s[34:35], s[14:15], s[18:19]
	s_and_saveexec_b64 s[28:29], s[34:35]
	s_cbranch_execnz .LBB159_281
.LBB159_256:
	s_or_b64 exec, exec, s[28:29]
	s_and_b64 s[28:29], s[16:17], s[18:19]
	s_and_saveexec_b64 s[18:19], s[28:29]
	s_cbranch_execnz .LBB159_285
	s_branch .LBB159_289
.LBB159_257:
	s_and_b64 vcc, exec, s[0:1]
	s_cbranch_vccnz .LBB159_259
; %bb.258:
	v_lshl_add_u64 v[92:93], v[128:129], 3, v[90:91]
	global_load_dwordx2 v[92:93], v[92:93], off
	s_waitcnt vmcnt(0)
	v_mul_f64 v[92:93], s[24:25], v[92:93]
	v_cvt_f32_f64_e32 v92, v[92:93]
	s_branch .LBB159_260
.LBB159_259:
	v_mov_b32_e32 v92, 0
.LBB159_260:
	v_add_f64 v[94:95], v[70:71], v[86:87]
	v_add_f64 v[96:97], v[68:69], v[84:85]
	v_cvt_f32_f64_e32 v93, v[96:97]
	v_cvt_f32_f64_e32 v94, v[94:95]
	v_min3_f32 v93, v93, v94, v172
	v_add_f64 v[94:95], v[66:67], v[82:83]
	v_add_f64 v[96:97], v[64:65], v[80:81]
	v_cvt_f32_f64_e32 v96, v[96:97]
	v_cvt_f32_f64_e32 v94, v[94:95]
	v_min_f32_e32 v94, v96, v94
	v_min3_f32 v92, v92, v94, v93
	v_cvt_f64_f32_e32 v[92:93], v92
	v_lshl_add_u64 v[94:95], v[128:129], 3, v[88:89]
	global_store_dwordx2 v[94:95], v[92:93], off
	s_or_b64 exec, exec, s[28:29]
	s_and_b64 s[34:35], s[4:5], s[18:19]
	s_and_saveexec_b64 s[28:29], s[34:35]
	s_cbranch_execz .LBB159_251
.LBB159_261:
	s_and_b64 vcc, exec, s[0:1]
	s_cbranch_vccnz .LBB159_263
; %bb.262:
	v_lshl_add_u64 v[92:93], v[130:131], 3, v[90:91]
	global_load_dwordx2 v[92:93], v[92:93], off
	s_waitcnt vmcnt(0)
	v_mul_f64 v[92:93], s[24:25], v[92:93]
	v_cvt_f32_f64_e32 v92, v[92:93]
	s_branch .LBB159_264
.LBB159_263:
	v_mov_b32_e32 v92, 0
.LBB159_264:
	v_add_f64 v[94:95], v[62:63], v[86:87]
	v_add_f64 v[96:97], v[60:61], v[84:85]
	v_cvt_f32_f64_e32 v93, v[96:97]
	v_cvt_f32_f64_e32 v94, v[94:95]
	v_min3_f32 v93, v93, v94, v171
	v_add_f64 v[94:95], v[58:59], v[82:83]
	v_add_f64 v[96:97], v[56:57], v[80:81]
	v_cvt_f32_f64_e32 v96, v[96:97]
	v_cvt_f32_f64_e32 v94, v[94:95]
	v_min_f32_e32 v94, v96, v94
	v_min3_f32 v92, v92, v94, v93
	v_cvt_f64_f32_e32 v[92:93], v92
	v_lshl_add_u64 v[94:95], v[130:131], 3, v[88:89]
	global_store_dwordx2 v[94:95], v[92:93], off
	s_or_b64 exec, exec, s[28:29]
	s_and_b64 s[34:35], s[6:7], s[18:19]
	s_and_saveexec_b64 s[28:29], s[34:35]
	s_cbranch_execz .LBB159_252
.LBB159_265:
	s_and_b64 vcc, exec, s[0:1]
	s_cbranch_vccnz .LBB159_267
; %bb.266:
	v_lshl_add_u64 v[92:93], v[132:133], 3, v[90:91]
	global_load_dwordx2 v[92:93], v[92:93], off
	s_waitcnt vmcnt(0)
	v_mul_f64 v[92:93], s[24:25], v[92:93]
	v_cvt_f32_f64_e32 v92, v[92:93]
	s_branch .LBB159_268
.LBB159_267:
	v_mov_b32_e32 v92, 0
.LBB159_268:
	v_add_f64 v[94:95], v[54:55], v[86:87]
	v_add_f64 v[96:97], v[52:53], v[84:85]
	v_cvt_f32_f64_e32 v93, v[96:97]
	v_cvt_f32_f64_e32 v94, v[94:95]
	v_min3_f32 v93, v93, v94, v170
	v_add_f64 v[94:95], v[50:51], v[82:83]
	v_add_f64 v[96:97], v[48:49], v[80:81]
	v_cvt_f32_f64_e32 v96, v[96:97]
	v_cvt_f32_f64_e32 v94, v[94:95]
	v_min_f32_e32 v94, v96, v94
	v_min3_f32 v92, v92, v94, v93
	v_cvt_f64_f32_e32 v[92:93], v92
	v_lshl_add_u64 v[94:95], v[132:133], 3, v[88:89]
	global_store_dwordx2 v[94:95], v[92:93], off
	s_or_b64 exec, exec, s[28:29]
	s_and_b64 s[34:35], s[8:9], s[18:19]
	s_and_saveexec_b64 s[28:29], s[34:35]
	s_cbranch_execz .LBB159_253
.LBB159_269:
	s_and_b64 vcc, exec, s[0:1]
	s_cbranch_vccnz .LBB159_271
; %bb.270:
	v_lshl_add_u64 v[92:93], v[134:135], 3, v[90:91]
	global_load_dwordx2 v[92:93], v[92:93], off
	s_waitcnt vmcnt(0)
	v_mul_f64 v[92:93], s[24:25], v[92:93]
	v_cvt_f32_f64_e32 v92, v[92:93]
	s_branch .LBB159_272
.LBB159_271:
	v_mov_b32_e32 v92, 0
.LBB159_272:
	v_add_f64 v[94:95], v[46:47], v[86:87]
	v_add_f64 v[96:97], v[44:45], v[84:85]
	v_cvt_f32_f64_e32 v93, v[96:97]
	v_cvt_f32_f64_e32 v94, v[94:95]
	v_min3_f32 v93, v93, v94, v169
	v_add_f64 v[94:95], v[42:43], v[82:83]
	v_add_f64 v[96:97], v[40:41], v[80:81]
	v_cvt_f32_f64_e32 v96, v[96:97]
	v_cvt_f32_f64_e32 v94, v[94:95]
	v_min_f32_e32 v94, v96, v94
	v_min3_f32 v92, v92, v94, v93
	v_cvt_f64_f32_e32 v[92:93], v92
	v_lshl_add_u64 v[94:95], v[134:135], 3, v[88:89]
	global_store_dwordx2 v[94:95], v[92:93], off
	s_or_b64 exec, exec, s[28:29]
	s_and_b64 s[34:35], s[10:11], s[18:19]
	s_and_saveexec_b64 s[28:29], s[34:35]
	s_cbranch_execz .LBB159_254
.LBB159_273:
	s_and_b64 vcc, exec, s[0:1]
	s_cbranch_vccnz .LBB159_275
; %bb.274:
	v_lshl_add_u64 v[92:93], v[136:137], 3, v[90:91]
	global_load_dwordx2 v[92:93], v[92:93], off
	s_waitcnt vmcnt(0)
	v_mul_f64 v[92:93], s[24:25], v[92:93]
	v_cvt_f32_f64_e32 v92, v[92:93]
	s_branch .LBB159_276
.LBB159_275:
	v_mov_b32_e32 v92, 0
.LBB159_276:
	v_add_f64 v[94:95], v[38:39], v[86:87]
	v_add_f64 v[96:97], v[36:37], v[84:85]
	v_cvt_f32_f64_e32 v93, v[96:97]
	v_cvt_f32_f64_e32 v94, v[94:95]
	v_min3_f32 v93, v93, v94, v168
	v_add_f64 v[94:95], v[34:35], v[82:83]
	v_add_f64 v[96:97], v[32:33], v[80:81]
	v_cvt_f32_f64_e32 v96, v[96:97]
	v_cvt_f32_f64_e32 v94, v[94:95]
	v_min_f32_e32 v94, v96, v94
	v_min3_f32 v92, v92, v94, v93
	v_cvt_f64_f32_e32 v[92:93], v92
	v_lshl_add_u64 v[94:95], v[136:137], 3, v[88:89]
	global_store_dwordx2 v[94:95], v[92:93], off
	s_or_b64 exec, exec, s[28:29]
	s_and_b64 s[34:35], s[12:13], s[18:19]
	s_and_saveexec_b64 s[28:29], s[34:35]
	s_cbranch_execz .LBB159_255
.LBB159_277:
	s_and_b64 vcc, exec, s[0:1]
	s_cbranch_vccnz .LBB159_279
; %bb.278:
	v_lshl_add_u64 v[92:93], v[138:139], 3, v[90:91]
	global_load_dwordx2 v[92:93], v[92:93], off
	s_waitcnt vmcnt(0)
	v_mul_f64 v[92:93], s[24:25], v[92:93]
	v_cvt_f32_f64_e32 v92, v[92:93]
	s_branch .LBB159_280
.LBB159_279:
	v_mov_b32_e32 v92, 0
.LBB159_280:
	v_add_f64 v[94:95], v[30:31], v[86:87]
	v_add_f64 v[96:97], v[28:29], v[84:85]
	v_cvt_f32_f64_e32 v93, v[96:97]
	v_cvt_f32_f64_e32 v94, v[94:95]
	v_min3_f32 v93, v93, v94, v167
	v_add_f64 v[94:95], v[26:27], v[82:83]
	v_add_f64 v[96:97], v[24:25], v[80:81]
	v_cvt_f32_f64_e32 v96, v[96:97]
	v_cvt_f32_f64_e32 v94, v[94:95]
	v_min_f32_e32 v94, v96, v94
	v_min3_f32 v92, v92, v94, v93
	v_cvt_f64_f32_e32 v[92:93], v92
	v_lshl_add_u64 v[94:95], v[138:139], 3, v[88:89]
	global_store_dwordx2 v[94:95], v[92:93], off
	s_or_b64 exec, exec, s[28:29]
	s_and_b64 s[34:35], s[14:15], s[18:19]
	s_and_saveexec_b64 s[28:29], s[34:35]
	s_cbranch_execz .LBB159_256
.LBB159_281:
	s_and_b64 vcc, exec, s[0:1]
	s_cbranch_vccnz .LBB159_283
; %bb.282:
	v_lshl_add_u64 v[92:93], v[140:141], 3, v[90:91]
	global_load_dwordx2 v[92:93], v[92:93], off
	s_waitcnt vmcnt(0)
	v_mul_f64 v[92:93], s[24:25], v[92:93]
	v_cvt_f32_f64_e32 v92, v[92:93]
	s_branch .LBB159_284
.LBB159_283:
	v_mov_b32_e32 v92, 0
.LBB159_284:
	v_add_f64 v[94:95], v[22:23], v[86:87]
	v_add_f64 v[96:97], v[20:21], v[84:85]
	v_cvt_f32_f64_e32 v93, v[96:97]
	v_cvt_f32_f64_e32 v94, v[94:95]
	v_min3_f32 v93, v93, v94, v166
	v_add_f64 v[94:95], v[18:19], v[82:83]
	v_add_f64 v[96:97], v[16:17], v[80:81]
	v_cvt_f32_f64_e32 v96, v[96:97]
	v_cvt_f32_f64_e32 v94, v[94:95]
	v_min_f32_e32 v94, v96, v94
	v_min3_f32 v92, v92, v94, v93
	v_cvt_f64_f32_e32 v[92:93], v92
	v_lshl_add_u64 v[94:95], v[140:141], 3, v[88:89]
	global_store_dwordx2 v[94:95], v[92:93], off
	s_or_b64 exec, exec, s[28:29]
	s_and_b64 s[28:29], s[16:17], s[18:19]
	s_and_saveexec_b64 s[18:19], s[28:29]
	s_cbranch_execz .LBB159_289
.LBB159_285:
	s_and_b64 vcc, exec, s[0:1]
	s_cbranch_vccnz .LBB159_287
; %bb.286:
	v_lshl_add_u64 v[90:91], v[142:143], 3, v[90:91]
	global_load_dwordx2 v[90:91], v[90:91], off
	s_waitcnt vmcnt(0)
	v_mul_f64 v[90:91], s[24:25], v[90:91]
	v_cvt_f32_f64_e32 v90, v[90:91]
	s_branch .LBB159_288
.LBB159_287:
	v_mov_b32_e32 v90, 0
.LBB159_288:
	v_add_f64 v[86:87], v[6:7], v[86:87]
	v_add_f64 v[84:85], v[4:5], v[84:85]
	;; [unrolled: 1-line block ×4, first 2 shown]
	v_cvt_f32_f64_e32 v84, v[84:85]
	v_cvt_f32_f64_e32 v85, v[86:87]
	;; [unrolled: 1-line block ×4, first 2 shown]
	v_min3_f32 v84, v84, v85, v165
	v_min_f32_e32 v80, v80, v81
	v_min3_f32 v80, v90, v80, v84
	v_cvt_f64_f32_e32 v[80:81], v80
	v_lshl_add_u64 v[82:83], v[142:143], 3, v[88:89]
	global_store_dwordx2 v[82:83], v[80:81], off
.LBB159_289:
	s_or_b64 exec, exec, s[18:19]
	v_add_u32_e32 v84, 48, v163
	v_mad_i64_i32 v[80:81], s[28:29], v84, s31, 0
	v_cmp_gt_i32_e64 s[18:19], s21, v84
	v_lshl_add_u64 v[82:83], v[80:81], 3, s[26:27]
	v_mad_i64_i32 v[80:81], s[28:29], v84, s30, 0
	v_lshl_add_u64 v[80:81], v[80:81], 3, s[22:23]
	s_and_b64 s[34:35], s[2:3], s[18:19]
	s_and_saveexec_b64 s[28:29], s[34:35]
	s_cbranch_execnz .LBB159_297
; %bb.290:
	s_or_b64 exec, exec, s[28:29]
	s_and_b64 s[34:35], s[4:5], s[18:19]
	s_and_saveexec_b64 s[28:29], s[34:35]
	s_cbranch_execnz .LBB159_301
.LBB159_291:
	s_or_b64 exec, exec, s[28:29]
	s_and_b64 s[34:35], s[6:7], s[18:19]
	s_and_saveexec_b64 s[28:29], s[34:35]
	s_cbranch_execnz .LBB159_305
.LBB159_292:
	s_or_b64 exec, exec, s[28:29]
	s_and_b64 s[34:35], s[8:9], s[18:19]
	s_and_saveexec_b64 s[28:29], s[34:35]
	s_cbranch_execnz .LBB159_309
.LBB159_293:
	s_or_b64 exec, exec, s[28:29]
	s_and_b64 s[34:35], s[10:11], s[18:19]
	s_and_saveexec_b64 s[28:29], s[34:35]
	s_cbranch_execnz .LBB159_313
.LBB159_294:
	s_or_b64 exec, exec, s[28:29]
	s_and_b64 s[34:35], s[12:13], s[18:19]
	s_and_saveexec_b64 s[28:29], s[34:35]
	s_cbranch_execnz .LBB159_317
.LBB159_295:
	s_or_b64 exec, exec, s[28:29]
	s_and_b64 s[34:35], s[14:15], s[18:19]
	s_and_saveexec_b64 s[28:29], s[34:35]
	s_cbranch_execnz .LBB159_321
.LBB159_296:
	s_or_b64 exec, exec, s[28:29]
	s_and_b64 s[28:29], s[16:17], s[18:19]
	s_and_saveexec_b64 s[18:19], s[28:29]
	s_cbranch_execnz .LBB159_325
	s_branch .LBB159_329
.LBB159_297:
	s_and_b64 vcc, exec, s[0:1]
	s_cbranch_vccnz .LBB159_299
; %bb.298:
	v_lshl_add_u64 v[84:85], v[128:129], 3, v[82:83]
	global_load_dwordx2 v[84:85], v[84:85], off
	s_waitcnt vmcnt(0)
	v_mul_f64 v[84:85], s[24:25], v[84:85]
	v_cvt_f32_f64_e32 v84, v[84:85]
	s_branch .LBB159_300
.LBB159_299:
	v_mov_b32_e32 v84, 0
.LBB159_300:
	v_add_f64 v[86:87], v[70:71], v[78:79]
	v_add_f64 v[88:89], v[68:69], v[76:77]
	v_cvt_f32_f64_e32 v85, v[88:89]
	v_cvt_f32_f64_e32 v86, v[86:87]
	v_min3_f32 v85, v85, v86, v164
	v_add_f64 v[86:87], v[66:67], v[74:75]
	v_add_f64 v[88:89], v[64:65], v[72:73]
	v_cvt_f32_f64_e32 v88, v[88:89]
	v_cvt_f32_f64_e32 v86, v[86:87]
	v_min_f32_e32 v86, v88, v86
	v_min3_f32 v84, v84, v86, v85
	v_cvt_f64_f32_e32 v[84:85], v84
	v_lshl_add_u64 v[86:87], v[128:129], 3, v[80:81]
	global_store_dwordx2 v[86:87], v[84:85], off
	s_or_b64 exec, exec, s[28:29]
	s_and_b64 s[34:35], s[4:5], s[18:19]
	s_and_saveexec_b64 s[28:29], s[34:35]
	s_cbranch_execz .LBB159_291
.LBB159_301:
	s_and_b64 vcc, exec, s[0:1]
	s_cbranch_vccnz .LBB159_303
; %bb.302:
	v_lshl_add_u64 v[84:85], v[130:131], 3, v[82:83]
	global_load_dwordx2 v[84:85], v[84:85], off
	s_waitcnt vmcnt(0)
	v_mul_f64 v[84:85], s[24:25], v[84:85]
	v_cvt_f32_f64_e32 v84, v[84:85]
	s_branch .LBB159_304
.LBB159_303:
	v_mov_b32_e32 v84, 0
.LBB159_304:
	v_add_f64 v[86:87], v[62:63], v[78:79]
	v_add_f64 v[88:89], v[60:61], v[76:77]
	v_cvt_f32_f64_e32 v85, v[88:89]
	v_cvt_f32_f64_e32 v86, v[86:87]
	v_min3_f32 v85, v85, v86, v162
	v_add_f64 v[86:87], v[58:59], v[74:75]
	v_add_f64 v[88:89], v[56:57], v[72:73]
	v_cvt_f32_f64_e32 v88, v[88:89]
	v_cvt_f32_f64_e32 v86, v[86:87]
	v_min_f32_e32 v86, v88, v86
	v_min3_f32 v84, v84, v86, v85
	v_cvt_f64_f32_e32 v[84:85], v84
	v_lshl_add_u64 v[86:87], v[130:131], 3, v[80:81]
	global_store_dwordx2 v[86:87], v[84:85], off
	s_or_b64 exec, exec, s[28:29]
	s_and_b64 s[34:35], s[6:7], s[18:19]
	s_and_saveexec_b64 s[28:29], s[34:35]
	s_cbranch_execz .LBB159_292
.LBB159_305:
	s_and_b64 vcc, exec, s[0:1]
	s_cbranch_vccnz .LBB159_307
; %bb.306:
	v_lshl_add_u64 v[84:85], v[132:133], 3, v[82:83]
	global_load_dwordx2 v[84:85], v[84:85], off
	s_waitcnt vmcnt(0)
	v_mul_f64 v[84:85], s[24:25], v[84:85]
	v_cvt_f32_f64_e32 v84, v[84:85]
	s_branch .LBB159_308
.LBB159_307:
	v_mov_b32_e32 v84, 0
.LBB159_308:
	v_add_f64 v[86:87], v[54:55], v[78:79]
	v_add_f64 v[88:89], v[52:53], v[76:77]
	v_cvt_f32_f64_e32 v85, v[88:89]
	v_cvt_f32_f64_e32 v86, v[86:87]
	v_min3_f32 v85, v85, v86, v161
	v_add_f64 v[86:87], v[50:51], v[74:75]
	v_add_f64 v[88:89], v[48:49], v[72:73]
	v_cvt_f32_f64_e32 v88, v[88:89]
	v_cvt_f32_f64_e32 v86, v[86:87]
	v_min_f32_e32 v86, v88, v86
	v_min3_f32 v84, v84, v86, v85
	v_cvt_f64_f32_e32 v[84:85], v84
	v_lshl_add_u64 v[86:87], v[132:133], 3, v[80:81]
	global_store_dwordx2 v[86:87], v[84:85], off
	s_or_b64 exec, exec, s[28:29]
	s_and_b64 s[34:35], s[8:9], s[18:19]
	s_and_saveexec_b64 s[28:29], s[34:35]
	s_cbranch_execz .LBB159_293
.LBB159_309:
	s_and_b64 vcc, exec, s[0:1]
	s_cbranch_vccnz .LBB159_311
; %bb.310:
	v_lshl_add_u64 v[84:85], v[134:135], 3, v[82:83]
	global_load_dwordx2 v[84:85], v[84:85], off
	s_waitcnt vmcnt(0)
	v_mul_f64 v[84:85], s[24:25], v[84:85]
	v_cvt_f32_f64_e32 v84, v[84:85]
	s_branch .LBB159_312
.LBB159_311:
	v_mov_b32_e32 v84, 0
.LBB159_312:
	v_add_f64 v[86:87], v[46:47], v[78:79]
	v_add_f64 v[88:89], v[44:45], v[76:77]
	v_cvt_f32_f64_e32 v85, v[88:89]
	v_cvt_f32_f64_e32 v86, v[86:87]
	v_min3_f32 v85, v85, v86, v160
	v_add_f64 v[86:87], v[42:43], v[74:75]
	v_add_f64 v[88:89], v[40:41], v[72:73]
	v_cvt_f32_f64_e32 v88, v[88:89]
	v_cvt_f32_f64_e32 v86, v[86:87]
	v_min_f32_e32 v86, v88, v86
	v_min3_f32 v84, v84, v86, v85
	v_cvt_f64_f32_e32 v[84:85], v84
	v_lshl_add_u64 v[86:87], v[134:135], 3, v[80:81]
	global_store_dwordx2 v[86:87], v[84:85], off
	s_or_b64 exec, exec, s[28:29]
	s_and_b64 s[34:35], s[10:11], s[18:19]
	s_and_saveexec_b64 s[28:29], s[34:35]
	s_cbranch_execz .LBB159_294
.LBB159_313:
	s_and_b64 vcc, exec, s[0:1]
	s_cbranch_vccnz .LBB159_315
; %bb.314:
	v_lshl_add_u64 v[84:85], v[136:137], 3, v[82:83]
	global_load_dwordx2 v[84:85], v[84:85], off
	s_waitcnt vmcnt(0)
	v_mul_f64 v[84:85], s[24:25], v[84:85]
	v_cvt_f32_f64_e32 v84, v[84:85]
	s_branch .LBB159_316
.LBB159_315:
	v_mov_b32_e32 v84, 0
.LBB159_316:
	v_add_f64 v[86:87], v[38:39], v[78:79]
	v_add_f64 v[88:89], v[36:37], v[76:77]
	v_cvt_f32_f64_e32 v85, v[88:89]
	v_cvt_f32_f64_e32 v86, v[86:87]
	v_min3_f32 v85, v85, v86, v159
	v_add_f64 v[86:87], v[34:35], v[74:75]
	v_add_f64 v[88:89], v[32:33], v[72:73]
	v_cvt_f32_f64_e32 v88, v[88:89]
	v_cvt_f32_f64_e32 v86, v[86:87]
	v_min_f32_e32 v86, v88, v86
	v_min3_f32 v84, v84, v86, v85
	v_cvt_f64_f32_e32 v[84:85], v84
	v_lshl_add_u64 v[86:87], v[136:137], 3, v[80:81]
	global_store_dwordx2 v[86:87], v[84:85], off
	s_or_b64 exec, exec, s[28:29]
	s_and_b64 s[34:35], s[12:13], s[18:19]
	s_and_saveexec_b64 s[28:29], s[34:35]
	s_cbranch_execz .LBB159_295
.LBB159_317:
	s_and_b64 vcc, exec, s[0:1]
	s_cbranch_vccnz .LBB159_319
; %bb.318:
	v_lshl_add_u64 v[84:85], v[138:139], 3, v[82:83]
	global_load_dwordx2 v[84:85], v[84:85], off
	s_waitcnt vmcnt(0)
	v_mul_f64 v[84:85], s[24:25], v[84:85]
	v_cvt_f32_f64_e32 v84, v[84:85]
	s_branch .LBB159_320
.LBB159_319:
	v_mov_b32_e32 v84, 0
.LBB159_320:
	v_add_f64 v[86:87], v[30:31], v[78:79]
	v_add_f64 v[88:89], v[28:29], v[76:77]
	v_cvt_f32_f64_e32 v85, v[88:89]
	v_cvt_f32_f64_e32 v86, v[86:87]
	v_min3_f32 v85, v85, v86, v158
	v_add_f64 v[86:87], v[26:27], v[74:75]
	v_add_f64 v[88:89], v[24:25], v[72:73]
	v_cvt_f32_f64_e32 v88, v[88:89]
	v_cvt_f32_f64_e32 v86, v[86:87]
	v_min_f32_e32 v86, v88, v86
	v_min3_f32 v84, v84, v86, v85
	v_cvt_f64_f32_e32 v[84:85], v84
	v_lshl_add_u64 v[86:87], v[138:139], 3, v[80:81]
	global_store_dwordx2 v[86:87], v[84:85], off
	s_or_b64 exec, exec, s[28:29]
	s_and_b64 s[34:35], s[14:15], s[18:19]
	s_and_saveexec_b64 s[28:29], s[34:35]
	s_cbranch_execz .LBB159_296
.LBB159_321:
	s_and_b64 vcc, exec, s[0:1]
	s_cbranch_vccnz .LBB159_323
; %bb.322:
	v_lshl_add_u64 v[84:85], v[140:141], 3, v[82:83]
	global_load_dwordx2 v[84:85], v[84:85], off
	s_waitcnt vmcnt(0)
	v_mul_f64 v[84:85], s[24:25], v[84:85]
	v_cvt_f32_f64_e32 v84, v[84:85]
	s_branch .LBB159_324
.LBB159_323:
	v_mov_b32_e32 v84, 0
.LBB159_324:
	v_add_f64 v[86:87], v[22:23], v[78:79]
	v_add_f64 v[88:89], v[20:21], v[76:77]
	v_cvt_f32_f64_e32 v85, v[88:89]
	v_cvt_f32_f64_e32 v86, v[86:87]
	v_min3_f32 v85, v85, v86, v157
	v_add_f64 v[86:87], v[18:19], v[74:75]
	v_add_f64 v[88:89], v[16:17], v[72:73]
	v_cvt_f32_f64_e32 v88, v[88:89]
	v_cvt_f32_f64_e32 v86, v[86:87]
	v_min_f32_e32 v86, v88, v86
	v_min3_f32 v84, v84, v86, v85
	v_cvt_f64_f32_e32 v[84:85], v84
	v_lshl_add_u64 v[86:87], v[140:141], 3, v[80:81]
	global_store_dwordx2 v[86:87], v[84:85], off
	s_or_b64 exec, exec, s[28:29]
	s_and_b64 s[28:29], s[16:17], s[18:19]
	s_and_saveexec_b64 s[18:19], s[28:29]
	s_cbranch_execz .LBB159_329
.LBB159_325:
	s_and_b64 vcc, exec, s[0:1]
	s_cbranch_vccnz .LBB159_327
; %bb.326:
	v_lshl_add_u64 v[82:83], v[142:143], 3, v[82:83]
	global_load_dwordx2 v[82:83], v[82:83], off
	s_waitcnt vmcnt(0)
	v_mul_f64 v[82:83], s[24:25], v[82:83]
	v_cvt_f32_f64_e32 v82, v[82:83]
	s_branch .LBB159_328
.LBB159_327:
	v_mov_b32_e32 v82, 0
.LBB159_328:
	v_add_f64 v[78:79], v[6:7], v[78:79]
	v_add_f64 v[76:77], v[4:5], v[76:77]
	;; [unrolled: 1-line block ×4, first 2 shown]
	v_cvt_f32_f64_e32 v76, v[76:77]
	v_cvt_f32_f64_e32 v77, v[78:79]
	;; [unrolled: 1-line block ×4, first 2 shown]
	v_min3_f32 v76, v76, v77, v156
	v_min_f32_e32 v72, v72, v73
	v_min3_f32 v72, v82, v72, v76
	v_cvt_f64_f32_e32 v[72:73], v72
	v_lshl_add_u64 v[74:75], v[142:143], 3, v[80:81]
	global_store_dwordx2 v[74:75], v[72:73], off
.LBB159_329:
	s_or_b64 exec, exec, s[18:19]
	v_add_u32_e32 v76, 56, v163
	v_cmp_gt_i32_e64 s[18:19], s21, v76
	v_mad_i64_i32 v[72:73], s[20:21], v76, s31, 0
	v_lshl_add_u64 v[74:75], v[72:73], 3, s[26:27]
	v_mad_i64_i32 v[72:73], s[20:21], v76, s30, 0
	v_lshl_add_u64 v[72:73], v[72:73], 3, s[22:23]
	s_and_b64 s[20:21], s[2:3], s[18:19]
	s_and_saveexec_b64 s[2:3], s[20:21]
	s_cbranch_execnz .LBB159_338
; %bb.330:
	s_or_b64 exec, exec, s[2:3]
	s_and_b64 s[4:5], s[4:5], s[18:19]
	s_and_saveexec_b64 s[2:3], s[4:5]
	s_cbranch_execnz .LBB159_342
.LBB159_331:
	s_or_b64 exec, exec, s[2:3]
	s_and_b64 s[4:5], s[6:7], s[18:19]
	s_and_saveexec_b64 s[2:3], s[4:5]
	s_cbranch_execnz .LBB159_346
.LBB159_332:
	s_or_b64 exec, exec, s[2:3]
	s_and_b64 s[4:5], s[8:9], s[18:19]
	s_and_saveexec_b64 s[2:3], s[4:5]
	s_cbranch_execnz .LBB159_350
.LBB159_333:
	s_or_b64 exec, exec, s[2:3]
	s_and_b64 s[4:5], s[10:11], s[18:19]
	s_and_saveexec_b64 s[2:3], s[4:5]
	s_cbranch_execnz .LBB159_354
.LBB159_334:
	s_or_b64 exec, exec, s[2:3]
	s_and_b64 s[4:5], s[12:13], s[18:19]
	s_and_saveexec_b64 s[2:3], s[4:5]
	s_cbranch_execnz .LBB159_358
.LBB159_335:
	s_or_b64 exec, exec, s[2:3]
	s_and_b64 s[4:5], s[14:15], s[18:19]
	s_and_saveexec_b64 s[2:3], s[4:5]
	s_cbranch_execnz .LBB159_362
.LBB159_336:
	s_or_b64 exec, exec, s[2:3]
	s_and_b64 s[2:3], s[16:17], s[18:19]
	s_and_saveexec_b64 s[4:5], s[2:3]
	s_cbranch_execnz .LBB159_366
.LBB159_337:
	s_endpgm
.LBB159_338:
	s_and_b64 vcc, exec, s[0:1]
	s_cbranch_vccnz .LBB159_340
; %bb.339:
	v_lshl_add_u64 v[76:77], v[128:129], 3, v[74:75]
	global_load_dwordx2 v[76:77], v[76:77], off
	s_waitcnt vmcnt(0)
	v_mul_f64 v[76:77], s[24:25], v[76:77]
	v_cvt_f32_f64_e32 v76, v[76:77]
	s_branch .LBB159_341
.LBB159_340:
	v_mov_b32_e32 v76, 0
.LBB159_341:
	v_add_f64 v[70:71], v[70:71], v[14:15]
	v_add_f64 v[68:69], v[68:69], v[12:13]
	;; [unrolled: 1-line block ×4, first 2 shown]
	v_cvt_f32_f64_e32 v68, v[68:69]
	v_cvt_f32_f64_e32 v69, v[70:71]
	;; [unrolled: 1-line block ×4, first 2 shown]
	v_min3_f32 v68, v68, v69, v155
	v_min_f32_e32 v64, v64, v65
	v_min3_f32 v64, v76, v64, v68
	v_cvt_f64_f32_e32 v[64:65], v64
	v_lshl_add_u64 v[66:67], v[128:129], 3, v[72:73]
	global_store_dwordx2 v[66:67], v[64:65], off
	s_or_b64 exec, exec, s[2:3]
	s_and_b64 s[4:5], s[4:5], s[18:19]
	s_and_saveexec_b64 s[2:3], s[4:5]
	s_cbranch_execz .LBB159_331
.LBB159_342:
	s_and_b64 vcc, exec, s[0:1]
	s_cbranch_vccnz .LBB159_344
; %bb.343:
	v_lshl_add_u64 v[64:65], v[130:131], 3, v[74:75]
	global_load_dwordx2 v[64:65], v[64:65], off
	s_waitcnt vmcnt(0)
	v_mul_f64 v[64:65], s[24:25], v[64:65]
	v_cvt_f32_f64_e32 v64, v[64:65]
	s_branch .LBB159_345
.LBB159_344:
	v_mov_b32_e32 v64, 0
.LBB159_345:
	v_add_f64 v[62:63], v[62:63], v[14:15]
	v_add_f64 v[60:61], v[60:61], v[12:13]
	;; [unrolled: 1-line block ×4, first 2 shown]
	v_cvt_f32_f64_e32 v60, v[60:61]
	v_cvt_f32_f64_e32 v61, v[62:63]
	;; [unrolled: 1-line block ×4, first 2 shown]
	v_min3_f32 v60, v60, v61, v154
	v_min_f32_e32 v56, v56, v57
	v_min3_f32 v56, v64, v56, v60
	v_cvt_f64_f32_e32 v[56:57], v56
	v_lshl_add_u64 v[58:59], v[130:131], 3, v[72:73]
	global_store_dwordx2 v[58:59], v[56:57], off
	s_or_b64 exec, exec, s[2:3]
	s_and_b64 s[4:5], s[6:7], s[18:19]
	s_and_saveexec_b64 s[2:3], s[4:5]
	s_cbranch_execz .LBB159_332
.LBB159_346:
	s_and_b64 vcc, exec, s[0:1]
	s_cbranch_vccnz .LBB159_348
; %bb.347:
	v_lshl_add_u64 v[56:57], v[132:133], 3, v[74:75]
	global_load_dwordx2 v[56:57], v[56:57], off
	s_waitcnt vmcnt(0)
	v_mul_f64 v[56:57], s[24:25], v[56:57]
	v_cvt_f32_f64_e32 v56, v[56:57]
	s_branch .LBB159_349
.LBB159_348:
	v_mov_b32_e32 v56, 0
.LBB159_349:
	v_add_f64 v[54:55], v[54:55], v[14:15]
	v_add_f64 v[52:53], v[52:53], v[12:13]
	;; [unrolled: 1-line block ×4, first 2 shown]
	v_cvt_f32_f64_e32 v52, v[52:53]
	v_cvt_f32_f64_e32 v53, v[54:55]
	;; [unrolled: 1-line block ×4, first 2 shown]
	v_min3_f32 v52, v52, v53, v153
	v_min_f32_e32 v48, v48, v49
	v_min3_f32 v48, v56, v48, v52
	v_cvt_f64_f32_e32 v[48:49], v48
	v_lshl_add_u64 v[50:51], v[132:133], 3, v[72:73]
	global_store_dwordx2 v[50:51], v[48:49], off
	s_or_b64 exec, exec, s[2:3]
	s_and_b64 s[4:5], s[8:9], s[18:19]
	s_and_saveexec_b64 s[2:3], s[4:5]
	s_cbranch_execz .LBB159_333
.LBB159_350:
	s_and_b64 vcc, exec, s[0:1]
	s_cbranch_vccnz .LBB159_352
; %bb.351:
	v_lshl_add_u64 v[48:49], v[134:135], 3, v[74:75]
	global_load_dwordx2 v[48:49], v[48:49], off
	s_waitcnt vmcnt(0)
	v_mul_f64 v[48:49], s[24:25], v[48:49]
	v_cvt_f32_f64_e32 v48, v[48:49]
	s_branch .LBB159_353
.LBB159_352:
	v_mov_b32_e32 v48, 0
.LBB159_353:
	v_add_f64 v[46:47], v[46:47], v[14:15]
	v_add_f64 v[44:45], v[44:45], v[12:13]
	;; [unrolled: 1-line block ×4, first 2 shown]
	v_cvt_f32_f64_e32 v44, v[44:45]
	v_cvt_f32_f64_e32 v45, v[46:47]
	;; [unrolled: 1-line block ×4, first 2 shown]
	v_min3_f32 v44, v44, v45, v152
	v_min_f32_e32 v40, v40, v41
	v_min3_f32 v40, v48, v40, v44
	v_cvt_f64_f32_e32 v[40:41], v40
	v_lshl_add_u64 v[42:43], v[134:135], 3, v[72:73]
	global_store_dwordx2 v[42:43], v[40:41], off
	s_or_b64 exec, exec, s[2:3]
	s_and_b64 s[4:5], s[10:11], s[18:19]
	s_and_saveexec_b64 s[2:3], s[4:5]
	s_cbranch_execz .LBB159_334
.LBB159_354:
	s_and_b64 vcc, exec, s[0:1]
	s_cbranch_vccnz .LBB159_356
; %bb.355:
	v_lshl_add_u64 v[40:41], v[136:137], 3, v[74:75]
	global_load_dwordx2 v[40:41], v[40:41], off
	s_waitcnt vmcnt(0)
	v_mul_f64 v[40:41], s[24:25], v[40:41]
	v_cvt_f32_f64_e32 v40, v[40:41]
	s_branch .LBB159_357
.LBB159_356:
	v_mov_b32_e32 v40, 0
.LBB159_357:
	v_add_f64 v[38:39], v[38:39], v[14:15]
	v_add_f64 v[36:37], v[36:37], v[12:13]
	;; [unrolled: 1-line block ×4, first 2 shown]
	v_cvt_f32_f64_e32 v36, v[36:37]
	v_cvt_f32_f64_e32 v37, v[38:39]
	;; [unrolled: 1-line block ×4, first 2 shown]
	v_min3_f32 v36, v36, v37, v151
	v_min_f32_e32 v32, v32, v33
	v_min3_f32 v32, v40, v32, v36
	v_cvt_f64_f32_e32 v[32:33], v32
	v_lshl_add_u64 v[34:35], v[136:137], 3, v[72:73]
	global_store_dwordx2 v[34:35], v[32:33], off
	s_or_b64 exec, exec, s[2:3]
	s_and_b64 s[4:5], s[12:13], s[18:19]
	s_and_saveexec_b64 s[2:3], s[4:5]
	s_cbranch_execz .LBB159_335
.LBB159_358:
	s_and_b64 vcc, exec, s[0:1]
	s_cbranch_vccnz .LBB159_360
; %bb.359:
	v_lshl_add_u64 v[32:33], v[138:139], 3, v[74:75]
	global_load_dwordx2 v[32:33], v[32:33], off
	s_waitcnt vmcnt(0)
	v_mul_f64 v[32:33], s[24:25], v[32:33]
	v_cvt_f32_f64_e32 v32, v[32:33]
	s_branch .LBB159_361
.LBB159_360:
	v_mov_b32_e32 v32, 0
.LBB159_361:
	v_add_f64 v[30:31], v[30:31], v[14:15]
	v_add_f64 v[28:29], v[28:29], v[12:13]
	;; [unrolled: 1-line block ×4, first 2 shown]
	v_cvt_f32_f64_e32 v28, v[28:29]
	v_cvt_f32_f64_e32 v29, v[30:31]
	;; [unrolled: 1-line block ×4, first 2 shown]
	v_min3_f32 v28, v28, v29, v150
	v_min_f32_e32 v24, v24, v25
	v_min3_f32 v24, v32, v24, v28
	v_cvt_f64_f32_e32 v[24:25], v24
	v_lshl_add_u64 v[26:27], v[138:139], 3, v[72:73]
	global_store_dwordx2 v[26:27], v[24:25], off
	s_or_b64 exec, exec, s[2:3]
	s_and_b64 s[4:5], s[14:15], s[18:19]
	s_and_saveexec_b64 s[2:3], s[4:5]
	s_cbranch_execz .LBB159_336
.LBB159_362:
	s_and_b64 vcc, exec, s[0:1]
	s_cbranch_vccnz .LBB159_364
; %bb.363:
	v_lshl_add_u64 v[24:25], v[140:141], 3, v[74:75]
	global_load_dwordx2 v[24:25], v[24:25], off
	s_waitcnt vmcnt(0)
	v_mul_f64 v[24:25], s[24:25], v[24:25]
	v_cvt_f32_f64_e32 v24, v[24:25]
	s_branch .LBB159_365
.LBB159_364:
	v_mov_b32_e32 v24, 0
.LBB159_365:
	v_add_f64 v[22:23], v[22:23], v[14:15]
	v_add_f64 v[20:21], v[20:21], v[12:13]
	;; [unrolled: 1-line block ×4, first 2 shown]
	v_cvt_f32_f64_e32 v20, v[20:21]
	v_cvt_f32_f64_e32 v21, v[22:23]
	;; [unrolled: 1-line block ×4, first 2 shown]
	v_min3_f32 v20, v20, v21, v149
	v_min_f32_e32 v16, v16, v17
	v_min3_f32 v16, v24, v16, v20
	v_cvt_f64_f32_e32 v[16:17], v16
	v_lshl_add_u64 v[18:19], v[140:141], 3, v[72:73]
	global_store_dwordx2 v[18:19], v[16:17], off
	s_or_b64 exec, exec, s[2:3]
	s_and_b64 s[2:3], s[16:17], s[18:19]
	s_and_saveexec_b64 s[4:5], s[2:3]
	s_cbranch_execz .LBB159_337
.LBB159_366:
	s_and_b64 vcc, exec, s[0:1]
	s_cbranch_vccnz .LBB159_368
; %bb.367:
	v_lshl_add_u64 v[16:17], v[142:143], 3, v[74:75]
	global_load_dwordx2 v[16:17], v[16:17], off
	s_waitcnt vmcnt(0)
	v_mul_f64 v[16:17], s[24:25], v[16:17]
	v_cvt_f32_f64_e32 v16, v[16:17]
	s_branch .LBB159_369
.LBB159_368:
	v_mov_b32_e32 v16, 0
.LBB159_369:
	v_add_f64 v[6:7], v[6:7], v[14:15]
	v_add_f64 v[4:5], v[4:5], v[12:13]
	;; [unrolled: 1-line block ×4, first 2 shown]
	v_cvt_f32_f64_e32 v4, v[4:5]
	v_cvt_f32_f64_e32 v5, v[6:7]
	;; [unrolled: 1-line block ×4, first 2 shown]
	v_min3_f32 v4, v4, v5, v148
	v_min_f32_e32 v0, v0, v1
	v_min3_f32 v0, v16, v0, v4
	v_cvt_f64_f32_e32 v[0:1], v0
	v_lshl_add_u64 v[2:3], v[142:143], 3, v[72:73]
	global_store_dwordx2 v[2:3], v[0:1], off
	s_endpgm
	.section	.rodata,"a",@progbits
	.p2align	6, 0x0
	.amdhsa_kernel _ZN12_GLOBAL__N_120geam_min_plus_kernelId15HIP_vector_typeIdLj2EEdLi32ELi8ELi256ELi64ELi4ELi64ELi4ELi4ELi64ELc78ELc78ELb0ELb1ELb1EPKdS3_dEEviiiT16_PT17_ilS7_ilS5_S7_ilPT18_ili26rocblas_geam_ex_operation_
		.amdhsa_group_segment_fixed_size 20480
		.amdhsa_private_segment_fixed_size 0
		.amdhsa_kernarg_size 136
		.amdhsa_user_sgpr_count 2
		.amdhsa_user_sgpr_dispatch_ptr 0
		.amdhsa_user_sgpr_queue_ptr 0
		.amdhsa_user_sgpr_kernarg_segment_ptr 1
		.amdhsa_user_sgpr_dispatch_id 0
		.amdhsa_user_sgpr_kernarg_preload_length 0
		.amdhsa_user_sgpr_kernarg_preload_offset 0
		.amdhsa_user_sgpr_private_segment_size 0
		.amdhsa_uses_dynamic_stack 0
		.amdhsa_enable_private_segment 0
		.amdhsa_system_sgpr_workgroup_id_x 1
		.amdhsa_system_sgpr_workgroup_id_y 0
		.amdhsa_system_sgpr_workgroup_id_z 1
		.amdhsa_system_sgpr_workgroup_info 0
		.amdhsa_system_vgpr_workitem_id 1
		.amdhsa_next_free_vgpr 225
		.amdhsa_next_free_sgpr 44
		.amdhsa_accum_offset 228
		.amdhsa_reserve_vcc 1
		.amdhsa_float_round_mode_32 0
		.amdhsa_float_round_mode_16_64 0
		.amdhsa_float_denorm_mode_32 3
		.amdhsa_float_denorm_mode_16_64 3
		.amdhsa_dx10_clamp 1
		.amdhsa_ieee_mode 1
		.amdhsa_fp16_overflow 0
		.amdhsa_tg_split 0
		.amdhsa_exception_fp_ieee_invalid_op 0
		.amdhsa_exception_fp_denorm_src 0
		.amdhsa_exception_fp_ieee_div_zero 0
		.amdhsa_exception_fp_ieee_overflow 0
		.amdhsa_exception_fp_ieee_underflow 0
		.amdhsa_exception_fp_ieee_inexact 0
		.amdhsa_exception_int_div_zero 0
	.end_amdhsa_kernel
	.section	.text._ZN12_GLOBAL__N_120geam_min_plus_kernelId15HIP_vector_typeIdLj2EEdLi32ELi8ELi256ELi64ELi4ELi64ELi4ELi4ELi64ELc78ELc78ELb0ELb1ELb1EPKdS3_dEEviiiT16_PT17_ilS7_ilS5_S7_ilPT18_ili26rocblas_geam_ex_operation_,"axG",@progbits,_ZN12_GLOBAL__N_120geam_min_plus_kernelId15HIP_vector_typeIdLj2EEdLi32ELi8ELi256ELi64ELi4ELi64ELi4ELi4ELi64ELc78ELc78ELb0ELb1ELb1EPKdS3_dEEviiiT16_PT17_ilS7_ilS5_S7_ilPT18_ili26rocblas_geam_ex_operation_,comdat
.Lfunc_end159:
	.size	_ZN12_GLOBAL__N_120geam_min_plus_kernelId15HIP_vector_typeIdLj2EEdLi32ELi8ELi256ELi64ELi4ELi64ELi4ELi4ELi64ELc78ELc78ELb0ELb1ELb1EPKdS3_dEEviiiT16_PT17_ilS7_ilS5_S7_ilPT18_ili26rocblas_geam_ex_operation_, .Lfunc_end159-_ZN12_GLOBAL__N_120geam_min_plus_kernelId15HIP_vector_typeIdLj2EEdLi32ELi8ELi256ELi64ELi4ELi64ELi4ELi4ELi64ELc78ELc78ELb0ELb1ELb1EPKdS3_dEEviiiT16_PT17_ilS7_ilS5_S7_ilPT18_ili26rocblas_geam_ex_operation_
                                        ; -- End function
	.set _ZN12_GLOBAL__N_120geam_min_plus_kernelId15HIP_vector_typeIdLj2EEdLi32ELi8ELi256ELi64ELi4ELi64ELi4ELi4ELi64ELc78ELc78ELb0ELb1ELb1EPKdS3_dEEviiiT16_PT17_ilS7_ilS5_S7_ilPT18_ili26rocblas_geam_ex_operation_.num_vgpr, 225
	.set _ZN12_GLOBAL__N_120geam_min_plus_kernelId15HIP_vector_typeIdLj2EEdLi32ELi8ELi256ELi64ELi4ELi64ELi4ELi4ELi64ELc78ELc78ELb0ELb1ELb1EPKdS3_dEEviiiT16_PT17_ilS7_ilS5_S7_ilPT18_ili26rocblas_geam_ex_operation_.num_agpr, 0
	.set _ZN12_GLOBAL__N_120geam_min_plus_kernelId15HIP_vector_typeIdLj2EEdLi32ELi8ELi256ELi64ELi4ELi64ELi4ELi4ELi64ELc78ELc78ELb0ELb1ELb1EPKdS3_dEEviiiT16_PT17_ilS7_ilS5_S7_ilPT18_ili26rocblas_geam_ex_operation_.numbered_sgpr, 44
	.set _ZN12_GLOBAL__N_120geam_min_plus_kernelId15HIP_vector_typeIdLj2EEdLi32ELi8ELi256ELi64ELi4ELi64ELi4ELi4ELi64ELc78ELc78ELb0ELb1ELb1EPKdS3_dEEviiiT16_PT17_ilS7_ilS5_S7_ilPT18_ili26rocblas_geam_ex_operation_.num_named_barrier, 0
	.set _ZN12_GLOBAL__N_120geam_min_plus_kernelId15HIP_vector_typeIdLj2EEdLi32ELi8ELi256ELi64ELi4ELi64ELi4ELi4ELi64ELc78ELc78ELb0ELb1ELb1EPKdS3_dEEviiiT16_PT17_ilS7_ilS5_S7_ilPT18_ili26rocblas_geam_ex_operation_.private_seg_size, 0
	.set _ZN12_GLOBAL__N_120geam_min_plus_kernelId15HIP_vector_typeIdLj2EEdLi32ELi8ELi256ELi64ELi4ELi64ELi4ELi4ELi64ELc78ELc78ELb0ELb1ELb1EPKdS3_dEEviiiT16_PT17_ilS7_ilS5_S7_ilPT18_ili26rocblas_geam_ex_operation_.uses_vcc, 1
	.set _ZN12_GLOBAL__N_120geam_min_plus_kernelId15HIP_vector_typeIdLj2EEdLi32ELi8ELi256ELi64ELi4ELi64ELi4ELi4ELi64ELc78ELc78ELb0ELb1ELb1EPKdS3_dEEviiiT16_PT17_ilS7_ilS5_S7_ilPT18_ili26rocblas_geam_ex_operation_.uses_flat_scratch, 0
	.set _ZN12_GLOBAL__N_120geam_min_plus_kernelId15HIP_vector_typeIdLj2EEdLi32ELi8ELi256ELi64ELi4ELi64ELi4ELi4ELi64ELc78ELc78ELb0ELb1ELb1EPKdS3_dEEviiiT16_PT17_ilS7_ilS5_S7_ilPT18_ili26rocblas_geam_ex_operation_.has_dyn_sized_stack, 0
	.set _ZN12_GLOBAL__N_120geam_min_plus_kernelId15HIP_vector_typeIdLj2EEdLi32ELi8ELi256ELi64ELi4ELi64ELi4ELi4ELi64ELc78ELc78ELb0ELb1ELb1EPKdS3_dEEviiiT16_PT17_ilS7_ilS5_S7_ilPT18_ili26rocblas_geam_ex_operation_.has_recursion, 0
	.set _ZN12_GLOBAL__N_120geam_min_plus_kernelId15HIP_vector_typeIdLj2EEdLi32ELi8ELi256ELi64ELi4ELi64ELi4ELi4ELi64ELc78ELc78ELb0ELb1ELb1EPKdS3_dEEviiiT16_PT17_ilS7_ilS5_S7_ilPT18_ili26rocblas_geam_ex_operation_.has_indirect_call, 0
	.section	.AMDGPU.csdata,"",@progbits
; Kernel info:
; codeLenInByte = 26912
; TotalNumSgprs: 50
; NumVgprs: 225
; NumAgprs: 0
; TotalNumVgprs: 225
; ScratchSize: 0
; MemoryBound: 1
; FloatMode: 240
; IeeeMode: 1
; LDSByteSize: 20480 bytes/workgroup (compile time only)
; SGPRBlocks: 6
; VGPRBlocks: 28
; NumSGPRsForWavesPerEU: 50
; NumVGPRsForWavesPerEU: 225
; AccumOffset: 228
; Occupancy: 2
; WaveLimiterHint : 0
; COMPUTE_PGM_RSRC2:SCRATCH_EN: 0
; COMPUTE_PGM_RSRC2:USER_SGPR: 2
; COMPUTE_PGM_RSRC2:TRAP_HANDLER: 0
; COMPUTE_PGM_RSRC2:TGID_X_EN: 1
; COMPUTE_PGM_RSRC2:TGID_Y_EN: 0
; COMPUTE_PGM_RSRC2:TGID_Z_EN: 1
; COMPUTE_PGM_RSRC2:TIDIG_COMP_CNT: 1
; COMPUTE_PGM_RSRC3_GFX90A:ACCUM_OFFSET: 56
; COMPUTE_PGM_RSRC3_GFX90A:TG_SPLIT: 0
	.section	.text._ZN12_GLOBAL__N_120geam_min_plus_kernelId15HIP_vector_typeIdLj2EEdLi32ELi8ELi256ELi64ELi4ELi64ELi4ELi4ELi64ELc78ELc78ELb1ELb1ELb1EdKddEEviiiT16_PT17_ilS6_ilS4_S6_ilPT18_ili26rocblas_geam_ex_operation_,"axG",@progbits,_ZN12_GLOBAL__N_120geam_min_plus_kernelId15HIP_vector_typeIdLj2EEdLi32ELi8ELi256ELi64ELi4ELi64ELi4ELi4ELi64ELc78ELc78ELb1ELb1ELb1EdKddEEviiiT16_PT17_ilS6_ilS4_S6_ilPT18_ili26rocblas_geam_ex_operation_,comdat
	.globl	_ZN12_GLOBAL__N_120geam_min_plus_kernelId15HIP_vector_typeIdLj2EEdLi32ELi8ELi256ELi64ELi4ELi64ELi4ELi4ELi64ELc78ELc78ELb1ELb1ELb1EdKddEEviiiT16_PT17_ilS6_ilS4_S6_ilPT18_ili26rocblas_geam_ex_operation_ ; -- Begin function _ZN12_GLOBAL__N_120geam_min_plus_kernelId15HIP_vector_typeIdLj2EEdLi32ELi8ELi256ELi64ELi4ELi64ELi4ELi4ELi64ELc78ELc78ELb1ELb1ELb1EdKddEEviiiT16_PT17_ilS6_ilS4_S6_ilPT18_ili26rocblas_geam_ex_operation_
	.p2align	8
	.type	_ZN12_GLOBAL__N_120geam_min_plus_kernelId15HIP_vector_typeIdLj2EEdLi32ELi8ELi256ELi64ELi4ELi64ELi4ELi4ELi64ELc78ELc78ELb1ELb1ELb1EdKddEEviiiT16_PT17_ilS6_ilS4_S6_ilPT18_ili26rocblas_geam_ex_operation_,@function
_ZN12_GLOBAL__N_120geam_min_plus_kernelId15HIP_vector_typeIdLj2EEdLi32ELi8ELi256ELi64ELi4ELi64ELi4ELi4ELi64ELc78ELc78ELb1ELb1ELb1EdKddEEviiiT16_PT17_ilS6_ilS4_S6_ilPT18_ili26rocblas_geam_ex_operation_: ; @_ZN12_GLOBAL__N_120geam_min_plus_kernelId15HIP_vector_typeIdLj2EEdLi32ELi8ELi256ELi64ELi4ELi64ELi4ELi4ELi64ELc78ELc78ELb1ELb1ELb1EdKddEEviiiT16_PT17_ilS6_ilS4_S6_ilPT18_ili26rocblas_geam_ex_operation_
; %bb.0:
	s_load_dwordx4 s[8:11], s[0:1], 0x10
	s_load_dwordx4 s[4:7], s[0:1], 0x28
	s_mov_b64 s[30:31], 0
	s_waitcnt lgkmcnt(0)
	v_cmp_eq_f64_e64 s[8:9], s[8:9], 0
	s_and_b64 vcc, exec, s[8:9]
	s_cbranch_vccnz .LBB160_2
; %bb.1:
	s_mul_i32 s5, s5, s3
	s_mul_hi_u32 s12, s4, s3
	s_add_i32 s5, s12, s5
	s_mul_i32 s4, s4, s3
	s_lshl_b64 s[4:5], s[4:5], 3
	s_add_u32 s30, s10, s4
	s_addc_u32 s31, s11, s5
.LBB160_2:
	s_load_dwordx4 s[20:23], s[0:1], 0x40
	s_load_dwordx2 s[4:5], s[0:1], 0x50
	s_andn2_b64 vcc, exec, s[8:9]
	s_mov_b64 s[8:9], -1
	s_cbranch_vccnz .LBB160_4
; %bb.3:
	s_mov_b64 s[8:9], 0
.LBB160_4:
	s_mov_b64 s[28:29], 0
	s_andn2_b64 vcc, exec, s[8:9]
	s_mov_b64 s[34:35], 0
	s_cbranch_vccnz .LBB160_6
; %bb.5:
	s_waitcnt lgkmcnt(0)
	s_mul_i32 s8, s21, s3
	s_mul_hi_u32 s9, s20, s3
	s_add_i32 s9, s9, s8
	s_mul_i32 s8, s20, s3
	s_lshl_b64 s[8:9], s[8:9], 3
	s_add_u32 s34, s6, s8
	s_addc_u32 s35, s7, s9
.LBB160_6:
	s_load_dwordx4 s[16:19], s[0:1], 0x60
	s_waitcnt lgkmcnt(0)
	v_cmp_eq_f64_e64 s[6:7], s[22:23], 0
	v_cmp_neq_f64_e64 s[20:21], s[22:23], 0
	s_and_b64 vcc, exec, s[6:7]
	s_cbranch_vccnz .LBB160_8
; %bb.7:
	s_mul_i32 s6, s17, s3
	s_mul_hi_u32 s7, s16, s3
	s_add_i32 s7, s7, s6
	s_mul_i32 s6, s16, s3
	s_lshl_b64 s[6:7], s[6:7], 3
	s_add_u32 s28, s4, s6
	s_addc_u32 s29, s5, s7
.LBB160_8:
	s_load_dwordx4 s[24:27], s[0:1], 0x0
	s_load_dword s16, s[0:1], 0x20
	v_and_b32_e32 v152, 0x3ff, v0
	v_bfe_u32 v153, v0, 10, 10
	v_lshl_add_u32 v11, v153, 5, v152
	s_waitcnt lgkmcnt(0)
	s_add_i32 s4, s24, -1
	s_ashr_i32 s5, s4, 31
	s_lshr_b32 s5, s5, 24
	s_add_i32 s4, s4, s5
	s_ashr_i32 s6, s4, 8
	s_add_i32 s7, s6, 1
	v_cvt_f32_u32_e32 v1, s7
	v_lshrrev_b32_e32 v161, 6, v11
	v_and_b32_e32 v10, 63, v11
	v_cmp_le_i32_e64 s[8:9], s26, v161
	v_rcp_iflag_f32_e32 v0, v1
	s_nop 0
	v_mul_f32_e32 v0, 0x4f7ffffe, v0
	v_cvt_u32_f32_e32 v2, v0
	v_mad_i64_i32 v[0:1], s[4:5], s16, v161, 0
	s_not_b32 s4, s6
	v_readfirstlane_b32 s5, v2
	s_mul_i32 s4, s4, s5
	s_mul_hi_u32 s4, s5, s4
	s_add_i32 s5, s5, s4
	s_mul_hi_u32 s4, s2, s5
	s_mul_i32 s5, s4, s7
	s_sub_i32 s5, s2, s5
	s_add_i32 s6, s4, 1
	s_sub_i32 s10, s5, s7
	s_cmp_ge_u32 s5, s7
	s_cselect_b32 s4, s6, s4
	s_cselect_b32 s5, s10, s5
	s_add_i32 s6, s4, 1
	s_cmp_ge_u32 s5, s7
	s_cselect_b32 s10, s6, s4
	s_mul_i32 s4, s10, s7
	s_sub_i32 s2, s2, s4
	s_lshl_b32 s2, s2, 8
	v_or_b32_e32 v100, s2, v10
	v_lshl_add_u64 v[8:9], v[0:1], 3, s[30:31]
	v_cmp_le_i32_e32 vcc, s24, v100
	v_mov_b32_e32 v0, -1
	v_mov_b32_e32 v1, 0x7fefffff
	s_nor_b64 s[6:7], vcc, s[8:9]
	v_ashrrev_i32_e32 v101, 31, v100
	v_mov_b64_e32 v[2:3], v[0:1]
	s_and_saveexec_b64 s[4:5], s[6:7]
	s_cbranch_execz .LBB160_10
; %bb.9:
	v_lshl_add_u64 v[2:3], v[100:101], 3, v[8:9]
	global_load_dwordx2 v[2:3], v[2:3], off
.LBB160_10:
	s_or_b64 exec, exec, s[4:5]
	v_or_b32_e32 v4, 64, v100
	v_cmp_le_i32_e64 s[12:13], s24, v4
	s_nor_b64 s[6:7], s[12:13], s[8:9]
	s_and_saveexec_b64 s[4:5], s[6:7]
	s_cbranch_execz .LBB160_12
; %bb.11:
	v_lshl_add_u64 v[0:1], v[100:101], 3, v[8:9]
	global_load_dwordx2 v[0:1], v[0:1], off offset:512
.LBB160_12:
	s_or_b64 exec, exec, s[4:5]
	v_or_b32_e32 v4, 0x80, v100
	v_cmp_le_i32_e64 s[4:5], s24, v4
	v_mov_b32_e32 v4, -1
	v_mov_b32_e32 v5, 0x7fefffff
	s_ashr_i32 s17, s16, 31
	s_nor_b64 s[14:15], s[4:5], s[8:9]
	v_mov_b64_e32 v[6:7], v[4:5]
	s_and_saveexec_b64 s[6:7], s[14:15]
	s_cbranch_execz .LBB160_14
; %bb.13:
	v_lshl_add_u64 v[6:7], v[100:101], 3, v[8:9]
	global_load_dwordx2 v[6:7], v[6:7], off offset:1024
.LBB160_14:
	s_or_b64 exec, exec, s[6:7]
	v_or_b32_e32 v12, 0xc0, v100
	v_cmp_le_i32_e64 s[6:7], s24, v12
	s_nor_b64 s[14:15], s[6:7], s[8:9]
	s_and_saveexec_b64 s[8:9], s[14:15]
	s_cbranch_execz .LBB160_16
; %bb.15:
	v_lshl_add_u64 v[4:5], v[100:101], 3, v[8:9]
	global_load_dwordx2 v[4:5], v[4:5], off offset:1536
.LBB160_16:
	s_or_b64 exec, exec, s[8:9]
	s_load_dword s36, s[0:1], 0x38
	v_lshrrev_b32_e32 v11, 2, v11
	s_lshl_b32 s33, s10, 6
	v_and_b32_e32 v165, 3, v152
	v_add_u32_e32 v114, s33, v11
	v_cmp_gt_i32_e64 s[10:11], s26, v165
	v_cmp_gt_i32_e64 s[14:15], s25, v114
	v_mov_b32_e32 v106, -1
	v_mov_b32_e32 v107, 0x7fefffff
	v_cmp_le_i32_e64 s[8:9], s25, v114
	s_and_b64 s[14:15], s[10:11], s[14:15]
	v_lshlrev_b32_e32 v102, 3, v165
	v_mov_b64_e32 v[12:13], v[106:107]
	s_and_saveexec_b64 s[10:11], s[14:15]
	s_cbranch_execz .LBB160_18
; %bb.17:
	s_waitcnt lgkmcnt(0)
	v_mad_i64_i32 v[8:9], s[14:15], v114, s36, 0
	v_lshl_add_u64 v[8:9], v[8:9], 3, s[34:35]
	v_mov_b32_e32 v103, 0
	v_lshl_add_u64 v[8:9], v[8:9], 0, v[102:103]
	global_load_dwordx2 v[12:13], v[8:9], off
.LBB160_18:
	s_or_b64 exec, exec, s[10:11]
	v_add_u32_e32 v8, 4, v161
	v_cmp_le_i32_e64 s[10:11], s26, v8
	v_mad_i64_i32 v[8:9], s[14:15], s16, v8, 0
	v_lshl_add_u64 v[8:9], v[8:9], 3, s[30:31]
	s_nor_b64 s[38:39], vcc, s[10:11]
	s_and_saveexec_b64 s[14:15], s[38:39]
	s_cbranch_execz .LBB160_20
; %bb.19:
	v_lshl_add_u64 v[14:15], v[100:101], 3, v[8:9]
	global_load_dwordx2 v[106:107], v[14:15], off
.LBB160_20:
	s_or_b64 exec, exec, s[14:15]
	v_mov_b32_e32 v108, -1
	v_mov_b32_e32 v109, 0x7fefffff
	s_nor_b64 s[38:39], s[12:13], s[10:11]
	v_mov_b64_e32 v[110:111], v[108:109]
	s_and_saveexec_b64 s[14:15], s[38:39]
	s_cbranch_execz .LBB160_22
; %bb.21:
	v_lshl_add_u64 v[14:15], v[100:101], 3, v[8:9]
	global_load_dwordx2 v[110:111], v[14:15], off offset:512
.LBB160_22:
	s_or_b64 exec, exec, s[14:15]
	s_nor_b64 s[38:39], s[4:5], s[10:11]
	s_and_saveexec_b64 s[14:15], s[38:39]
	s_cbranch_execz .LBB160_24
; %bb.23:
	v_lshl_add_u64 v[14:15], v[100:101], 3, v[8:9]
	global_load_dwordx2 v[108:109], v[14:15], off offset:1024
.LBB160_24:
	s_or_b64 exec, exec, s[14:15]
	v_mov_b32_e32 v104, -1
	v_mov_b32_e32 v105, 0x7fefffff
	s_nor_b64 s[14:15], s[6:7], s[10:11]
	v_mov_b64_e32 v[112:113], v[104:105]
	s_and_saveexec_b64 s[10:11], s[14:15]
	s_cbranch_execz .LBB160_26
; %bb.25:
	v_lshl_add_u64 v[8:9], v[100:101], 3, v[8:9]
	global_load_dwordx2 v[112:113], v[8:9], off offset:1536
.LBB160_26:
	s_or_b64 exec, exec, s[10:11]
	v_or_b32_e32 v8, 4, v165
	v_cmp_gt_i32_e64 s[10:11], s26, v8
	s_xor_b64 s[14:15], s[8:9], -1
	s_and_b64 s[10:11], s[10:11], s[14:15]
	s_and_saveexec_b64 s[8:9], s[10:11]
	s_cbranch_execz .LBB160_28
; %bb.27:
	s_waitcnt lgkmcnt(0)
	v_mad_i64_i32 v[8:9], s[10:11], v114, s36, 0
	v_lshl_add_u64 v[8:9], v[8:9], 3, s[34:35]
	v_mov_b32_e32 v103, 0
	v_lshl_add_u64 v[8:9], v[8:9], 0, v[102:103]
	global_load_dwordx2 v[104:105], v[8:9], off offset:32
.LBB160_28:
	s_or_b64 exec, exec, s[8:9]
	v_lshlrev_b32_e32 v8, 5, v10
	v_lshl_add_u32 v169, v161, 3, v8
	v_lshl_or_b32 v103, v11, 5, v102
	v_lshlrev_b32_e32 v162, 5, v152
	s_waitcnt vmcnt(0)
	ds_write2st64_b64 v169, v[2:3], v[0:1] offset1:4
	ds_write2st64_b64 v169, v[6:7], v[4:5] offset0:8 offset1:12
	ds_write_b64 v103, v[12:13] offset:16384
	s_waitcnt lgkmcnt(0)
	s_barrier
	v_lshlrev_b32_e32 v160, 5, v153
	ds_read_b128 v[32:35], v162 offset:1024
	ds_read_b128 v[28:31], v162 offset:2048
	;; [unrolled: 1-line block ×12, first 2 shown]
	ds_read_b128 v[40:43], v162
	ds_read_b128 v[96:99], v160 offset:16384
	ds_read_b128 v[44:47], v160 offset:17920
	;; [unrolled: 1-line block ×5, first 2 shown]
	s_waitcnt lgkmcnt(5)
	v_add_f64 v[116:117], v[42:43], v[94:95]
	v_add_f64 v[118:119], v[40:41], v[92:93]
	s_mov_b32 s8, 0x7f800000
	v_cvt_f32_f64_e32 v118, v[118:119]
	v_cvt_f32_f64_e32 v116, v[116:117]
	v_min3_f32 v178, v118, v116, s8
	v_add_f64 v[116:117], v[34:35], v[94:95]
	v_add_f64 v[118:119], v[32:33], v[92:93]
	v_cvt_f32_f64_e32 v118, v[118:119]
	v_cvt_f32_f64_e32 v116, v[116:117]
	v_min3_f32 v179, v118, v116, s8
	v_add_f64 v[116:117], v[30:31], v[94:95]
	v_add_f64 v[118:119], v[28:29], v[92:93]
	;; [unrolled: 5-line block ×34, first 2 shown]
	v_cvt_f32_f64_e32 v118, v[118:119]
	v_cvt_f32_f64_e32 v116, v[116:117]
	v_min3_f32 v122, v118, v116, s8
	s_waitcnt lgkmcnt(3)
	v_add_f64 v[116:117], v[42:43], v[46:47]
	v_add_f64 v[118:119], v[40:41], v[44:45]
	v_cvt_f32_f64_e32 v118, v[118:119]
	v_cvt_f32_f64_e32 v116, v[116:117]
	v_min3_f32 v128, v118, v116, s8
	v_add_f64 v[116:117], v[34:35], v[46:47]
	v_add_f64 v[118:119], v[32:33], v[44:45]
	v_cvt_f32_f64_e32 v118, v[118:119]
	v_cvt_f32_f64_e32 v116, v[116:117]
	v_min3_f32 v125, v118, v116, s8
	;; [unrolled: 5-line block ×3, first 2 shown]
	v_add_f64 v[116:117], v[26:27], v[46:47]
	v_add_f64 v[118:119], v[24:25], v[44:45]
	v_cvt_f32_f64_e32 v118, v[118:119]
	v_cvt_f32_f64_e32 v116, v[116:117]
	v_add_f64 v[56:57], v[42:43], v[98:99]
	v_add_f64 v[58:59], v[40:41], v[96:97]
	v_min3_f32 v121, v118, v116, s8
	v_add_f64 v[116:117], v[22:23], v[46:47]
	v_add_f64 v[118:119], v[20:21], v[44:45]
	v_cvt_f32_f64_e32 v58, v[58:59]
	v_cvt_f32_f64_e32 v56, v[56:57]
	;; [unrolled: 1-line block ×4, first 2 shown]
	v_min3_f32 v115, v58, v56, s8
	ds_read_b128 v[56:59], v162 offset:1040
	v_add_f64 v[60:61], v[34:35], v[98:99]
	v_add_f64 v[62:63], v[32:33], v[96:97]
	v_min3_f32 v119, v118, v116, s8
	v_add_f64 v[116:117], v[18:19], v[46:47]
	v_add_f64 v[170:171], v[16:17], v[44:45]
	v_cvt_f32_f64_e32 v62, v[62:63]
	v_cvt_f32_f64_e32 v60, v[60:61]
	;; [unrolled: 1-line block ×4, first 2 shown]
	v_min3_f32 v168, v62, v60, s8
	ds_read_b128 v[60:63], v162 offset:2064
	v_add_f64 v[64:65], v[30:31], v[98:99]
	v_add_f64 v[66:67], v[28:29], v[96:97]
	;; [unrolled: 1-line block ×22, first 2 shown]
	v_min3_f32 v118, v118, v116, s8
	v_add_f64 v[116:117], v[14:15], v[46:47]
	v_add_f64 v[170:171], v[12:13], v[44:45]
	;; [unrolled: 1-line block ×4, first 2 shown]
	s_waitcnt lgkmcnt(4)
	v_add_f64 v[14:15], v[14:15], v[38:39]
	v_add_f64 v[12:13], v[12:13], v[36:37]
	;; [unrolled: 1-line block ×4, first 2 shown]
	v_cvt_f32_f64_e32 v66, v[66:67]
	v_cvt_f32_f64_e32 v64, v[64:65]
	;; [unrolled: 1-line block ×6, first 2 shown]
	s_waitcnt lgkmcnt(2)
	v_add_f64 v[10:11], v[2:3], v[6:7]
	v_add_f64 v[14:15], v[0:1], v[4:5]
	v_min3_f32 v172, v66, v64, s8
	ds_read_b128 v[64:67], v162 offset:3088
	v_cvt_f32_f64_e32 v170, v[170:171]
	v_cvt_f32_f64_e32 v116, v[116:117]
	;; [unrolled: 1-line block ×4, first 2 shown]
	v_min3_f32 v8, v8, v9, s8
	v_cvt_f32_f64_e32 v9, v[14:15]
	v_cvt_f32_f64_e32 v10, v[10:11]
	v_cvt_f32_f64_e32 v70, v[70:71]
	v_cvt_f32_f64_e32 v68, v[68:69]
	v_min3_f32 v117, v170, v116, s8
	v_min3_f32 v116, v44, v45, s8
	ds_read_b128 v[44:47], v160 offset:18192
	v_min3_f32 v224, v9, v10, v115
	s_waitcnt lgkmcnt(3)
	v_add_f64 v[10:11], v[58:59], v[6:7]
	v_add_f64 v[14:15], v[56:57], v[4:5]
	v_min3_f32 v173, v70, v68, s8
	ds_read_b128 v[68:71], v162 offset:4112
	v_cvt_f32_f64_e32 v9, v[14:15]
	v_cvt_f32_f64_e32 v10, v[10:11]
	;; [unrolled: 1-line block ×4, first 2 shown]
	v_min3_f32 v223, v9, v10, v168
	s_waitcnt lgkmcnt(3)
	v_add_f64 v[10:11], v[62:63], v[6:7]
	v_add_f64 v[14:15], v[60:61], v[4:5]
	v_min3_f32 v174, v74, v72, s8
	ds_read_b128 v[72:75], v162 offset:5136
	v_cvt_f32_f64_e32 v9, v[14:15]
	v_cvt_f32_f64_e32 v10, v[10:11]
	;; [unrolled: 1-line block ×6, first 2 shown]
	v_min3_f32 v222, v9, v10, v172
	s_waitcnt lgkmcnt(3)
	v_add_f64 v[10:11], v[66:67], v[6:7]
	v_add_f64 v[14:15], v[64:65], v[4:5]
	v_min3_f32 v175, v78, v76, s8
	ds_read_b128 v[76:79], v162 offset:6160
	v_min3_f32 v176, v82, v80, s8
	ds_read_b128 v[80:83], v162 offset:7184
	v_cvt_f32_f64_e32 v9, v[14:15]
	v_cvt_f32_f64_e32 v10, v[10:11]
	;; [unrolled: 1-line block ×4, first 2 shown]
	v_min3_f32 v221, v9, v10, v173
	s_waitcnt lgkmcnt(3)
	v_add_f64 v[10:11], v[70:71], v[6:7]
	v_add_f64 v[14:15], v[68:69], v[4:5]
	v_min3_f32 v177, v96, v97, s8
	ds_read_b128 v[96:99], v160 offset:16656
	v_cvt_f32_f64_e32 v9, v[14:15]
	v_cvt_f32_f64_e32 v10, v[10:11]
	v_min3_f32 v220, v9, v10, v174
	s_waitcnt lgkmcnt(3)
	v_add_f64 v[10:11], v[74:75], v[6:7]
	v_add_f64 v[14:15], v[72:73], v[4:5]
	v_cvt_f32_f64_e32 v9, v[14:15]
	v_cvt_f32_f64_e32 v10, v[10:11]
	v_min3_f32 v213, v9, v10, v175
	s_waitcnt lgkmcnt(2)
	v_add_f64 v[10:11], v[78:79], v[6:7]
	v_add_f64 v[14:15], v[76:77], v[4:5]
	s_waitcnt lgkmcnt(1)
	v_add_f64 v[6:7], v[82:83], v[6:7]
	v_add_f64 v[4:5], v[80:81], v[4:5]
	v_cvt_f32_f64_e32 v92, v[92:93]
	v_cvt_f32_f64_e32 v93, v[94:95]
	;; [unrolled: 1-line block ×4, first 2 shown]
	v_min3_f32 v151, v92, v93, s8
	ds_read_b128 v[92:95], v160 offset:16912
	v_min3_f32 v211, v4, v5, v177
	s_waitcnt lgkmcnt(1)
	v_add_f64 v[4:5], v[2:3], v[98:99]
	v_add_f64 v[6:7], v[0:1], v[96:97]
	v_cvt_f32_f64_e32 v6, v[6:7]
	v_cvt_f32_f64_e32 v4, v[4:5]
	v_min3_f32 v210, v6, v4, v178
	v_add_f64 v[4:5], v[58:59], v[98:99]
	v_add_f64 v[6:7], v[56:57], v[96:97]
	v_cvt_f32_f64_e32 v6, v[6:7]
	v_cvt_f32_f64_e32 v4, v[4:5]
	v_min3_f32 v209, v6, v4, v179
	;; [unrolled: 5-line block ×8, first 2 shown]
	s_waitcnt lgkmcnt(0)
	v_add_f64 v[4:5], v[2:3], v[94:95]
	v_add_f64 v[6:7], v[0:1], v[92:93]
	v_cvt_f32_f64_e32 v6, v[6:7]
	v_cvt_f32_f64_e32 v4, v[4:5]
	v_min3_f32 v202, v6, v4, v164
	v_add_f64 v[4:5], v[58:59], v[94:95]
	v_add_f64 v[6:7], v[56:57], v[92:93]
	v_cvt_f32_f64_e32 v6, v[6:7]
	v_cvt_f32_f64_e32 v4, v[4:5]
	v_min3_f32 v201, v6, v4, v159
	;; [unrolled: 5-line block ×4, first 2 shown]
	v_add_f64 v[4:5], v[70:71], v[94:95]
	v_add_f64 v[6:7], v[68:69], v[92:93]
	v_cvt_f32_f64_e32 v6, v[6:7]
	v_cvt_f32_f64_e32 v4, v[4:5]
	;; [unrolled: 1-line block ×4, first 2 shown]
	v_min3_f32 v198, v6, v4, v150
	v_add_f64 v[4:5], v[74:75], v[94:95]
	v_add_f64 v[6:7], v[72:73], v[92:93]
	v_min3_f32 v143, v88, v89, s8
	ds_read_b128 v[88:91], v160 offset:17168
	v_cvt_f32_f64_e32 v6, v[6:7]
	v_cvt_f32_f64_e32 v4, v[4:5]
	v_min3_f32 v197, v6, v4, v148
	v_add_f64 v[4:5], v[78:79], v[94:95]
	v_add_f64 v[6:7], v[76:77], v[92:93]
	v_cvt_f32_f64_e32 v6, v[6:7]
	v_cvt_f32_f64_e32 v4, v[4:5]
	v_min3_f32 v196, v6, v4, v146
	v_add_f64 v[4:5], v[82:83], v[94:95]
	v_add_f64 v[6:7], v[80:81], v[92:93]
	v_cvt_f32_f64_e32 v84, v[84:85]
	v_cvt_f32_f64_e32 v85, v[86:87]
	;; [unrolled: 1-line block ×4, first 2 shown]
	v_min3_f32 v135, v84, v85, s8
	ds_read_b128 v[84:87], v160 offset:17424
	v_min3_f32 v195, v6, v4, v143
	s_waitcnt lgkmcnt(1)
	v_add_f64 v[4:5], v[2:3], v[90:91]
	v_add_f64 v[6:7], v[0:1], v[88:89]
	v_cvt_f32_f64_e32 v6, v[6:7]
	v_cvt_f32_f64_e32 v4, v[4:5]
	v_min3_f32 v194, v6, v4, v154
	v_add_f64 v[4:5], v[58:59], v[90:91]
	v_add_f64 v[6:7], v[56:57], v[88:89]
	v_cvt_f32_f64_e32 v6, v[6:7]
	v_cvt_f32_f64_e32 v4, v[4:5]
	v_min3_f32 v193, v6, v4, v149
	;; [unrolled: 5-line block ×8, first 2 shown]
	s_waitcnt lgkmcnt(0)
	v_add_f64 v[4:5], v[2:3], v[86:87]
	v_add_f64 v[6:7], v[0:1], v[84:85]
	v_cvt_f32_f64_e32 v6, v[6:7]
	v_cvt_f32_f64_e32 v4, v[4:5]
	v_min3_f32 v186, v6, v4, v144
	v_add_f64 v[4:5], v[58:59], v[86:87]
	v_add_f64 v[6:7], v[56:57], v[84:85]
	v_cvt_f32_f64_e32 v6, v[6:7]
	v_cvt_f32_f64_e32 v4, v[4:5]
	v_min3_f32 v185, v6, v4, v141
	;; [unrolled: 5-line block ×4, first 2 shown]
	v_add_f64 v[4:5], v[70:71], v[86:87]
	v_add_f64 v[6:7], v[68:69], v[84:85]
	v_cvt_f32_f64_e32 v6, v[6:7]
	v_cvt_f32_f64_e32 v4, v[4:5]
	;; [unrolled: 1-line block ×4, first 2 shown]
	v_min3_f32 v182, v6, v4, v134
	v_add_f64 v[4:5], v[74:75], v[86:87]
	v_add_f64 v[6:7], v[72:73], v[84:85]
	v_min3_f32 v127, v52, v53, s8
	ds_read_b128 v[52:55], v160 offset:17680
	v_cvt_f32_f64_e32 v6, v[6:7]
	v_cvt_f32_f64_e32 v4, v[4:5]
	v_min3_f32 v181, v6, v4, v132
	v_add_f64 v[4:5], v[78:79], v[86:87]
	v_add_f64 v[6:7], v[76:77], v[84:85]
	v_cvt_f32_f64_e32 v6, v[6:7]
	v_cvt_f32_f64_e32 v4, v[4:5]
	v_min3_f32 v180, v6, v4, v130
	v_add_f64 v[4:5], v[82:83], v[86:87]
	v_add_f64 v[6:7], v[80:81], v[84:85]
	v_cvt_f32_f64_e32 v48, v[48:49]
	v_cvt_f32_f64_e32 v49, v[50:51]
	;; [unrolled: 1-line block ×4, first 2 shown]
	v_min3_f32 v120, v48, v49, s8
	ds_read_b128 v[48:51], v160 offset:17936
	v_min3_f32 v179, v6, v4, v127
	s_waitcnt lgkmcnt(1)
	v_add_f64 v[4:5], v[2:3], v[54:55]
	v_add_f64 v[6:7], v[0:1], v[52:53]
	v_cvt_f32_f64_e32 v6, v[6:7]
	v_cvt_f32_f64_e32 v4, v[4:5]
	v_min3_f32 v178, v6, v4, v136
	v_add_f64 v[4:5], v[58:59], v[54:55]
	v_add_f64 v[6:7], v[56:57], v[52:53]
	v_cvt_f32_f64_e32 v6, v[6:7]
	v_cvt_f32_f64_e32 v4, v[4:5]
	v_min3_f32 v177, v6, v4, v133
	v_add_f64 v[4:5], v[62:63], v[54:55]
	v_add_f64 v[6:7], v[60:61], v[52:53]
	v_cvt_f32_f64_e32 v9, v[14:15]
	v_cvt_f32_f64_e32 v10, v[10:11]
	v_cvt_f32_f64_e32 v6, v[6:7]
	v_cvt_f32_f64_e32 v4, v[4:5]
	v_min3_f32 v212, v9, v10, v176
	v_min3_f32 v176, v6, v4, v131
	v_add_f64 v[4:5], v[66:67], v[54:55]
	v_add_f64 v[6:7], v[64:65], v[52:53]
	v_cvt_f32_f64_e32 v6, v[6:7]
	v_cvt_f32_f64_e32 v4, v[4:5]
	v_min3_f32 v175, v6, v4, v129
	v_add_f64 v[4:5], v[70:71], v[54:55]
	v_add_f64 v[6:7], v[68:69], v[52:53]
	v_cvt_f32_f64_e32 v6, v[6:7]
	v_cvt_f32_f64_e32 v4, v[4:5]
	;; [unrolled: 5-line block ×4, first 2 shown]
	v_min3_f32 v172, v6, v4, v122
	v_add_f64 v[4:5], v[82:83], v[54:55]
	v_add_f64 v[6:7], v[80:81], v[52:53]
	;; [unrolled: 1-line block ×4, first 2 shown]
	v_cvt_f32_f64_e32 v6, v[6:7]
	v_cvt_f32_f64_e32 v4, v[4:5]
	;; [unrolled: 1-line block ×4, first 2 shown]
	v_min3_f32 v171, v6, v4, v120
	s_waitcnt lgkmcnt(0)
	v_add_f64 v[4:5], v[2:3], v[50:51]
	v_add_f64 v[6:7], v[0:1], v[48:49]
	;; [unrolled: 1-line block ×4, first 2 shown]
	v_min3_f32 v40, v40, v41, s8
	v_add_f64 v[34:35], v[34:35], v[38:39]
	v_add_f64 v[32:33], v[32:33], v[36:37]
	v_cvt_f32_f64_e32 v6, v[6:7]
	v_cvt_f32_f64_e32 v4, v[4:5]
	v_cvt_f32_f64_e32 v0, v[0:1]
	v_cvt_f32_f64_e32 v1, v[2:3]
	v_cvt_f32_f64_e32 v32, v[32:33]
	v_cvt_f32_f64_e32 v33, v[34:35]
	v_min3_f32 v170, v6, v4, v128
	v_add_f64 v[4:5], v[58:59], v[50:51]
	v_add_f64 v[6:7], v[56:57], v[48:49]
	v_min3_f32 v157, v0, v1, v40
	v_add_f64 v[0:1], v[58:59], v[46:47]
	v_add_f64 v[2:3], v[56:57], v[44:45]
	v_min3_f32 v32, v32, v33, s8
	v_add_f64 v[30:31], v[30:31], v[38:39]
	v_add_f64 v[28:29], v[28:29], v[36:37]
	v_cvt_f32_f64_e32 v6, v[6:7]
	v_cvt_f32_f64_e32 v4, v[4:5]
	v_cvt_f32_f64_e32 v2, v[2:3]
	v_cvt_f32_f64_e32 v0, v[0:1]
	v_cvt_f32_f64_e32 v28, v[28:29]
	v_cvt_f32_f64_e32 v29, v[30:31]
	v_min3_f32 v168, v6, v4, v125
	v_add_f64 v[4:5], v[62:63], v[50:51]
	v_add_f64 v[6:7], v[60:61], v[48:49]
	v_min3_f32 v156, v2, v0, v32
	v_add_f64 v[0:1], v[62:63], v[46:47]
	v_add_f64 v[2:3], v[60:61], v[44:45]
	;; [unrolled: 15-line block ×5, first 2 shown]
	v_min3_f32 v16, v16, v17, s8
	v_cvt_f32_f64_e32 v6, v[6:7]
	v_cvt_f32_f64_e32 v4, v[4:5]
	;; [unrolled: 1-line block ×4, first 2 shown]
	v_min3_f32 v163, v6, v4, v118
	v_add_f64 v[4:5], v[78:79], v[50:51]
	v_add_f64 v[6:7], v[76:77], v[48:49]
	v_min3_f32 v150, v2, v0, v16
	v_add_f64 v[0:1], v[78:79], v[46:47]
	v_add_f64 v[2:3], v[76:77], v[44:45]
	v_min3_f32 v12, v12, v13, s8
	v_cvt_f32_f64_e32 v6, v[6:7]
	v_cvt_f32_f64_e32 v4, v[4:5]
	;; [unrolled: 1-line block ×4, first 2 shown]
	v_min3_f32 v159, v6, v4, v117
	v_add_f64 v[4:5], v[82:83], v[50:51]
	v_add_f64 v[6:7], v[80:81], v[48:49]
	v_min3_f32 v149, v2, v0, v12
	v_add_f64 v[0:1], v[82:83], v[46:47]
	v_add_f64 v[2:3], v[80:81], v[44:45]
	v_cvt_f32_f64_e32 v6, v[6:7]
	v_cvt_f32_f64_e32 v4, v[4:5]
	;; [unrolled: 1-line block ×4, first 2 shown]
	v_min3_f32 v158, v6, v4, v116
	v_min3_f32 v148, v2, v0, v8
	s_cmp_lt_i32 s26, 9
	ds_write2st64_b64 v169, v[106:107], v[110:111] offset0:16 offset1:20
	ds_write2st64_b64 v169, v[108:109], v[112:113] offset0:24 offset1:28
	ds_write_b64 v103, v[104:105] offset:18432
	s_waitcnt lgkmcnt(0)
	s_barrier
	s_cbranch_scc1 .LBB160_51
; %bb.29:
	v_mov_b32_e32 v0, 0x2000
	v_add_u32_e32 v214, 0x4000, v103
	v_add_u32_e32 v217, 0x4800, v103
	v_lshl_add_u32 v218, v152, 5, v0
	v_mad_i64_i32 v[0:1], s[8:9], s36, v114, 0
	v_mov_b32_e32 v103, 0
	v_lshl_add_u64 v[0:1], v[0:1], 3, v[102:103]
	v_lshl_add_u64 v[0:1], s[34:35], 0, v[0:1]
	;; [unrolled: 1-line block ×3, first 2 shown]
	v_add_u32_e32 v0, v160, v152
	v_lshrrev_b32_e32 v2, 6, v0
	v_add_u32_e32 v0, 8, v2
	v_mad_i64_i32 v[0:1], s[8:9], v0, s16, 0
	v_lshl_add_u64 v[132:133], v[0:1], 3, s[30:31]
	v_add_u32_e32 v0, 12, v2
	v_mad_i64_i32 v[0:1], s[8:9], v0, s16, 0
	v_add_u32_e32 v215, 0x4000, v160
	v_add_u32_e32 v216, 0x2000, v169
	s_add_i32 s27, s26, -8
	v_add_u32_e32 v219, 0x4800, v160
	v_lshlrev_b64 v[130:131], 3, v[100:101]
	s_lshl_b64 s[10:11], s[16:17], 6
	v_lshl_add_u64 v[134:135], v[0:1], 3, s[30:31]
	s_mov_b32 s30, 0
	v_mov_b32_e32 v136, -1
	v_mov_b32_e32 v137, 0x7fefffff
	s_branch .LBB160_31
.LBB160_30:                             ;   in Loop: Header=BB160_31 Depth=1
	s_or_b64 exec, exec, s[8:9]
	v_add_f64 v[146:147], v[98:99], v[126:127]
	v_add_f64 v[228:229], v[96:97], v[124:125]
	v_cvt_f32_f64_e32 v225, v[228:229]
	v_cvt_f32_f64_e32 v146, v[146:147]
	v_min3_f32 v228, v225, v146, v224
	v_add_f64 v[146:147], v[94:95], v[126:127]
	v_add_f64 v[224:225], v[92:93], v[124:125]
	v_cvt_f32_f64_e32 v224, v[224:225]
	v_cvt_f32_f64_e32 v146, v[146:147]
	v_min3_f32 v229, v224, v146, v223
	v_add_f64 v[146:147], v[90:91], v[126:127]
	v_add_f64 v[224:225], v[88:89], v[124:125]
	v_cvt_f32_f64_e32 v223, v[224:225]
	v_cvt_f32_f64_e32 v146, v[146:147]
	v_min3_f32 v224, v223, v146, v222
	v_add_f64 v[146:147], v[82:83], v[126:127]
	v_add_f64 v[222:223], v[80:81], v[124:125]
	v_cvt_f32_f64_e32 v222, v[222:223]
	v_cvt_f32_f64_e32 v146, v[146:147]
	v_min3_f32 v225, v222, v146, v221
	v_add_f64 v[146:147], v[78:79], v[126:127]
	v_add_f64 v[222:223], v[76:77], v[124:125]
	v_cvt_f32_f64_e32 v221, v[222:223]
	v_cvt_f32_f64_e32 v146, v[146:147]
	v_min3_f32 v222, v221, v146, v220
	v_add_f64 v[146:147], v[74:75], v[126:127]
	v_add_f64 v[220:221], v[72:73], v[124:125]
	v_cvt_f32_f64_e32 v220, v[220:221]
	v_cvt_f32_f64_e32 v146, v[146:147]
	v_min3_f32 v213, v220, v146, v213
	v_add_f64 v[146:147], v[70:71], v[126:127]
	v_add_f64 v[220:221], v[68:69], v[124:125]
	;; [unrolled: 1-line block ×4, first 2 shown]
	v_cvt_f32_f64_e32 v124, v[124:125]
	v_cvt_f32_f64_e32 v125, v[126:127]
	;; [unrolled: 1-line block ×3, first 2 shown]
	v_min3_f32 v147, v124, v125, v211
	v_add_f64 v[124:125], v[98:99], v[122:123]
	v_add_f64 v[126:127], v[96:97], v[120:121]
	v_cvt_f32_f64_e32 v126, v[126:127]
	v_cvt_f32_f64_e32 v124, v[124:125]
	v_min3_f32 v210, v126, v124, v210
	v_add_f64 v[124:125], v[94:95], v[122:123]
	v_add_f64 v[126:127], v[92:93], v[120:121]
	v_cvt_f32_f64_e32 v126, v[126:127]
	v_cvt_f32_f64_e32 v124, v[124:125]
	;; [unrolled: 5-line block ×6, first 2 shown]
	v_min3_f32 v205, v126, v124, v205
	v_add_f64 v[124:125], v[70:71], v[122:123]
	v_add_f64 v[126:127], v[68:69], v[120:121]
	;; [unrolled: 1-line block ×4, first 2 shown]
	v_cvt_f32_f64_e32 v120, v[120:121]
	v_cvt_f32_f64_e32 v121, v[122:123]
	;; [unrolled: 1-line block ×3, first 2 shown]
	v_min3_f32 v125, v120, v121, v203
	v_add_f64 v[120:121], v[98:99], v[118:119]
	v_add_f64 v[122:123], v[96:97], v[116:117]
	v_cvt_f32_f64_e32 v126, v[126:127]
	v_cvt_f32_f64_e32 v122, v[122:123]
	;; [unrolled: 1-line block ×3, first 2 shown]
	v_min3_f32 v124, v126, v124, v204
	v_min3_f32 v126, v122, v120, v202
	v_add_f64 v[120:121], v[94:95], v[118:119]
	v_add_f64 v[122:123], v[92:93], v[116:117]
	v_cvt_f32_f64_e32 v122, v[122:123]
	v_cvt_f32_f64_e32 v120, v[120:121]
	v_min3_f32 v127, v122, v120, v201
	v_add_f64 v[120:121], v[90:91], v[118:119]
	v_add_f64 v[122:123], v[88:89], v[116:117]
	v_cvt_f32_f64_e32 v122, v[122:123]
	v_cvt_f32_f64_e32 v120, v[120:121]
	;; [unrolled: 5-line block ×5, first 2 shown]
	v_min3_f32 v197, v122, v120, v197
	v_add_f64 v[120:121], v[70:71], v[118:119]
	v_add_f64 v[122:123], v[68:69], v[116:117]
	;; [unrolled: 1-line block ×4, first 2 shown]
	v_cvt_f32_f64_e32 v116, v[116:117]
	v_cvt_f32_f64_e32 v117, v[118:119]
	;; [unrolled: 1-line block ×3, first 2 shown]
	v_min3_f32 v121, v116, v117, v195
	v_add_f64 v[116:117], v[98:99], v[114:115]
	v_add_f64 v[118:119], v[96:97], v[112:113]
	v_cvt_f32_f64_e32 v122, v[122:123]
	v_cvt_f32_f64_e32 v118, v[118:119]
	v_cvt_f32_f64_e32 v116, v[116:117]
	v_min3_f32 v120, v122, v120, v196
	v_min3_f32 v122, v118, v116, v194
	v_add_f64 v[116:117], v[94:95], v[114:115]
	v_add_f64 v[118:119], v[92:93], v[112:113]
	v_cvt_f32_f64_e32 v118, v[118:119]
	v_cvt_f32_f64_e32 v116, v[116:117]
	v_min3_f32 v123, v118, v116, v193
	v_add_f64 v[116:117], v[90:91], v[114:115]
	v_add_f64 v[118:119], v[88:89], v[112:113]
	v_cvt_f32_f64_e32 v118, v[118:119]
	v_cvt_f32_f64_e32 v116, v[116:117]
	v_min3_f32 v192, v118, v116, v192
	v_add_f64 v[116:117], v[82:83], v[114:115]
	v_add_f64 v[118:119], v[80:81], v[112:113]
	v_cvt_f32_f64_e32 v118, v[118:119]
	v_cvt_f32_f64_e32 v116, v[116:117]
	v_min3_f32 v191, v118, v116, v191
	v_add_f64 v[116:117], v[78:79], v[114:115]
	v_add_f64 v[118:119], v[76:77], v[112:113]
	v_cvt_f32_f64_e32 v118, v[118:119]
	v_cvt_f32_f64_e32 v116, v[116:117]
	v_min3_f32 v190, v118, v116, v190
	v_add_f64 v[116:117], v[74:75], v[114:115]
	v_add_f64 v[118:119], v[72:73], v[112:113]
	v_cvt_f32_f64_e32 v118, v[118:119]
	v_cvt_f32_f64_e32 v116, v[116:117]
	v_min3_f32 v189, v118, v116, v189
	v_add_f64 v[116:117], v[70:71], v[114:115]
	v_add_f64 v[118:119], v[68:69], v[112:113]
	v_add_f64 v[114:115], v[66:67], v[114:115]
	v_add_f64 v[112:113], v[64:65], v[112:113]
	v_cvt_f32_f64_e32 v112, v[112:113]
	v_cvt_f32_f64_e32 v113, v[114:115]
	v_min3_f32 v187, v112, v113, v187
	v_add_f64 v[112:113], v[98:99], v[110:111]
	v_add_f64 v[114:115], v[96:97], v[108:109]
	v_cvt_f32_f64_e32 v114, v[114:115]
	v_cvt_f32_f64_e32 v112, v[112:113]
	v_min3_f32 v186, v114, v112, v186
	v_add_f64 v[112:113], v[94:95], v[110:111]
	v_add_f64 v[114:115], v[92:93], v[108:109]
	v_cvt_f32_f64_e32 v114, v[114:115]
	v_cvt_f32_f64_e32 v112, v[112:113]
	v_min3_f32 v185, v114, v112, v185
	v_add_f64 v[112:113], v[90:91], v[110:111]
	v_add_f64 v[114:115], v[88:89], v[108:109]
	v_cvt_f32_f64_e32 v114, v[114:115]
	v_cvt_f32_f64_e32 v112, v[112:113]
	v_min3_f32 v184, v114, v112, v184
	v_add_f64 v[112:113], v[82:83], v[110:111]
	v_add_f64 v[114:115], v[80:81], v[108:109]
	v_cvt_f32_f64_e32 v114, v[114:115]
	v_cvt_f32_f64_e32 v112, v[112:113]
	v_min3_f32 v183, v114, v112, v183
	v_add_f64 v[112:113], v[78:79], v[110:111]
	v_add_f64 v[114:115], v[76:77], v[108:109]
	v_cvt_f32_f64_e32 v114, v[114:115]
	v_cvt_f32_f64_e32 v112, v[112:113]
	v_min3_f32 v182, v114, v112, v182
	v_add_f64 v[112:113], v[74:75], v[110:111]
	v_add_f64 v[114:115], v[72:73], v[108:109]
	v_cvt_f32_f64_e32 v114, v[114:115]
	v_cvt_f32_f64_e32 v112, v[112:113]
	v_min3_f32 v181, v114, v112, v181
	v_add_f64 v[112:113], v[70:71], v[110:111]
	v_add_f64 v[114:115], v[68:69], v[108:109]
	v_add_f64 v[110:111], v[66:67], v[110:111]
	v_add_f64 v[108:109], v[64:65], v[108:109]
	v_cvt_f32_f64_e32 v108, v[108:109]
	v_cvt_f32_f64_e32 v109, v[110:111]
	v_min3_f32 v179, v108, v109, v179
	v_add_f64 v[108:109], v[98:99], v[106:107]
	v_add_f64 v[110:111], v[96:97], v[104:105]
	v_cvt_f32_f64_e32 v110, v[110:111]
	v_cvt_f32_f64_e32 v108, v[108:109]
	;; [unrolled: 37-line block ×3, first 2 shown]
	v_min3_f32 v170, v106, v104, v170
	v_add_f64 v[104:105], v[94:95], v[102:103]
	v_add_f64 v[106:107], v[92:93], v[100:101]
	v_cvt_f32_f64_e32 v106, v[106:107]
	v_cvt_f32_f64_e32 v104, v[104:105]
	v_min3_f32 v168, v106, v104, v168
	v_add_f64 v[104:105], v[90:91], v[102:103]
	v_add_f64 v[106:107], v[88:89], v[100:101]
	v_cvt_f32_f64_e32 v106, v[106:107]
	v_cvt_f32_f64_e32 v104, v[104:105]
	v_min3_f32 v167, v106, v104, v167
	v_add_f64 v[104:105], v[82:83], v[102:103]
	v_add_f64 v[106:107], v[80:81], v[100:101]
	v_cvt_f32_f64_e32 v106, v[106:107]
	v_cvt_f32_f64_e32 v104, v[104:105]
	v_min3_f32 v193, v106, v104, v166
	v_add_f64 v[104:105], v[78:79], v[102:103]
	v_add_f64 v[106:107], v[76:77], v[100:101]
	v_cvt_f32_f64_e32 v106, v[106:107]
	v_cvt_f32_f64_e32 v104, v[104:105]
	v_min3_f32 v194, v106, v104, v164
	v_add_f64 v[104:105], v[74:75], v[102:103]
	v_add_f64 v[106:107], v[72:73], v[100:101]
	v_cvt_f32_f64_e32 v106, v[106:107]
	v_cvt_f32_f64_e32 v104, v[104:105]
	v_min3_f32 v195, v106, v104, v163
	v_add_f64 v[104:105], v[70:71], v[102:103]
	v_add_f64 v[106:107], v[68:69], v[100:101]
	;; [unrolled: 1-line block ×8, first 2 shown]
	v_cvt_f32_f64_e32 v76, v[76:77]
	v_cvt_f32_f64_e32 v77, v[78:79]
	;; [unrolled: 1-line block ×4, first 2 shown]
	v_min3_f32 v76, v76, v77, v151
	v_min3_f32 v77, v64, v65, v148
	v_add_f64 v[64:65], v[34:35], v[62:63]
	v_add_f64 v[66:67], v[32:33], v[60:61]
	v_cvt_f32_f64_e32 v66, v[66:67]
	v_cvt_f32_f64_e32 v64, v[64:65]
	v_add_f64 v[70:71], v[70:71], v[86:87]
	v_add_f64 v[68:69], v[68:69], v[84:85]
	v_min3_f32 v202, v66, v64, v228
	v_add_f64 v[64:65], v[30:31], v[62:63]
	v_add_f64 v[66:67], v[28:29], v[60:61]
	;; [unrolled: 1-line block ×4, first 2 shown]
	v_cvt_f32_f64_e32 v68, v[68:69]
	v_cvt_f32_f64_e32 v69, v[70:71]
	;; [unrolled: 1-line block ×6, first 2 shown]
	v_min3_f32 v75, v68, v69, v149
	v_min3_f32 v64, v66, v64, v229
	v_add_f64 v[66:67], v[26:27], v[62:63]
	v_add_f64 v[68:69], v[24:25], v[60:61]
	v_cvt_f32_f64_e32 v65, v[68:69]
	v_cvt_f32_f64_e32 v66, v[66:67]
	v_min3_f32 v65, v65, v66, v224
	v_add_f64 v[66:67], v[18:19], v[62:63]
	v_add_f64 v[68:69], v[16:17], v[60:61]
	v_cvt_f32_f64_e32 v68, v[68:69]
	v_cvt_f32_f64_e32 v66, v[66:67]
	;; [unrolled: 5-line block ×4, first 2 shown]
	v_min3_f32 v74, v72, v73, v150
	v_min3_f32 v68, v70, v68, v213
	v_add_f64 v[70:71], v[6:7], v[62:63]
	v_add_f64 v[72:73], v[4:5], v[60:61]
	v_add_f64 v[62:63], v[2:3], v[62:63]
	v_add_f64 v[60:61], v[0:1], v[60:61]
	v_cvt_f32_f64_e32 v100, v[100:101]
	v_cvt_f32_f64_e32 v101, v[102:103]
	v_cvt_f32_f64_e32 v60, v[60:61]
	v_cvt_f32_f64_e32 v61, v[62:63]
	v_min3_f32 v201, v100, v101, v158
	v_min3_f32 v100, v60, v61, v147
	v_add_f64 v[60:61], v[34:35], v[58:59]
	v_add_f64 v[62:63], v[32:33], v[56:57]
	v_cvt_f32_f64_e32 v62, v[62:63]
	v_cvt_f32_f64_e32 v60, v[60:61]
	v_min3_f32 v101, v62, v60, v210
	v_add_f64 v[60:61], v[30:31], v[58:59]
	v_add_f64 v[62:63], v[28:29], v[56:57]
	v_cvt_f32_f64_e32 v62, v[62:63]
	v_cvt_f32_f64_e32 v60, v[60:61]
	v_min3_f32 v102, v62, v60, v209
	v_add_f64 v[60:61], v[26:27], v[58:59]
	v_add_f64 v[62:63], v[24:25], v[56:57]
	v_cvt_f32_f64_e32 v62, v[62:63]
	v_cvt_f32_f64_e32 v60, v[60:61]
	v_min3_f32 v103, v62, v60, v208
	v_add_f64 v[60:61], v[18:19], v[58:59]
	v_add_f64 v[62:63], v[16:17], v[56:57]
	v_cvt_f32_f64_e32 v106, v[106:107]
	v_cvt_f32_f64_e32 v104, v[104:105]
	v_cvt_f32_f64_e32 v62, v[62:63]
	v_cvt_f32_f64_e32 v60, v[60:61]
	v_min3_f32 v196, v106, v104, v159
	v_min3_f32 v104, v62, v60, v207
	v_add_f64 v[60:61], v[14:15], v[58:59]
	v_add_f64 v[62:63], v[12:13], v[56:57]
	v_cvt_f32_f64_e32 v62, v[62:63]
	v_cvt_f32_f64_e32 v60, v[60:61]
	v_min3_f32 v105, v62, v60, v206
	v_add_f64 v[60:61], v[10:11], v[58:59]
	v_add_f64 v[62:63], v[8:9], v[56:57]
	v_cvt_f32_f64_e32 v62, v[62:63]
	v_cvt_f32_f64_e32 v60, v[60:61]
	v_min3_f32 v106, v62, v60, v205
	v_add_f64 v[60:61], v[6:7], v[58:59]
	v_add_f64 v[62:63], v[4:5], v[56:57]
	v_add_f64 v[58:59], v[2:3], v[58:59]
	v_add_f64 v[56:57], v[0:1], v[56:57]
	v_cvt_f32_f64_e32 v110, v[110:111]
	v_cvt_f32_f64_e32 v108, v[108:109]
	v_cvt_f32_f64_e32 v56, v[56:57]
	v_cvt_f32_f64_e32 v57, v[58:59]
	v_min3_f32 v172, v110, v108, v172
	v_min3_f32 v108, v56, v57, v125
	v_add_f64 v[56:57], v[34:35], v[54:55]
	v_add_f64 v[58:59], v[32:33], v[52:53]
	v_cvt_f32_f64_e32 v58, v[58:59]
	v_cvt_f32_f64_e32 v56, v[56:57]
	v_min3_f32 v109, v58, v56, v126
	v_add_f64 v[56:57], v[30:31], v[54:55]
	v_add_f64 v[58:59], v[28:29], v[52:53]
	v_cvt_f32_f64_e32 v58, v[58:59]
	v_cvt_f32_f64_e32 v56, v[56:57]
	v_min3_f32 v110, v58, v56, v127
	v_add_f64 v[56:57], v[26:27], v[54:55]
	v_add_f64 v[58:59], v[24:25], v[52:53]
	v_cvt_f32_f64_e32 v58, v[58:59]
	v_cvt_f32_f64_e32 v56, v[56:57]
	v_min3_f32 v111, v58, v56, v200
	v_add_f64 v[56:57], v[18:19], v[54:55]
	v_add_f64 v[58:59], v[16:17], v[52:53]
	v_cvt_f32_f64_e32 v114, v[114:115]
	v_cvt_f32_f64_e32 v112, v[112:113]
	v_cvt_f32_f64_e32 v58, v[58:59]
	v_cvt_f32_f64_e32 v56, v[56:57]
	v_min3_f32 v180, v114, v112, v180
	v_min3_f32 v112, v58, v56, v199
	v_add_f64 v[56:57], v[14:15], v[54:55]
	v_add_f64 v[58:59], v[12:13], v[52:53]
	v_cvt_f32_f64_e32 v58, v[58:59]
	v_cvt_f32_f64_e32 v56, v[56:57]
	v_min3_f32 v113, v58, v56, v198
	v_add_f64 v[56:57], v[10:11], v[54:55]
	v_add_f64 v[58:59], v[8:9], v[52:53]
	v_cvt_f32_f64_e32 v58, v[58:59]
	v_cvt_f32_f64_e32 v56, v[56:57]
	;; [unrolled: 43-line block ×3, first 2 shown]
	v_min3_f32 v122, v54, v52, v189
	v_add_f64 v[52:53], v[6:7], v[50:51]
	v_add_f64 v[54:55], v[4:5], v[48:49]
	;; [unrolled: 1-line block ×4, first 2 shown]
	v_cvt_f32_f64_e32 v62, v[62:63]
	v_cvt_f32_f64_e32 v60, v[60:61]
	;; [unrolled: 1-line block ×4, first 2 shown]
	v_min3_f32 v107, v62, v60, v124
	v_min3_f32 v124, v48, v49, v187
	v_add_f64 v[48:49], v[34:35], v[46:47]
	v_add_f64 v[50:51], v[32:33], v[44:45]
	v_cvt_f32_f64_e32 v50, v[50:51]
	v_cvt_f32_f64_e32 v48, v[48:49]
	v_min3_f32 v125, v50, v48, v186
	v_add_f64 v[48:49], v[30:31], v[46:47]
	v_add_f64 v[50:51], v[28:29], v[44:45]
	v_cvt_f32_f64_e32 v50, v[50:51]
	v_cvt_f32_f64_e32 v48, v[48:49]
	;; [unrolled: 5-line block ×3, first 2 shown]
	v_cvt_f32_f64_e32 v220, v[220:221]
	v_min3_f32 v127, v50, v48, v184
	v_add_f64 v[48:49], v[18:19], v[46:47]
	v_add_f64 v[50:51], v[16:17], v[44:45]
	v_min3_f32 v146, v220, v146, v212
	v_cvt_f32_f64_e32 v69, v[72:73]
	v_cvt_f32_f64_e32 v70, v[70:71]
	;; [unrolled: 1-line block ×4, first 2 shown]
	v_min3_f32 v69, v69, v70, v146
	v_min3_f32 v146, v50, v48, v183
	v_add_f64 v[48:49], v[14:15], v[46:47]
	v_add_f64 v[50:51], v[12:13], v[44:45]
	v_cvt_f32_f64_e32 v50, v[50:51]
	v_cvt_f32_f64_e32 v48, v[48:49]
	v_min3_f32 v147, v50, v48, v182
	v_add_f64 v[48:49], v[10:11], v[46:47]
	v_add_f64 v[50:51], v[8:9], v[44:45]
	v_cvt_f32_f64_e32 v50, v[50:51]
	v_cvt_f32_f64_e32 v48, v[48:49]
	v_min3_f32 v148, v50, v48, v181
	v_add_f64 v[48:49], v[6:7], v[46:47]
	v_add_f64 v[50:51], v[4:5], v[44:45]
	;; [unrolled: 1-line block ×4, first 2 shown]
	v_cvt_f32_f64_e32 v44, v[44:45]
	v_cvt_f32_f64_e32 v45, v[46:47]
	v_min3_f32 v150, v44, v45, v179
	v_add_f64 v[44:45], v[34:35], v[42:43]
	v_add_f64 v[46:47], v[32:33], v[40:41]
	v_cvt_f32_f64_e32 v46, v[46:47]
	v_cvt_f32_f64_e32 v44, v[44:45]
	v_add_f64 v[82:83], v[82:83], v[86:87]
	v_add_f64 v[80:81], v[80:81], v[84:85]
	v_min3_f32 v151, v46, v44, v178
	v_add_f64 v[44:45], v[30:31], v[42:43]
	v_add_f64 v[46:47], v[28:29], v[40:41]
	v_cvt_f32_f64_e32 v80, v[80:81]
	v_cvt_f32_f64_e32 v81, v[82:83]
	v_cvt_f32_f64_e32 v46, v[46:47]
	v_cvt_f32_f64_e32 v44, v[44:45]
	v_add_f64 v[90:91], v[90:91], v[86:87]
	v_add_f64 v[88:89], v[88:89], v[84:85]
	v_min3_f32 v80, v80, v81, v154
	v_min3_f32 v154, v46, v44, v177
	v_add_f64 v[44:45], v[26:27], v[42:43]
	v_add_f64 v[46:47], v[24:25], v[40:41]
	v_cvt_f32_f64_e32 v88, v[88:89]
	v_cvt_f32_f64_e32 v89, v[90:91]
	v_cvt_f32_f64_e32 v46, v[46:47]
	v_cvt_f32_f64_e32 v44, v[44:45]
	v_add_f64 v[94:95], v[94:95], v[86:87]
	v_add_f64 v[92:93], v[92:93], v[84:85]
	v_min3_f32 v88, v88, v89, v155
	;; [unrolled: 10-line block ×3, first 2 shown]
	v_min3_f32 v156, v46, v44, v175
	v_add_f64 v[44:45], v[14:15], v[42:43]
	v_add_f64 v[46:47], v[12:13], v[40:41]
	v_cvt_f32_f64_e32 v96, v[96:97]
	v_cvt_f32_f64_e32 v97, v[98:99]
	;; [unrolled: 1-line block ×4, first 2 shown]
	v_min3_f32 v96, v96, v97, v157
	v_min3_f32 v157, v46, v44, v174
	v_add_f64 v[44:45], v[10:11], v[42:43]
	v_add_f64 v[46:47], v[8:9], v[40:41]
	v_cvt_f32_f64_e32 v46, v[46:47]
	v_cvt_f32_f64_e32 v44, v[44:45]
	v_min3_f32 v158, v46, v44, v173
	v_add_f64 v[44:45], v[6:7], v[42:43]
	v_add_f64 v[46:47], v[4:5], v[40:41]
	;; [unrolled: 1-line block ×4, first 2 shown]
	v_cvt_f32_f64_e32 v40, v[40:41]
	v_cvt_f32_f64_e32 v41, v[42:43]
	v_min3_f32 v163, v40, v41, v171
	v_add_f64 v[40:41], v[34:35], v[38:39]
	v_add_f64 v[42:43], v[32:33], v[36:37]
	v_cvt_f32_f64_e32 v42, v[42:43]
	v_cvt_f32_f64_e32 v40, v[40:41]
	v_min3_f32 v164, v42, v40, v170
	v_add_f64 v[40:41], v[30:31], v[38:39]
	v_add_f64 v[42:43], v[28:29], v[36:37]
	;; [unrolled: 5-line block ×7, first 2 shown]
	v_add_f64 v[38:39], v[2:3], v[38:39]
	v_add_f64 v[36:37], v[0:1], v[36:37]
	;; [unrolled: 1-line block ×18, first 2 shown]
	v_cvt_f32_f64_e32 v54, v[54:55]
	v_cvt_f32_f64_e32 v52, v[52:53]
	;; [unrolled: 1-line block ×24, first 2 shown]
	v_min3_f32 v123, v54, v52, v188
	v_min3_f32 v149, v50, v48, v180
	;; [unrolled: 1-line block ×12, first 2 shown]
	ds_read_b128 v[36:39], v162 offset:1024
	ds_read_b128 v[32:35], v162 offset:2048
	;; [unrolled: 1-line block ×12, first 2 shown]
	ds_read_b128 v[96:99], v215
	ds_read_b128 v[48:51], v162
	ds_read_b128 v[72:75], v215 offset:1536
	ds_read_b128 v[24:27], v215 offset:1792
	;; [unrolled: 1-line block ×4, first 2 shown]
	s_waitcnt lgkmcnt(5)
	v_add_f64 v[44:45], v[38:39], v[98:99]
	v_add_f64 v[46:47], v[36:37], v[96:97]
	;; [unrolled: 1-line block ×8, first 2 shown]
	v_cvt_f32_f64_e32 v46, v[46:47]
	v_cvt_f32_f64_e32 v44, v[44:45]
	;; [unrolled: 1-line block ×10, first 2 shown]
	v_min3_f32 v183, v46, v44, v64
	v_min3_f32 v188, v54, v52, v65
	;; [unrolled: 1-line block ×4, first 2 shown]
	v_add_f64 v[64:65], v[18:19], v[98:99]
	v_add_f64 v[66:67], v[16:17], v[96:97]
	v_min3_f32 v172, v42, v40, v196
	s_waitcnt lgkmcnt(4)
	v_add_f64 v[40:41], v[50:51], v[98:99]
	v_add_f64 v[42:43], v[48:49], v[96:97]
	v_cvt_f32_f64_e32 v66, v[66:67]
	v_cvt_f32_f64_e32 v64, v[64:65]
	v_add_f64 v[70:71], v[14:15], v[98:99]
	v_add_f64 v[184:185], v[12:13], v[96:97]
	;; [unrolled: 1-line block ×4, first 2 shown]
	v_min3_f32 v191, v66, v64, v68
	v_cvt_f32_f64_e32 v68, v[184:185]
	v_cvt_f32_f64_e32 v96, v[96:97]
	;; [unrolled: 1-line block ×3, first 2 shown]
	v_add_f64 v[184:185], v[50:51], v[94:95]
	v_add_f64 v[186:187], v[48:49], v[92:93]
	v_min3_f32 v193, v96, v97, v100
	v_cvt_f32_f64_e32 v100, v[186:187]
	v_cvt_f32_f64_e32 v184, v[184:185]
	v_min3_f32 v186, v100, v184, v101
	v_add_f64 v[100:101], v[38:39], v[94:95]
	v_add_f64 v[184:185], v[36:37], v[92:93]
	v_cvt_f32_f64_e32 v184, v[184:185]
	v_cvt_f32_f64_e32 v100, v[100:101]
	v_min3_f32 v187, v184, v100, v102
	v_add_f64 v[100:101], v[34:35], v[94:95]
	v_add_f64 v[184:185], v[32:33], v[92:93]
	v_cvt_f32_f64_e32 v102, v[184:185]
	v_cvt_f32_f64_e32 v100, v[100:101]
	v_min3_f32 v184, v102, v100, v103
	v_add_f64 v[100:101], v[30:31], v[94:95]
	v_add_f64 v[102:103], v[28:29], v[92:93]
	v_cvt_f32_f64_e32 v102, v[102:103]
	v_cvt_f32_f64_e32 v100, v[100:101]
	v_min3_f32 v104, v102, v100, v104
	v_add_f64 v[100:101], v[22:23], v[94:95]
	v_add_f64 v[102:103], v[20:21], v[92:93]
	v_cvt_f32_f64_e32 v102, v[102:103]
	v_cvt_f32_f64_e32 v100, v[100:101]
	v_min3_f32 v105, v102, v100, v105
	v_add_f64 v[100:101], v[18:19], v[94:95]
	v_add_f64 v[102:103], v[16:17], v[92:93]
	v_cvt_f32_f64_e32 v102, v[102:103]
	v_cvt_f32_f64_e32 v100, v[100:101]
	v_min3_f32 v106, v102, v100, v106
	v_add_f64 v[100:101], v[14:15], v[94:95]
	v_add_f64 v[102:103], v[12:13], v[92:93]
	v_cvt_f32_f64_e32 v102, v[102:103]
	v_cvt_f32_f64_e32 v100, v[100:101]
	v_min3_f32 v107, v102, v100, v107
	v_add_f64 v[100:101], v[50:51], v[90:91]
	v_add_f64 v[102:103], v[48:49], v[88:89]
	v_cvt_f32_f64_e32 v102, v[102:103]
	v_cvt_f32_f64_e32 v100, v[100:101]
	v_min3_f32 v109, v102, v100, v109
	v_add_f64 v[100:101], v[38:39], v[90:91]
	v_add_f64 v[102:103], v[36:37], v[88:89]
	v_cvt_f32_f64_e32 v102, v[102:103]
	v_cvt_f32_f64_e32 v100, v[100:101]
	v_min3_f32 v110, v102, v100, v110
	v_add_f64 v[100:101], v[34:35], v[90:91]
	v_add_f64 v[102:103], v[32:33], v[88:89]
	v_cvt_f32_f64_e32 v102, v[102:103]
	v_cvt_f32_f64_e32 v100, v[100:101]
	v_min3_f32 v111, v102, v100, v111
	v_add_f64 v[100:101], v[30:31], v[90:91]
	v_add_f64 v[102:103], v[28:29], v[88:89]
	v_cvt_f32_f64_e32 v102, v[102:103]
	v_cvt_f32_f64_e32 v100, v[100:101]
	v_min3_f32 v112, v102, v100, v112
	v_add_f64 v[100:101], v[22:23], v[90:91]
	v_add_f64 v[102:103], v[20:21], v[88:89]
	v_cvt_f32_f64_e32 v102, v[102:103]
	v_cvt_f32_f64_e32 v100, v[100:101]
	v_min3_f32 v113, v102, v100, v113
	v_add_f64 v[100:101], v[18:19], v[90:91]
	v_add_f64 v[102:103], v[16:17], v[88:89]
	v_cvt_f32_f64_e32 v102, v[102:103]
	v_cvt_f32_f64_e32 v100, v[100:101]
	v_min3_f32 v114, v102, v100, v114
	v_add_f64 v[100:101], v[14:15], v[90:91]
	v_add_f64 v[102:103], v[12:13], v[88:89]
	v_cvt_f32_f64_e32 v102, v[102:103]
	v_cvt_f32_f64_e32 v100, v[100:101]
	v_min3_f32 v115, v102, v100, v115
	v_add_f64 v[100:101], v[50:51], v[86:87]
	v_add_f64 v[102:103], v[48:49], v[84:85]
	v_cvt_f32_f64_e32 v102, v[102:103]
	v_cvt_f32_f64_e32 v100, v[100:101]
	v_min3_f32 v117, v102, v100, v117
	v_add_f64 v[100:101], v[38:39], v[86:87]
	v_add_f64 v[102:103], v[36:37], v[84:85]
	v_cvt_f32_f64_e32 v102, v[102:103]
	v_cvt_f32_f64_e32 v100, v[100:101]
	v_min3_f32 v118, v102, v100, v118
	v_add_f64 v[100:101], v[34:35], v[86:87]
	v_add_f64 v[102:103], v[32:33], v[84:85]
	v_cvt_f32_f64_e32 v102, v[102:103]
	v_cvt_f32_f64_e32 v100, v[100:101]
	v_min3_f32 v119, v102, v100, v119
	v_add_f64 v[100:101], v[30:31], v[86:87]
	v_add_f64 v[102:103], v[28:29], v[84:85]
	v_cvt_f32_f64_e32 v102, v[102:103]
	v_cvt_f32_f64_e32 v100, v[100:101]
	v_min3_f32 v120, v102, v100, v120
	v_add_f64 v[100:101], v[22:23], v[86:87]
	v_add_f64 v[102:103], v[20:21], v[84:85]
	v_cvt_f32_f64_e32 v102, v[102:103]
	v_cvt_f32_f64_e32 v100, v[100:101]
	v_min3_f32 v121, v102, v100, v121
	v_add_f64 v[100:101], v[18:19], v[86:87]
	v_add_f64 v[102:103], v[16:17], v[84:85]
	v_cvt_f32_f64_e32 v102, v[102:103]
	v_cvt_f32_f64_e32 v100, v[100:101]
	v_min3_f32 v122, v102, v100, v122
	v_add_f64 v[100:101], v[14:15], v[86:87]
	v_add_f64 v[102:103], v[12:13], v[84:85]
	v_cvt_f32_f64_e32 v102, v[102:103]
	v_cvt_f32_f64_e32 v100, v[100:101]
	v_min3_f32 v123, v102, v100, v123
	v_add_f64 v[100:101], v[50:51], v[82:83]
	v_add_f64 v[102:103], v[48:49], v[80:81]
	v_cvt_f32_f64_e32 v102, v[102:103]
	v_cvt_f32_f64_e32 v100, v[100:101]
	v_min3_f32 v125, v102, v100, v125
	v_add_f64 v[100:101], v[38:39], v[82:83]
	v_add_f64 v[102:103], v[36:37], v[80:81]
	v_cvt_f32_f64_e32 v102, v[102:103]
	v_cvt_f32_f64_e32 v100, v[100:101]
	v_min3_f32 v126, v102, v100, v126
	v_add_f64 v[100:101], v[34:35], v[82:83]
	v_add_f64 v[102:103], v[32:33], v[80:81]
	v_cvt_f32_f64_e32 v102, v[102:103]
	v_cvt_f32_f64_e32 v100, v[100:101]
	v_min3_f32 v127, v102, v100, v127
	v_add_f64 v[100:101], v[30:31], v[82:83]
	v_add_f64 v[102:103], v[28:29], v[80:81]
	v_cvt_f32_f64_e32 v102, v[102:103]
	v_cvt_f32_f64_e32 v100, v[100:101]
	v_min3_f32 v146, v102, v100, v146
	v_add_f64 v[100:101], v[22:23], v[82:83]
	v_add_f64 v[102:103], v[20:21], v[80:81]
	v_cvt_f32_f64_e32 v102, v[102:103]
	v_cvt_f32_f64_e32 v100, v[100:101]
	v_min3_f32 v147, v102, v100, v147
	v_add_f64 v[100:101], v[18:19], v[82:83]
	v_add_f64 v[102:103], v[16:17], v[80:81]
	v_cvt_f32_f64_e32 v102, v[102:103]
	v_cvt_f32_f64_e32 v100, v[100:101]
	v_min3_f32 v148, v102, v100, v148
	v_add_f64 v[100:101], v[14:15], v[82:83]
	v_add_f64 v[102:103], v[12:13], v[80:81]
	v_cvt_f32_f64_e32 v102, v[102:103]
	v_cvt_f32_f64_e32 v100, v[100:101]
	v_min3_f32 v149, v102, v100, v149
	v_add_f64 v[100:101], v[50:51], v[78:79]
	v_add_f64 v[102:103], v[48:49], v[76:77]
	v_cvt_f32_f64_e32 v102, v[102:103]
	v_cvt_f32_f64_e32 v100, v[100:101]
	v_min3_f32 v151, v102, v100, v151
	v_add_f64 v[100:101], v[38:39], v[78:79]
	v_add_f64 v[102:103], v[36:37], v[76:77]
	v_cvt_f32_f64_e32 v102, v[102:103]
	v_cvt_f32_f64_e32 v100, v[100:101]
	v_min3_f32 v154, v102, v100, v154
	v_add_f64 v[100:101], v[34:35], v[78:79]
	v_add_f64 v[102:103], v[32:33], v[76:77]
	v_cvt_f32_f64_e32 v102, v[102:103]
	v_cvt_f32_f64_e32 v100, v[100:101]
	v_min3_f32 v155, v102, v100, v155
	v_add_f64 v[100:101], v[30:31], v[78:79]
	v_add_f64 v[102:103], v[28:29], v[76:77]
	v_cvt_f32_f64_e32 v102, v[102:103]
	v_cvt_f32_f64_e32 v100, v[100:101]
	v_min3_f32 v156, v102, v100, v156
	v_add_f64 v[100:101], v[22:23], v[78:79]
	v_add_f64 v[102:103], v[20:21], v[76:77]
	v_cvt_f32_f64_e32 v102, v[102:103]
	v_cvt_f32_f64_e32 v100, v[100:101]
	v_min3_f32 v157, v102, v100, v157
	v_add_f64 v[100:101], v[18:19], v[78:79]
	v_add_f64 v[102:103], v[16:17], v[76:77]
	v_cvt_f32_f64_e32 v102, v[102:103]
	v_cvt_f32_f64_e32 v100, v[100:101]
	v_min3_f32 v158, v102, v100, v158
	v_add_f64 v[100:101], v[14:15], v[78:79]
	v_add_f64 v[102:103], v[12:13], v[76:77]
	v_cvt_f32_f64_e32 v102, v[102:103]
	v_cvt_f32_f64_e32 v100, v[100:101]
	v_min3_f32 v159, v102, v100, v159
	s_waitcnt lgkmcnt(3)
	v_add_f64 v[100:101], v[50:51], v[74:75]
	v_add_f64 v[102:103], v[48:49], v[72:73]
	v_cvt_f32_f64_e32 v102, v[102:103]
	v_cvt_f32_f64_e32 v100, v[100:101]
	v_min3_f32 v164, v102, v100, v164
	v_add_f64 v[100:101], v[38:39], v[74:75]
	v_add_f64 v[102:103], v[36:37], v[72:73]
	v_cvt_f32_f64_e32 v102, v[102:103]
	v_cvt_f32_f64_e32 v100, v[100:101]
	v_min3_f32 v166, v102, v100, v166
	;; [unrolled: 5-line block ×4, first 2 shown]
	v_add_f64 v[100:101], v[22:23], v[74:75]
	v_add_f64 v[102:103], v[20:21], v[72:73]
	v_cvt_f32_f64_e32 v102, v[102:103]
	v_cvt_f32_f64_e32 v100, v[100:101]
	;; [unrolled: 1-line block ×4, first 2 shown]
	v_min3_f32 v228, v102, v100, v170
	v_add_f64 v[100:101], v[18:19], v[74:75]
	v_add_f64 v[102:103], v[16:17], v[72:73]
	v_min3_f32 v182, v42, v40, v202
	ds_read_b128 v[40:43], v162 offset:1040
	ds_read_b128 v[44:47], v162 offset:2064
	v_cvt_f32_f64_e32 v102, v[102:103]
	v_cvt_f32_f64_e32 v100, v[100:101]
	v_add_f64 v[94:95], v[10:11], v[94:95]
	v_add_f64 v[92:93], v[8:9], v[92:93]
	;; [unrolled: 1-line block ×10, first 2 shown]
	v_min3_f32 v229, v102, v100, v171
	v_add_f64 v[100:101], v[14:15], v[74:75]
	v_add_f64 v[102:103], v[12:13], v[72:73]
	;; [unrolled: 1-line block ×4, first 2 shown]
	s_waitcnt lgkmcnt(4)
	v_add_f64 v[14:15], v[14:15], v[26:27]
	v_add_f64 v[12:13], v[12:13], v[24:25]
	;; [unrolled: 1-line block ×4, first 2 shown]
	v_cvt_f32_f64_e32 v12, v[12:13]
	v_cvt_f32_f64_e32 v13, v[14:15]
	;; [unrolled: 1-line block ×4, first 2 shown]
	v_min3_f32 v12, v12, v13, v180
	v_min3_f32 v13, v8, v9, v181
	s_waitcnt lgkmcnt(2)
	v_add_f64 v[8:9], v[2:3], v[6:7]
	v_add_f64 v[10:11], v[0:1], v[4:5]
	ds_read_b128 v[52:55], v162 offset:3088
	ds_read_b128 v[56:59], v162 offset:4112
	v_cvt_f32_f64_e32 v10, v[10:11]
	v_cvt_f32_f64_e32 v8, v[8:9]
	v_min3_f32 v224, v10, v8, v182
	s_waitcnt lgkmcnt(3)
	v_add_f64 v[8:9], v[42:43], v[6:7]
	v_add_f64 v[10:11], v[40:41], v[4:5]
	v_cvt_f32_f64_e32 v10, v[10:11]
	v_cvt_f32_f64_e32 v8, v[8:9]
	v_min3_f32 v223, v10, v8, v183
	s_waitcnt lgkmcnt(2)
	v_add_f64 v[8:9], v[46:47], v[6:7]
	v_add_f64 v[10:11], v[44:45], v[4:5]
	ds_read_b128 v[60:63], v162 offset:5136
	ds_read_b128 v[64:67], v162 offset:6160
	v_cvt_f32_f64_e32 v10, v[10:11]
	v_cvt_f32_f64_e32 v8, v[8:9]
	;; [unrolled: 1-line block ×3, first 2 shown]
	v_min3_f32 v222, v10, v8, v188
	s_waitcnt lgkmcnt(3)
	v_add_f64 v[8:9], v[54:55], v[6:7]
	v_add_f64 v[10:11], v[52:53], v[4:5]
	v_min3_f32 v192, v68, v70, v69
	ds_read_b128 v[68:71], v162 offset:7184
	ds_read_b128 v[96:99], v215 offset:272
	v_cvt_f32_f64_e32 v10, v[10:11]
	v_cvt_f32_f64_e32 v8, v[8:9]
	v_min3_f32 v221, v10, v8, v189
	s_waitcnt lgkmcnt(4)
	v_add_f64 v[8:9], v[58:59], v[6:7]
	v_add_f64 v[10:11], v[56:57], v[4:5]
	v_cvt_f32_f64_e32 v10, v[10:11]
	v_cvt_f32_f64_e32 v8, v[8:9]
	v_min3_f32 v220, v10, v8, v190
	s_waitcnt lgkmcnt(3)
	v_add_f64 v[8:9], v[62:63], v[6:7]
	v_add_f64 v[10:11], v[60:61], v[4:5]
	;; [unrolled: 6-line block ×3, first 2 shown]
	s_waitcnt lgkmcnt(1)
	v_add_f64 v[6:7], v[70:71], v[6:7]
	v_add_f64 v[4:5], v[68:69], v[4:5]
	v_cvt_f32_f64_e32 v4, v[4:5]
	v_cvt_f32_f64_e32 v5, v[6:7]
	v_min3_f32 v211, v4, v5, v193
	s_waitcnt lgkmcnt(0)
	v_add_f64 v[4:5], v[2:3], v[98:99]
	v_add_f64 v[6:7], v[0:1], v[96:97]
	v_cvt_f32_f64_e32 v6, v[6:7]
	v_cvt_f32_f64_e32 v4, v[4:5]
	v_min3_f32 v210, v6, v4, v186
	v_add_f64 v[4:5], v[42:43], v[98:99]
	v_add_f64 v[6:7], v[40:41], v[96:97]
	v_cvt_f32_f64_e32 v6, v[6:7]
	v_cvt_f32_f64_e32 v4, v[4:5]
	v_min3_f32 v209, v6, v4, v187
	;; [unrolled: 5-line block ×4, first 2 shown]
	v_add_f64 v[4:5], v[58:59], v[98:99]
	v_add_f64 v[6:7], v[56:57], v[96:97]
	v_cvt_f32_f64_e32 v6, v[6:7]
	v_cvt_f32_f64_e32 v4, v[4:5]
	;; [unrolled: 1-line block ×4, first 2 shown]
	v_min3_f32 v206, v6, v4, v105
	v_add_f64 v[4:5], v[62:63], v[98:99]
	v_add_f64 v[6:7], v[60:61], v[96:97]
	v_min3_f32 v108, v92, v93, v108
	ds_read_b128 v[92:95], v215 offset:528
	v_cvt_f32_f64_e32 v6, v[6:7]
	v_cvt_f32_f64_e32 v4, v[4:5]
	v_min3_f32 v205, v6, v4, v106
	v_add_f64 v[4:5], v[66:67], v[98:99]
	v_add_f64 v[6:7], v[64:65], v[96:97]
	v_cvt_f32_f64_e32 v6, v[6:7]
	v_cvt_f32_f64_e32 v4, v[4:5]
	v_min3_f32 v204, v6, v4, v107
	v_add_f64 v[4:5], v[70:71], v[98:99]
	v_add_f64 v[6:7], v[68:69], v[96:97]
	v_cvt_f32_f64_e32 v88, v[88:89]
	v_cvt_f32_f64_e32 v89, v[90:91]
	;; [unrolled: 1-line block ×4, first 2 shown]
	v_min3_f32 v116, v88, v89, v116
	ds_read_b128 v[88:91], v215 offset:784
	v_min3_f32 v203, v6, v4, v108
	s_waitcnt lgkmcnt(1)
	v_add_f64 v[4:5], v[2:3], v[94:95]
	v_add_f64 v[6:7], v[0:1], v[92:93]
	v_cvt_f32_f64_e32 v6, v[6:7]
	v_cvt_f32_f64_e32 v4, v[4:5]
	v_min3_f32 v202, v6, v4, v109
	v_add_f64 v[4:5], v[42:43], v[94:95]
	v_add_f64 v[6:7], v[40:41], v[92:93]
	v_cvt_f32_f64_e32 v6, v[6:7]
	v_cvt_f32_f64_e32 v4, v[4:5]
	v_min3_f32 v201, v6, v4, v110
	v_add_f64 v[4:5], v[46:47], v[94:95]
	v_add_f64 v[6:7], v[44:45], v[92:93]
	v_cvt_f32_f64_e32 v6, v[6:7]
	v_cvt_f32_f64_e32 v4, v[4:5]
	v_min3_f32 v200, v6, v4, v111
	v_add_f64 v[4:5], v[54:55], v[94:95]
	v_add_f64 v[6:7], v[52:53], v[92:93]
	v_cvt_f32_f64_e32 v6, v[6:7]
	v_cvt_f32_f64_e32 v4, v[4:5]
	v_min3_f32 v199, v6, v4, v112
	v_add_f64 v[4:5], v[58:59], v[94:95]
	v_add_f64 v[6:7], v[56:57], v[92:93]
	v_cvt_f32_f64_e32 v6, v[6:7]
	v_cvt_f32_f64_e32 v4, v[4:5]
	v_min3_f32 v198, v6, v4, v113
	v_add_f64 v[4:5], v[62:63], v[94:95]
	v_add_f64 v[6:7], v[60:61], v[92:93]
	v_cvt_f32_f64_e32 v6, v[6:7]
	v_cvt_f32_f64_e32 v4, v[4:5]
	v_min3_f32 v197, v6, v4, v114
	v_add_f64 v[4:5], v[66:67], v[94:95]
	v_add_f64 v[6:7], v[64:65], v[92:93]
	v_cvt_f32_f64_e32 v6, v[6:7]
	v_cvt_f32_f64_e32 v4, v[4:5]
	v_min3_f32 v196, v6, v4, v115
	v_add_f64 v[4:5], v[70:71], v[94:95]
	v_add_f64 v[6:7], v[68:69], v[92:93]
	v_cvt_f32_f64_e32 v6, v[6:7]
	v_cvt_f32_f64_e32 v4, v[4:5]
	v_min3_f32 v195, v6, v4, v116
	s_waitcnt lgkmcnt(0)
	v_add_f64 v[4:5], v[2:3], v[90:91]
	v_add_f64 v[6:7], v[0:1], v[88:89]
	v_cvt_f32_f64_e32 v6, v[6:7]
	v_cvt_f32_f64_e32 v4, v[4:5]
	v_min3_f32 v194, v6, v4, v117
	v_add_f64 v[4:5], v[42:43], v[90:91]
	v_add_f64 v[6:7], v[40:41], v[88:89]
	v_cvt_f32_f64_e32 v6, v[6:7]
	v_cvt_f32_f64_e32 v4, v[4:5]
	v_min3_f32 v193, v6, v4, v118
	v_add_f64 v[4:5], v[46:47], v[90:91]
	v_add_f64 v[6:7], v[44:45], v[88:89]
	v_cvt_f32_f64_e32 v10, v[10:11]
	v_cvt_f32_f64_e32 v8, v[8:9]
	;; [unrolled: 1-line block ×4, first 2 shown]
	v_min3_f32 v212, v10, v8, v192
	v_min3_f32 v192, v6, v4, v119
	v_add_f64 v[4:5], v[54:55], v[90:91]
	v_add_f64 v[6:7], v[52:53], v[88:89]
	v_cvt_f32_f64_e32 v6, v[6:7]
	v_cvt_f32_f64_e32 v4, v[4:5]
	v_min3_f32 v191, v6, v4, v120
	v_add_f64 v[4:5], v[58:59], v[90:91]
	v_add_f64 v[6:7], v[56:57], v[88:89]
	v_cvt_f32_f64_e32 v6, v[6:7]
	v_cvt_f32_f64_e32 v4, v[4:5]
	;; [unrolled: 1-line block ×4, first 2 shown]
	v_min3_f32 v190, v6, v4, v121
	v_add_f64 v[4:5], v[62:63], v[90:91]
	v_add_f64 v[6:7], v[60:61], v[88:89]
	v_min3_f32 v124, v84, v85, v124
	ds_read_b128 v[84:87], v215 offset:1040
	v_cvt_f32_f64_e32 v6, v[6:7]
	v_cvt_f32_f64_e32 v4, v[4:5]
	v_min3_f32 v189, v6, v4, v122
	v_add_f64 v[4:5], v[66:67], v[90:91]
	v_add_f64 v[6:7], v[64:65], v[88:89]
	v_cvt_f32_f64_e32 v6, v[6:7]
	v_cvt_f32_f64_e32 v4, v[4:5]
	v_min3_f32 v188, v6, v4, v123
	v_add_f64 v[4:5], v[70:71], v[90:91]
	v_add_f64 v[6:7], v[68:69], v[88:89]
	v_cvt_f32_f64_e32 v80, v[80:81]
	v_cvt_f32_f64_e32 v81, v[82:83]
	;; [unrolled: 1-line block ×4, first 2 shown]
	v_min3_f32 v150, v80, v81, v150
	ds_read_b128 v[80:83], v215 offset:1296
	v_min3_f32 v187, v6, v4, v124
	s_waitcnt lgkmcnt(1)
	v_add_f64 v[4:5], v[2:3], v[86:87]
	v_add_f64 v[6:7], v[0:1], v[84:85]
	v_cvt_f32_f64_e32 v6, v[6:7]
	v_cvt_f32_f64_e32 v4, v[4:5]
	v_min3_f32 v186, v6, v4, v125
	v_add_f64 v[4:5], v[42:43], v[86:87]
	v_add_f64 v[6:7], v[40:41], v[84:85]
	v_cvt_f32_f64_e32 v6, v[6:7]
	v_cvt_f32_f64_e32 v4, v[4:5]
	v_min3_f32 v185, v6, v4, v126
	;; [unrolled: 5-line block ×6, first 2 shown]
	v_add_f64 v[4:5], v[66:67], v[86:87]
	v_add_f64 v[6:7], v[64:65], v[84:85]
	v_cvt_f32_f64_e32 v6, v[6:7]
	v_cvt_f32_f64_e32 v4, v[4:5]
	v_add_f64 v[18:19], v[18:19], v[26:27]
	v_add_f64 v[16:17], v[16:17], v[24:25]
	v_min3_f32 v180, v6, v4, v149
	v_add_f64 v[4:5], v[70:71], v[86:87]
	v_add_f64 v[6:7], v[68:69], v[84:85]
	v_cvt_f32_f64_e32 v16, v[16:17]
	v_cvt_f32_f64_e32 v17, v[18:19]
	v_cvt_f32_f64_e32 v6, v[6:7]
	v_cvt_f32_f64_e32 v4, v[4:5]
	v_add_f64 v[22:23], v[22:23], v[26:27]
	v_add_f64 v[20:21], v[20:21], v[24:25]
	v_min3_f32 v16, v16, v17, v179
	v_min3_f32 v179, v6, v4, v150
	s_waitcnt lgkmcnt(0)
	v_add_f64 v[4:5], v[2:3], v[82:83]
	v_add_f64 v[6:7], v[0:1], v[80:81]
	v_cvt_f32_f64_e32 v20, v[20:21]
	v_cvt_f32_f64_e32 v21, v[22:23]
	v_cvt_f32_f64_e32 v6, v[6:7]
	v_cvt_f32_f64_e32 v4, v[4:5]
	v_add_f64 v[30:31], v[30:31], v[26:27]
	v_add_f64 v[28:29], v[28:29], v[24:25]
	v_min3_f32 v20, v20, v21, v178
	v_min3_f32 v178, v6, v4, v151
	v_add_f64 v[4:5], v[42:43], v[82:83]
	v_add_f64 v[6:7], v[40:41], v[80:81]
	v_cvt_f32_f64_e32 v28, v[28:29]
	v_cvt_f32_f64_e32 v29, v[30:31]
	v_cvt_f32_f64_e32 v6, v[6:7]
	v_cvt_f32_f64_e32 v4, v[4:5]
	v_add_f64 v[34:35], v[34:35], v[26:27]
	v_add_f64 v[32:33], v[32:33], v[24:25]
	v_min3_f32 v28, v28, v29, v177
	v_min3_f32 v177, v6, v4, v154
	;; [unrolled: 10-line block ×4, first 2 shown]
	v_add_f64 v[4:5], v[58:59], v[82:83]
	v_add_f64 v[6:7], v[56:57], v[80:81]
	v_cvt_f32_f64_e32 v48, v[48:49]
	v_cvt_f32_f64_e32 v49, v[50:51]
	;; [unrolled: 1-line block ×8, first 2 shown]
	v_min3_f32 v48, v48, v49, v174
	v_min3_f32 v174, v6, v4, v157
	v_add_f64 v[4:5], v[62:63], v[82:83]
	v_add_f64 v[6:7], v[60:61], v[80:81]
	v_min3_f32 v163, v76, v77, v163
	ds_read_b128 v[76:79], v215 offset:1552
	v_cvt_f32_f64_e32 v100, v[100:101]
	v_min3_f32 v101, v72, v73, v173
	ds_read_b128 v[72:75], v215 offset:1808
	v_cvt_f32_f64_e32 v6, v[6:7]
	v_cvt_f32_f64_e32 v4, v[4:5]
	v_min3_f32 v173, v6, v4, v158
	v_add_f64 v[4:5], v[66:67], v[82:83]
	v_add_f64 v[6:7], v[64:65], v[80:81]
	v_cvt_f32_f64_e32 v102, v[102:103]
	v_cvt_f32_f64_e32 v6, v[6:7]
	;; [unrolled: 1-line block ×3, first 2 shown]
	v_min3_f32 v100, v102, v100, v172
	v_min3_f32 v172, v6, v4, v159
	v_add_f64 v[4:5], v[70:71], v[82:83]
	v_add_f64 v[6:7], v[68:69], v[80:81]
	v_cvt_f32_f64_e32 v6, v[6:7]
	v_cvt_f32_f64_e32 v4, v[4:5]
	v_min3_f32 v171, v6, v4, v163
	s_waitcnt lgkmcnt(1)
	v_add_f64 v[4:5], v[2:3], v[78:79]
	v_add_f64 v[6:7], v[0:1], v[76:77]
	s_waitcnt lgkmcnt(0)
	v_add_f64 v[2:3], v[2:3], v[74:75]
	v_add_f64 v[0:1], v[0:1], v[72:73]
	v_cvt_f32_f64_e32 v6, v[6:7]
	v_cvt_f32_f64_e32 v4, v[4:5]
	v_cvt_f32_f64_e32 v0, v[0:1]
	v_cvt_f32_f64_e32 v1, v[2:3]
	v_min3_f32 v170, v6, v4, v164
	v_add_f64 v[4:5], v[42:43], v[78:79]
	v_add_f64 v[6:7], v[40:41], v[76:77]
	v_min3_f32 v157, v0, v1, v48
	v_add_f64 v[0:1], v[42:43], v[74:75]
	v_add_f64 v[2:3], v[40:41], v[72:73]
	v_cvt_f32_f64_e32 v6, v[6:7]
	v_cvt_f32_f64_e32 v4, v[4:5]
	v_cvt_f32_f64_e32 v2, v[2:3]
	v_cvt_f32_f64_e32 v0, v[0:1]
	v_min3_f32 v168, v6, v4, v166
	v_add_f64 v[4:5], v[46:47], v[78:79]
	v_add_f64 v[6:7], v[44:45], v[76:77]
	v_min3_f32 v156, v2, v0, v36
	;; [unrolled: 10-line block ×7, first 2 shown]
	v_add_f64 v[0:1], v[70:71], v[74:75]
	v_add_f64 v[2:3], v[68:69], v[72:73]
	v_cvt_f32_f64_e32 v6, v[6:7]
	v_cvt_f32_f64_e32 v4, v[4:5]
	v_cvt_f32_f64_e32 v2, v[2:3]
	v_cvt_f32_f64_e32 v0, v[0:1]
	s_add_i32 s30, s30, 8
	v_min3_f32 v158, v6, v4, v101
	v_min3_f32 v148, v2, v0, v13
	v_lshl_add_u64 v[128:129], v[128:129], 0, 64
	v_lshl_add_u64 v[132:133], v[132:133], 0, s[10:11]
	s_cmp_ge_i32 s30, s27
	v_lshl_add_u64 v[134:135], v[134:135], 0, s[10:11]
	s_waitcnt vmcnt(0)
	ds_write2st64_b64 v216, v[138:139], v[140:141] offset1:4
	ds_write2st64_b64 v216, v[142:143], v[144:145] offset0:8 offset1:12
	ds_write_b64 v217, v[226:227]
	s_waitcnt lgkmcnt(0)
	s_barrier
	s_cbranch_scc1 .LBB160_51
.LBB160_31:                             ; =>This Inner Loop Header: Depth=1
	v_add_u32_e32 v146, s30, v161
	v_add_u32_e32 v0, 8, v146
	v_cmp_le_i32_e64 s[8:9], s26, v0
	s_nor_b64 s[34:35], vcc, s[8:9]
	v_lshl_add_u64 v[0:1], v[132:133], 0, v[130:131]
	v_mov_b64_e32 v[138:139], v[136:137]
	s_and_saveexec_b64 s[16:17], s[34:35]
	s_cbranch_execz .LBB160_33
; %bb.32:                               ;   in Loop: Header=BB160_31 Depth=1
	global_load_dwordx2 v[138:139], v[0:1], off
.LBB160_33:                             ;   in Loop: Header=BB160_31 Depth=1
	s_or_b64 exec, exec, s[16:17]
	s_nor_b64 s[34:35], s[12:13], s[8:9]
	v_mov_b64_e32 v[140:141], v[136:137]
	s_and_saveexec_b64 s[16:17], s[34:35]
	s_cbranch_execz .LBB160_35
; %bb.34:                               ;   in Loop: Header=BB160_31 Depth=1
	global_load_dwordx2 v[140:141], v[0:1], off offset:512
.LBB160_35:                             ;   in Loop: Header=BB160_31 Depth=1
	s_or_b64 exec, exec, s[16:17]
	s_nor_b64 s[34:35], s[4:5], s[8:9]
	v_mov_b64_e32 v[142:143], v[136:137]
	s_and_saveexec_b64 s[16:17], s[34:35]
	s_cbranch_execz .LBB160_37
; %bb.36:                               ;   in Loop: Header=BB160_31 Depth=1
	global_load_dwordx2 v[142:143], v[0:1], off offset:1024
.LBB160_37:                             ;   in Loop: Header=BB160_31 Depth=1
	s_or_b64 exec, exec, s[16:17]
	s_nor_b64 s[16:17], s[6:7], s[8:9]
	v_mov_b64_e32 v[144:145], v[136:137]
	s_and_saveexec_b64 s[8:9], s[16:17]
	s_cbranch_execz .LBB160_39
; %bb.38:                               ;   in Loop: Header=BB160_31 Depth=1
	global_load_dwordx2 v[144:145], v[0:1], off offset:1536
.LBB160_39:                             ;   in Loop: Header=BB160_31 Depth=1
	s_or_b64 exec, exec, s[8:9]
	v_add_u32_e32 v225, s30, v165
	v_add_u32_e32 v0, 8, v225
	v_cmp_gt_i32_e64 s[8:9], s26, v0
	s_and_b64 s[16:17], s[8:9], s[14:15]
	v_mov_b64_e32 v[226:227], v[136:137]
	s_and_saveexec_b64 s[8:9], s[16:17]
	s_cbranch_execz .LBB160_41
; %bb.40:                               ;   in Loop: Header=BB160_31 Depth=1
	global_load_dwordx2 v[226:227], v[128:129], off
.LBB160_41:                             ;   in Loop: Header=BB160_31 Depth=1
	s_or_b64 exec, exec, s[8:9]
	ds_read_b128 v[124:127], v219
	ds_read_b128 v[60:63], v219 offset:16
	ds_read_b128 v[96:99], v218
	ds_read_b128 v[32:35], v218 offset:16
	ds_read_b128 v[92:95], v218 offset:1024
	;; [unrolled: 1-line block ×29, first 2 shown]
	s_waitcnt vmcnt(0)
	ds_write2st64_b64 v169, v[138:139], v[140:141] offset1:4
	ds_write2st64_b64 v169, v[142:143], v[144:145] offset0:8 offset1:12
	ds_write_b64 v214, v[226:227]
	v_add_u32_e32 v138, 12, v146
	v_cmp_le_i32_e64 s[8:9], s26, v138
	s_nor_b64 s[34:35], vcc, s[8:9]
	v_lshl_add_u64 v[146:147], v[134:135], 0, v[130:131]
	v_mov_b64_e32 v[138:139], v[136:137]
	s_waitcnt lgkmcnt(0)
	s_barrier
	s_and_saveexec_b64 s[16:17], s[34:35]
	s_cbranch_execz .LBB160_43
; %bb.42:                               ;   in Loop: Header=BB160_31 Depth=1
	global_load_dwordx2 v[138:139], v[146:147], off
.LBB160_43:                             ;   in Loop: Header=BB160_31 Depth=1
	s_or_b64 exec, exec, s[16:17]
	s_nor_b64 s[34:35], s[12:13], s[8:9]
	v_mov_b64_e32 v[140:141], v[136:137]
	s_and_saveexec_b64 s[16:17], s[34:35]
	s_cbranch_execz .LBB160_45
; %bb.44:                               ;   in Loop: Header=BB160_31 Depth=1
	global_load_dwordx2 v[140:141], v[146:147], off offset:512
.LBB160_45:                             ;   in Loop: Header=BB160_31 Depth=1
	s_or_b64 exec, exec, s[16:17]
	s_nor_b64 s[34:35], s[4:5], s[8:9]
	v_mov_b64_e32 v[142:143], v[136:137]
	s_and_saveexec_b64 s[16:17], s[34:35]
	s_cbranch_execz .LBB160_47
; %bb.46:                               ;   in Loop: Header=BB160_31 Depth=1
	global_load_dwordx2 v[142:143], v[146:147], off offset:1024
.LBB160_47:                             ;   in Loop: Header=BB160_31 Depth=1
	;; [unrolled: 8-line block ×3, first 2 shown]
	s_or_b64 exec, exec, s[8:9]
	v_add_u32_e32 v146, 12, v225
	v_cmp_gt_i32_e64 s[8:9], s26, v146
	s_and_b64 s[16:17], s[8:9], s[14:15]
	v_mov_b64_e32 v[226:227], v[136:137]
	s_and_saveexec_b64 s[8:9], s[16:17]
	s_cbranch_execz .LBB160_30
; %bb.50:                               ;   in Loop: Header=BB160_31 Depth=1
	global_load_dwordx2 v[226:227], v[128:129], off offset:32
	s_branch .LBB160_30
.LBB160_51:
	s_load_dwordx2 s[4:5], s[0:1], 0x78
	s_load_dword s31, s[0:1], 0x58
	s_load_dword s30, s[0:1], 0x70
	ds_read_b128 v[68:71], v162 offset:8192
	ds_read_b128 v[64:67], v162 offset:8208
	;; [unrolled: 1-line block ×32, first 2 shown]
	v_add_u32_e32 v128, s2, v152
	s_waitcnt lgkmcnt(0)
	s_mul_i32 s1, s5, s3
	s_mul_hi_u32 s5, s4, s3
	s_mul_i32 s0, s4, s3
	s_add_i32 s1, s5, s1
	s_lshl_b64 s[0:1], s[0:1], 3
	s_add_u32 s26, s18, s0
	v_add_u32_e32 v152, s33, v153
	s_addc_u32 s27, s19, s1
	v_mad_i64_i32 v[130:131], s[0:1], v152, s31, 0
	v_lshl_add_u64 v[146:147], v[130:131], 3, s[28:29]
	v_mad_i64_i32 v[130:131], s[0:1], v152, s30, 0
	v_cmp_gt_i32_e64 s[2:3], s24, v128
	v_cmp_gt_i32_e64 s[18:19], s25, v152
	v_lshl_add_u64 v[144:145], v[130:131], 3, s[26:27]
	v_cndmask_b32_e64 v130, 0, 1, s[20:21]
	v_ashrrev_i32_e32 v129, 31, v128
	s_and_b64 s[6:7], s[2:3], s[18:19]
	v_cmp_ne_u32_e64 s[0:1], 1, v130
	s_and_saveexec_b64 s[4:5], s[6:7]
	s_cbranch_execz .LBB160_56
; %bb.52:
	s_and_b64 vcc, exec, s[0:1]
	s_cbranch_vccnz .LBB160_54
; %bb.53:
	v_lshl_add_u64 v[130:131], v[128:129], 3, v[146:147]
	global_load_dwordx2 v[130:131], v[130:131], off
	s_waitcnt vmcnt(0)
	v_mul_f64 v[130:131], s[22:23], v[130:131]
	v_cvt_f32_f64_e32 v130, v[130:131]
	s_branch .LBB160_55
.LBB160_54:
	v_mov_b32_e32 v130, 0
.LBB160_55:
	v_add_f64 v[132:133], v[70:71], v[126:127]
	v_add_f64 v[134:135], v[68:69], v[124:125]
	v_cvt_f32_f64_e32 v131, v[134:135]
	v_cvt_f32_f64_e32 v132, v[132:133]
	v_min3_f32 v131, v131, v132, v224
	v_add_f64 v[132:133], v[66:67], v[122:123]
	v_add_f64 v[134:135], v[64:65], v[120:121]
	v_cvt_f32_f64_e32 v134, v[134:135]
	v_cvt_f32_f64_e32 v132, v[132:133]
	v_min_f32_e32 v132, v134, v132
	v_min3_f32 v130, v130, v132, v131
	v_cvt_f64_f32_e32 v[130:131], v130
	v_lshl_add_u64 v[132:133], v[128:129], 3, v[144:145]
	global_store_dwordx2 v[132:133], v[130:131], off
.LBB160_56:
	s_or_b64 exec, exec, s[4:5]
	v_add_u32_e32 v130, 32, v128
	v_cmp_gt_i32_e64 s[4:5], s24, v130
	v_ashrrev_i32_e32 v131, 31, v130
	s_and_b64 s[8:9], s[4:5], s[18:19]
	s_and_saveexec_b64 s[6:7], s[8:9]
	s_cbranch_execz .LBB160_61
; %bb.57:
	s_and_b64 vcc, exec, s[0:1]
	s_cbranch_vccnz .LBB160_59
; %bb.58:
	v_lshl_add_u64 v[132:133], v[130:131], 3, v[146:147]
	global_load_dwordx2 v[132:133], v[132:133], off
	s_waitcnt vmcnt(0)
	v_mul_f64 v[132:133], s[22:23], v[132:133]
	v_cvt_f32_f64_e32 v132, v[132:133]
	s_branch .LBB160_60
.LBB160_59:
	v_mov_b32_e32 v132, 0
.LBB160_60:
	v_add_f64 v[134:135], v[62:63], v[126:127]
	v_add_f64 v[136:137], v[60:61], v[124:125]
	v_cvt_f32_f64_e32 v133, v[136:137]
	v_cvt_f32_f64_e32 v134, v[134:135]
	v_min3_f32 v133, v133, v134, v223
	v_add_f64 v[134:135], v[58:59], v[122:123]
	v_add_f64 v[136:137], v[56:57], v[120:121]
	v_cvt_f32_f64_e32 v136, v[136:137]
	v_cvt_f32_f64_e32 v134, v[134:135]
	v_min_f32_e32 v134, v136, v134
	v_min3_f32 v132, v132, v134, v133
	v_cvt_f64_f32_e32 v[132:133], v132
	v_lshl_add_u64 v[134:135], v[130:131], 3, v[144:145]
	global_store_dwordx2 v[134:135], v[132:133], off
.LBB160_61:
	s_or_b64 exec, exec, s[6:7]
	v_add_u32_e32 v132, 64, v128
	v_cmp_gt_i32_e64 s[6:7], s24, v132
	v_ashrrev_i32_e32 v133, 31, v132
	s_and_b64 s[10:11], s[6:7], s[18:19]
	;; [unrolled: 35-line block ×7, first 2 shown]
	s_and_saveexec_b64 s[18:19], s[20:21]
	s_cbranch_execz .LBB160_91
; %bb.87:
	s_and_b64 vcc, exec, s[0:1]
	s_cbranch_vccnz .LBB160_89
; %bb.88:
	v_lshl_add_u64 v[146:147], v[142:143], 3, v[146:147]
	global_load_dwordx2 v[146:147], v[146:147], off
	s_waitcnt vmcnt(0)
	v_mul_f64 v[146:147], s[22:23], v[146:147]
	v_cvt_f32_f64_e32 v146, v[146:147]
	s_branch .LBB160_90
.LBB160_89:
	v_mov_b32_e32 v146, 0
.LBB160_90:
	v_add_f64 v[126:127], v[6:7], v[126:127]
	v_add_f64 v[124:125], v[4:5], v[124:125]
	;; [unrolled: 1-line block ×4, first 2 shown]
	v_cvt_f32_f64_e32 v124, v[124:125]
	v_cvt_f32_f64_e32 v125, v[126:127]
	;; [unrolled: 1-line block ×4, first 2 shown]
	v_min3_f32 v124, v124, v125, v211
	v_min_f32_e32 v120, v120, v121
	v_min3_f32 v120, v146, v120, v124
	v_cvt_f64_f32_e32 v[120:121], v120
	v_lshl_add_u64 v[122:123], v[142:143], 3, v[144:145]
	global_store_dwordx2 v[122:123], v[120:121], off
.LBB160_91:
	s_or_b64 exec, exec, s[18:19]
	v_add_u32_e32 v124, 8, v152
	v_mad_i64_i32 v[120:121], s[20:21], v124, s31, 0
	v_cmp_gt_i32_e64 s[18:19], s25, v124
	v_lshl_add_u64 v[122:123], v[120:121], 3, s[28:29]
	v_mad_i64_i32 v[120:121], s[20:21], v124, s30, 0
	v_lshl_add_u64 v[120:121], v[120:121], 3, s[26:27]
	s_and_b64 s[34:35], s[2:3], s[18:19]
	s_and_saveexec_b64 s[20:21], s[34:35]
	s_cbranch_execnz .LBB160_99
; %bb.92:
	s_or_b64 exec, exec, s[20:21]
	s_and_b64 s[34:35], s[4:5], s[18:19]
	s_and_saveexec_b64 s[20:21], s[34:35]
	s_cbranch_execnz .LBB160_103
.LBB160_93:
	s_or_b64 exec, exec, s[20:21]
	s_and_b64 s[34:35], s[6:7], s[18:19]
	s_and_saveexec_b64 s[20:21], s[34:35]
	s_cbranch_execnz .LBB160_107
.LBB160_94:
	s_or_b64 exec, exec, s[20:21]
	s_and_b64 s[34:35], s[8:9], s[18:19]
	s_and_saveexec_b64 s[20:21], s[34:35]
	s_cbranch_execnz .LBB160_111
.LBB160_95:
	s_or_b64 exec, exec, s[20:21]
	s_and_b64 s[34:35], s[10:11], s[18:19]
	s_and_saveexec_b64 s[20:21], s[34:35]
	s_cbranch_execnz .LBB160_115
.LBB160_96:
	s_or_b64 exec, exec, s[20:21]
	s_and_b64 s[34:35], s[12:13], s[18:19]
	s_and_saveexec_b64 s[20:21], s[34:35]
	s_cbranch_execnz .LBB160_119
.LBB160_97:
	s_or_b64 exec, exec, s[20:21]
	s_and_b64 s[34:35], s[14:15], s[18:19]
	s_and_saveexec_b64 s[20:21], s[34:35]
	s_cbranch_execnz .LBB160_123
.LBB160_98:
	s_or_b64 exec, exec, s[20:21]
	s_and_b64 s[20:21], s[16:17], s[18:19]
	s_and_saveexec_b64 s[18:19], s[20:21]
	s_cbranch_execnz .LBB160_127
	s_branch .LBB160_131
.LBB160_99:
	s_and_b64 vcc, exec, s[0:1]
	s_cbranch_vccnz .LBB160_101
; %bb.100:
	v_lshl_add_u64 v[124:125], v[128:129], 3, v[122:123]
	global_load_dwordx2 v[124:125], v[124:125], off
	s_waitcnt vmcnt(0)
	v_mul_f64 v[124:125], s[22:23], v[124:125]
	v_cvt_f32_f64_e32 v124, v[124:125]
	s_branch .LBB160_102
.LBB160_101:
	v_mov_b32_e32 v124, 0
.LBB160_102:
	v_add_f64 v[126:127], v[70:71], v[118:119]
	v_add_f64 v[144:145], v[68:69], v[116:117]
	v_cvt_f32_f64_e32 v125, v[144:145]
	v_cvt_f32_f64_e32 v126, v[126:127]
	v_min3_f32 v125, v125, v126, v210
	v_add_f64 v[126:127], v[66:67], v[114:115]
	v_add_f64 v[144:145], v[64:65], v[112:113]
	v_cvt_f32_f64_e32 v144, v[144:145]
	v_cvt_f32_f64_e32 v126, v[126:127]
	v_min_f32_e32 v126, v144, v126
	v_min3_f32 v124, v124, v126, v125
	v_cvt_f64_f32_e32 v[124:125], v124
	v_lshl_add_u64 v[126:127], v[128:129], 3, v[120:121]
	global_store_dwordx2 v[126:127], v[124:125], off
	s_or_b64 exec, exec, s[20:21]
	s_and_b64 s[34:35], s[4:5], s[18:19]
	s_and_saveexec_b64 s[20:21], s[34:35]
	s_cbranch_execz .LBB160_93
.LBB160_103:
	s_and_b64 vcc, exec, s[0:1]
	s_cbranch_vccnz .LBB160_105
; %bb.104:
	v_lshl_add_u64 v[124:125], v[130:131], 3, v[122:123]
	global_load_dwordx2 v[124:125], v[124:125], off
	s_waitcnt vmcnt(0)
	v_mul_f64 v[124:125], s[22:23], v[124:125]
	v_cvt_f32_f64_e32 v124, v[124:125]
	s_branch .LBB160_106
.LBB160_105:
	v_mov_b32_e32 v124, 0
.LBB160_106:
	v_add_f64 v[126:127], v[62:63], v[118:119]
	v_add_f64 v[144:145], v[60:61], v[116:117]
	v_cvt_f32_f64_e32 v125, v[144:145]
	v_cvt_f32_f64_e32 v126, v[126:127]
	v_min3_f32 v125, v125, v126, v209
	v_add_f64 v[126:127], v[58:59], v[114:115]
	v_add_f64 v[144:145], v[56:57], v[112:113]
	v_cvt_f32_f64_e32 v144, v[144:145]
	v_cvt_f32_f64_e32 v126, v[126:127]
	v_min_f32_e32 v126, v144, v126
	v_min3_f32 v124, v124, v126, v125
	v_cvt_f64_f32_e32 v[124:125], v124
	v_lshl_add_u64 v[126:127], v[130:131], 3, v[120:121]
	global_store_dwordx2 v[126:127], v[124:125], off
	s_or_b64 exec, exec, s[20:21]
	s_and_b64 s[34:35], s[6:7], s[18:19]
	s_and_saveexec_b64 s[20:21], s[34:35]
	s_cbranch_execz .LBB160_94
.LBB160_107:
	s_and_b64 vcc, exec, s[0:1]
	s_cbranch_vccnz .LBB160_109
; %bb.108:
	v_lshl_add_u64 v[124:125], v[132:133], 3, v[122:123]
	global_load_dwordx2 v[124:125], v[124:125], off
	s_waitcnt vmcnt(0)
	v_mul_f64 v[124:125], s[22:23], v[124:125]
	v_cvt_f32_f64_e32 v124, v[124:125]
	s_branch .LBB160_110
.LBB160_109:
	v_mov_b32_e32 v124, 0
.LBB160_110:
	v_add_f64 v[126:127], v[54:55], v[118:119]
	v_add_f64 v[144:145], v[52:53], v[116:117]
	v_cvt_f32_f64_e32 v125, v[144:145]
	v_cvt_f32_f64_e32 v126, v[126:127]
	v_min3_f32 v125, v125, v126, v208
	v_add_f64 v[126:127], v[50:51], v[114:115]
	v_add_f64 v[144:145], v[48:49], v[112:113]
	v_cvt_f32_f64_e32 v144, v[144:145]
	v_cvt_f32_f64_e32 v126, v[126:127]
	v_min_f32_e32 v126, v144, v126
	v_min3_f32 v124, v124, v126, v125
	v_cvt_f64_f32_e32 v[124:125], v124
	v_lshl_add_u64 v[126:127], v[132:133], 3, v[120:121]
	global_store_dwordx2 v[126:127], v[124:125], off
	s_or_b64 exec, exec, s[20:21]
	s_and_b64 s[34:35], s[8:9], s[18:19]
	s_and_saveexec_b64 s[20:21], s[34:35]
	s_cbranch_execz .LBB160_95
.LBB160_111:
	s_and_b64 vcc, exec, s[0:1]
	s_cbranch_vccnz .LBB160_113
; %bb.112:
	v_lshl_add_u64 v[124:125], v[134:135], 3, v[122:123]
	global_load_dwordx2 v[124:125], v[124:125], off
	s_waitcnt vmcnt(0)
	v_mul_f64 v[124:125], s[22:23], v[124:125]
	v_cvt_f32_f64_e32 v124, v[124:125]
	s_branch .LBB160_114
.LBB160_113:
	v_mov_b32_e32 v124, 0
.LBB160_114:
	v_add_f64 v[126:127], v[46:47], v[118:119]
	v_add_f64 v[144:145], v[44:45], v[116:117]
	v_cvt_f32_f64_e32 v125, v[144:145]
	v_cvt_f32_f64_e32 v126, v[126:127]
	v_min3_f32 v125, v125, v126, v207
	v_add_f64 v[126:127], v[42:43], v[114:115]
	v_add_f64 v[144:145], v[40:41], v[112:113]
	v_cvt_f32_f64_e32 v144, v[144:145]
	v_cvt_f32_f64_e32 v126, v[126:127]
	v_min_f32_e32 v126, v144, v126
	v_min3_f32 v124, v124, v126, v125
	v_cvt_f64_f32_e32 v[124:125], v124
	v_lshl_add_u64 v[126:127], v[134:135], 3, v[120:121]
	global_store_dwordx2 v[126:127], v[124:125], off
	s_or_b64 exec, exec, s[20:21]
	s_and_b64 s[34:35], s[10:11], s[18:19]
	s_and_saveexec_b64 s[20:21], s[34:35]
	s_cbranch_execz .LBB160_96
.LBB160_115:
	s_and_b64 vcc, exec, s[0:1]
	s_cbranch_vccnz .LBB160_117
; %bb.116:
	v_lshl_add_u64 v[124:125], v[136:137], 3, v[122:123]
	global_load_dwordx2 v[124:125], v[124:125], off
	s_waitcnt vmcnt(0)
	v_mul_f64 v[124:125], s[22:23], v[124:125]
	v_cvt_f32_f64_e32 v124, v[124:125]
	s_branch .LBB160_118
.LBB160_117:
	v_mov_b32_e32 v124, 0
.LBB160_118:
	v_add_f64 v[126:127], v[38:39], v[118:119]
	v_add_f64 v[144:145], v[36:37], v[116:117]
	v_cvt_f32_f64_e32 v125, v[144:145]
	v_cvt_f32_f64_e32 v126, v[126:127]
	v_min3_f32 v125, v125, v126, v206
	v_add_f64 v[126:127], v[34:35], v[114:115]
	v_add_f64 v[144:145], v[32:33], v[112:113]
	v_cvt_f32_f64_e32 v144, v[144:145]
	v_cvt_f32_f64_e32 v126, v[126:127]
	v_min_f32_e32 v126, v144, v126
	v_min3_f32 v124, v124, v126, v125
	v_cvt_f64_f32_e32 v[124:125], v124
	v_lshl_add_u64 v[126:127], v[136:137], 3, v[120:121]
	global_store_dwordx2 v[126:127], v[124:125], off
	s_or_b64 exec, exec, s[20:21]
	s_and_b64 s[34:35], s[12:13], s[18:19]
	s_and_saveexec_b64 s[20:21], s[34:35]
	s_cbranch_execz .LBB160_97
.LBB160_119:
	s_and_b64 vcc, exec, s[0:1]
	s_cbranch_vccnz .LBB160_121
; %bb.120:
	v_lshl_add_u64 v[124:125], v[138:139], 3, v[122:123]
	global_load_dwordx2 v[124:125], v[124:125], off
	s_waitcnt vmcnt(0)
	v_mul_f64 v[124:125], s[22:23], v[124:125]
	v_cvt_f32_f64_e32 v124, v[124:125]
	s_branch .LBB160_122
.LBB160_121:
	v_mov_b32_e32 v124, 0
.LBB160_122:
	v_add_f64 v[126:127], v[30:31], v[118:119]
	v_add_f64 v[144:145], v[28:29], v[116:117]
	v_cvt_f32_f64_e32 v125, v[144:145]
	v_cvt_f32_f64_e32 v126, v[126:127]
	v_min3_f32 v125, v125, v126, v205
	v_add_f64 v[126:127], v[26:27], v[114:115]
	v_add_f64 v[144:145], v[24:25], v[112:113]
	v_cvt_f32_f64_e32 v144, v[144:145]
	v_cvt_f32_f64_e32 v126, v[126:127]
	v_min_f32_e32 v126, v144, v126
	v_min3_f32 v124, v124, v126, v125
	v_cvt_f64_f32_e32 v[124:125], v124
	v_lshl_add_u64 v[126:127], v[138:139], 3, v[120:121]
	global_store_dwordx2 v[126:127], v[124:125], off
	s_or_b64 exec, exec, s[20:21]
	s_and_b64 s[34:35], s[14:15], s[18:19]
	s_and_saveexec_b64 s[20:21], s[34:35]
	s_cbranch_execz .LBB160_98
.LBB160_123:
	s_and_b64 vcc, exec, s[0:1]
	s_cbranch_vccnz .LBB160_125
; %bb.124:
	v_lshl_add_u64 v[124:125], v[140:141], 3, v[122:123]
	global_load_dwordx2 v[124:125], v[124:125], off
	s_waitcnt vmcnt(0)
	v_mul_f64 v[124:125], s[22:23], v[124:125]
	v_cvt_f32_f64_e32 v124, v[124:125]
	s_branch .LBB160_126
.LBB160_125:
	v_mov_b32_e32 v124, 0
.LBB160_126:
	v_add_f64 v[126:127], v[22:23], v[118:119]
	v_add_f64 v[144:145], v[20:21], v[116:117]
	v_cvt_f32_f64_e32 v125, v[144:145]
	v_cvt_f32_f64_e32 v126, v[126:127]
	v_min3_f32 v125, v125, v126, v204
	v_add_f64 v[126:127], v[18:19], v[114:115]
	v_add_f64 v[144:145], v[16:17], v[112:113]
	v_cvt_f32_f64_e32 v144, v[144:145]
	v_cvt_f32_f64_e32 v126, v[126:127]
	v_min_f32_e32 v126, v144, v126
	v_min3_f32 v124, v124, v126, v125
	v_cvt_f64_f32_e32 v[124:125], v124
	v_lshl_add_u64 v[126:127], v[140:141], 3, v[120:121]
	global_store_dwordx2 v[126:127], v[124:125], off
	s_or_b64 exec, exec, s[20:21]
	s_and_b64 s[20:21], s[16:17], s[18:19]
	s_and_saveexec_b64 s[18:19], s[20:21]
	s_cbranch_execz .LBB160_131
.LBB160_127:
	s_and_b64 vcc, exec, s[0:1]
	s_cbranch_vccnz .LBB160_129
; %bb.128:
	v_lshl_add_u64 v[122:123], v[142:143], 3, v[122:123]
	global_load_dwordx2 v[122:123], v[122:123], off
	s_waitcnt vmcnt(0)
	v_mul_f64 v[122:123], s[22:23], v[122:123]
	v_cvt_f32_f64_e32 v122, v[122:123]
	s_branch .LBB160_130
.LBB160_129:
	v_mov_b32_e32 v122, 0
.LBB160_130:
	v_add_f64 v[118:119], v[6:7], v[118:119]
	v_add_f64 v[116:117], v[4:5], v[116:117]
	;; [unrolled: 1-line block ×4, first 2 shown]
	v_cvt_f32_f64_e32 v116, v[116:117]
	v_cvt_f32_f64_e32 v117, v[118:119]
	v_cvt_f32_f64_e32 v112, v[112:113]
	v_cvt_f32_f64_e32 v113, v[114:115]
	v_min3_f32 v116, v116, v117, v203
	v_min_f32_e32 v112, v112, v113
	v_min3_f32 v112, v122, v112, v116
	v_cvt_f64_f32_e32 v[112:113], v112
	v_lshl_add_u64 v[114:115], v[142:143], 3, v[120:121]
	global_store_dwordx2 v[114:115], v[112:113], off
.LBB160_131:
	s_or_b64 exec, exec, s[18:19]
	v_add_u32_e32 v116, 16, v152
	v_mad_i64_i32 v[112:113], s[20:21], v116, s31, 0
	v_cmp_gt_i32_e64 s[18:19], s25, v116
	v_lshl_add_u64 v[114:115], v[112:113], 3, s[28:29]
	v_mad_i64_i32 v[112:113], s[20:21], v116, s30, 0
	v_lshl_add_u64 v[112:113], v[112:113], 3, s[26:27]
	s_and_b64 s[34:35], s[2:3], s[18:19]
	s_and_saveexec_b64 s[20:21], s[34:35]
	s_cbranch_execnz .LBB160_139
; %bb.132:
	s_or_b64 exec, exec, s[20:21]
	s_and_b64 s[34:35], s[4:5], s[18:19]
	s_and_saveexec_b64 s[20:21], s[34:35]
	s_cbranch_execnz .LBB160_143
.LBB160_133:
	s_or_b64 exec, exec, s[20:21]
	s_and_b64 s[34:35], s[6:7], s[18:19]
	s_and_saveexec_b64 s[20:21], s[34:35]
	s_cbranch_execnz .LBB160_147
.LBB160_134:
	s_or_b64 exec, exec, s[20:21]
	s_and_b64 s[34:35], s[8:9], s[18:19]
	s_and_saveexec_b64 s[20:21], s[34:35]
	s_cbranch_execnz .LBB160_151
.LBB160_135:
	s_or_b64 exec, exec, s[20:21]
	s_and_b64 s[34:35], s[10:11], s[18:19]
	s_and_saveexec_b64 s[20:21], s[34:35]
	s_cbranch_execnz .LBB160_155
.LBB160_136:
	s_or_b64 exec, exec, s[20:21]
	s_and_b64 s[34:35], s[12:13], s[18:19]
	s_and_saveexec_b64 s[20:21], s[34:35]
	s_cbranch_execnz .LBB160_159
.LBB160_137:
	s_or_b64 exec, exec, s[20:21]
	s_and_b64 s[34:35], s[14:15], s[18:19]
	s_and_saveexec_b64 s[20:21], s[34:35]
	s_cbranch_execnz .LBB160_163
.LBB160_138:
	s_or_b64 exec, exec, s[20:21]
	s_and_b64 s[20:21], s[16:17], s[18:19]
	s_and_saveexec_b64 s[18:19], s[20:21]
	s_cbranch_execnz .LBB160_167
	s_branch .LBB160_171
.LBB160_139:
	s_and_b64 vcc, exec, s[0:1]
	s_cbranch_vccnz .LBB160_141
; %bb.140:
	v_lshl_add_u64 v[116:117], v[128:129], 3, v[114:115]
	global_load_dwordx2 v[116:117], v[116:117], off
	s_waitcnt vmcnt(0)
	v_mul_f64 v[116:117], s[22:23], v[116:117]
	v_cvt_f32_f64_e32 v116, v[116:117]
	s_branch .LBB160_142
.LBB160_141:
	v_mov_b32_e32 v116, 0
.LBB160_142:
	v_add_f64 v[118:119], v[70:71], v[110:111]
	v_add_f64 v[120:121], v[68:69], v[108:109]
	v_cvt_f32_f64_e32 v117, v[120:121]
	v_cvt_f32_f64_e32 v118, v[118:119]
	v_min3_f32 v117, v117, v118, v202
	v_add_f64 v[118:119], v[66:67], v[106:107]
	v_add_f64 v[120:121], v[64:65], v[104:105]
	v_cvt_f32_f64_e32 v120, v[120:121]
	v_cvt_f32_f64_e32 v118, v[118:119]
	v_min_f32_e32 v118, v120, v118
	v_min3_f32 v116, v116, v118, v117
	v_cvt_f64_f32_e32 v[116:117], v116
	v_lshl_add_u64 v[118:119], v[128:129], 3, v[112:113]
	global_store_dwordx2 v[118:119], v[116:117], off
	s_or_b64 exec, exec, s[20:21]
	s_and_b64 s[34:35], s[4:5], s[18:19]
	s_and_saveexec_b64 s[20:21], s[34:35]
	s_cbranch_execz .LBB160_133
.LBB160_143:
	s_and_b64 vcc, exec, s[0:1]
	s_cbranch_vccnz .LBB160_145
; %bb.144:
	v_lshl_add_u64 v[116:117], v[130:131], 3, v[114:115]
	global_load_dwordx2 v[116:117], v[116:117], off
	s_waitcnt vmcnt(0)
	v_mul_f64 v[116:117], s[22:23], v[116:117]
	v_cvt_f32_f64_e32 v116, v[116:117]
	s_branch .LBB160_146
.LBB160_145:
	v_mov_b32_e32 v116, 0
.LBB160_146:
	v_add_f64 v[118:119], v[62:63], v[110:111]
	v_add_f64 v[120:121], v[60:61], v[108:109]
	v_cvt_f32_f64_e32 v117, v[120:121]
	v_cvt_f32_f64_e32 v118, v[118:119]
	v_min3_f32 v117, v117, v118, v201
	v_add_f64 v[118:119], v[58:59], v[106:107]
	v_add_f64 v[120:121], v[56:57], v[104:105]
	v_cvt_f32_f64_e32 v120, v[120:121]
	v_cvt_f32_f64_e32 v118, v[118:119]
	v_min_f32_e32 v118, v120, v118
	v_min3_f32 v116, v116, v118, v117
	v_cvt_f64_f32_e32 v[116:117], v116
	v_lshl_add_u64 v[118:119], v[130:131], 3, v[112:113]
	global_store_dwordx2 v[118:119], v[116:117], off
	s_or_b64 exec, exec, s[20:21]
	s_and_b64 s[34:35], s[6:7], s[18:19]
	s_and_saveexec_b64 s[20:21], s[34:35]
	s_cbranch_execz .LBB160_134
.LBB160_147:
	s_and_b64 vcc, exec, s[0:1]
	s_cbranch_vccnz .LBB160_149
; %bb.148:
	v_lshl_add_u64 v[116:117], v[132:133], 3, v[114:115]
	global_load_dwordx2 v[116:117], v[116:117], off
	s_waitcnt vmcnt(0)
	v_mul_f64 v[116:117], s[22:23], v[116:117]
	v_cvt_f32_f64_e32 v116, v[116:117]
	s_branch .LBB160_150
.LBB160_149:
	v_mov_b32_e32 v116, 0
.LBB160_150:
	v_add_f64 v[118:119], v[54:55], v[110:111]
	v_add_f64 v[120:121], v[52:53], v[108:109]
	v_cvt_f32_f64_e32 v117, v[120:121]
	v_cvt_f32_f64_e32 v118, v[118:119]
	v_min3_f32 v117, v117, v118, v200
	v_add_f64 v[118:119], v[50:51], v[106:107]
	v_add_f64 v[120:121], v[48:49], v[104:105]
	v_cvt_f32_f64_e32 v120, v[120:121]
	v_cvt_f32_f64_e32 v118, v[118:119]
	v_min_f32_e32 v118, v120, v118
	v_min3_f32 v116, v116, v118, v117
	v_cvt_f64_f32_e32 v[116:117], v116
	v_lshl_add_u64 v[118:119], v[132:133], 3, v[112:113]
	global_store_dwordx2 v[118:119], v[116:117], off
	s_or_b64 exec, exec, s[20:21]
	s_and_b64 s[34:35], s[8:9], s[18:19]
	s_and_saveexec_b64 s[20:21], s[34:35]
	s_cbranch_execz .LBB160_135
.LBB160_151:
	s_and_b64 vcc, exec, s[0:1]
	s_cbranch_vccnz .LBB160_153
; %bb.152:
	v_lshl_add_u64 v[116:117], v[134:135], 3, v[114:115]
	global_load_dwordx2 v[116:117], v[116:117], off
	s_waitcnt vmcnt(0)
	v_mul_f64 v[116:117], s[22:23], v[116:117]
	v_cvt_f32_f64_e32 v116, v[116:117]
	s_branch .LBB160_154
.LBB160_153:
	v_mov_b32_e32 v116, 0
.LBB160_154:
	v_add_f64 v[118:119], v[46:47], v[110:111]
	v_add_f64 v[120:121], v[44:45], v[108:109]
	v_cvt_f32_f64_e32 v117, v[120:121]
	v_cvt_f32_f64_e32 v118, v[118:119]
	v_min3_f32 v117, v117, v118, v199
	v_add_f64 v[118:119], v[42:43], v[106:107]
	v_add_f64 v[120:121], v[40:41], v[104:105]
	v_cvt_f32_f64_e32 v120, v[120:121]
	v_cvt_f32_f64_e32 v118, v[118:119]
	v_min_f32_e32 v118, v120, v118
	v_min3_f32 v116, v116, v118, v117
	v_cvt_f64_f32_e32 v[116:117], v116
	v_lshl_add_u64 v[118:119], v[134:135], 3, v[112:113]
	global_store_dwordx2 v[118:119], v[116:117], off
	s_or_b64 exec, exec, s[20:21]
	s_and_b64 s[34:35], s[10:11], s[18:19]
	s_and_saveexec_b64 s[20:21], s[34:35]
	s_cbranch_execz .LBB160_136
.LBB160_155:
	s_and_b64 vcc, exec, s[0:1]
	s_cbranch_vccnz .LBB160_157
; %bb.156:
	v_lshl_add_u64 v[116:117], v[136:137], 3, v[114:115]
	global_load_dwordx2 v[116:117], v[116:117], off
	s_waitcnt vmcnt(0)
	v_mul_f64 v[116:117], s[22:23], v[116:117]
	v_cvt_f32_f64_e32 v116, v[116:117]
	s_branch .LBB160_158
.LBB160_157:
	v_mov_b32_e32 v116, 0
.LBB160_158:
	v_add_f64 v[118:119], v[38:39], v[110:111]
	v_add_f64 v[120:121], v[36:37], v[108:109]
	v_cvt_f32_f64_e32 v117, v[120:121]
	v_cvt_f32_f64_e32 v118, v[118:119]
	v_min3_f32 v117, v117, v118, v198
	v_add_f64 v[118:119], v[34:35], v[106:107]
	v_add_f64 v[120:121], v[32:33], v[104:105]
	v_cvt_f32_f64_e32 v120, v[120:121]
	v_cvt_f32_f64_e32 v118, v[118:119]
	v_min_f32_e32 v118, v120, v118
	v_min3_f32 v116, v116, v118, v117
	v_cvt_f64_f32_e32 v[116:117], v116
	v_lshl_add_u64 v[118:119], v[136:137], 3, v[112:113]
	global_store_dwordx2 v[118:119], v[116:117], off
	s_or_b64 exec, exec, s[20:21]
	s_and_b64 s[34:35], s[12:13], s[18:19]
	s_and_saveexec_b64 s[20:21], s[34:35]
	s_cbranch_execz .LBB160_137
.LBB160_159:
	s_and_b64 vcc, exec, s[0:1]
	s_cbranch_vccnz .LBB160_161
; %bb.160:
	v_lshl_add_u64 v[116:117], v[138:139], 3, v[114:115]
	global_load_dwordx2 v[116:117], v[116:117], off
	s_waitcnt vmcnt(0)
	v_mul_f64 v[116:117], s[22:23], v[116:117]
	v_cvt_f32_f64_e32 v116, v[116:117]
	s_branch .LBB160_162
.LBB160_161:
	v_mov_b32_e32 v116, 0
.LBB160_162:
	v_add_f64 v[118:119], v[30:31], v[110:111]
	v_add_f64 v[120:121], v[28:29], v[108:109]
	v_cvt_f32_f64_e32 v117, v[120:121]
	v_cvt_f32_f64_e32 v118, v[118:119]
	v_min3_f32 v117, v117, v118, v197
	v_add_f64 v[118:119], v[26:27], v[106:107]
	v_add_f64 v[120:121], v[24:25], v[104:105]
	v_cvt_f32_f64_e32 v120, v[120:121]
	v_cvt_f32_f64_e32 v118, v[118:119]
	v_min_f32_e32 v118, v120, v118
	v_min3_f32 v116, v116, v118, v117
	v_cvt_f64_f32_e32 v[116:117], v116
	v_lshl_add_u64 v[118:119], v[138:139], 3, v[112:113]
	global_store_dwordx2 v[118:119], v[116:117], off
	s_or_b64 exec, exec, s[20:21]
	s_and_b64 s[34:35], s[14:15], s[18:19]
	s_and_saveexec_b64 s[20:21], s[34:35]
	s_cbranch_execz .LBB160_138
.LBB160_163:
	s_and_b64 vcc, exec, s[0:1]
	s_cbranch_vccnz .LBB160_165
; %bb.164:
	v_lshl_add_u64 v[116:117], v[140:141], 3, v[114:115]
	global_load_dwordx2 v[116:117], v[116:117], off
	s_waitcnt vmcnt(0)
	v_mul_f64 v[116:117], s[22:23], v[116:117]
	v_cvt_f32_f64_e32 v116, v[116:117]
	s_branch .LBB160_166
.LBB160_165:
	v_mov_b32_e32 v116, 0
.LBB160_166:
	v_add_f64 v[118:119], v[22:23], v[110:111]
	v_add_f64 v[120:121], v[20:21], v[108:109]
	v_cvt_f32_f64_e32 v117, v[120:121]
	v_cvt_f32_f64_e32 v118, v[118:119]
	v_min3_f32 v117, v117, v118, v196
	v_add_f64 v[118:119], v[18:19], v[106:107]
	v_add_f64 v[120:121], v[16:17], v[104:105]
	v_cvt_f32_f64_e32 v120, v[120:121]
	v_cvt_f32_f64_e32 v118, v[118:119]
	v_min_f32_e32 v118, v120, v118
	v_min3_f32 v116, v116, v118, v117
	v_cvt_f64_f32_e32 v[116:117], v116
	v_lshl_add_u64 v[118:119], v[140:141], 3, v[112:113]
	global_store_dwordx2 v[118:119], v[116:117], off
	s_or_b64 exec, exec, s[20:21]
	s_and_b64 s[20:21], s[16:17], s[18:19]
	s_and_saveexec_b64 s[18:19], s[20:21]
	s_cbranch_execz .LBB160_171
.LBB160_167:
	s_and_b64 vcc, exec, s[0:1]
	s_cbranch_vccnz .LBB160_169
; %bb.168:
	v_lshl_add_u64 v[114:115], v[142:143], 3, v[114:115]
	global_load_dwordx2 v[114:115], v[114:115], off
	s_waitcnt vmcnt(0)
	v_mul_f64 v[114:115], s[22:23], v[114:115]
	v_cvt_f32_f64_e32 v114, v[114:115]
	s_branch .LBB160_170
.LBB160_169:
	v_mov_b32_e32 v114, 0
.LBB160_170:
	v_add_f64 v[110:111], v[6:7], v[110:111]
	v_add_f64 v[108:109], v[4:5], v[108:109]
	;; [unrolled: 1-line block ×4, first 2 shown]
	v_cvt_f32_f64_e32 v108, v[108:109]
	v_cvt_f32_f64_e32 v109, v[110:111]
	;; [unrolled: 1-line block ×4, first 2 shown]
	v_min3_f32 v108, v108, v109, v195
	v_min_f32_e32 v104, v104, v105
	v_min3_f32 v104, v114, v104, v108
	v_cvt_f64_f32_e32 v[104:105], v104
	v_lshl_add_u64 v[106:107], v[142:143], 3, v[112:113]
	global_store_dwordx2 v[106:107], v[104:105], off
.LBB160_171:
	s_or_b64 exec, exec, s[18:19]
	v_add_u32_e32 v108, 24, v152
	v_mad_i64_i32 v[104:105], s[20:21], v108, s31, 0
	v_cmp_gt_i32_e64 s[18:19], s25, v108
	v_lshl_add_u64 v[106:107], v[104:105], 3, s[28:29]
	v_mad_i64_i32 v[104:105], s[20:21], v108, s30, 0
	v_lshl_add_u64 v[104:105], v[104:105], 3, s[26:27]
	s_and_b64 s[34:35], s[2:3], s[18:19]
	s_and_saveexec_b64 s[20:21], s[34:35]
	s_cbranch_execnz .LBB160_179
; %bb.172:
	s_or_b64 exec, exec, s[20:21]
	s_and_b64 s[34:35], s[4:5], s[18:19]
	s_and_saveexec_b64 s[20:21], s[34:35]
	s_cbranch_execnz .LBB160_183
.LBB160_173:
	s_or_b64 exec, exec, s[20:21]
	s_and_b64 s[34:35], s[6:7], s[18:19]
	s_and_saveexec_b64 s[20:21], s[34:35]
	s_cbranch_execnz .LBB160_187
.LBB160_174:
	s_or_b64 exec, exec, s[20:21]
	s_and_b64 s[34:35], s[8:9], s[18:19]
	s_and_saveexec_b64 s[20:21], s[34:35]
	s_cbranch_execnz .LBB160_191
.LBB160_175:
	s_or_b64 exec, exec, s[20:21]
	s_and_b64 s[34:35], s[10:11], s[18:19]
	s_and_saveexec_b64 s[20:21], s[34:35]
	s_cbranch_execnz .LBB160_195
.LBB160_176:
	s_or_b64 exec, exec, s[20:21]
	s_and_b64 s[34:35], s[12:13], s[18:19]
	s_and_saveexec_b64 s[20:21], s[34:35]
	s_cbranch_execnz .LBB160_199
.LBB160_177:
	s_or_b64 exec, exec, s[20:21]
	s_and_b64 s[34:35], s[14:15], s[18:19]
	s_and_saveexec_b64 s[20:21], s[34:35]
	s_cbranch_execnz .LBB160_203
.LBB160_178:
	s_or_b64 exec, exec, s[20:21]
	s_and_b64 s[20:21], s[16:17], s[18:19]
	s_and_saveexec_b64 s[18:19], s[20:21]
	s_cbranch_execnz .LBB160_207
	s_branch .LBB160_211
.LBB160_179:
	s_and_b64 vcc, exec, s[0:1]
	s_cbranch_vccnz .LBB160_181
; %bb.180:
	v_lshl_add_u64 v[108:109], v[128:129], 3, v[106:107]
	global_load_dwordx2 v[108:109], v[108:109], off
	s_waitcnt vmcnt(0)
	v_mul_f64 v[108:109], s[22:23], v[108:109]
	v_cvt_f32_f64_e32 v108, v[108:109]
	s_branch .LBB160_182
.LBB160_181:
	v_mov_b32_e32 v108, 0
.LBB160_182:
	v_add_f64 v[110:111], v[70:71], v[102:103]
	v_add_f64 v[112:113], v[68:69], v[100:101]
	v_cvt_f32_f64_e32 v109, v[112:113]
	v_cvt_f32_f64_e32 v110, v[110:111]
	v_min3_f32 v109, v109, v110, v194
	v_add_f64 v[110:111], v[66:67], v[98:99]
	v_add_f64 v[112:113], v[64:65], v[96:97]
	v_cvt_f32_f64_e32 v112, v[112:113]
	v_cvt_f32_f64_e32 v110, v[110:111]
	v_min_f32_e32 v110, v112, v110
	v_min3_f32 v108, v108, v110, v109
	v_cvt_f64_f32_e32 v[108:109], v108
	v_lshl_add_u64 v[110:111], v[128:129], 3, v[104:105]
	global_store_dwordx2 v[110:111], v[108:109], off
	s_or_b64 exec, exec, s[20:21]
	s_and_b64 s[34:35], s[4:5], s[18:19]
	s_and_saveexec_b64 s[20:21], s[34:35]
	s_cbranch_execz .LBB160_173
.LBB160_183:
	s_and_b64 vcc, exec, s[0:1]
	s_cbranch_vccnz .LBB160_185
; %bb.184:
	v_lshl_add_u64 v[108:109], v[130:131], 3, v[106:107]
	global_load_dwordx2 v[108:109], v[108:109], off
	s_waitcnt vmcnt(0)
	v_mul_f64 v[108:109], s[22:23], v[108:109]
	v_cvt_f32_f64_e32 v108, v[108:109]
	s_branch .LBB160_186
.LBB160_185:
	v_mov_b32_e32 v108, 0
.LBB160_186:
	v_add_f64 v[110:111], v[62:63], v[102:103]
	v_add_f64 v[112:113], v[60:61], v[100:101]
	v_cvt_f32_f64_e32 v109, v[112:113]
	v_cvt_f32_f64_e32 v110, v[110:111]
	v_min3_f32 v109, v109, v110, v193
	v_add_f64 v[110:111], v[58:59], v[98:99]
	v_add_f64 v[112:113], v[56:57], v[96:97]
	v_cvt_f32_f64_e32 v112, v[112:113]
	v_cvt_f32_f64_e32 v110, v[110:111]
	v_min_f32_e32 v110, v112, v110
	v_min3_f32 v108, v108, v110, v109
	v_cvt_f64_f32_e32 v[108:109], v108
	v_lshl_add_u64 v[110:111], v[130:131], 3, v[104:105]
	global_store_dwordx2 v[110:111], v[108:109], off
	s_or_b64 exec, exec, s[20:21]
	s_and_b64 s[34:35], s[6:7], s[18:19]
	s_and_saveexec_b64 s[20:21], s[34:35]
	s_cbranch_execz .LBB160_174
.LBB160_187:
	s_and_b64 vcc, exec, s[0:1]
	s_cbranch_vccnz .LBB160_189
; %bb.188:
	v_lshl_add_u64 v[108:109], v[132:133], 3, v[106:107]
	global_load_dwordx2 v[108:109], v[108:109], off
	s_waitcnt vmcnt(0)
	v_mul_f64 v[108:109], s[22:23], v[108:109]
	v_cvt_f32_f64_e32 v108, v[108:109]
	s_branch .LBB160_190
.LBB160_189:
	v_mov_b32_e32 v108, 0
.LBB160_190:
	v_add_f64 v[110:111], v[54:55], v[102:103]
	v_add_f64 v[112:113], v[52:53], v[100:101]
	v_cvt_f32_f64_e32 v109, v[112:113]
	v_cvt_f32_f64_e32 v110, v[110:111]
	v_min3_f32 v109, v109, v110, v192
	v_add_f64 v[110:111], v[50:51], v[98:99]
	v_add_f64 v[112:113], v[48:49], v[96:97]
	v_cvt_f32_f64_e32 v112, v[112:113]
	v_cvt_f32_f64_e32 v110, v[110:111]
	v_min_f32_e32 v110, v112, v110
	v_min3_f32 v108, v108, v110, v109
	v_cvt_f64_f32_e32 v[108:109], v108
	v_lshl_add_u64 v[110:111], v[132:133], 3, v[104:105]
	global_store_dwordx2 v[110:111], v[108:109], off
	s_or_b64 exec, exec, s[20:21]
	s_and_b64 s[34:35], s[8:9], s[18:19]
	s_and_saveexec_b64 s[20:21], s[34:35]
	s_cbranch_execz .LBB160_175
.LBB160_191:
	s_and_b64 vcc, exec, s[0:1]
	s_cbranch_vccnz .LBB160_193
; %bb.192:
	v_lshl_add_u64 v[108:109], v[134:135], 3, v[106:107]
	global_load_dwordx2 v[108:109], v[108:109], off
	s_waitcnt vmcnt(0)
	v_mul_f64 v[108:109], s[22:23], v[108:109]
	v_cvt_f32_f64_e32 v108, v[108:109]
	s_branch .LBB160_194
.LBB160_193:
	v_mov_b32_e32 v108, 0
.LBB160_194:
	v_add_f64 v[110:111], v[46:47], v[102:103]
	v_add_f64 v[112:113], v[44:45], v[100:101]
	v_cvt_f32_f64_e32 v109, v[112:113]
	v_cvt_f32_f64_e32 v110, v[110:111]
	v_min3_f32 v109, v109, v110, v191
	v_add_f64 v[110:111], v[42:43], v[98:99]
	v_add_f64 v[112:113], v[40:41], v[96:97]
	v_cvt_f32_f64_e32 v112, v[112:113]
	v_cvt_f32_f64_e32 v110, v[110:111]
	v_min_f32_e32 v110, v112, v110
	v_min3_f32 v108, v108, v110, v109
	v_cvt_f64_f32_e32 v[108:109], v108
	v_lshl_add_u64 v[110:111], v[134:135], 3, v[104:105]
	global_store_dwordx2 v[110:111], v[108:109], off
	s_or_b64 exec, exec, s[20:21]
	s_and_b64 s[34:35], s[10:11], s[18:19]
	s_and_saveexec_b64 s[20:21], s[34:35]
	s_cbranch_execz .LBB160_176
.LBB160_195:
	s_and_b64 vcc, exec, s[0:1]
	s_cbranch_vccnz .LBB160_197
; %bb.196:
	v_lshl_add_u64 v[108:109], v[136:137], 3, v[106:107]
	global_load_dwordx2 v[108:109], v[108:109], off
	s_waitcnt vmcnt(0)
	v_mul_f64 v[108:109], s[22:23], v[108:109]
	v_cvt_f32_f64_e32 v108, v[108:109]
	s_branch .LBB160_198
.LBB160_197:
	v_mov_b32_e32 v108, 0
.LBB160_198:
	v_add_f64 v[110:111], v[38:39], v[102:103]
	v_add_f64 v[112:113], v[36:37], v[100:101]
	v_cvt_f32_f64_e32 v109, v[112:113]
	v_cvt_f32_f64_e32 v110, v[110:111]
	v_min3_f32 v109, v109, v110, v190
	v_add_f64 v[110:111], v[34:35], v[98:99]
	v_add_f64 v[112:113], v[32:33], v[96:97]
	v_cvt_f32_f64_e32 v112, v[112:113]
	v_cvt_f32_f64_e32 v110, v[110:111]
	v_min_f32_e32 v110, v112, v110
	v_min3_f32 v108, v108, v110, v109
	v_cvt_f64_f32_e32 v[108:109], v108
	v_lshl_add_u64 v[110:111], v[136:137], 3, v[104:105]
	global_store_dwordx2 v[110:111], v[108:109], off
	s_or_b64 exec, exec, s[20:21]
	s_and_b64 s[34:35], s[12:13], s[18:19]
	s_and_saveexec_b64 s[20:21], s[34:35]
	s_cbranch_execz .LBB160_177
.LBB160_199:
	s_and_b64 vcc, exec, s[0:1]
	s_cbranch_vccnz .LBB160_201
; %bb.200:
	v_lshl_add_u64 v[108:109], v[138:139], 3, v[106:107]
	global_load_dwordx2 v[108:109], v[108:109], off
	s_waitcnt vmcnt(0)
	v_mul_f64 v[108:109], s[22:23], v[108:109]
	v_cvt_f32_f64_e32 v108, v[108:109]
	s_branch .LBB160_202
.LBB160_201:
	v_mov_b32_e32 v108, 0
.LBB160_202:
	v_add_f64 v[110:111], v[30:31], v[102:103]
	v_add_f64 v[112:113], v[28:29], v[100:101]
	v_cvt_f32_f64_e32 v109, v[112:113]
	v_cvt_f32_f64_e32 v110, v[110:111]
	v_min3_f32 v109, v109, v110, v189
	v_add_f64 v[110:111], v[26:27], v[98:99]
	v_add_f64 v[112:113], v[24:25], v[96:97]
	v_cvt_f32_f64_e32 v112, v[112:113]
	v_cvt_f32_f64_e32 v110, v[110:111]
	v_min_f32_e32 v110, v112, v110
	v_min3_f32 v108, v108, v110, v109
	v_cvt_f64_f32_e32 v[108:109], v108
	v_lshl_add_u64 v[110:111], v[138:139], 3, v[104:105]
	global_store_dwordx2 v[110:111], v[108:109], off
	s_or_b64 exec, exec, s[20:21]
	s_and_b64 s[34:35], s[14:15], s[18:19]
	s_and_saveexec_b64 s[20:21], s[34:35]
	s_cbranch_execz .LBB160_178
.LBB160_203:
	s_and_b64 vcc, exec, s[0:1]
	s_cbranch_vccnz .LBB160_205
; %bb.204:
	v_lshl_add_u64 v[108:109], v[140:141], 3, v[106:107]
	global_load_dwordx2 v[108:109], v[108:109], off
	s_waitcnt vmcnt(0)
	v_mul_f64 v[108:109], s[22:23], v[108:109]
	v_cvt_f32_f64_e32 v108, v[108:109]
	s_branch .LBB160_206
.LBB160_205:
	v_mov_b32_e32 v108, 0
.LBB160_206:
	v_add_f64 v[110:111], v[22:23], v[102:103]
	v_add_f64 v[112:113], v[20:21], v[100:101]
	v_cvt_f32_f64_e32 v109, v[112:113]
	v_cvt_f32_f64_e32 v110, v[110:111]
	v_min3_f32 v109, v109, v110, v188
	v_add_f64 v[110:111], v[18:19], v[98:99]
	v_add_f64 v[112:113], v[16:17], v[96:97]
	v_cvt_f32_f64_e32 v112, v[112:113]
	v_cvt_f32_f64_e32 v110, v[110:111]
	v_min_f32_e32 v110, v112, v110
	v_min3_f32 v108, v108, v110, v109
	v_cvt_f64_f32_e32 v[108:109], v108
	v_lshl_add_u64 v[110:111], v[140:141], 3, v[104:105]
	global_store_dwordx2 v[110:111], v[108:109], off
	s_or_b64 exec, exec, s[20:21]
	s_and_b64 s[20:21], s[16:17], s[18:19]
	s_and_saveexec_b64 s[18:19], s[20:21]
	s_cbranch_execz .LBB160_211
.LBB160_207:
	s_and_b64 vcc, exec, s[0:1]
	s_cbranch_vccnz .LBB160_209
; %bb.208:
	v_lshl_add_u64 v[106:107], v[142:143], 3, v[106:107]
	global_load_dwordx2 v[106:107], v[106:107], off
	s_waitcnt vmcnt(0)
	v_mul_f64 v[106:107], s[22:23], v[106:107]
	v_cvt_f32_f64_e32 v106, v[106:107]
	s_branch .LBB160_210
.LBB160_209:
	v_mov_b32_e32 v106, 0
.LBB160_210:
	v_add_f64 v[102:103], v[6:7], v[102:103]
	v_add_f64 v[100:101], v[4:5], v[100:101]
	;; [unrolled: 1-line block ×4, first 2 shown]
	v_cvt_f32_f64_e32 v100, v[100:101]
	v_cvt_f32_f64_e32 v101, v[102:103]
	;; [unrolled: 1-line block ×4, first 2 shown]
	v_min3_f32 v100, v100, v101, v187
	v_min_f32_e32 v96, v96, v97
	v_min3_f32 v96, v106, v96, v100
	v_cvt_f64_f32_e32 v[96:97], v96
	v_lshl_add_u64 v[98:99], v[142:143], 3, v[104:105]
	global_store_dwordx2 v[98:99], v[96:97], off
.LBB160_211:
	s_or_b64 exec, exec, s[18:19]
	v_add_u32_e32 v100, 32, v152
	v_mad_i64_i32 v[96:97], s[20:21], v100, s31, 0
	v_cmp_gt_i32_e64 s[18:19], s25, v100
	v_lshl_add_u64 v[98:99], v[96:97], 3, s[28:29]
	v_mad_i64_i32 v[96:97], s[20:21], v100, s30, 0
	v_lshl_add_u64 v[96:97], v[96:97], 3, s[26:27]
	s_and_b64 s[34:35], s[2:3], s[18:19]
	s_and_saveexec_b64 s[20:21], s[34:35]
	s_cbranch_execnz .LBB160_219
; %bb.212:
	s_or_b64 exec, exec, s[20:21]
	s_and_b64 s[34:35], s[4:5], s[18:19]
	s_and_saveexec_b64 s[20:21], s[34:35]
	s_cbranch_execnz .LBB160_223
.LBB160_213:
	s_or_b64 exec, exec, s[20:21]
	s_and_b64 s[34:35], s[6:7], s[18:19]
	s_and_saveexec_b64 s[20:21], s[34:35]
	s_cbranch_execnz .LBB160_227
.LBB160_214:
	s_or_b64 exec, exec, s[20:21]
	s_and_b64 s[34:35], s[8:9], s[18:19]
	s_and_saveexec_b64 s[20:21], s[34:35]
	s_cbranch_execnz .LBB160_231
.LBB160_215:
	s_or_b64 exec, exec, s[20:21]
	s_and_b64 s[34:35], s[10:11], s[18:19]
	s_and_saveexec_b64 s[20:21], s[34:35]
	s_cbranch_execnz .LBB160_235
.LBB160_216:
	s_or_b64 exec, exec, s[20:21]
	s_and_b64 s[34:35], s[12:13], s[18:19]
	s_and_saveexec_b64 s[20:21], s[34:35]
	s_cbranch_execnz .LBB160_239
.LBB160_217:
	s_or_b64 exec, exec, s[20:21]
	s_and_b64 s[34:35], s[14:15], s[18:19]
	s_and_saveexec_b64 s[20:21], s[34:35]
	s_cbranch_execnz .LBB160_243
.LBB160_218:
	s_or_b64 exec, exec, s[20:21]
	s_and_b64 s[20:21], s[16:17], s[18:19]
	s_and_saveexec_b64 s[18:19], s[20:21]
	s_cbranch_execnz .LBB160_247
	s_branch .LBB160_251
.LBB160_219:
	s_and_b64 vcc, exec, s[0:1]
	s_cbranch_vccnz .LBB160_221
; %bb.220:
	v_lshl_add_u64 v[100:101], v[128:129], 3, v[98:99]
	global_load_dwordx2 v[100:101], v[100:101], off
	s_waitcnt vmcnt(0)
	v_mul_f64 v[100:101], s[22:23], v[100:101]
	v_cvt_f32_f64_e32 v100, v[100:101]
	s_branch .LBB160_222
.LBB160_221:
	v_mov_b32_e32 v100, 0
.LBB160_222:
	v_add_f64 v[102:103], v[70:71], v[94:95]
	v_add_f64 v[104:105], v[68:69], v[92:93]
	v_cvt_f32_f64_e32 v101, v[104:105]
	v_cvt_f32_f64_e32 v102, v[102:103]
	v_min3_f32 v101, v101, v102, v186
	v_add_f64 v[102:103], v[66:67], v[90:91]
	v_add_f64 v[104:105], v[64:65], v[88:89]
	v_cvt_f32_f64_e32 v104, v[104:105]
	v_cvt_f32_f64_e32 v102, v[102:103]
	v_min_f32_e32 v102, v104, v102
	v_min3_f32 v100, v100, v102, v101
	v_cvt_f64_f32_e32 v[100:101], v100
	v_lshl_add_u64 v[102:103], v[128:129], 3, v[96:97]
	global_store_dwordx2 v[102:103], v[100:101], off
	s_or_b64 exec, exec, s[20:21]
	s_and_b64 s[34:35], s[4:5], s[18:19]
	s_and_saveexec_b64 s[20:21], s[34:35]
	s_cbranch_execz .LBB160_213
.LBB160_223:
	s_and_b64 vcc, exec, s[0:1]
	s_cbranch_vccnz .LBB160_225
; %bb.224:
	v_lshl_add_u64 v[100:101], v[130:131], 3, v[98:99]
	global_load_dwordx2 v[100:101], v[100:101], off
	s_waitcnt vmcnt(0)
	v_mul_f64 v[100:101], s[22:23], v[100:101]
	v_cvt_f32_f64_e32 v100, v[100:101]
	s_branch .LBB160_226
.LBB160_225:
	v_mov_b32_e32 v100, 0
.LBB160_226:
	v_add_f64 v[102:103], v[62:63], v[94:95]
	v_add_f64 v[104:105], v[60:61], v[92:93]
	v_cvt_f32_f64_e32 v101, v[104:105]
	v_cvt_f32_f64_e32 v102, v[102:103]
	v_min3_f32 v101, v101, v102, v185
	v_add_f64 v[102:103], v[58:59], v[90:91]
	v_add_f64 v[104:105], v[56:57], v[88:89]
	v_cvt_f32_f64_e32 v104, v[104:105]
	v_cvt_f32_f64_e32 v102, v[102:103]
	v_min_f32_e32 v102, v104, v102
	v_min3_f32 v100, v100, v102, v101
	v_cvt_f64_f32_e32 v[100:101], v100
	v_lshl_add_u64 v[102:103], v[130:131], 3, v[96:97]
	global_store_dwordx2 v[102:103], v[100:101], off
	s_or_b64 exec, exec, s[20:21]
	s_and_b64 s[34:35], s[6:7], s[18:19]
	s_and_saveexec_b64 s[20:21], s[34:35]
	s_cbranch_execz .LBB160_214
.LBB160_227:
	s_and_b64 vcc, exec, s[0:1]
	s_cbranch_vccnz .LBB160_229
; %bb.228:
	v_lshl_add_u64 v[100:101], v[132:133], 3, v[98:99]
	global_load_dwordx2 v[100:101], v[100:101], off
	s_waitcnt vmcnt(0)
	v_mul_f64 v[100:101], s[22:23], v[100:101]
	v_cvt_f32_f64_e32 v100, v[100:101]
	s_branch .LBB160_230
.LBB160_229:
	v_mov_b32_e32 v100, 0
.LBB160_230:
	v_add_f64 v[102:103], v[54:55], v[94:95]
	v_add_f64 v[104:105], v[52:53], v[92:93]
	v_cvt_f32_f64_e32 v101, v[104:105]
	v_cvt_f32_f64_e32 v102, v[102:103]
	v_min3_f32 v101, v101, v102, v184
	v_add_f64 v[102:103], v[50:51], v[90:91]
	v_add_f64 v[104:105], v[48:49], v[88:89]
	v_cvt_f32_f64_e32 v104, v[104:105]
	v_cvt_f32_f64_e32 v102, v[102:103]
	v_min_f32_e32 v102, v104, v102
	v_min3_f32 v100, v100, v102, v101
	v_cvt_f64_f32_e32 v[100:101], v100
	v_lshl_add_u64 v[102:103], v[132:133], 3, v[96:97]
	global_store_dwordx2 v[102:103], v[100:101], off
	s_or_b64 exec, exec, s[20:21]
	s_and_b64 s[34:35], s[8:9], s[18:19]
	s_and_saveexec_b64 s[20:21], s[34:35]
	s_cbranch_execz .LBB160_215
.LBB160_231:
	s_and_b64 vcc, exec, s[0:1]
	s_cbranch_vccnz .LBB160_233
; %bb.232:
	v_lshl_add_u64 v[100:101], v[134:135], 3, v[98:99]
	global_load_dwordx2 v[100:101], v[100:101], off
	s_waitcnt vmcnt(0)
	v_mul_f64 v[100:101], s[22:23], v[100:101]
	v_cvt_f32_f64_e32 v100, v[100:101]
	s_branch .LBB160_234
.LBB160_233:
	v_mov_b32_e32 v100, 0
.LBB160_234:
	v_add_f64 v[102:103], v[46:47], v[94:95]
	v_add_f64 v[104:105], v[44:45], v[92:93]
	v_cvt_f32_f64_e32 v101, v[104:105]
	v_cvt_f32_f64_e32 v102, v[102:103]
	v_min3_f32 v101, v101, v102, v183
	v_add_f64 v[102:103], v[42:43], v[90:91]
	v_add_f64 v[104:105], v[40:41], v[88:89]
	v_cvt_f32_f64_e32 v104, v[104:105]
	v_cvt_f32_f64_e32 v102, v[102:103]
	v_min_f32_e32 v102, v104, v102
	v_min3_f32 v100, v100, v102, v101
	v_cvt_f64_f32_e32 v[100:101], v100
	v_lshl_add_u64 v[102:103], v[134:135], 3, v[96:97]
	global_store_dwordx2 v[102:103], v[100:101], off
	s_or_b64 exec, exec, s[20:21]
	s_and_b64 s[34:35], s[10:11], s[18:19]
	s_and_saveexec_b64 s[20:21], s[34:35]
	s_cbranch_execz .LBB160_216
.LBB160_235:
	s_and_b64 vcc, exec, s[0:1]
	s_cbranch_vccnz .LBB160_237
; %bb.236:
	v_lshl_add_u64 v[100:101], v[136:137], 3, v[98:99]
	global_load_dwordx2 v[100:101], v[100:101], off
	s_waitcnt vmcnt(0)
	v_mul_f64 v[100:101], s[22:23], v[100:101]
	v_cvt_f32_f64_e32 v100, v[100:101]
	s_branch .LBB160_238
.LBB160_237:
	v_mov_b32_e32 v100, 0
.LBB160_238:
	v_add_f64 v[102:103], v[38:39], v[94:95]
	v_add_f64 v[104:105], v[36:37], v[92:93]
	v_cvt_f32_f64_e32 v101, v[104:105]
	v_cvt_f32_f64_e32 v102, v[102:103]
	v_min3_f32 v101, v101, v102, v182
	v_add_f64 v[102:103], v[34:35], v[90:91]
	v_add_f64 v[104:105], v[32:33], v[88:89]
	v_cvt_f32_f64_e32 v104, v[104:105]
	v_cvt_f32_f64_e32 v102, v[102:103]
	v_min_f32_e32 v102, v104, v102
	v_min3_f32 v100, v100, v102, v101
	v_cvt_f64_f32_e32 v[100:101], v100
	v_lshl_add_u64 v[102:103], v[136:137], 3, v[96:97]
	global_store_dwordx2 v[102:103], v[100:101], off
	s_or_b64 exec, exec, s[20:21]
	s_and_b64 s[34:35], s[12:13], s[18:19]
	s_and_saveexec_b64 s[20:21], s[34:35]
	s_cbranch_execz .LBB160_217
.LBB160_239:
	s_and_b64 vcc, exec, s[0:1]
	s_cbranch_vccnz .LBB160_241
; %bb.240:
	v_lshl_add_u64 v[100:101], v[138:139], 3, v[98:99]
	global_load_dwordx2 v[100:101], v[100:101], off
	s_waitcnt vmcnt(0)
	v_mul_f64 v[100:101], s[22:23], v[100:101]
	v_cvt_f32_f64_e32 v100, v[100:101]
	s_branch .LBB160_242
.LBB160_241:
	v_mov_b32_e32 v100, 0
.LBB160_242:
	v_add_f64 v[102:103], v[30:31], v[94:95]
	v_add_f64 v[104:105], v[28:29], v[92:93]
	v_cvt_f32_f64_e32 v101, v[104:105]
	v_cvt_f32_f64_e32 v102, v[102:103]
	v_min3_f32 v101, v101, v102, v181
	v_add_f64 v[102:103], v[26:27], v[90:91]
	v_add_f64 v[104:105], v[24:25], v[88:89]
	v_cvt_f32_f64_e32 v104, v[104:105]
	v_cvt_f32_f64_e32 v102, v[102:103]
	v_min_f32_e32 v102, v104, v102
	v_min3_f32 v100, v100, v102, v101
	v_cvt_f64_f32_e32 v[100:101], v100
	v_lshl_add_u64 v[102:103], v[138:139], 3, v[96:97]
	global_store_dwordx2 v[102:103], v[100:101], off
	s_or_b64 exec, exec, s[20:21]
	s_and_b64 s[34:35], s[14:15], s[18:19]
	s_and_saveexec_b64 s[20:21], s[34:35]
	s_cbranch_execz .LBB160_218
.LBB160_243:
	s_and_b64 vcc, exec, s[0:1]
	s_cbranch_vccnz .LBB160_245
; %bb.244:
	v_lshl_add_u64 v[100:101], v[140:141], 3, v[98:99]
	global_load_dwordx2 v[100:101], v[100:101], off
	s_waitcnt vmcnt(0)
	v_mul_f64 v[100:101], s[22:23], v[100:101]
	v_cvt_f32_f64_e32 v100, v[100:101]
	s_branch .LBB160_246
.LBB160_245:
	v_mov_b32_e32 v100, 0
.LBB160_246:
	v_add_f64 v[102:103], v[22:23], v[94:95]
	v_add_f64 v[104:105], v[20:21], v[92:93]
	v_cvt_f32_f64_e32 v101, v[104:105]
	v_cvt_f32_f64_e32 v102, v[102:103]
	v_min3_f32 v101, v101, v102, v180
	v_add_f64 v[102:103], v[18:19], v[90:91]
	v_add_f64 v[104:105], v[16:17], v[88:89]
	v_cvt_f32_f64_e32 v104, v[104:105]
	v_cvt_f32_f64_e32 v102, v[102:103]
	v_min_f32_e32 v102, v104, v102
	v_min3_f32 v100, v100, v102, v101
	v_cvt_f64_f32_e32 v[100:101], v100
	v_lshl_add_u64 v[102:103], v[140:141], 3, v[96:97]
	global_store_dwordx2 v[102:103], v[100:101], off
	s_or_b64 exec, exec, s[20:21]
	s_and_b64 s[20:21], s[16:17], s[18:19]
	s_and_saveexec_b64 s[18:19], s[20:21]
	s_cbranch_execz .LBB160_251
.LBB160_247:
	s_and_b64 vcc, exec, s[0:1]
	s_cbranch_vccnz .LBB160_249
; %bb.248:
	v_lshl_add_u64 v[98:99], v[142:143], 3, v[98:99]
	global_load_dwordx2 v[98:99], v[98:99], off
	s_waitcnt vmcnt(0)
	v_mul_f64 v[98:99], s[22:23], v[98:99]
	v_cvt_f32_f64_e32 v98, v[98:99]
	s_branch .LBB160_250
.LBB160_249:
	v_mov_b32_e32 v98, 0
.LBB160_250:
	v_add_f64 v[94:95], v[6:7], v[94:95]
	v_add_f64 v[92:93], v[4:5], v[92:93]
	;; [unrolled: 1-line block ×4, first 2 shown]
	v_cvt_f32_f64_e32 v92, v[92:93]
	v_cvt_f32_f64_e32 v93, v[94:95]
	;; [unrolled: 1-line block ×4, first 2 shown]
	v_min3_f32 v92, v92, v93, v179
	v_min_f32_e32 v88, v88, v89
	v_min3_f32 v88, v98, v88, v92
	v_cvt_f64_f32_e32 v[88:89], v88
	v_lshl_add_u64 v[90:91], v[142:143], 3, v[96:97]
	global_store_dwordx2 v[90:91], v[88:89], off
.LBB160_251:
	s_or_b64 exec, exec, s[18:19]
	v_add_u32_e32 v92, 40, v152
	v_mad_i64_i32 v[88:89], s[20:21], v92, s31, 0
	v_cmp_gt_i32_e64 s[18:19], s25, v92
	v_lshl_add_u64 v[90:91], v[88:89], 3, s[28:29]
	v_mad_i64_i32 v[88:89], s[20:21], v92, s30, 0
	v_lshl_add_u64 v[88:89], v[88:89], 3, s[26:27]
	s_and_b64 s[34:35], s[2:3], s[18:19]
	s_and_saveexec_b64 s[20:21], s[34:35]
	s_cbranch_execnz .LBB160_259
; %bb.252:
	s_or_b64 exec, exec, s[20:21]
	s_and_b64 s[34:35], s[4:5], s[18:19]
	s_and_saveexec_b64 s[20:21], s[34:35]
	s_cbranch_execnz .LBB160_263
.LBB160_253:
	s_or_b64 exec, exec, s[20:21]
	s_and_b64 s[34:35], s[6:7], s[18:19]
	s_and_saveexec_b64 s[20:21], s[34:35]
	s_cbranch_execnz .LBB160_267
.LBB160_254:
	s_or_b64 exec, exec, s[20:21]
	s_and_b64 s[34:35], s[8:9], s[18:19]
	s_and_saveexec_b64 s[20:21], s[34:35]
	s_cbranch_execnz .LBB160_271
.LBB160_255:
	s_or_b64 exec, exec, s[20:21]
	s_and_b64 s[34:35], s[10:11], s[18:19]
	s_and_saveexec_b64 s[20:21], s[34:35]
	s_cbranch_execnz .LBB160_275
.LBB160_256:
	s_or_b64 exec, exec, s[20:21]
	s_and_b64 s[34:35], s[12:13], s[18:19]
	s_and_saveexec_b64 s[20:21], s[34:35]
	s_cbranch_execnz .LBB160_279
.LBB160_257:
	s_or_b64 exec, exec, s[20:21]
	s_and_b64 s[34:35], s[14:15], s[18:19]
	s_and_saveexec_b64 s[20:21], s[34:35]
	s_cbranch_execnz .LBB160_283
.LBB160_258:
	s_or_b64 exec, exec, s[20:21]
	s_and_b64 s[20:21], s[16:17], s[18:19]
	s_and_saveexec_b64 s[18:19], s[20:21]
	s_cbranch_execnz .LBB160_287
	s_branch .LBB160_291
.LBB160_259:
	s_and_b64 vcc, exec, s[0:1]
	s_cbranch_vccnz .LBB160_261
; %bb.260:
	v_lshl_add_u64 v[92:93], v[128:129], 3, v[90:91]
	global_load_dwordx2 v[92:93], v[92:93], off
	s_waitcnt vmcnt(0)
	v_mul_f64 v[92:93], s[22:23], v[92:93]
	v_cvt_f32_f64_e32 v92, v[92:93]
	s_branch .LBB160_262
.LBB160_261:
	v_mov_b32_e32 v92, 0
.LBB160_262:
	v_add_f64 v[94:95], v[70:71], v[86:87]
	v_add_f64 v[96:97], v[68:69], v[84:85]
	v_cvt_f32_f64_e32 v93, v[96:97]
	v_cvt_f32_f64_e32 v94, v[94:95]
	v_min3_f32 v93, v93, v94, v178
	v_add_f64 v[94:95], v[66:67], v[82:83]
	v_add_f64 v[96:97], v[64:65], v[80:81]
	v_cvt_f32_f64_e32 v96, v[96:97]
	v_cvt_f32_f64_e32 v94, v[94:95]
	v_min_f32_e32 v94, v96, v94
	v_min3_f32 v92, v92, v94, v93
	v_cvt_f64_f32_e32 v[92:93], v92
	v_lshl_add_u64 v[94:95], v[128:129], 3, v[88:89]
	global_store_dwordx2 v[94:95], v[92:93], off
	s_or_b64 exec, exec, s[20:21]
	s_and_b64 s[34:35], s[4:5], s[18:19]
	s_and_saveexec_b64 s[20:21], s[34:35]
	s_cbranch_execz .LBB160_253
.LBB160_263:
	s_and_b64 vcc, exec, s[0:1]
	s_cbranch_vccnz .LBB160_265
; %bb.264:
	v_lshl_add_u64 v[92:93], v[130:131], 3, v[90:91]
	global_load_dwordx2 v[92:93], v[92:93], off
	s_waitcnt vmcnt(0)
	v_mul_f64 v[92:93], s[22:23], v[92:93]
	v_cvt_f32_f64_e32 v92, v[92:93]
	s_branch .LBB160_266
.LBB160_265:
	v_mov_b32_e32 v92, 0
.LBB160_266:
	v_add_f64 v[94:95], v[62:63], v[86:87]
	v_add_f64 v[96:97], v[60:61], v[84:85]
	v_cvt_f32_f64_e32 v93, v[96:97]
	v_cvt_f32_f64_e32 v94, v[94:95]
	v_min3_f32 v93, v93, v94, v177
	v_add_f64 v[94:95], v[58:59], v[82:83]
	v_add_f64 v[96:97], v[56:57], v[80:81]
	v_cvt_f32_f64_e32 v96, v[96:97]
	v_cvt_f32_f64_e32 v94, v[94:95]
	v_min_f32_e32 v94, v96, v94
	v_min3_f32 v92, v92, v94, v93
	v_cvt_f64_f32_e32 v[92:93], v92
	v_lshl_add_u64 v[94:95], v[130:131], 3, v[88:89]
	global_store_dwordx2 v[94:95], v[92:93], off
	s_or_b64 exec, exec, s[20:21]
	s_and_b64 s[34:35], s[6:7], s[18:19]
	s_and_saveexec_b64 s[20:21], s[34:35]
	s_cbranch_execz .LBB160_254
.LBB160_267:
	s_and_b64 vcc, exec, s[0:1]
	s_cbranch_vccnz .LBB160_269
; %bb.268:
	v_lshl_add_u64 v[92:93], v[132:133], 3, v[90:91]
	global_load_dwordx2 v[92:93], v[92:93], off
	s_waitcnt vmcnt(0)
	v_mul_f64 v[92:93], s[22:23], v[92:93]
	v_cvt_f32_f64_e32 v92, v[92:93]
	s_branch .LBB160_270
.LBB160_269:
	v_mov_b32_e32 v92, 0
.LBB160_270:
	v_add_f64 v[94:95], v[54:55], v[86:87]
	v_add_f64 v[96:97], v[52:53], v[84:85]
	v_cvt_f32_f64_e32 v93, v[96:97]
	v_cvt_f32_f64_e32 v94, v[94:95]
	v_min3_f32 v93, v93, v94, v176
	v_add_f64 v[94:95], v[50:51], v[82:83]
	v_add_f64 v[96:97], v[48:49], v[80:81]
	v_cvt_f32_f64_e32 v96, v[96:97]
	v_cvt_f32_f64_e32 v94, v[94:95]
	v_min_f32_e32 v94, v96, v94
	v_min3_f32 v92, v92, v94, v93
	v_cvt_f64_f32_e32 v[92:93], v92
	v_lshl_add_u64 v[94:95], v[132:133], 3, v[88:89]
	global_store_dwordx2 v[94:95], v[92:93], off
	s_or_b64 exec, exec, s[20:21]
	s_and_b64 s[34:35], s[8:9], s[18:19]
	s_and_saveexec_b64 s[20:21], s[34:35]
	s_cbranch_execz .LBB160_255
.LBB160_271:
	s_and_b64 vcc, exec, s[0:1]
	s_cbranch_vccnz .LBB160_273
; %bb.272:
	v_lshl_add_u64 v[92:93], v[134:135], 3, v[90:91]
	global_load_dwordx2 v[92:93], v[92:93], off
	s_waitcnt vmcnt(0)
	v_mul_f64 v[92:93], s[22:23], v[92:93]
	v_cvt_f32_f64_e32 v92, v[92:93]
	s_branch .LBB160_274
.LBB160_273:
	v_mov_b32_e32 v92, 0
.LBB160_274:
	v_add_f64 v[94:95], v[46:47], v[86:87]
	v_add_f64 v[96:97], v[44:45], v[84:85]
	v_cvt_f32_f64_e32 v93, v[96:97]
	v_cvt_f32_f64_e32 v94, v[94:95]
	v_min3_f32 v93, v93, v94, v175
	v_add_f64 v[94:95], v[42:43], v[82:83]
	v_add_f64 v[96:97], v[40:41], v[80:81]
	v_cvt_f32_f64_e32 v96, v[96:97]
	v_cvt_f32_f64_e32 v94, v[94:95]
	v_min_f32_e32 v94, v96, v94
	v_min3_f32 v92, v92, v94, v93
	v_cvt_f64_f32_e32 v[92:93], v92
	v_lshl_add_u64 v[94:95], v[134:135], 3, v[88:89]
	global_store_dwordx2 v[94:95], v[92:93], off
	s_or_b64 exec, exec, s[20:21]
	s_and_b64 s[34:35], s[10:11], s[18:19]
	s_and_saveexec_b64 s[20:21], s[34:35]
	s_cbranch_execz .LBB160_256
.LBB160_275:
	s_and_b64 vcc, exec, s[0:1]
	s_cbranch_vccnz .LBB160_277
; %bb.276:
	v_lshl_add_u64 v[92:93], v[136:137], 3, v[90:91]
	global_load_dwordx2 v[92:93], v[92:93], off
	s_waitcnt vmcnt(0)
	v_mul_f64 v[92:93], s[22:23], v[92:93]
	v_cvt_f32_f64_e32 v92, v[92:93]
	s_branch .LBB160_278
.LBB160_277:
	v_mov_b32_e32 v92, 0
.LBB160_278:
	v_add_f64 v[94:95], v[38:39], v[86:87]
	v_add_f64 v[96:97], v[36:37], v[84:85]
	v_cvt_f32_f64_e32 v93, v[96:97]
	v_cvt_f32_f64_e32 v94, v[94:95]
	v_min3_f32 v93, v93, v94, v174
	v_add_f64 v[94:95], v[34:35], v[82:83]
	v_add_f64 v[96:97], v[32:33], v[80:81]
	v_cvt_f32_f64_e32 v96, v[96:97]
	v_cvt_f32_f64_e32 v94, v[94:95]
	v_min_f32_e32 v94, v96, v94
	v_min3_f32 v92, v92, v94, v93
	v_cvt_f64_f32_e32 v[92:93], v92
	v_lshl_add_u64 v[94:95], v[136:137], 3, v[88:89]
	global_store_dwordx2 v[94:95], v[92:93], off
	s_or_b64 exec, exec, s[20:21]
	s_and_b64 s[34:35], s[12:13], s[18:19]
	s_and_saveexec_b64 s[20:21], s[34:35]
	s_cbranch_execz .LBB160_257
.LBB160_279:
	s_and_b64 vcc, exec, s[0:1]
	s_cbranch_vccnz .LBB160_281
; %bb.280:
	v_lshl_add_u64 v[92:93], v[138:139], 3, v[90:91]
	global_load_dwordx2 v[92:93], v[92:93], off
	s_waitcnt vmcnt(0)
	v_mul_f64 v[92:93], s[22:23], v[92:93]
	v_cvt_f32_f64_e32 v92, v[92:93]
	s_branch .LBB160_282
.LBB160_281:
	v_mov_b32_e32 v92, 0
.LBB160_282:
	v_add_f64 v[94:95], v[30:31], v[86:87]
	v_add_f64 v[96:97], v[28:29], v[84:85]
	v_cvt_f32_f64_e32 v93, v[96:97]
	v_cvt_f32_f64_e32 v94, v[94:95]
	v_min3_f32 v93, v93, v94, v173
	v_add_f64 v[94:95], v[26:27], v[82:83]
	v_add_f64 v[96:97], v[24:25], v[80:81]
	v_cvt_f32_f64_e32 v96, v[96:97]
	v_cvt_f32_f64_e32 v94, v[94:95]
	v_min_f32_e32 v94, v96, v94
	v_min3_f32 v92, v92, v94, v93
	v_cvt_f64_f32_e32 v[92:93], v92
	v_lshl_add_u64 v[94:95], v[138:139], 3, v[88:89]
	global_store_dwordx2 v[94:95], v[92:93], off
	s_or_b64 exec, exec, s[20:21]
	s_and_b64 s[34:35], s[14:15], s[18:19]
	s_and_saveexec_b64 s[20:21], s[34:35]
	s_cbranch_execz .LBB160_258
.LBB160_283:
	s_and_b64 vcc, exec, s[0:1]
	s_cbranch_vccnz .LBB160_285
; %bb.284:
	v_lshl_add_u64 v[92:93], v[140:141], 3, v[90:91]
	global_load_dwordx2 v[92:93], v[92:93], off
	s_waitcnt vmcnt(0)
	v_mul_f64 v[92:93], s[22:23], v[92:93]
	v_cvt_f32_f64_e32 v92, v[92:93]
	s_branch .LBB160_286
.LBB160_285:
	v_mov_b32_e32 v92, 0
.LBB160_286:
	v_add_f64 v[94:95], v[22:23], v[86:87]
	v_add_f64 v[96:97], v[20:21], v[84:85]
	v_cvt_f32_f64_e32 v93, v[96:97]
	v_cvt_f32_f64_e32 v94, v[94:95]
	v_min3_f32 v93, v93, v94, v172
	v_add_f64 v[94:95], v[18:19], v[82:83]
	v_add_f64 v[96:97], v[16:17], v[80:81]
	v_cvt_f32_f64_e32 v96, v[96:97]
	v_cvt_f32_f64_e32 v94, v[94:95]
	v_min_f32_e32 v94, v96, v94
	v_min3_f32 v92, v92, v94, v93
	v_cvt_f64_f32_e32 v[92:93], v92
	v_lshl_add_u64 v[94:95], v[140:141], 3, v[88:89]
	global_store_dwordx2 v[94:95], v[92:93], off
	s_or_b64 exec, exec, s[20:21]
	s_and_b64 s[20:21], s[16:17], s[18:19]
	s_and_saveexec_b64 s[18:19], s[20:21]
	s_cbranch_execz .LBB160_291
.LBB160_287:
	s_and_b64 vcc, exec, s[0:1]
	s_cbranch_vccnz .LBB160_289
; %bb.288:
	v_lshl_add_u64 v[90:91], v[142:143], 3, v[90:91]
	global_load_dwordx2 v[90:91], v[90:91], off
	s_waitcnt vmcnt(0)
	v_mul_f64 v[90:91], s[22:23], v[90:91]
	v_cvt_f32_f64_e32 v90, v[90:91]
	s_branch .LBB160_290
.LBB160_289:
	v_mov_b32_e32 v90, 0
.LBB160_290:
	v_add_f64 v[86:87], v[6:7], v[86:87]
	v_add_f64 v[84:85], v[4:5], v[84:85]
	;; [unrolled: 1-line block ×4, first 2 shown]
	v_cvt_f32_f64_e32 v84, v[84:85]
	v_cvt_f32_f64_e32 v85, v[86:87]
	;; [unrolled: 1-line block ×4, first 2 shown]
	v_min3_f32 v84, v84, v85, v171
	v_min_f32_e32 v80, v80, v81
	v_min3_f32 v80, v90, v80, v84
	v_cvt_f64_f32_e32 v[80:81], v80
	v_lshl_add_u64 v[82:83], v[142:143], 3, v[88:89]
	global_store_dwordx2 v[82:83], v[80:81], off
.LBB160_291:
	s_or_b64 exec, exec, s[18:19]
	v_add_u32_e32 v84, 48, v152
	v_mad_i64_i32 v[80:81], s[20:21], v84, s31, 0
	v_cmp_gt_i32_e64 s[18:19], s25, v84
	v_lshl_add_u64 v[82:83], v[80:81], 3, s[28:29]
	v_mad_i64_i32 v[80:81], s[20:21], v84, s30, 0
	v_lshl_add_u64 v[80:81], v[80:81], 3, s[26:27]
	s_and_b64 s[34:35], s[2:3], s[18:19]
	s_and_saveexec_b64 s[20:21], s[34:35]
	s_cbranch_execnz .LBB160_299
; %bb.292:
	s_or_b64 exec, exec, s[20:21]
	s_and_b64 s[34:35], s[4:5], s[18:19]
	s_and_saveexec_b64 s[20:21], s[34:35]
	s_cbranch_execnz .LBB160_303
.LBB160_293:
	s_or_b64 exec, exec, s[20:21]
	s_and_b64 s[34:35], s[6:7], s[18:19]
	s_and_saveexec_b64 s[20:21], s[34:35]
	s_cbranch_execnz .LBB160_307
.LBB160_294:
	s_or_b64 exec, exec, s[20:21]
	s_and_b64 s[34:35], s[8:9], s[18:19]
	s_and_saveexec_b64 s[20:21], s[34:35]
	s_cbranch_execnz .LBB160_311
.LBB160_295:
	s_or_b64 exec, exec, s[20:21]
	s_and_b64 s[34:35], s[10:11], s[18:19]
	s_and_saveexec_b64 s[20:21], s[34:35]
	s_cbranch_execnz .LBB160_315
.LBB160_296:
	s_or_b64 exec, exec, s[20:21]
	s_and_b64 s[34:35], s[12:13], s[18:19]
	s_and_saveexec_b64 s[20:21], s[34:35]
	s_cbranch_execnz .LBB160_319
.LBB160_297:
	s_or_b64 exec, exec, s[20:21]
	s_and_b64 s[34:35], s[14:15], s[18:19]
	s_and_saveexec_b64 s[20:21], s[34:35]
	s_cbranch_execnz .LBB160_323
.LBB160_298:
	s_or_b64 exec, exec, s[20:21]
	s_and_b64 s[20:21], s[16:17], s[18:19]
	s_and_saveexec_b64 s[18:19], s[20:21]
	s_cbranch_execnz .LBB160_327
	s_branch .LBB160_331
.LBB160_299:
	s_and_b64 vcc, exec, s[0:1]
	s_cbranch_vccnz .LBB160_301
; %bb.300:
	v_lshl_add_u64 v[84:85], v[128:129], 3, v[82:83]
	global_load_dwordx2 v[84:85], v[84:85], off
	s_waitcnt vmcnt(0)
	v_mul_f64 v[84:85], s[22:23], v[84:85]
	v_cvt_f32_f64_e32 v84, v[84:85]
	s_branch .LBB160_302
.LBB160_301:
	v_mov_b32_e32 v84, 0
.LBB160_302:
	v_add_f64 v[86:87], v[70:71], v[78:79]
	v_add_f64 v[88:89], v[68:69], v[76:77]
	v_cvt_f32_f64_e32 v85, v[88:89]
	v_cvt_f32_f64_e32 v86, v[86:87]
	v_min3_f32 v85, v85, v86, v170
	v_add_f64 v[86:87], v[66:67], v[74:75]
	v_add_f64 v[88:89], v[64:65], v[72:73]
	v_cvt_f32_f64_e32 v88, v[88:89]
	v_cvt_f32_f64_e32 v86, v[86:87]
	v_min_f32_e32 v86, v88, v86
	v_min3_f32 v84, v84, v86, v85
	v_cvt_f64_f32_e32 v[84:85], v84
	v_lshl_add_u64 v[86:87], v[128:129], 3, v[80:81]
	global_store_dwordx2 v[86:87], v[84:85], off
	s_or_b64 exec, exec, s[20:21]
	s_and_b64 s[34:35], s[4:5], s[18:19]
	s_and_saveexec_b64 s[20:21], s[34:35]
	s_cbranch_execz .LBB160_293
.LBB160_303:
	s_and_b64 vcc, exec, s[0:1]
	s_cbranch_vccnz .LBB160_305
; %bb.304:
	v_lshl_add_u64 v[84:85], v[130:131], 3, v[82:83]
	global_load_dwordx2 v[84:85], v[84:85], off
	s_waitcnt vmcnt(0)
	v_mul_f64 v[84:85], s[22:23], v[84:85]
	v_cvt_f32_f64_e32 v84, v[84:85]
	s_branch .LBB160_306
.LBB160_305:
	v_mov_b32_e32 v84, 0
.LBB160_306:
	v_add_f64 v[86:87], v[62:63], v[78:79]
	v_add_f64 v[88:89], v[60:61], v[76:77]
	v_cvt_f32_f64_e32 v85, v[88:89]
	v_cvt_f32_f64_e32 v86, v[86:87]
	v_min3_f32 v85, v85, v86, v168
	v_add_f64 v[86:87], v[58:59], v[74:75]
	v_add_f64 v[88:89], v[56:57], v[72:73]
	v_cvt_f32_f64_e32 v88, v[88:89]
	v_cvt_f32_f64_e32 v86, v[86:87]
	v_min_f32_e32 v86, v88, v86
	v_min3_f32 v84, v84, v86, v85
	v_cvt_f64_f32_e32 v[84:85], v84
	v_lshl_add_u64 v[86:87], v[130:131], 3, v[80:81]
	global_store_dwordx2 v[86:87], v[84:85], off
	s_or_b64 exec, exec, s[20:21]
	s_and_b64 s[34:35], s[6:7], s[18:19]
	s_and_saveexec_b64 s[20:21], s[34:35]
	s_cbranch_execz .LBB160_294
.LBB160_307:
	s_and_b64 vcc, exec, s[0:1]
	s_cbranch_vccnz .LBB160_309
; %bb.308:
	v_lshl_add_u64 v[84:85], v[132:133], 3, v[82:83]
	global_load_dwordx2 v[84:85], v[84:85], off
	s_waitcnt vmcnt(0)
	v_mul_f64 v[84:85], s[22:23], v[84:85]
	v_cvt_f32_f64_e32 v84, v[84:85]
	s_branch .LBB160_310
.LBB160_309:
	v_mov_b32_e32 v84, 0
.LBB160_310:
	v_add_f64 v[86:87], v[54:55], v[78:79]
	v_add_f64 v[88:89], v[52:53], v[76:77]
	v_cvt_f32_f64_e32 v85, v[88:89]
	v_cvt_f32_f64_e32 v86, v[86:87]
	v_min3_f32 v85, v85, v86, v167
	v_add_f64 v[86:87], v[50:51], v[74:75]
	v_add_f64 v[88:89], v[48:49], v[72:73]
	v_cvt_f32_f64_e32 v88, v[88:89]
	v_cvt_f32_f64_e32 v86, v[86:87]
	v_min_f32_e32 v86, v88, v86
	v_min3_f32 v84, v84, v86, v85
	v_cvt_f64_f32_e32 v[84:85], v84
	v_lshl_add_u64 v[86:87], v[132:133], 3, v[80:81]
	global_store_dwordx2 v[86:87], v[84:85], off
	s_or_b64 exec, exec, s[20:21]
	s_and_b64 s[34:35], s[8:9], s[18:19]
	s_and_saveexec_b64 s[20:21], s[34:35]
	s_cbranch_execz .LBB160_295
.LBB160_311:
	s_and_b64 vcc, exec, s[0:1]
	s_cbranch_vccnz .LBB160_313
; %bb.312:
	v_lshl_add_u64 v[84:85], v[134:135], 3, v[82:83]
	global_load_dwordx2 v[84:85], v[84:85], off
	s_waitcnt vmcnt(0)
	v_mul_f64 v[84:85], s[22:23], v[84:85]
	v_cvt_f32_f64_e32 v84, v[84:85]
	s_branch .LBB160_314
.LBB160_313:
	v_mov_b32_e32 v84, 0
.LBB160_314:
	v_add_f64 v[86:87], v[46:47], v[78:79]
	v_add_f64 v[88:89], v[44:45], v[76:77]
	v_cvt_f32_f64_e32 v85, v[88:89]
	v_cvt_f32_f64_e32 v86, v[86:87]
	v_min3_f32 v85, v85, v86, v166
	v_add_f64 v[86:87], v[42:43], v[74:75]
	v_add_f64 v[88:89], v[40:41], v[72:73]
	v_cvt_f32_f64_e32 v88, v[88:89]
	v_cvt_f32_f64_e32 v86, v[86:87]
	v_min_f32_e32 v86, v88, v86
	v_min3_f32 v84, v84, v86, v85
	v_cvt_f64_f32_e32 v[84:85], v84
	v_lshl_add_u64 v[86:87], v[134:135], 3, v[80:81]
	global_store_dwordx2 v[86:87], v[84:85], off
	s_or_b64 exec, exec, s[20:21]
	s_and_b64 s[34:35], s[10:11], s[18:19]
	s_and_saveexec_b64 s[20:21], s[34:35]
	s_cbranch_execz .LBB160_296
.LBB160_315:
	s_and_b64 vcc, exec, s[0:1]
	s_cbranch_vccnz .LBB160_317
; %bb.316:
	v_lshl_add_u64 v[84:85], v[136:137], 3, v[82:83]
	global_load_dwordx2 v[84:85], v[84:85], off
	s_waitcnt vmcnt(0)
	v_mul_f64 v[84:85], s[22:23], v[84:85]
	v_cvt_f32_f64_e32 v84, v[84:85]
	s_branch .LBB160_318
.LBB160_317:
	v_mov_b32_e32 v84, 0
.LBB160_318:
	v_add_f64 v[86:87], v[38:39], v[78:79]
	v_add_f64 v[88:89], v[36:37], v[76:77]
	v_cvt_f32_f64_e32 v85, v[88:89]
	v_cvt_f32_f64_e32 v86, v[86:87]
	v_min3_f32 v85, v85, v86, v164
	v_add_f64 v[86:87], v[34:35], v[74:75]
	v_add_f64 v[88:89], v[32:33], v[72:73]
	v_cvt_f32_f64_e32 v88, v[88:89]
	v_cvt_f32_f64_e32 v86, v[86:87]
	v_min_f32_e32 v86, v88, v86
	v_min3_f32 v84, v84, v86, v85
	v_cvt_f64_f32_e32 v[84:85], v84
	v_lshl_add_u64 v[86:87], v[136:137], 3, v[80:81]
	global_store_dwordx2 v[86:87], v[84:85], off
	s_or_b64 exec, exec, s[20:21]
	s_and_b64 s[34:35], s[12:13], s[18:19]
	s_and_saveexec_b64 s[20:21], s[34:35]
	s_cbranch_execz .LBB160_297
.LBB160_319:
	s_and_b64 vcc, exec, s[0:1]
	s_cbranch_vccnz .LBB160_321
; %bb.320:
	v_lshl_add_u64 v[84:85], v[138:139], 3, v[82:83]
	global_load_dwordx2 v[84:85], v[84:85], off
	s_waitcnt vmcnt(0)
	v_mul_f64 v[84:85], s[22:23], v[84:85]
	v_cvt_f32_f64_e32 v84, v[84:85]
	s_branch .LBB160_322
.LBB160_321:
	v_mov_b32_e32 v84, 0
.LBB160_322:
	v_add_f64 v[86:87], v[30:31], v[78:79]
	v_add_f64 v[88:89], v[28:29], v[76:77]
	v_cvt_f32_f64_e32 v85, v[88:89]
	v_cvt_f32_f64_e32 v86, v[86:87]
	v_min3_f32 v85, v85, v86, v163
	v_add_f64 v[86:87], v[26:27], v[74:75]
	v_add_f64 v[88:89], v[24:25], v[72:73]
	v_cvt_f32_f64_e32 v88, v[88:89]
	v_cvt_f32_f64_e32 v86, v[86:87]
	v_min_f32_e32 v86, v88, v86
	v_min3_f32 v84, v84, v86, v85
	v_cvt_f64_f32_e32 v[84:85], v84
	v_lshl_add_u64 v[86:87], v[138:139], 3, v[80:81]
	global_store_dwordx2 v[86:87], v[84:85], off
	s_or_b64 exec, exec, s[20:21]
	s_and_b64 s[34:35], s[14:15], s[18:19]
	s_and_saveexec_b64 s[20:21], s[34:35]
	s_cbranch_execz .LBB160_298
.LBB160_323:
	s_and_b64 vcc, exec, s[0:1]
	s_cbranch_vccnz .LBB160_325
; %bb.324:
	v_lshl_add_u64 v[84:85], v[140:141], 3, v[82:83]
	global_load_dwordx2 v[84:85], v[84:85], off
	s_waitcnt vmcnt(0)
	v_mul_f64 v[84:85], s[22:23], v[84:85]
	v_cvt_f32_f64_e32 v84, v[84:85]
	s_branch .LBB160_326
.LBB160_325:
	v_mov_b32_e32 v84, 0
.LBB160_326:
	v_add_f64 v[86:87], v[22:23], v[78:79]
	v_add_f64 v[88:89], v[20:21], v[76:77]
	v_cvt_f32_f64_e32 v85, v[88:89]
	v_cvt_f32_f64_e32 v86, v[86:87]
	v_min3_f32 v85, v85, v86, v159
	v_add_f64 v[86:87], v[18:19], v[74:75]
	v_add_f64 v[88:89], v[16:17], v[72:73]
	v_cvt_f32_f64_e32 v88, v[88:89]
	v_cvt_f32_f64_e32 v86, v[86:87]
	v_min_f32_e32 v86, v88, v86
	v_min3_f32 v84, v84, v86, v85
	v_cvt_f64_f32_e32 v[84:85], v84
	v_lshl_add_u64 v[86:87], v[140:141], 3, v[80:81]
	global_store_dwordx2 v[86:87], v[84:85], off
	s_or_b64 exec, exec, s[20:21]
	s_and_b64 s[20:21], s[16:17], s[18:19]
	s_and_saveexec_b64 s[18:19], s[20:21]
	s_cbranch_execz .LBB160_331
.LBB160_327:
	s_and_b64 vcc, exec, s[0:1]
	s_cbranch_vccnz .LBB160_329
; %bb.328:
	v_lshl_add_u64 v[82:83], v[142:143], 3, v[82:83]
	global_load_dwordx2 v[82:83], v[82:83], off
	s_waitcnt vmcnt(0)
	v_mul_f64 v[82:83], s[22:23], v[82:83]
	v_cvt_f32_f64_e32 v82, v[82:83]
	s_branch .LBB160_330
.LBB160_329:
	v_mov_b32_e32 v82, 0
.LBB160_330:
	v_add_f64 v[78:79], v[6:7], v[78:79]
	v_add_f64 v[76:77], v[4:5], v[76:77]
	;; [unrolled: 1-line block ×4, first 2 shown]
	v_cvt_f32_f64_e32 v76, v[76:77]
	v_cvt_f32_f64_e32 v77, v[78:79]
	;; [unrolled: 1-line block ×4, first 2 shown]
	v_min3_f32 v76, v76, v77, v158
	v_min_f32_e32 v72, v72, v73
	v_min3_f32 v72, v82, v72, v76
	v_cvt_f64_f32_e32 v[72:73], v72
	v_lshl_add_u64 v[74:75], v[142:143], 3, v[80:81]
	global_store_dwordx2 v[74:75], v[72:73], off
.LBB160_331:
	s_or_b64 exec, exec, s[18:19]
	v_add_u32_e32 v76, 56, v152
	v_mad_i64_i32 v[72:73], s[20:21], v76, s31, 0
	v_cmp_gt_i32_e64 s[18:19], s25, v76
	v_lshl_add_u64 v[74:75], v[72:73], 3, s[28:29]
	v_mad_i64_i32 v[72:73], s[20:21], v76, s30, 0
	v_lshl_add_u64 v[72:73], v[72:73], 3, s[26:27]
	s_and_b64 s[20:21], s[2:3], s[18:19]
	s_and_saveexec_b64 s[2:3], s[20:21]
	s_cbranch_execnz .LBB160_340
; %bb.332:
	s_or_b64 exec, exec, s[2:3]
	s_and_b64 s[4:5], s[4:5], s[18:19]
	s_and_saveexec_b64 s[2:3], s[4:5]
	s_cbranch_execnz .LBB160_344
.LBB160_333:
	s_or_b64 exec, exec, s[2:3]
	s_and_b64 s[4:5], s[6:7], s[18:19]
	s_and_saveexec_b64 s[2:3], s[4:5]
	s_cbranch_execnz .LBB160_348
.LBB160_334:
	s_or_b64 exec, exec, s[2:3]
	s_and_b64 s[4:5], s[8:9], s[18:19]
	s_and_saveexec_b64 s[2:3], s[4:5]
	s_cbranch_execnz .LBB160_352
.LBB160_335:
	s_or_b64 exec, exec, s[2:3]
	s_and_b64 s[4:5], s[10:11], s[18:19]
	s_and_saveexec_b64 s[2:3], s[4:5]
	s_cbranch_execnz .LBB160_356
.LBB160_336:
	s_or_b64 exec, exec, s[2:3]
	s_and_b64 s[4:5], s[12:13], s[18:19]
	s_and_saveexec_b64 s[2:3], s[4:5]
	s_cbranch_execnz .LBB160_360
.LBB160_337:
	s_or_b64 exec, exec, s[2:3]
	s_and_b64 s[4:5], s[14:15], s[18:19]
	s_and_saveexec_b64 s[2:3], s[4:5]
	s_cbranch_execnz .LBB160_364
.LBB160_338:
	s_or_b64 exec, exec, s[2:3]
	s_and_b64 s[2:3], s[16:17], s[18:19]
	s_and_saveexec_b64 s[4:5], s[2:3]
	s_cbranch_execnz .LBB160_368
.LBB160_339:
	s_endpgm
.LBB160_340:
	s_and_b64 vcc, exec, s[0:1]
	s_cbranch_vccnz .LBB160_342
; %bb.341:
	v_lshl_add_u64 v[76:77], v[128:129], 3, v[74:75]
	global_load_dwordx2 v[76:77], v[76:77], off
	s_waitcnt vmcnt(0)
	v_mul_f64 v[76:77], s[22:23], v[76:77]
	v_cvt_f32_f64_e32 v76, v[76:77]
	s_branch .LBB160_343
.LBB160_342:
	v_mov_b32_e32 v76, 0
.LBB160_343:
	v_add_f64 v[70:71], v[70:71], v[14:15]
	v_add_f64 v[68:69], v[68:69], v[12:13]
	;; [unrolled: 1-line block ×4, first 2 shown]
	v_cvt_f32_f64_e32 v68, v[68:69]
	v_cvt_f32_f64_e32 v69, v[70:71]
	;; [unrolled: 1-line block ×4, first 2 shown]
	v_min3_f32 v68, v68, v69, v157
	v_min_f32_e32 v64, v64, v65
	v_min3_f32 v64, v76, v64, v68
	v_cvt_f64_f32_e32 v[64:65], v64
	v_lshl_add_u64 v[66:67], v[128:129], 3, v[72:73]
	global_store_dwordx2 v[66:67], v[64:65], off
	s_or_b64 exec, exec, s[2:3]
	s_and_b64 s[4:5], s[4:5], s[18:19]
	s_and_saveexec_b64 s[2:3], s[4:5]
	s_cbranch_execz .LBB160_333
.LBB160_344:
	s_and_b64 vcc, exec, s[0:1]
	s_cbranch_vccnz .LBB160_346
; %bb.345:
	v_lshl_add_u64 v[64:65], v[130:131], 3, v[74:75]
	global_load_dwordx2 v[64:65], v[64:65], off
	s_waitcnt vmcnt(0)
	v_mul_f64 v[64:65], s[22:23], v[64:65]
	v_cvt_f32_f64_e32 v64, v[64:65]
	s_branch .LBB160_347
.LBB160_346:
	v_mov_b32_e32 v64, 0
.LBB160_347:
	v_add_f64 v[62:63], v[62:63], v[14:15]
	v_add_f64 v[60:61], v[60:61], v[12:13]
	;; [unrolled: 1-line block ×4, first 2 shown]
	v_cvt_f32_f64_e32 v60, v[60:61]
	v_cvt_f32_f64_e32 v61, v[62:63]
	;; [unrolled: 1-line block ×4, first 2 shown]
	v_min3_f32 v60, v60, v61, v156
	v_min_f32_e32 v56, v56, v57
	v_min3_f32 v56, v64, v56, v60
	v_cvt_f64_f32_e32 v[56:57], v56
	v_lshl_add_u64 v[58:59], v[130:131], 3, v[72:73]
	global_store_dwordx2 v[58:59], v[56:57], off
	s_or_b64 exec, exec, s[2:3]
	s_and_b64 s[4:5], s[6:7], s[18:19]
	s_and_saveexec_b64 s[2:3], s[4:5]
	s_cbranch_execz .LBB160_334
.LBB160_348:
	s_and_b64 vcc, exec, s[0:1]
	s_cbranch_vccnz .LBB160_350
; %bb.349:
	v_lshl_add_u64 v[56:57], v[132:133], 3, v[74:75]
	global_load_dwordx2 v[56:57], v[56:57], off
	s_waitcnt vmcnt(0)
	v_mul_f64 v[56:57], s[22:23], v[56:57]
	v_cvt_f32_f64_e32 v56, v[56:57]
	s_branch .LBB160_351
.LBB160_350:
	v_mov_b32_e32 v56, 0
.LBB160_351:
	v_add_f64 v[54:55], v[54:55], v[14:15]
	v_add_f64 v[52:53], v[52:53], v[12:13]
	;; [unrolled: 1-line block ×4, first 2 shown]
	v_cvt_f32_f64_e32 v52, v[52:53]
	v_cvt_f32_f64_e32 v53, v[54:55]
	;; [unrolled: 1-line block ×4, first 2 shown]
	v_min3_f32 v52, v52, v53, v155
	v_min_f32_e32 v48, v48, v49
	v_min3_f32 v48, v56, v48, v52
	v_cvt_f64_f32_e32 v[48:49], v48
	v_lshl_add_u64 v[50:51], v[132:133], 3, v[72:73]
	global_store_dwordx2 v[50:51], v[48:49], off
	s_or_b64 exec, exec, s[2:3]
	s_and_b64 s[4:5], s[8:9], s[18:19]
	s_and_saveexec_b64 s[2:3], s[4:5]
	s_cbranch_execz .LBB160_335
.LBB160_352:
	s_and_b64 vcc, exec, s[0:1]
	s_cbranch_vccnz .LBB160_354
; %bb.353:
	v_lshl_add_u64 v[48:49], v[134:135], 3, v[74:75]
	global_load_dwordx2 v[48:49], v[48:49], off
	s_waitcnt vmcnt(0)
	v_mul_f64 v[48:49], s[22:23], v[48:49]
	v_cvt_f32_f64_e32 v48, v[48:49]
	s_branch .LBB160_355
.LBB160_354:
	v_mov_b32_e32 v48, 0
.LBB160_355:
	v_add_f64 v[46:47], v[46:47], v[14:15]
	v_add_f64 v[44:45], v[44:45], v[12:13]
	;; [unrolled: 1-line block ×4, first 2 shown]
	v_cvt_f32_f64_e32 v44, v[44:45]
	v_cvt_f32_f64_e32 v45, v[46:47]
	v_cvt_f32_f64_e32 v40, v[40:41]
	v_cvt_f32_f64_e32 v41, v[42:43]
	v_min3_f32 v44, v44, v45, v154
	v_min_f32_e32 v40, v40, v41
	v_min3_f32 v40, v48, v40, v44
	v_cvt_f64_f32_e32 v[40:41], v40
	v_lshl_add_u64 v[42:43], v[134:135], 3, v[72:73]
	global_store_dwordx2 v[42:43], v[40:41], off
	s_or_b64 exec, exec, s[2:3]
	s_and_b64 s[4:5], s[10:11], s[18:19]
	s_and_saveexec_b64 s[2:3], s[4:5]
	s_cbranch_execz .LBB160_336
.LBB160_356:
	s_and_b64 vcc, exec, s[0:1]
	s_cbranch_vccnz .LBB160_358
; %bb.357:
	v_lshl_add_u64 v[40:41], v[136:137], 3, v[74:75]
	global_load_dwordx2 v[40:41], v[40:41], off
	s_waitcnt vmcnt(0)
	v_mul_f64 v[40:41], s[22:23], v[40:41]
	v_cvt_f32_f64_e32 v40, v[40:41]
	s_branch .LBB160_359
.LBB160_358:
	v_mov_b32_e32 v40, 0
.LBB160_359:
	v_add_f64 v[38:39], v[38:39], v[14:15]
	v_add_f64 v[36:37], v[36:37], v[12:13]
	;; [unrolled: 1-line block ×4, first 2 shown]
	v_cvt_f32_f64_e32 v36, v[36:37]
	v_cvt_f32_f64_e32 v37, v[38:39]
	v_cvt_f32_f64_e32 v32, v[32:33]
	v_cvt_f32_f64_e32 v33, v[34:35]
	v_min3_f32 v36, v36, v37, v151
	v_min_f32_e32 v32, v32, v33
	v_min3_f32 v32, v40, v32, v36
	v_cvt_f64_f32_e32 v[32:33], v32
	v_lshl_add_u64 v[34:35], v[136:137], 3, v[72:73]
	global_store_dwordx2 v[34:35], v[32:33], off
	s_or_b64 exec, exec, s[2:3]
	s_and_b64 s[4:5], s[12:13], s[18:19]
	s_and_saveexec_b64 s[2:3], s[4:5]
	s_cbranch_execz .LBB160_337
.LBB160_360:
	s_and_b64 vcc, exec, s[0:1]
	s_cbranch_vccnz .LBB160_362
; %bb.361:
	v_lshl_add_u64 v[32:33], v[138:139], 3, v[74:75]
	global_load_dwordx2 v[32:33], v[32:33], off
	s_waitcnt vmcnt(0)
	v_mul_f64 v[32:33], s[22:23], v[32:33]
	v_cvt_f32_f64_e32 v32, v[32:33]
	s_branch .LBB160_363
.LBB160_362:
	v_mov_b32_e32 v32, 0
.LBB160_363:
	v_add_f64 v[30:31], v[30:31], v[14:15]
	v_add_f64 v[28:29], v[28:29], v[12:13]
	;; [unrolled: 1-line block ×4, first 2 shown]
	v_cvt_f32_f64_e32 v28, v[28:29]
	v_cvt_f32_f64_e32 v29, v[30:31]
	;; [unrolled: 1-line block ×4, first 2 shown]
	v_min3_f32 v28, v28, v29, v150
	v_min_f32_e32 v24, v24, v25
	v_min3_f32 v24, v32, v24, v28
	v_cvt_f64_f32_e32 v[24:25], v24
	v_lshl_add_u64 v[26:27], v[138:139], 3, v[72:73]
	global_store_dwordx2 v[26:27], v[24:25], off
	s_or_b64 exec, exec, s[2:3]
	s_and_b64 s[4:5], s[14:15], s[18:19]
	s_and_saveexec_b64 s[2:3], s[4:5]
	s_cbranch_execz .LBB160_338
.LBB160_364:
	s_and_b64 vcc, exec, s[0:1]
	s_cbranch_vccnz .LBB160_366
; %bb.365:
	v_lshl_add_u64 v[24:25], v[140:141], 3, v[74:75]
	global_load_dwordx2 v[24:25], v[24:25], off
	s_waitcnt vmcnt(0)
	v_mul_f64 v[24:25], s[22:23], v[24:25]
	v_cvt_f32_f64_e32 v24, v[24:25]
	s_branch .LBB160_367
.LBB160_366:
	v_mov_b32_e32 v24, 0
.LBB160_367:
	v_add_f64 v[22:23], v[22:23], v[14:15]
	v_add_f64 v[20:21], v[20:21], v[12:13]
	;; [unrolled: 1-line block ×4, first 2 shown]
	v_cvt_f32_f64_e32 v20, v[20:21]
	v_cvt_f32_f64_e32 v21, v[22:23]
	;; [unrolled: 1-line block ×4, first 2 shown]
	v_min3_f32 v20, v20, v21, v149
	v_min_f32_e32 v16, v16, v17
	v_min3_f32 v16, v24, v16, v20
	v_cvt_f64_f32_e32 v[16:17], v16
	v_lshl_add_u64 v[18:19], v[140:141], 3, v[72:73]
	global_store_dwordx2 v[18:19], v[16:17], off
	s_or_b64 exec, exec, s[2:3]
	s_and_b64 s[2:3], s[16:17], s[18:19]
	s_and_saveexec_b64 s[4:5], s[2:3]
	s_cbranch_execz .LBB160_339
.LBB160_368:
	s_and_b64 vcc, exec, s[0:1]
	s_cbranch_vccnz .LBB160_370
; %bb.369:
	v_lshl_add_u64 v[16:17], v[142:143], 3, v[74:75]
	global_load_dwordx2 v[16:17], v[16:17], off
	s_waitcnt vmcnt(0)
	v_mul_f64 v[16:17], s[22:23], v[16:17]
	v_cvt_f32_f64_e32 v16, v[16:17]
	s_branch .LBB160_371
.LBB160_370:
	v_mov_b32_e32 v16, 0
.LBB160_371:
	v_add_f64 v[6:7], v[6:7], v[14:15]
	v_add_f64 v[4:5], v[4:5], v[12:13]
	;; [unrolled: 1-line block ×4, first 2 shown]
	v_cvt_f32_f64_e32 v4, v[4:5]
	v_cvt_f32_f64_e32 v5, v[6:7]
	;; [unrolled: 1-line block ×4, first 2 shown]
	v_min3_f32 v4, v4, v5, v148
	v_min_f32_e32 v0, v0, v1
	v_min3_f32 v0, v16, v0, v4
	v_cvt_f64_f32_e32 v[0:1], v0
	v_lshl_add_u64 v[2:3], v[142:143], 3, v[72:73]
	global_store_dwordx2 v[2:3], v[0:1], off
	s_endpgm
	.section	.rodata,"a",@progbits
	.p2align	6, 0x0
	.amdhsa_kernel _ZN12_GLOBAL__N_120geam_min_plus_kernelId15HIP_vector_typeIdLj2EEdLi32ELi8ELi256ELi64ELi4ELi64ELi4ELi4ELi64ELc78ELc78ELb1ELb1ELb1EdKddEEviiiT16_PT17_ilS6_ilS4_S6_ilPT18_ili26rocblas_geam_ex_operation_
		.amdhsa_group_segment_fixed_size 20480
		.amdhsa_private_segment_fixed_size 0
		.amdhsa_kernarg_size 136
		.amdhsa_user_sgpr_count 2
		.amdhsa_user_sgpr_dispatch_ptr 0
		.amdhsa_user_sgpr_queue_ptr 0
		.amdhsa_user_sgpr_kernarg_segment_ptr 1
		.amdhsa_user_sgpr_dispatch_id 0
		.amdhsa_user_sgpr_kernarg_preload_length 0
		.amdhsa_user_sgpr_kernarg_preload_offset 0
		.amdhsa_user_sgpr_private_segment_size 0
		.amdhsa_uses_dynamic_stack 0
		.amdhsa_enable_private_segment 0
		.amdhsa_system_sgpr_workgroup_id_x 1
		.amdhsa_system_sgpr_workgroup_id_y 0
		.amdhsa_system_sgpr_workgroup_id_z 1
		.amdhsa_system_sgpr_workgroup_info 0
		.amdhsa_system_vgpr_workitem_id 1
		.amdhsa_next_free_vgpr 230
		.amdhsa_next_free_sgpr 40
		.amdhsa_accum_offset 232
		.amdhsa_reserve_vcc 1
		.amdhsa_float_round_mode_32 0
		.amdhsa_float_round_mode_16_64 0
		.amdhsa_float_denorm_mode_32 3
		.amdhsa_float_denorm_mode_16_64 3
		.amdhsa_dx10_clamp 1
		.amdhsa_ieee_mode 1
		.amdhsa_fp16_overflow 0
		.amdhsa_tg_split 0
		.amdhsa_exception_fp_ieee_invalid_op 0
		.amdhsa_exception_fp_denorm_src 0
		.amdhsa_exception_fp_ieee_div_zero 0
		.amdhsa_exception_fp_ieee_overflow 0
		.amdhsa_exception_fp_ieee_underflow 0
		.amdhsa_exception_fp_ieee_inexact 0
		.amdhsa_exception_int_div_zero 0
	.end_amdhsa_kernel
	.section	.text._ZN12_GLOBAL__N_120geam_min_plus_kernelId15HIP_vector_typeIdLj2EEdLi32ELi8ELi256ELi64ELi4ELi64ELi4ELi4ELi64ELc78ELc78ELb1ELb1ELb1EdKddEEviiiT16_PT17_ilS6_ilS4_S6_ilPT18_ili26rocblas_geam_ex_operation_,"axG",@progbits,_ZN12_GLOBAL__N_120geam_min_plus_kernelId15HIP_vector_typeIdLj2EEdLi32ELi8ELi256ELi64ELi4ELi64ELi4ELi4ELi64ELc78ELc78ELb1ELb1ELb1EdKddEEviiiT16_PT17_ilS6_ilS4_S6_ilPT18_ili26rocblas_geam_ex_operation_,comdat
.Lfunc_end160:
	.size	_ZN12_GLOBAL__N_120geam_min_plus_kernelId15HIP_vector_typeIdLj2EEdLi32ELi8ELi256ELi64ELi4ELi64ELi4ELi4ELi64ELc78ELc78ELb1ELb1ELb1EdKddEEviiiT16_PT17_ilS6_ilS4_S6_ilPT18_ili26rocblas_geam_ex_operation_, .Lfunc_end160-_ZN12_GLOBAL__N_120geam_min_plus_kernelId15HIP_vector_typeIdLj2EEdLi32ELi8ELi256ELi64ELi4ELi64ELi4ELi4ELi64ELc78ELc78ELb1ELb1ELb1EdKddEEviiiT16_PT17_ilS6_ilS4_S6_ilPT18_ili26rocblas_geam_ex_operation_
                                        ; -- End function
	.set _ZN12_GLOBAL__N_120geam_min_plus_kernelId15HIP_vector_typeIdLj2EEdLi32ELi8ELi256ELi64ELi4ELi64ELi4ELi4ELi64ELc78ELc78ELb1ELb1ELb1EdKddEEviiiT16_PT17_ilS6_ilS4_S6_ilPT18_ili26rocblas_geam_ex_operation_.num_vgpr, 230
	.set _ZN12_GLOBAL__N_120geam_min_plus_kernelId15HIP_vector_typeIdLj2EEdLi32ELi8ELi256ELi64ELi4ELi64ELi4ELi4ELi64ELc78ELc78ELb1ELb1ELb1EdKddEEviiiT16_PT17_ilS6_ilS4_S6_ilPT18_ili26rocblas_geam_ex_operation_.num_agpr, 0
	.set _ZN12_GLOBAL__N_120geam_min_plus_kernelId15HIP_vector_typeIdLj2EEdLi32ELi8ELi256ELi64ELi4ELi64ELi4ELi4ELi64ELc78ELc78ELb1ELb1ELb1EdKddEEviiiT16_PT17_ilS6_ilS4_S6_ilPT18_ili26rocblas_geam_ex_operation_.numbered_sgpr, 40
	.set _ZN12_GLOBAL__N_120geam_min_plus_kernelId15HIP_vector_typeIdLj2EEdLi32ELi8ELi256ELi64ELi4ELi64ELi4ELi4ELi64ELc78ELc78ELb1ELb1ELb1EdKddEEviiiT16_PT17_ilS6_ilS4_S6_ilPT18_ili26rocblas_geam_ex_operation_.num_named_barrier, 0
	.set _ZN12_GLOBAL__N_120geam_min_plus_kernelId15HIP_vector_typeIdLj2EEdLi32ELi8ELi256ELi64ELi4ELi64ELi4ELi4ELi64ELc78ELc78ELb1ELb1ELb1EdKddEEviiiT16_PT17_ilS6_ilS4_S6_ilPT18_ili26rocblas_geam_ex_operation_.private_seg_size, 0
	.set _ZN12_GLOBAL__N_120geam_min_plus_kernelId15HIP_vector_typeIdLj2EEdLi32ELi8ELi256ELi64ELi4ELi64ELi4ELi4ELi64ELc78ELc78ELb1ELb1ELb1EdKddEEviiiT16_PT17_ilS6_ilS4_S6_ilPT18_ili26rocblas_geam_ex_operation_.uses_vcc, 1
	.set _ZN12_GLOBAL__N_120geam_min_plus_kernelId15HIP_vector_typeIdLj2EEdLi32ELi8ELi256ELi64ELi4ELi64ELi4ELi4ELi64ELc78ELc78ELb1ELb1ELb1EdKddEEviiiT16_PT17_ilS6_ilS4_S6_ilPT18_ili26rocblas_geam_ex_operation_.uses_flat_scratch, 0
	.set _ZN12_GLOBAL__N_120geam_min_plus_kernelId15HIP_vector_typeIdLj2EEdLi32ELi8ELi256ELi64ELi4ELi64ELi4ELi4ELi64ELc78ELc78ELb1ELb1ELb1EdKddEEviiiT16_PT17_ilS6_ilS4_S6_ilPT18_ili26rocblas_geam_ex_operation_.has_dyn_sized_stack, 0
	.set _ZN12_GLOBAL__N_120geam_min_plus_kernelId15HIP_vector_typeIdLj2EEdLi32ELi8ELi256ELi64ELi4ELi64ELi4ELi4ELi64ELc78ELc78ELb1ELb1ELb1EdKddEEviiiT16_PT17_ilS6_ilS4_S6_ilPT18_ili26rocblas_geam_ex_operation_.has_recursion, 0
	.set _ZN12_GLOBAL__N_120geam_min_plus_kernelId15HIP_vector_typeIdLj2EEdLi32ELi8ELi256ELi64ELi4ELi64ELi4ELi4ELi64ELc78ELc78ELb1ELb1ELb1EdKddEEviiiT16_PT17_ilS6_ilS4_S6_ilPT18_ili26rocblas_geam_ex_operation_.has_indirect_call, 0
	.section	.AMDGPU.csdata,"",@progbits
; Kernel info:
; codeLenInByte = 26336
; TotalNumSgprs: 46
; NumVgprs: 230
; NumAgprs: 0
; TotalNumVgprs: 230
; ScratchSize: 0
; MemoryBound: 0
; FloatMode: 240
; IeeeMode: 1
; LDSByteSize: 20480 bytes/workgroup (compile time only)
; SGPRBlocks: 5
; VGPRBlocks: 28
; NumSGPRsForWavesPerEU: 46
; NumVGPRsForWavesPerEU: 230
; AccumOffset: 232
; Occupancy: 2
; WaveLimiterHint : 0
; COMPUTE_PGM_RSRC2:SCRATCH_EN: 0
; COMPUTE_PGM_RSRC2:USER_SGPR: 2
; COMPUTE_PGM_RSRC2:TRAP_HANDLER: 0
; COMPUTE_PGM_RSRC2:TGID_X_EN: 1
; COMPUTE_PGM_RSRC2:TGID_Y_EN: 0
; COMPUTE_PGM_RSRC2:TGID_Z_EN: 1
; COMPUTE_PGM_RSRC2:TIDIG_COMP_CNT: 1
; COMPUTE_PGM_RSRC3_GFX90A:ACCUM_OFFSET: 57
; COMPUTE_PGM_RSRC3_GFX90A:TG_SPLIT: 0
	.section	.text._ZN12_GLOBAL__N_120geam_min_plus_kernelId15HIP_vector_typeIdLj2EEdLi32ELi8ELi256ELi64ELi4ELi64ELi4ELi4ELi64ELc78ELc78ELb0ELb1ELb1EdKddEEviiiT16_PT17_ilS6_ilS4_S6_ilPT18_ili26rocblas_geam_ex_operation_,"axG",@progbits,_ZN12_GLOBAL__N_120geam_min_plus_kernelId15HIP_vector_typeIdLj2EEdLi32ELi8ELi256ELi64ELi4ELi64ELi4ELi4ELi64ELc78ELc78ELb0ELb1ELb1EdKddEEviiiT16_PT17_ilS6_ilS4_S6_ilPT18_ili26rocblas_geam_ex_operation_,comdat
	.globl	_ZN12_GLOBAL__N_120geam_min_plus_kernelId15HIP_vector_typeIdLj2EEdLi32ELi8ELi256ELi64ELi4ELi64ELi4ELi4ELi64ELc78ELc78ELb0ELb1ELb1EdKddEEviiiT16_PT17_ilS6_ilS4_S6_ilPT18_ili26rocblas_geam_ex_operation_ ; -- Begin function _ZN12_GLOBAL__N_120geam_min_plus_kernelId15HIP_vector_typeIdLj2EEdLi32ELi8ELi256ELi64ELi4ELi64ELi4ELi4ELi64ELc78ELc78ELb0ELb1ELb1EdKddEEviiiT16_PT17_ilS6_ilS4_S6_ilPT18_ili26rocblas_geam_ex_operation_
	.p2align	8
	.type	_ZN12_GLOBAL__N_120geam_min_plus_kernelId15HIP_vector_typeIdLj2EEdLi32ELi8ELi256ELi64ELi4ELi64ELi4ELi4ELi64ELc78ELc78ELb0ELb1ELb1EdKddEEviiiT16_PT17_ilS6_ilS4_S6_ilPT18_ili26rocblas_geam_ex_operation_,@function
_ZN12_GLOBAL__N_120geam_min_plus_kernelId15HIP_vector_typeIdLj2EEdLi32ELi8ELi256ELi64ELi4ELi64ELi4ELi4ELi64ELc78ELc78ELb0ELb1ELb1EdKddEEviiiT16_PT17_ilS6_ilS4_S6_ilPT18_ili26rocblas_geam_ex_operation_: ; @_ZN12_GLOBAL__N_120geam_min_plus_kernelId15HIP_vector_typeIdLj2EEdLi32ELi8ELi256ELi64ELi4ELi64ELi4ELi4ELi64ELc78ELc78ELb0ELb1ELb1EdKddEEviiiT16_PT17_ilS6_ilS4_S6_ilPT18_ili26rocblas_geam_ex_operation_
; %bb.0:
	s_load_dwordx4 s[28:31], s[0:1], 0x10
	s_load_dwordx4 s[4:7], s[0:1], 0x28
	s_mov_b64 s[34:35], 0
	s_waitcnt lgkmcnt(0)
	v_cmp_eq_f64_e64 s[8:9], s[28:29], 0
	s_and_b64 vcc, exec, s[8:9]
	s_cbranch_vccnz .LBB161_2
; %bb.1:
	s_mul_i32 s5, s5, s3
	s_mul_hi_u32 s10, s4, s3
	s_add_i32 s5, s10, s5
	s_mul_i32 s4, s4, s3
	s_lshl_b64 s[4:5], s[4:5], 3
	s_add_u32 s34, s30, s4
	s_addc_u32 s35, s31, s5
.LBB161_2:
	s_load_dwordx4 s[20:23], s[0:1], 0x40
	s_load_dwordx2 s[4:5], s[0:1], 0x50
	s_andn2_b64 vcc, exec, s[8:9]
	s_mov_b64 s[8:9], -1
	s_cbranch_vccnz .LBB161_4
; %bb.3:
	s_mov_b64 s[8:9], 0
.LBB161_4:
	s_mov_b64 s[30:31], 0
	s_andn2_b64 vcc, exec, s[8:9]
	s_mov_b64 s[36:37], 0
	s_cbranch_vccnz .LBB161_6
; %bb.5:
	s_waitcnt lgkmcnt(0)
	s_mul_i32 s8, s21, s3
	s_mul_hi_u32 s9, s20, s3
	s_add_i32 s9, s9, s8
	s_mul_i32 s8, s20, s3
	s_lshl_b64 s[8:9], s[8:9], 3
	s_add_u32 s36, s6, s8
	s_addc_u32 s37, s7, s9
.LBB161_6:
	s_load_dwordx4 s[16:19], s[0:1], 0x60
	s_waitcnt lgkmcnt(0)
	v_cmp_eq_f64_e64 s[6:7], s[22:23], 0
	v_cmp_neq_f64_e64 s[20:21], s[22:23], 0
	s_and_b64 vcc, exec, s[6:7]
	s_cbranch_vccnz .LBB161_8
; %bb.7:
	s_mul_i32 s6, s17, s3
	s_mul_hi_u32 s7, s16, s3
	s_add_i32 s7, s7, s6
	s_mul_i32 s6, s16, s3
	s_lshl_b64 s[6:7], s[6:7], 3
	s_add_u32 s30, s4, s6
	s_addc_u32 s31, s5, s7
.LBB161_8:
	s_load_dwordx4 s[24:27], s[0:1], 0x0
	v_and_b32_e32 v142, 0x3ff, v0
	v_bfe_u32 v143, v0, 10, 10
	s_waitcnt lgkmcnt(0)
	s_load_dword s27, s[0:1], 0x20
	v_lshl_add_u32 v10, v143, 5, v142
	s_add_i32 s4, s24, -1
	s_ashr_i32 s5, s4, 31
	s_lshr_b32 s5, s5, 24
	s_add_i32 s4, s4, s5
	s_ashr_i32 s4, s4, 8
	s_add_i32 s5, s4, 1
	v_cvt_f32_u32_e32 v1, s5
	s_not_b32 s4, s4
	v_and_b32_e32 v12, 63, v10
	v_lshrrev_b32_e32 v144, 6, v10
	v_rcp_iflag_f32_e32 v0, v1
	v_cmp_le_i32_e64 s[8:9], s26, v144
	v_cmp_eq_f64_e64 s[16:17], s[28:29], 0
	v_mov_b32_e32 v2, 0x7fefffff
	v_mul_f32_e32 v0, 0x4f7ffffe, v0
	v_cvt_u32_f32_e32 v0, v0
	s_nop 0
	v_readfirstlane_b32 s6, v0
	s_mul_i32 s4, s4, s6
	s_mul_hi_u32 s4, s6, s4
	s_add_i32 s6, s6, s4
	s_mul_hi_u32 s4, s2, s6
	s_mul_i32 s6, s4, s5
	s_sub_i32 s6, s2, s6
	s_add_i32 s7, s4, 1
	s_sub_i32 s10, s6, s5
	s_cmp_ge_u32 s6, s5
	s_cselect_b32 s4, s7, s4
	s_cselect_b32 s6, s10, s6
	s_add_i32 s7, s4, 1
	s_cmp_ge_u32 s6, s5
	s_cselect_b32 s10, s7, s4
	s_mul_i32 s4, s10, s5
	s_sub_i32 s2, s2, s4
	s_add_i32 s38, s26, -1
	s_lshl_b32 s2, s2, 8
	v_min_i32_e32 v0, s38, v144
	v_or_b32_e32 v128, s2, v12
	s_waitcnt lgkmcnt(0)
	v_mad_i64_i32 v[0:1], s[4:5], s27, v0, 0
	v_cmp_le_i32_e32 vcc, s24, v128
	s_or_b64 s[4:5], vcc, s[8:9]
	v_lshl_add_u64 v[8:9], v[0:1], 3, s[34:35]
	v_cndmask_b32_e64 v1, 0, v2, s[4:5]
	s_nor_b64 s[6:7], s[16:17], s[4:5]
	v_cndmask_b32_e64 v0, 0, -1, s[4:5]
	v_ashrrev_i32_e32 v129, 31, v128
	s_and_saveexec_b64 s[4:5], s[6:7]
	s_cbranch_execz .LBB161_10
; %bb.9:
	v_lshl_add_u64 v[0:1], v[128:129], 3, v[8:9]
	global_load_dwordx2 v[0:1], v[0:1], off
	s_waitcnt vmcnt(0)
	v_mul_f64 v[0:1], s[28:29], v[0:1]
.LBB161_10:
	s_or_b64 exec, exec, s[4:5]
	v_or_b32_e32 v3, 64, v128
	v_cmp_le_i32_e64 s[12:13], s24, v3
	s_or_b64 s[4:5], s[12:13], s[8:9]
	v_cndmask_b32_e64 v3, 0, v2, s[4:5]
	s_nor_b64 s[6:7], s[16:17], s[4:5]
	v_cndmask_b32_e64 v2, 0, -1, s[4:5]
	s_and_saveexec_b64 s[4:5], s[6:7]
	s_cbranch_execz .LBB161_12
; %bb.11:
	v_lshl_add_u64 v[2:3], v[128:129], 3, v[8:9]
	global_load_dwordx2 v[2:3], v[2:3], off offset:512
	s_waitcnt vmcnt(0)
	v_mul_f64 v[2:3], s[28:29], v[2:3]
.LBB161_12:
	s_or_b64 exec, exec, s[4:5]
	v_or_b32_e32 v4, 0x80, v128
	v_cmp_le_i32_e64 s[4:5], s24, v4
	v_mov_b32_e32 v6, 0x7fefffff
	s_or_b64 s[6:7], s[4:5], s[8:9]
	v_cndmask_b32_e64 v5, 0, v6, s[6:7]
	s_nor_b64 s[14:15], s[16:17], s[6:7]
	v_cndmask_b32_e64 v4, 0, -1, s[6:7]
	s_and_saveexec_b64 s[6:7], s[14:15]
	s_cbranch_execz .LBB161_14
; %bb.13:
	v_lshl_add_u64 v[4:5], v[128:129], 3, v[8:9]
	global_load_dwordx2 v[4:5], v[4:5], off offset:1024
	s_waitcnt vmcnt(0)
	v_mul_f64 v[4:5], s[28:29], v[4:5]
.LBB161_14:
	s_or_b64 exec, exec, s[6:7]
	v_or_b32_e32 v7, 0xc0, v128
	v_cmp_le_i32_e64 s[6:7], s24, v7
	s_or_b64 s[8:9], s[6:7], s[8:9]
	v_cndmask_b32_e64 v7, 0, v6, s[8:9]
	s_nor_b64 s[14:15], s[16:17], s[8:9]
	v_cndmask_b32_e64 v6, 0, -1, s[8:9]
	s_and_saveexec_b64 s[8:9], s[14:15]
	s_cbranch_execz .LBB161_16
; %bb.15:
	v_lshl_add_u64 v[6:7], v[128:129], 3, v[8:9]
	global_load_dwordx2 v[6:7], v[6:7], off offset:1536
	s_waitcnt vmcnt(0)
	v_mul_f64 v[6:7], s[28:29], v[6:7]
.LBB161_16:
	s_or_b64 exec, exec, s[8:9]
	s_load_dword s40, s[0:1], 0x38
	v_lshrrev_b32_e32 v13, 2, v10
	s_lshl_b32 s33, s10, 6
	v_and_b32_e32 v147, 3, v142
	v_add_u32_e32 v101, s33, v13
	v_cmp_le_i32_e64 s[10:11], s26, v147
	v_cmp_le_i32_e64 s[8:9], s25, v101
	v_mov_b32_e32 v14, 0x7fefffff
	s_or_b64 s[10:11], s[10:11], s[8:9]
	v_cndmask_b32_e64 v9, 0, v14, s[10:11]
	s_nor_b64 s[14:15], s[16:17], s[10:11]
	v_cndmask_b32_e64 v8, 0, -1, s[10:11]
	s_and_saveexec_b64 s[10:11], s[14:15]
	s_cbranch_execz .LBB161_18
; %bb.17:
	s_waitcnt lgkmcnt(0)
	v_mad_i64_i32 v[8:9], s[14:15], v101, s40, 0
	v_min_u32_e32 v10, s38, v147
	v_lshl_add_u64 v[8:9], v[8:9], 3, s[36:37]
	v_lshlrev_b32_e32 v10, 3, v10
	v_mov_b32_e32 v11, 0
	v_lshl_add_u64 v[8:9], v[8:9], 0, v[10:11]
	global_load_dwordx2 v[8:9], v[8:9], off
	s_waitcnt vmcnt(0)
	v_mul_f64 v[8:9], s[28:29], v[8:9]
.LBB161_18:
	s_or_b64 exec, exec, s[10:11]
	v_add_u32_e32 v10, 4, v144
	v_cmp_le_i32_e64 s[10:11], s26, v10
	v_min_i32_e32 v10, s38, v10
	v_mad_i64_i32 v[10:11], s[14:15], s27, v10, 0
	s_or_b64 s[14:15], vcc, s[10:11]
	v_lshl_add_u64 v[10:11], v[10:11], 3, s[34:35]
	v_cndmask_b32_e64 v105, 0, v14, s[14:15]
	s_nor_b64 s[42:43], s[16:17], s[14:15]
	v_cndmask_b32_e64 v104, 0, -1, s[14:15]
	s_and_saveexec_b64 s[14:15], s[42:43]
	s_cbranch_execz .LBB161_20
; %bb.19:
	v_lshl_add_u64 v[14:15], v[128:129], 3, v[10:11]
	global_load_dwordx2 v[14:15], v[14:15], off
	s_waitcnt vmcnt(0)
	v_mul_f64 v[104:105], s[28:29], v[14:15]
.LBB161_20:
	s_or_b64 exec, exec, s[14:15]
	v_mov_b32_e32 v14, 0x7fefffff
	s_or_b64 s[14:15], s[12:13], s[10:11]
	v_cndmask_b32_e64 v107, 0, v14, s[14:15]
	s_nor_b64 s[42:43], s[16:17], s[14:15]
	v_cndmask_b32_e64 v106, 0, -1, s[14:15]
	s_and_saveexec_b64 s[14:15], s[42:43]
	s_cbranch_execz .LBB161_22
; %bb.21:
	v_lshl_add_u64 v[16:17], v[128:129], 3, v[10:11]
	global_load_dwordx2 v[16:17], v[16:17], off offset:512
	s_waitcnt vmcnt(0)
	v_mul_f64 v[106:107], s[28:29], v[16:17]
.LBB161_22:
	s_or_b64 exec, exec, s[14:15]
	s_or_b64 s[14:15], s[4:5], s[10:11]
	v_cndmask_b32_e64 v109, 0, v14, s[14:15]
	s_nor_b64 s[42:43], s[16:17], s[14:15]
	v_cndmask_b32_e64 v108, 0, -1, s[14:15]
	s_and_saveexec_b64 s[14:15], s[42:43]
	s_cbranch_execz .LBB161_24
; %bb.23:
	v_lshl_add_u64 v[14:15], v[128:129], 3, v[10:11]
	global_load_dwordx2 v[14:15], v[14:15], off offset:1024
	s_waitcnt vmcnt(0)
	v_mul_f64 v[108:109], s[28:29], v[14:15]
.LBB161_24:
	s_or_b64 exec, exec, s[14:15]
	v_mov_b32_e32 v14, 0x7fefffff
	s_or_b64 s[10:11], s[6:7], s[10:11]
	v_cndmask_b32_e64 v111, 0, v14, s[10:11]
	s_nor_b64 s[14:15], s[16:17], s[10:11]
	v_cndmask_b32_e64 v110, 0, -1, s[10:11]
	s_and_saveexec_b64 s[10:11], s[14:15]
	s_cbranch_execz .LBB161_26
; %bb.25:
	v_lshl_add_u64 v[10:11], v[128:129], 3, v[10:11]
	global_load_dwordx2 v[10:11], v[10:11], off offset:1536
	s_waitcnt vmcnt(0)
	v_mul_f64 v[110:111], s[28:29], v[10:11]
.LBB161_26:
	s_or_b64 exec, exec, s[10:11]
	v_or_b32_e32 v10, 4, v147
	v_cmp_le_i32_e64 s[10:11], s26, v10
	s_or_b64 s[10:11], s[10:11], s[8:9]
	s_nor_b64 s[14:15], s[16:17], s[10:11]
	v_cndmask_b32_e64 v103, 0, v14, s[10:11]
	v_cndmask_b32_e64 v102, 0, -1, s[10:11]
	s_and_saveexec_b64 s[10:11], s[14:15]
	s_cbranch_execz .LBB161_28
; %bb.27:
	s_waitcnt lgkmcnt(0)
	v_mad_i64_i32 v[14:15], s[14:15], v101, s40, 0
	v_min_u32_e32 v10, s38, v10
	v_lshl_add_u64 v[14:15], v[14:15], 3, s[36:37]
	v_lshlrev_b32_e32 v10, 3, v10
	v_mov_b32_e32 v11, 0
	v_lshl_add_u64 v[10:11], v[14:15], 0, v[10:11]
	global_load_dwordx2 v[10:11], v[10:11], off
	s_waitcnt vmcnt(0)
	v_mul_f64 v[102:103], s[28:29], v[10:11]
.LBB161_28:
	s_or_b64 exec, exec, s[10:11]
	v_lshlrev_b32_e32 v10, 5, v12
	v_lshlrev_b32_e32 v100, 3, v147
	v_lshl_add_u32 v163, v144, 3, v10
	v_lshl_or_b32 v112, v13, 5, v100
	v_lshlrev_b32_e32 v146, 5, v142
	ds_write2st64_b64 v163, v[0:1], v[2:3] offset1:4
	ds_write2st64_b64 v163, v[4:5], v[6:7] offset0:8 offset1:12
	ds_write_b64 v112, v[8:9] offset:16384
	s_waitcnt lgkmcnt(0)
	s_barrier
	v_lshlrev_b32_e32 v145, 5, v143
	ds_read_b128 v[32:35], v146 offset:1024
	ds_read_b128 v[28:31], v146 offset:2048
	;; [unrolled: 1-line block ×12, first 2 shown]
	ds_read_b128 v[40:43], v146
	ds_read_b128 v[96:99], v145 offset:16384
	ds_read_b128 v[44:47], v145 offset:17920
	;; [unrolled: 1-line block ×5, first 2 shown]
	s_waitcnt lgkmcnt(5)
	v_add_f64 v[114:115], v[42:43], v[94:95]
	v_add_f64 v[116:117], v[40:41], v[92:93]
	s_mov_b32 s10, 0x7f800000
	v_cvt_f32_f64_e32 v116, v[116:117]
	v_cvt_f32_f64_e32 v114, v[114:115]
	v_min3_f32 v178, v116, v114, s10
	v_add_f64 v[114:115], v[34:35], v[94:95]
	v_add_f64 v[116:117], v[32:33], v[92:93]
	v_cvt_f32_f64_e32 v116, v[116:117]
	v_cvt_f32_f64_e32 v114, v[114:115]
	v_min3_f32 v179, v116, v114, s10
	v_add_f64 v[114:115], v[30:31], v[94:95]
	v_add_f64 v[116:117], v[28:29], v[92:93]
	;; [unrolled: 5-line block ×34, first 2 shown]
	v_cvt_f32_f64_e32 v116, v[116:117]
	v_cvt_f32_f64_e32 v114, v[114:115]
	v_min3_f32 v120, v116, v114, s10
	s_waitcnt lgkmcnt(3)
	v_add_f64 v[114:115], v[42:43], v[46:47]
	v_add_f64 v[116:117], v[40:41], v[44:45]
	v_cvt_f32_f64_e32 v116, v[116:117]
	v_cvt_f32_f64_e32 v114, v[114:115]
	v_min3_f32 v126, v116, v114, s10
	v_add_f64 v[114:115], v[34:35], v[46:47]
	v_add_f64 v[116:117], v[32:33], v[44:45]
	v_cvt_f32_f64_e32 v116, v[116:117]
	v_cvt_f32_f64_e32 v114, v[114:115]
	v_min3_f32 v123, v116, v114, s10
	;; [unrolled: 5-line block ×3, first 2 shown]
	v_add_f64 v[114:115], v[26:27], v[46:47]
	v_add_f64 v[116:117], v[24:25], v[44:45]
	v_cvt_f32_f64_e32 v116, v[116:117]
	v_cvt_f32_f64_e32 v114, v[114:115]
	v_add_f64 v[56:57], v[42:43], v[98:99]
	v_add_f64 v[58:59], v[40:41], v[96:97]
	v_min3_f32 v119, v116, v114, s10
	v_add_f64 v[114:115], v[22:23], v[46:47]
	v_add_f64 v[116:117], v[20:21], v[44:45]
	v_cvt_f32_f64_e32 v58, v[58:59]
	v_cvt_f32_f64_e32 v56, v[56:57]
	;; [unrolled: 1-line block ×4, first 2 shown]
	v_min3_f32 v113, v58, v56, s10
	ds_read_b128 v[56:59], v146 offset:1040
	v_add_f64 v[60:61], v[34:35], v[98:99]
	v_add_f64 v[62:63], v[32:33], v[96:97]
	v_min3_f32 v117, v116, v114, s10
	v_add_f64 v[114:115], v[18:19], v[46:47]
	v_add_f64 v[170:171], v[16:17], v[44:45]
	v_cvt_f32_f64_e32 v62, v[62:63]
	v_cvt_f32_f64_e32 v60, v[60:61]
	;; [unrolled: 1-line block ×4, first 2 shown]
	v_min3_f32 v169, v62, v60, s10
	ds_read_b128 v[60:63], v146 offset:2064
	v_add_f64 v[64:65], v[30:31], v[98:99]
	v_add_f64 v[66:67], v[28:29], v[96:97]
	;; [unrolled: 1-line block ×22, first 2 shown]
	v_min3_f32 v116, v116, v114, s10
	v_add_f64 v[114:115], v[14:15], v[46:47]
	v_add_f64 v[170:171], v[12:13], v[44:45]
	;; [unrolled: 1-line block ×4, first 2 shown]
	s_waitcnt lgkmcnt(4)
	v_add_f64 v[14:15], v[14:15], v[38:39]
	v_add_f64 v[12:13], v[12:13], v[36:37]
	;; [unrolled: 1-line block ×4, first 2 shown]
	v_cvt_f32_f64_e32 v66, v[66:67]
	v_cvt_f32_f64_e32 v64, v[64:65]
	;; [unrolled: 1-line block ×6, first 2 shown]
	s_waitcnt lgkmcnt(2)
	v_add_f64 v[10:11], v[2:3], v[6:7]
	v_add_f64 v[14:15], v[0:1], v[4:5]
	v_min3_f32 v172, v66, v64, s10
	ds_read_b128 v[64:67], v146 offset:3088
	v_cvt_f32_f64_e32 v170, v[170:171]
	v_cvt_f32_f64_e32 v114, v[114:115]
	v_cvt_f32_f64_e32 v44, v[44:45]
	v_cvt_f32_f64_e32 v45, v[46:47]
	v_min3_f32 v8, v8, v9, s10
	v_cvt_f32_f64_e32 v9, v[14:15]
	v_cvt_f32_f64_e32 v10, v[10:11]
	;; [unrolled: 1-line block ×4, first 2 shown]
	v_min3_f32 v115, v170, v114, s10
	v_min3_f32 v114, v44, v45, s10
	ds_read_b128 v[44:47], v145 offset:18192
	v_min3_f32 v219, v9, v10, v113
	s_waitcnt lgkmcnt(3)
	v_add_f64 v[10:11], v[58:59], v[6:7]
	v_add_f64 v[14:15], v[56:57], v[4:5]
	v_min3_f32 v173, v70, v68, s10
	ds_read_b128 v[68:71], v146 offset:4112
	v_cvt_f32_f64_e32 v9, v[14:15]
	v_cvt_f32_f64_e32 v10, v[10:11]
	v_cvt_f32_f64_e32 v74, v[74:75]
	v_cvt_f32_f64_e32 v72, v[72:73]
	v_min3_f32 v218, v9, v10, v169
	s_waitcnt lgkmcnt(3)
	v_add_f64 v[10:11], v[62:63], v[6:7]
	v_add_f64 v[14:15], v[60:61], v[4:5]
	v_min3_f32 v174, v74, v72, s10
	ds_read_b128 v[72:75], v146 offset:5136
	v_cvt_f32_f64_e32 v9, v[14:15]
	v_cvt_f32_f64_e32 v10, v[10:11]
	;; [unrolled: 1-line block ×6, first 2 shown]
	v_min3_f32 v217, v9, v10, v172
	s_waitcnt lgkmcnt(3)
	v_add_f64 v[10:11], v[66:67], v[6:7]
	v_add_f64 v[14:15], v[64:65], v[4:5]
	v_min3_f32 v175, v78, v76, s10
	ds_read_b128 v[76:79], v146 offset:6160
	v_min3_f32 v176, v82, v80, s10
	ds_read_b128 v[80:83], v146 offset:7184
	v_cvt_f32_f64_e32 v9, v[14:15]
	v_cvt_f32_f64_e32 v10, v[10:11]
	;; [unrolled: 1-line block ×4, first 2 shown]
	v_min3_f32 v216, v9, v10, v173
	s_waitcnt lgkmcnt(3)
	v_add_f64 v[10:11], v[70:71], v[6:7]
	v_add_f64 v[14:15], v[68:69], v[4:5]
	v_min3_f32 v177, v96, v97, s10
	ds_read_b128 v[96:99], v145 offset:16656
	v_cvt_f32_f64_e32 v9, v[14:15]
	v_cvt_f32_f64_e32 v10, v[10:11]
	v_min3_f32 v215, v9, v10, v174
	s_waitcnt lgkmcnt(3)
	v_add_f64 v[10:11], v[74:75], v[6:7]
	v_add_f64 v[14:15], v[72:73], v[4:5]
	v_cvt_f32_f64_e32 v9, v[14:15]
	v_cvt_f32_f64_e32 v10, v[10:11]
	v_min3_f32 v207, v9, v10, v175
	s_waitcnt lgkmcnt(2)
	v_add_f64 v[10:11], v[78:79], v[6:7]
	v_add_f64 v[14:15], v[76:77], v[4:5]
	s_waitcnt lgkmcnt(1)
	v_add_f64 v[6:7], v[82:83], v[6:7]
	v_add_f64 v[4:5], v[80:81], v[4:5]
	v_cvt_f32_f64_e32 v92, v[92:93]
	v_cvt_f32_f64_e32 v93, v[94:95]
	;; [unrolled: 1-line block ×4, first 2 shown]
	v_min3_f32 v157, v92, v93, s10
	ds_read_b128 v[92:95], v145 offset:16912
	v_min3_f32 v205, v4, v5, v177
	s_waitcnt lgkmcnt(1)
	v_add_f64 v[4:5], v[2:3], v[98:99]
	v_add_f64 v[6:7], v[0:1], v[96:97]
	v_cvt_f32_f64_e32 v6, v[6:7]
	v_cvt_f32_f64_e32 v4, v[4:5]
	v_min3_f32 v204, v6, v4, v178
	v_add_f64 v[4:5], v[58:59], v[98:99]
	v_add_f64 v[6:7], v[56:57], v[96:97]
	v_cvt_f32_f64_e32 v6, v[6:7]
	v_cvt_f32_f64_e32 v4, v[4:5]
	v_min3_f32 v203, v6, v4, v179
	;; [unrolled: 5-line block ×8, first 2 shown]
	s_waitcnt lgkmcnt(0)
	v_add_f64 v[4:5], v[2:3], v[94:95]
	v_add_f64 v[6:7], v[0:1], v[92:93]
	v_cvt_f32_f64_e32 v6, v[6:7]
	v_cvt_f32_f64_e32 v4, v[4:5]
	v_min3_f32 v196, v6, v4, v166
	v_add_f64 v[4:5], v[58:59], v[94:95]
	v_add_f64 v[6:7], v[56:57], v[92:93]
	v_cvt_f32_f64_e32 v6, v[6:7]
	v_cvt_f32_f64_e32 v4, v[4:5]
	v_min3_f32 v195, v6, v4, v164
	;; [unrolled: 5-line block ×4, first 2 shown]
	v_add_f64 v[4:5], v[70:71], v[94:95]
	v_add_f64 v[6:7], v[68:69], v[92:93]
	v_cvt_f32_f64_e32 v6, v[6:7]
	v_cvt_f32_f64_e32 v4, v[4:5]
	v_cvt_f32_f64_e32 v88, v[88:89]
	v_cvt_f32_f64_e32 v89, v[90:91]
	v_min3_f32 v192, v6, v4, v156
	v_add_f64 v[4:5], v[74:75], v[94:95]
	v_add_f64 v[6:7], v[72:73], v[92:93]
	v_min3_f32 v149, v88, v89, s10
	ds_read_b128 v[88:91], v145 offset:17168
	v_cvt_f32_f64_e32 v6, v[6:7]
	v_cvt_f32_f64_e32 v4, v[4:5]
	v_min3_f32 v191, v6, v4, v154
	v_add_f64 v[4:5], v[78:79], v[94:95]
	v_add_f64 v[6:7], v[76:77], v[92:93]
	v_cvt_f32_f64_e32 v6, v[6:7]
	v_cvt_f32_f64_e32 v4, v[4:5]
	v_min3_f32 v190, v6, v4, v152
	v_add_f64 v[4:5], v[82:83], v[94:95]
	v_add_f64 v[6:7], v[80:81], v[92:93]
	v_cvt_f32_f64_e32 v84, v[84:85]
	v_cvt_f32_f64_e32 v85, v[86:87]
	;; [unrolled: 1-line block ×4, first 2 shown]
	v_min3_f32 v135, v84, v85, s10
	ds_read_b128 v[84:87], v145 offset:17424
	v_min3_f32 v189, v6, v4, v149
	s_waitcnt lgkmcnt(1)
	v_add_f64 v[4:5], v[2:3], v[90:91]
	v_add_f64 v[6:7], v[0:1], v[88:89]
	v_cvt_f32_f64_e32 v6, v[6:7]
	v_cvt_f32_f64_e32 v4, v[4:5]
	v_min3_f32 v188, v6, v4, v158
	v_add_f64 v[4:5], v[58:59], v[90:91]
	v_add_f64 v[6:7], v[56:57], v[88:89]
	v_cvt_f32_f64_e32 v6, v[6:7]
	v_cvt_f32_f64_e32 v4, v[4:5]
	v_min3_f32 v187, v6, v4, v155
	v_add_f64 v[4:5], v[62:63], v[90:91]
	v_add_f64 v[6:7], v[60:61], v[88:89]
	v_cvt_f32_f64_e32 v6, v[6:7]
	v_cvt_f32_f64_e32 v4, v[4:5]
	v_min3_f32 v186, v6, v4, v153
	v_add_f64 v[4:5], v[66:67], v[90:91]
	v_add_f64 v[6:7], v[64:65], v[88:89]
	v_cvt_f32_f64_e32 v6, v[6:7]
	v_cvt_f32_f64_e32 v4, v[4:5]
	v_min3_f32 v185, v6, v4, v151
	v_add_f64 v[4:5], v[70:71], v[90:91]
	v_add_f64 v[6:7], v[68:69], v[88:89]
	v_cvt_f32_f64_e32 v6, v[6:7]
	v_cvt_f32_f64_e32 v4, v[4:5]
	v_min3_f32 v184, v6, v4, v148
	v_add_f64 v[4:5], v[74:75], v[90:91]
	v_add_f64 v[6:7], v[72:73], v[88:89]
	v_cvt_f32_f64_e32 v6, v[6:7]
	v_cvt_f32_f64_e32 v4, v[4:5]
	v_min3_f32 v183, v6, v4, v140
	v_add_f64 v[4:5], v[78:79], v[90:91]
	v_add_f64 v[6:7], v[76:77], v[88:89]
	v_cvt_f32_f64_e32 v6, v[6:7]
	v_cvt_f32_f64_e32 v4, v[4:5]
	v_min3_f32 v182, v6, v4, v138
	v_add_f64 v[4:5], v[82:83], v[90:91]
	v_add_f64 v[6:7], v[80:81], v[88:89]
	v_cvt_f32_f64_e32 v6, v[6:7]
	v_cvt_f32_f64_e32 v4, v[4:5]
	v_min3_f32 v181, v6, v4, v135
	s_waitcnt lgkmcnt(0)
	v_add_f64 v[4:5], v[2:3], v[86:87]
	v_add_f64 v[6:7], v[0:1], v[84:85]
	v_cvt_f32_f64_e32 v6, v[6:7]
	v_cvt_f32_f64_e32 v4, v[4:5]
	v_min3_f32 v180, v6, v4, v150
	v_add_f64 v[4:5], v[58:59], v[86:87]
	v_add_f64 v[6:7], v[56:57], v[84:85]
	v_cvt_f32_f64_e32 v6, v[6:7]
	v_cvt_f32_f64_e32 v4, v[4:5]
	v_min3_f32 v179, v6, v4, v141
	;; [unrolled: 5-line block ×4, first 2 shown]
	v_add_f64 v[4:5], v[70:71], v[86:87]
	v_add_f64 v[6:7], v[68:69], v[84:85]
	v_cvt_f32_f64_e32 v9, v[14:15]
	v_cvt_f32_f64_e32 v10, v[10:11]
	v_cvt_f32_f64_e32 v6, v[6:7]
	v_cvt_f32_f64_e32 v4, v[4:5]
	v_cvt_f32_f64_e32 v52, v[52:53]
	v_cvt_f32_f64_e32 v53, v[54:55]
	v_min3_f32 v206, v9, v10, v176
	v_min3_f32 v176, v6, v4, v134
	v_add_f64 v[4:5], v[74:75], v[86:87]
	v_add_f64 v[6:7], v[72:73], v[84:85]
	v_min3_f32 v125, v52, v53, s10
	ds_read_b128 v[52:55], v145 offset:17680
	v_cvt_f32_f64_e32 v6, v[6:7]
	v_cvt_f32_f64_e32 v4, v[4:5]
	v_min3_f32 v175, v6, v4, v132
	v_add_f64 v[4:5], v[78:79], v[86:87]
	v_add_f64 v[6:7], v[76:77], v[84:85]
	v_cvt_f32_f64_e32 v6, v[6:7]
	v_cvt_f32_f64_e32 v4, v[4:5]
	v_min3_f32 v174, v6, v4, v130
	v_add_f64 v[4:5], v[82:83], v[86:87]
	v_add_f64 v[6:7], v[80:81], v[84:85]
	v_cvt_f32_f64_e32 v48, v[48:49]
	v_cvt_f32_f64_e32 v49, v[50:51]
	;; [unrolled: 1-line block ×4, first 2 shown]
	v_min3_f32 v118, v48, v49, s10
	ds_read_b128 v[48:51], v145 offset:17936
	v_min3_f32 v173, v6, v4, v125
	s_waitcnt lgkmcnt(1)
	v_add_f64 v[4:5], v[2:3], v[54:55]
	v_add_f64 v[6:7], v[0:1], v[52:53]
	v_cvt_f32_f64_e32 v6, v[6:7]
	v_cvt_f32_f64_e32 v4, v[4:5]
	v_min3_f32 v172, v6, v4, v136
	v_add_f64 v[4:5], v[58:59], v[54:55]
	v_add_f64 v[6:7], v[56:57], v[52:53]
	v_cvt_f32_f64_e32 v6, v[6:7]
	v_cvt_f32_f64_e32 v4, v[4:5]
	v_min3_f32 v171, v6, v4, v133
	v_add_f64 v[4:5], v[62:63], v[54:55]
	v_add_f64 v[6:7], v[60:61], v[52:53]
	v_cvt_f32_f64_e32 v6, v[6:7]
	v_cvt_f32_f64_e32 v4, v[4:5]
	v_min3_f32 v170, v6, v4, v131
	v_add_f64 v[4:5], v[66:67], v[54:55]
	v_add_f64 v[6:7], v[64:65], v[52:53]
	v_cvt_f32_f64_e32 v6, v[6:7]
	v_cvt_f32_f64_e32 v4, v[4:5]
	v_min3_f32 v169, v6, v4, v127
	v_add_f64 v[4:5], v[70:71], v[54:55]
	v_add_f64 v[6:7], v[68:69], v[52:53]
	v_cvt_f32_f64_e32 v6, v[6:7]
	v_cvt_f32_f64_e32 v4, v[4:5]
	v_min3_f32 v168, v6, v4, v124
	v_add_f64 v[4:5], v[74:75], v[54:55]
	v_add_f64 v[6:7], v[72:73], v[52:53]
	v_cvt_f32_f64_e32 v6, v[6:7]
	v_cvt_f32_f64_e32 v4, v[4:5]
	v_min3_f32 v167, v6, v4, v122
	v_add_f64 v[4:5], v[78:79], v[54:55]
	v_add_f64 v[6:7], v[76:77], v[52:53]
	v_cvt_f32_f64_e32 v6, v[6:7]
	v_cvt_f32_f64_e32 v4, v[4:5]
	v_min3_f32 v166, v6, v4, v120
	v_add_f64 v[4:5], v[82:83], v[54:55]
	v_add_f64 v[6:7], v[80:81], v[52:53]
	;; [unrolled: 1-line block ×4, first 2 shown]
	v_cvt_f32_f64_e32 v6, v[6:7]
	v_cvt_f32_f64_e32 v4, v[4:5]
	;; [unrolled: 1-line block ×4, first 2 shown]
	v_min3_f32 v165, v6, v4, v118
	s_waitcnt lgkmcnt(0)
	v_add_f64 v[4:5], v[2:3], v[50:51]
	v_add_f64 v[6:7], v[0:1], v[48:49]
	;; [unrolled: 1-line block ×4, first 2 shown]
	v_min3_f32 v40, v40, v41, s10
	v_add_f64 v[34:35], v[34:35], v[38:39]
	v_add_f64 v[32:33], v[32:33], v[36:37]
	v_cvt_f32_f64_e32 v6, v[6:7]
	v_cvt_f32_f64_e32 v4, v[4:5]
	v_cvt_f32_f64_e32 v0, v[0:1]
	v_cvt_f32_f64_e32 v1, v[2:3]
	v_cvt_f32_f64_e32 v32, v[32:33]
	v_cvt_f32_f64_e32 v33, v[34:35]
	v_min3_f32 v164, v6, v4, v126
	v_add_f64 v[4:5], v[58:59], v[50:51]
	v_add_f64 v[6:7], v[56:57], v[48:49]
	v_min3_f32 v155, v0, v1, v40
	v_add_f64 v[0:1], v[58:59], v[46:47]
	v_add_f64 v[2:3], v[56:57], v[44:45]
	v_min3_f32 v32, v32, v33, s10
	v_add_f64 v[30:31], v[30:31], v[38:39]
	v_add_f64 v[28:29], v[28:29], v[36:37]
	v_cvt_f32_f64_e32 v6, v[6:7]
	v_cvt_f32_f64_e32 v4, v[4:5]
	v_cvt_f32_f64_e32 v2, v[2:3]
	v_cvt_f32_f64_e32 v0, v[0:1]
	v_cvt_f32_f64_e32 v28, v[28:29]
	v_cvt_f32_f64_e32 v29, v[30:31]
	v_min3_f32 v162, v6, v4, v123
	v_add_f64 v[4:5], v[62:63], v[50:51]
	v_add_f64 v[6:7], v[60:61], v[48:49]
	v_min3_f32 v154, v2, v0, v32
	v_add_f64 v[0:1], v[62:63], v[46:47]
	v_add_f64 v[2:3], v[60:61], v[44:45]
	;; [unrolled: 15-line block ×5, first 2 shown]
	v_min3_f32 v16, v16, v17, s10
	v_cvt_f32_f64_e32 v6, v[6:7]
	v_cvt_f32_f64_e32 v4, v[4:5]
	;; [unrolled: 1-line block ×4, first 2 shown]
	v_min3_f32 v158, v6, v4, v116
	v_add_f64 v[4:5], v[78:79], v[50:51]
	v_add_f64 v[6:7], v[76:77], v[48:49]
	v_min3_f32 v150, v2, v0, v16
	v_add_f64 v[0:1], v[78:79], v[46:47]
	v_add_f64 v[2:3], v[76:77], v[44:45]
	v_min3_f32 v12, v12, v13, s10
	v_cvt_f32_f64_e32 v6, v[6:7]
	v_cvt_f32_f64_e32 v4, v[4:5]
	;; [unrolled: 1-line block ×4, first 2 shown]
	v_min3_f32 v157, v6, v4, v115
	v_add_f64 v[4:5], v[82:83], v[50:51]
	v_add_f64 v[6:7], v[80:81], v[48:49]
	v_min3_f32 v149, v2, v0, v12
	v_add_f64 v[0:1], v[82:83], v[46:47]
	v_add_f64 v[2:3], v[80:81], v[44:45]
	v_cvt_f32_f64_e32 v6, v[6:7]
	v_cvt_f32_f64_e32 v4, v[4:5]
	;; [unrolled: 1-line block ×4, first 2 shown]
	v_min3_f32 v156, v6, v4, v114
	v_min3_f32 v148, v2, v0, v8
	s_cmp_lt_i32 s26, 9
	ds_write2st64_b64 v163, v[104:105], v[106:107] offset0:16 offset1:20
	ds_write2st64_b64 v163, v[108:109], v[110:111] offset0:24 offset1:28
	ds_write_b64 v112, v[102:103] offset:18432
	s_waitcnt lgkmcnt(0)
	s_barrier
	s_cbranch_scc1 .LBB161_51
; %bb.29:
	v_mov_b32_e32 v0, 0x2000
	v_lshl_add_u32 v212, v142, 5, v0
	v_mov_b32_e32 v0, 0x4800
	v_lshl_add_u32 v213, v143, 5, v0
	v_mad_i64_i32 v[0:1], s[10:11], s40, v101, 0
	v_mov_b32_e32 v101, 0
	v_lshl_add_u64 v[0:1], v[0:1], 3, v[100:101]
	v_lshl_add_u64 v[0:1], s[36:37], 0, v[0:1]
	v_add_u32_e32 v208, 0x4000, v112
	v_add_u32_e32 v209, 0x4000, v145
	;; [unrolled: 1-line block ×4, first 2 shown]
	s_add_i32 s39, s26, -8
	v_lshl_add_u64 v[130:131], v[0:1], 0, 64
	s_mov_b32 s36, 0
	v_mov_b32_e32 v214, 0x7fefffff
	s_branch .LBB161_31
.LBB161_30:                             ;   in Loop: Header=BB161_31 Depth=1
	s_or_b64 exec, exec, s[10:11]
	v_add_f64 v[220:221], v[98:99], v[126:127]
	v_add_f64 v[222:223], v[96:97], v[124:125]
	v_cvt_f32_f64_e32 v222, v[222:223]
	v_cvt_f32_f64_e32 v220, v[220:221]
	v_min3_f32 v224, v222, v220, v219
	v_add_f64 v[220:221], v[94:95], v[126:127]
	v_add_f64 v[222:223], v[92:93], v[124:125]
	v_cvt_f32_f64_e32 v219, v[222:223]
	v_cvt_f32_f64_e32 v220, v[220:221]
	v_min3_f32 v222, v219, v220, v218
	;; [unrolled: 5-line block ×6, first 2 shown]
	v_add_f64 v[216:217], v[70:71], v[126:127]
	v_add_f64 v[218:219], v[68:69], v[124:125]
	;; [unrolled: 1-line block ×4, first 2 shown]
	v_cvt_f32_f64_e32 v124, v[124:125]
	v_cvt_f32_f64_e32 v125, v[126:127]
	v_min3_f32 v205, v124, v125, v205
	v_add_f64 v[124:125], v[98:99], v[122:123]
	v_add_f64 v[126:127], v[96:97], v[120:121]
	v_cvt_f32_f64_e32 v126, v[126:127]
	v_cvt_f32_f64_e32 v124, v[124:125]
	v_min3_f32 v204, v126, v124, v204
	v_add_f64 v[124:125], v[94:95], v[122:123]
	v_add_f64 v[126:127], v[92:93], v[120:121]
	;; [unrolled: 5-line block ×7, first 2 shown]
	v_add_f64 v[122:123], v[66:67], v[122:123]
	v_add_f64 v[120:121], v[64:65], v[120:121]
	v_cvt_f32_f64_e32 v120, v[120:121]
	v_cvt_f32_f64_e32 v121, v[122:123]
	;; [unrolled: 1-line block ×3, first 2 shown]
	v_min3_f32 v125, v120, v121, v197
	v_add_f64 v[120:121], v[98:99], v[118:119]
	v_add_f64 v[122:123], v[96:97], v[116:117]
	v_cvt_f32_f64_e32 v126, v[126:127]
	v_cvt_f32_f64_e32 v122, v[122:123]
	;; [unrolled: 1-line block ×3, first 2 shown]
	v_min3_f32 v124, v126, v124, v198
	v_min3_f32 v126, v122, v120, v196
	v_add_f64 v[120:121], v[94:95], v[118:119]
	v_add_f64 v[122:123], v[92:93], v[116:117]
	v_cvt_f32_f64_e32 v122, v[122:123]
	v_cvt_f32_f64_e32 v120, v[120:121]
	v_min3_f32 v127, v122, v120, v195
	v_add_f64 v[120:121], v[90:91], v[118:119]
	v_add_f64 v[122:123], v[88:89], v[116:117]
	v_cvt_f32_f64_e32 v122, v[122:123]
	v_cvt_f32_f64_e32 v120, v[120:121]
	;; [unrolled: 5-line block ×5, first 2 shown]
	v_min3_f32 v191, v122, v120, v191
	v_add_f64 v[120:121], v[70:71], v[118:119]
	v_add_f64 v[122:123], v[68:69], v[116:117]
	;; [unrolled: 1-line block ×4, first 2 shown]
	v_cvt_f32_f64_e32 v116, v[116:117]
	v_cvt_f32_f64_e32 v117, v[118:119]
	;; [unrolled: 1-line block ×3, first 2 shown]
	v_min3_f32 v121, v116, v117, v189
	v_add_f64 v[116:117], v[98:99], v[114:115]
	v_add_f64 v[118:119], v[96:97], v[112:113]
	v_cvt_f32_f64_e32 v122, v[122:123]
	v_cvt_f32_f64_e32 v118, v[118:119]
	;; [unrolled: 1-line block ×3, first 2 shown]
	v_min3_f32 v120, v122, v120, v190
	v_min3_f32 v122, v118, v116, v188
	v_add_f64 v[116:117], v[94:95], v[114:115]
	v_add_f64 v[118:119], v[92:93], v[112:113]
	v_cvt_f32_f64_e32 v118, v[118:119]
	v_cvt_f32_f64_e32 v116, v[116:117]
	v_min3_f32 v123, v118, v116, v187
	v_add_f64 v[116:117], v[90:91], v[114:115]
	v_add_f64 v[118:119], v[88:89], v[112:113]
	v_cvt_f32_f64_e32 v118, v[118:119]
	v_cvt_f32_f64_e32 v116, v[116:117]
	v_min3_f32 v186, v118, v116, v186
	v_add_f64 v[116:117], v[82:83], v[114:115]
	v_add_f64 v[118:119], v[80:81], v[112:113]
	v_cvt_f32_f64_e32 v118, v[118:119]
	v_cvt_f32_f64_e32 v116, v[116:117]
	v_min3_f32 v185, v118, v116, v185
	v_add_f64 v[116:117], v[78:79], v[114:115]
	v_add_f64 v[118:119], v[76:77], v[112:113]
	v_cvt_f32_f64_e32 v118, v[118:119]
	v_cvt_f32_f64_e32 v116, v[116:117]
	v_min3_f32 v184, v118, v116, v184
	v_add_f64 v[116:117], v[74:75], v[114:115]
	v_add_f64 v[118:119], v[72:73], v[112:113]
	v_cvt_f32_f64_e32 v118, v[118:119]
	v_cvt_f32_f64_e32 v116, v[116:117]
	v_min3_f32 v183, v118, v116, v183
	v_add_f64 v[116:117], v[70:71], v[114:115]
	v_add_f64 v[118:119], v[68:69], v[112:113]
	v_add_f64 v[114:115], v[66:67], v[114:115]
	v_add_f64 v[112:113], v[64:65], v[112:113]
	v_cvt_f32_f64_e32 v112, v[112:113]
	v_cvt_f32_f64_e32 v113, v[114:115]
	v_min3_f32 v181, v112, v113, v181
	v_add_f64 v[112:113], v[98:99], v[110:111]
	v_add_f64 v[114:115], v[96:97], v[108:109]
	v_cvt_f32_f64_e32 v114, v[114:115]
	v_cvt_f32_f64_e32 v112, v[112:113]
	v_min3_f32 v180, v114, v112, v180
	v_add_f64 v[112:113], v[94:95], v[110:111]
	v_add_f64 v[114:115], v[92:93], v[108:109]
	v_cvt_f32_f64_e32 v114, v[114:115]
	v_cvt_f32_f64_e32 v112, v[112:113]
	v_min3_f32 v179, v114, v112, v179
	v_add_f64 v[112:113], v[90:91], v[110:111]
	v_add_f64 v[114:115], v[88:89], v[108:109]
	v_cvt_f32_f64_e32 v114, v[114:115]
	v_cvt_f32_f64_e32 v112, v[112:113]
	v_min3_f32 v178, v114, v112, v178
	v_add_f64 v[112:113], v[82:83], v[110:111]
	v_add_f64 v[114:115], v[80:81], v[108:109]
	v_cvt_f32_f64_e32 v114, v[114:115]
	v_cvt_f32_f64_e32 v112, v[112:113]
	v_min3_f32 v177, v114, v112, v177
	v_add_f64 v[112:113], v[78:79], v[110:111]
	v_add_f64 v[114:115], v[76:77], v[108:109]
	v_cvt_f32_f64_e32 v114, v[114:115]
	v_cvt_f32_f64_e32 v112, v[112:113]
	v_min3_f32 v176, v114, v112, v176
	v_add_f64 v[112:113], v[74:75], v[110:111]
	v_add_f64 v[114:115], v[72:73], v[108:109]
	v_cvt_f32_f64_e32 v114, v[114:115]
	v_cvt_f32_f64_e32 v112, v[112:113]
	v_min3_f32 v175, v114, v112, v175
	v_add_f64 v[112:113], v[70:71], v[110:111]
	v_add_f64 v[114:115], v[68:69], v[108:109]
	v_add_f64 v[110:111], v[66:67], v[110:111]
	v_add_f64 v[108:109], v[64:65], v[108:109]
	v_cvt_f32_f64_e32 v108, v[108:109]
	v_cvt_f32_f64_e32 v109, v[110:111]
	v_min3_f32 v173, v108, v109, v173
	v_add_f64 v[108:109], v[98:99], v[106:107]
	v_add_f64 v[110:111], v[96:97], v[104:105]
	v_cvt_f32_f64_e32 v110, v[110:111]
	v_cvt_f32_f64_e32 v108, v[108:109]
	;; [unrolled: 37-line block ×3, first 2 shown]
	v_min3_f32 v164, v106, v104, v164
	v_add_f64 v[104:105], v[94:95], v[102:103]
	v_add_f64 v[106:107], v[92:93], v[100:101]
	v_cvt_f32_f64_e32 v106, v[106:107]
	v_cvt_f32_f64_e32 v104, v[104:105]
	v_min3_f32 v162, v106, v104, v162
	v_add_f64 v[104:105], v[90:91], v[102:103]
	v_add_f64 v[106:107], v[88:89], v[100:101]
	v_cvt_f32_f64_e32 v106, v[106:107]
	v_cvt_f32_f64_e32 v104, v[104:105]
	;; [unrolled: 5-line block ×5, first 2 shown]
	v_min3_f32 v190, v106, v104, v158
	v_add_f64 v[104:105], v[70:71], v[102:103]
	v_add_f64 v[106:107], v[68:69], v[100:101]
	;; [unrolled: 1-line block ×8, first 2 shown]
	v_cvt_f32_f64_e32 v76, v[76:77]
	v_cvt_f32_f64_e32 v77, v[78:79]
	;; [unrolled: 1-line block ×4, first 2 shown]
	v_min3_f32 v76, v76, v77, v151
	v_min3_f32 v77, v64, v65, v148
	v_add_f64 v[64:65], v[34:35], v[62:63]
	v_add_f64 v[66:67], v[32:33], v[60:61]
	v_cvt_f32_f64_e32 v66, v[66:67]
	v_cvt_f32_f64_e32 v64, v[64:65]
	v_add_f64 v[70:71], v[70:71], v[86:87]
	v_add_f64 v[68:69], v[68:69], v[84:85]
	v_min3_f32 v197, v66, v64, v224
	v_add_f64 v[64:65], v[30:31], v[62:63]
	v_add_f64 v[66:67], v[28:29], v[60:61]
	v_add_f64 v[74:75], v[74:75], v[86:87]
	v_add_f64 v[72:73], v[72:73], v[84:85]
	v_cvt_f32_f64_e32 v68, v[68:69]
	v_cvt_f32_f64_e32 v69, v[70:71]
	v_cvt_f32_f64_e32 v66, v[66:67]
	v_cvt_f32_f64_e32 v64, v[64:65]
	v_cvt_f32_f64_e32 v72, v[72:73]
	v_cvt_f32_f64_e32 v73, v[74:75]
	v_min3_f32 v75, v68, v69, v149
	v_min3_f32 v64, v66, v64, v222
	v_add_f64 v[66:67], v[26:27], v[62:63]
	v_add_f64 v[68:69], v[24:25], v[60:61]
	v_cvt_f32_f64_e32 v65, v[68:69]
	v_cvt_f32_f64_e32 v66, v[66:67]
	v_min3_f32 v65, v65, v66, v223
	v_add_f64 v[66:67], v[18:19], v[62:63]
	v_add_f64 v[68:69], v[16:17], v[60:61]
	v_cvt_f32_f64_e32 v68, v[68:69]
	v_cvt_f32_f64_e32 v66, v[66:67]
	;; [unrolled: 5-line block ×4, first 2 shown]
	v_min3_f32 v74, v72, v73, v150
	v_min3_f32 v68, v70, v68, v207
	v_add_f64 v[70:71], v[6:7], v[62:63]
	v_add_f64 v[72:73], v[4:5], v[60:61]
	v_add_f64 v[62:63], v[2:3], v[62:63]
	v_add_f64 v[60:61], v[0:1], v[60:61]
	v_cvt_f32_f64_e32 v100, v[100:101]
	v_cvt_f32_f64_e32 v101, v[102:103]
	v_cvt_f32_f64_e32 v60, v[60:61]
	v_cvt_f32_f64_e32 v61, v[62:63]
	v_min3_f32 v196, v100, v101, v156
	v_min3_f32 v100, v60, v61, v205
	v_add_f64 v[60:61], v[34:35], v[58:59]
	v_add_f64 v[62:63], v[32:33], v[56:57]
	v_cvt_f32_f64_e32 v62, v[62:63]
	v_cvt_f32_f64_e32 v60, v[60:61]
	v_min3_f32 v101, v62, v60, v204
	v_add_f64 v[60:61], v[30:31], v[58:59]
	v_add_f64 v[62:63], v[28:29], v[56:57]
	v_cvt_f32_f64_e32 v62, v[62:63]
	v_cvt_f32_f64_e32 v60, v[60:61]
	v_min3_f32 v102, v62, v60, v203
	v_add_f64 v[60:61], v[26:27], v[58:59]
	v_add_f64 v[62:63], v[24:25], v[56:57]
	v_cvt_f32_f64_e32 v62, v[62:63]
	v_cvt_f32_f64_e32 v60, v[60:61]
	v_min3_f32 v103, v62, v60, v202
	v_add_f64 v[60:61], v[18:19], v[58:59]
	v_add_f64 v[62:63], v[16:17], v[56:57]
	v_cvt_f32_f64_e32 v106, v[106:107]
	v_cvt_f32_f64_e32 v104, v[104:105]
	v_cvt_f32_f64_e32 v62, v[62:63]
	v_cvt_f32_f64_e32 v60, v[60:61]
	v_min3_f32 v195, v106, v104, v157
	v_min3_f32 v104, v62, v60, v201
	v_add_f64 v[60:61], v[14:15], v[58:59]
	v_add_f64 v[62:63], v[12:13], v[56:57]
	v_cvt_f32_f64_e32 v62, v[62:63]
	v_cvt_f32_f64_e32 v60, v[60:61]
	v_min3_f32 v105, v62, v60, v200
	v_add_f64 v[60:61], v[10:11], v[58:59]
	v_add_f64 v[62:63], v[8:9], v[56:57]
	v_cvt_f32_f64_e32 v62, v[62:63]
	v_cvt_f32_f64_e32 v60, v[60:61]
	v_min3_f32 v106, v62, v60, v199
	v_add_f64 v[60:61], v[6:7], v[58:59]
	v_add_f64 v[62:63], v[4:5], v[56:57]
	v_add_f64 v[58:59], v[2:3], v[58:59]
	v_add_f64 v[56:57], v[0:1], v[56:57]
	v_cvt_f32_f64_e32 v110, v[110:111]
	v_cvt_f32_f64_e32 v108, v[108:109]
	v_cvt_f32_f64_e32 v56, v[56:57]
	v_cvt_f32_f64_e32 v57, v[58:59]
	v_min3_f32 v166, v110, v108, v166
	v_min3_f32 v108, v56, v57, v125
	v_add_f64 v[56:57], v[34:35], v[54:55]
	v_add_f64 v[58:59], v[32:33], v[52:53]
	v_cvt_f32_f64_e32 v58, v[58:59]
	v_cvt_f32_f64_e32 v56, v[56:57]
	v_min3_f32 v109, v58, v56, v126
	v_add_f64 v[56:57], v[30:31], v[54:55]
	v_add_f64 v[58:59], v[28:29], v[52:53]
	v_cvt_f32_f64_e32 v58, v[58:59]
	v_cvt_f32_f64_e32 v56, v[56:57]
	v_min3_f32 v110, v58, v56, v127
	v_add_f64 v[56:57], v[26:27], v[54:55]
	v_add_f64 v[58:59], v[24:25], v[52:53]
	v_cvt_f32_f64_e32 v58, v[58:59]
	v_cvt_f32_f64_e32 v56, v[56:57]
	v_min3_f32 v111, v58, v56, v194
	v_add_f64 v[56:57], v[18:19], v[54:55]
	v_add_f64 v[58:59], v[16:17], v[52:53]
	v_cvt_f32_f64_e32 v114, v[114:115]
	v_cvt_f32_f64_e32 v112, v[112:113]
	v_cvt_f32_f64_e32 v58, v[58:59]
	v_cvt_f32_f64_e32 v56, v[56:57]
	v_min3_f32 v174, v114, v112, v174
	v_min3_f32 v112, v58, v56, v193
	v_add_f64 v[56:57], v[14:15], v[54:55]
	v_add_f64 v[58:59], v[12:13], v[52:53]
	v_cvt_f32_f64_e32 v58, v[58:59]
	v_cvt_f32_f64_e32 v56, v[56:57]
	v_min3_f32 v113, v58, v56, v192
	v_add_f64 v[56:57], v[10:11], v[54:55]
	v_add_f64 v[58:59], v[8:9], v[52:53]
	v_cvt_f32_f64_e32 v58, v[58:59]
	v_cvt_f32_f64_e32 v56, v[56:57]
	;; [unrolled: 43-line block ×3, first 2 shown]
	v_min3_f32 v122, v54, v52, v183
	v_add_f64 v[52:53], v[6:7], v[50:51]
	v_add_f64 v[54:55], v[4:5], v[48:49]
	;; [unrolled: 1-line block ×4, first 2 shown]
	v_cvt_f32_f64_e32 v62, v[62:63]
	v_cvt_f32_f64_e32 v60, v[60:61]
	;; [unrolled: 1-line block ×4, first 2 shown]
	v_min3_f32 v107, v62, v60, v124
	v_min3_f32 v124, v48, v49, v181
	v_add_f64 v[48:49], v[34:35], v[46:47]
	v_add_f64 v[50:51], v[32:33], v[44:45]
	v_cvt_f32_f64_e32 v50, v[50:51]
	v_cvt_f32_f64_e32 v48, v[48:49]
	v_min3_f32 v125, v50, v48, v180
	v_add_f64 v[48:49], v[30:31], v[46:47]
	v_add_f64 v[50:51], v[28:29], v[44:45]
	v_cvt_f32_f64_e32 v50, v[50:51]
	v_cvt_f32_f64_e32 v48, v[48:49]
	;; [unrolled: 5-line block ×6, first 2 shown]
	v_add_f64 v[82:83], v[82:83], v[86:87]
	v_add_f64 v[80:81], v[80:81], v[84:85]
	v_min3_f32 v150, v50, v48, v175
	v_add_f64 v[48:49], v[6:7], v[46:47]
	v_add_f64 v[50:51], v[4:5], v[44:45]
	;; [unrolled: 1-line block ×4, first 2 shown]
	v_cvt_f32_f64_e32 v80, v[80:81]
	v_cvt_f32_f64_e32 v81, v[82:83]
	v_cvt_f32_f64_e32 v44, v[44:45]
	v_cvt_f32_f64_e32 v45, v[46:47]
	v_add_f64 v[90:91], v[90:91], v[86:87]
	v_add_f64 v[88:89], v[88:89], v[84:85]
	v_min3_f32 v80, v80, v81, v152
	v_min3_f32 v152, v44, v45, v173
	v_add_f64 v[44:45], v[34:35], v[42:43]
	v_add_f64 v[46:47], v[32:33], v[40:41]
	v_cvt_f32_f64_e32 v88, v[88:89]
	v_cvt_f32_f64_e32 v89, v[90:91]
	v_cvt_f32_f64_e32 v46, v[46:47]
	v_cvt_f32_f64_e32 v44, v[44:45]
	v_add_f64 v[94:95], v[94:95], v[86:87]
	v_add_f64 v[92:93], v[92:93], v[84:85]
	v_min3_f32 v88, v88, v89, v153
	v_min3_f32 v153, v46, v44, v172
	v_add_f64 v[44:45], v[30:31], v[42:43]
	v_add_f64 v[46:47], v[28:29], v[40:41]
	;; [unrolled: 10-line block ×3, first 2 shown]
	v_cvt_f32_f64_e32 v96, v[96:97]
	v_cvt_f32_f64_e32 v97, v[98:99]
	;; [unrolled: 1-line block ×4, first 2 shown]
	v_min3_f32 v96, v96, v97, v155
	v_min3_f32 v155, v46, v44, v170
	v_add_f64 v[44:45], v[18:19], v[42:43]
	v_add_f64 v[46:47], v[16:17], v[40:41]
	v_cvt_f32_f64_e32 v46, v[46:47]
	v_cvt_f32_f64_e32 v44, v[44:45]
	v_min3_f32 v156, v46, v44, v169
	v_add_f64 v[44:45], v[14:15], v[42:43]
	v_add_f64 v[46:47], v[12:13], v[40:41]
	v_cvt_f32_f64_e32 v46, v[46:47]
	v_cvt_f32_f64_e32 v44, v[44:45]
	;; [unrolled: 5-line block ×3, first 2 shown]
	v_min3_f32 v158, v46, v44, v167
	v_add_f64 v[44:45], v[6:7], v[42:43]
	v_add_f64 v[46:47], v[4:5], v[40:41]
	;; [unrolled: 1-line block ×4, first 2 shown]
	v_cvt_f32_f64_e32 v40, v[40:41]
	v_cvt_f32_f64_e32 v41, v[42:43]
	v_min3_f32 v160, v40, v41, v165
	v_add_f64 v[40:41], v[34:35], v[38:39]
	v_add_f64 v[42:43], v[32:33], v[36:37]
	v_cvt_f32_f64_e32 v42, v[42:43]
	v_cvt_f32_f64_e32 v40, v[40:41]
	v_min3_f32 v161, v42, v40, v164
	v_add_f64 v[40:41], v[30:31], v[38:39]
	v_add_f64 v[42:43], v[28:29], v[36:37]
	;; [unrolled: 5-line block ×5, first 2 shown]
	v_cvt_f32_f64_e32 v46, v[46:47]
	v_cvt_f32_f64_e32 v44, v[44:45]
	;; [unrolled: 1-line block ×4, first 2 shown]
	v_min3_f32 v159, v46, v44, v166
	v_min3_f32 v166, v42, v40, v189
	v_add_f64 v[40:41], v[10:11], v[38:39]
	v_add_f64 v[42:43], v[8:9], v[36:37]
	v_cvt_f32_f64_e32 v42, v[42:43]
	v_cvt_f32_f64_e32 v40, v[40:41]
	v_min3_f32 v167, v42, v40, v190
	v_add_f64 v[40:41], v[6:7], v[38:39]
	v_add_f64 v[42:43], v[4:5], v[36:37]
	;; [unrolled: 1-line block ×20, first 2 shown]
	v_cvt_f32_f64_e32 v54, v[54:55]
	v_cvt_f32_f64_e32 v52, v[52:53]
	;; [unrolled: 1-line block ×23, first 2 shown]
	v_min3_f32 v123, v54, v52, v182
	v_min3_f32 v151, v50, v48, v174
	;; [unrolled: 1-line block ×11, first 2 shown]
	ds_read_b128 v[36:39], v146 offset:1024
	ds_read_b128 v[32:35], v146 offset:2048
	;; [unrolled: 1-line block ×12, first 2 shown]
	ds_read_b128 v[96:99], v209
	ds_read_b128 v[48:51], v146
	ds_read_b128 v[72:75], v209 offset:1536
	ds_read_b128 v[24:27], v209 offset:1792
	;; [unrolled: 1-line block ×4, first 2 shown]
	s_waitcnt lgkmcnt(5)
	v_add_f64 v[44:45], v[38:39], v[98:99]
	v_add_f64 v[46:47], v[36:37], v[96:97]
	;; [unrolled: 1-line block ×8, first 2 shown]
	v_cvt_f32_f64_e32 v218, v[218:219]
	v_cvt_f32_f64_e32 v216, v[216:217]
	;; [unrolled: 1-line block ×10, first 2 shown]
	v_min3_f32 v206, v218, v216, v206
	v_cvt_f32_f64_e32 v70, v[70:71]
	v_cvt_f32_f64_e32 v42, v[42:43]
	;; [unrolled: 1-line block ×3, first 2 shown]
	v_min3_f32 v179, v46, v44, v64
	v_min3_f32 v184, v54, v52, v65
	;; [unrolled: 1-line block ×4, first 2 shown]
	v_add_f64 v[64:65], v[18:19], v[98:99]
	v_add_f64 v[66:67], v[16:17], v[96:97]
	v_min3_f32 v69, v69, v70, v206
	v_min3_f32 v168, v42, v40, v195
	s_waitcnt lgkmcnt(4)
	v_add_f64 v[40:41], v[50:51], v[98:99]
	v_add_f64 v[42:43], v[48:49], v[96:97]
	v_cvt_f32_f64_e32 v66, v[66:67]
	v_cvt_f32_f64_e32 v64, v[64:65]
	v_add_f64 v[70:71], v[14:15], v[98:99]
	v_add_f64 v[180:181], v[12:13], v[96:97]
	;; [unrolled: 1-line block ×4, first 2 shown]
	v_min3_f32 v187, v66, v64, v68
	v_cvt_f32_f64_e32 v68, v[180:181]
	v_cvt_f32_f64_e32 v96, v[96:97]
	v_cvt_f32_f64_e32 v97, v[98:99]
	v_add_f64 v[180:181], v[50:51], v[94:95]
	v_add_f64 v[182:183], v[48:49], v[92:93]
	v_min3_f32 v189, v96, v97, v100
	v_cvt_f32_f64_e32 v100, v[182:183]
	v_cvt_f32_f64_e32 v180, v[180:181]
	v_min3_f32 v182, v100, v180, v101
	v_add_f64 v[100:101], v[38:39], v[94:95]
	v_add_f64 v[180:181], v[36:37], v[92:93]
	v_cvt_f32_f64_e32 v180, v[180:181]
	v_cvt_f32_f64_e32 v100, v[100:101]
	v_min3_f32 v183, v180, v100, v102
	v_add_f64 v[100:101], v[34:35], v[94:95]
	v_add_f64 v[180:181], v[32:33], v[92:93]
	;; [unrolled: 5-line block ×34, first 2 shown]
	v_cvt_f32_f64_e32 v102, v[102:103]
	v_cvt_f32_f64_e32 v100, v[100:101]
	v_min3_f32 v159, v102, v100, v159
	s_waitcnt lgkmcnt(3)
	v_add_f64 v[100:101], v[50:51], v[74:75]
	v_add_f64 v[102:103], v[48:49], v[72:73]
	v_cvt_f32_f64_e32 v102, v[102:103]
	v_cvt_f32_f64_e32 v100, v[100:101]
	v_min3_f32 v161, v102, v100, v161
	v_add_f64 v[100:101], v[38:39], v[74:75]
	v_add_f64 v[102:103], v[36:37], v[72:73]
	v_cvt_f32_f64_e32 v102, v[102:103]
	v_cvt_f32_f64_e32 v100, v[100:101]
	v_min3_f32 v162, v102, v100, v162
	;; [unrolled: 5-line block ×4, first 2 shown]
	v_add_f64 v[100:101], v[22:23], v[74:75]
	v_add_f64 v[102:103], v[20:21], v[72:73]
	v_cvt_f32_f64_e32 v102, v[102:103]
	v_cvt_f32_f64_e32 v100, v[100:101]
	;; [unrolled: 1-line block ×4, first 2 shown]
	v_min3_f32 v222, v102, v100, v166
	v_add_f64 v[100:101], v[18:19], v[74:75]
	v_add_f64 v[102:103], v[16:17], v[72:73]
	v_min3_f32 v178, v42, v40, v197
	ds_read_b128 v[40:43], v146 offset:1040
	ds_read_b128 v[44:47], v146 offset:2064
	v_cvt_f32_f64_e32 v102, v[102:103]
	v_cvt_f32_f64_e32 v100, v[100:101]
	v_add_f64 v[94:95], v[10:11], v[94:95]
	v_add_f64 v[92:93], v[8:9], v[92:93]
	;; [unrolled: 1-line block ×10, first 2 shown]
	v_min3_f32 v223, v102, v100, v167
	v_add_f64 v[100:101], v[14:15], v[74:75]
	v_add_f64 v[102:103], v[12:13], v[72:73]
	;; [unrolled: 1-line block ×4, first 2 shown]
	s_waitcnt lgkmcnt(4)
	v_add_f64 v[14:15], v[14:15], v[26:27]
	v_add_f64 v[12:13], v[12:13], v[24:25]
	;; [unrolled: 1-line block ×4, first 2 shown]
	v_cvt_f32_f64_e32 v12, v[12:13]
	v_cvt_f32_f64_e32 v13, v[14:15]
	v_cvt_f32_f64_e32 v8, v[8:9]
	v_cvt_f32_f64_e32 v9, v[10:11]
	v_min3_f32 v12, v12, v13, v176
	v_min3_f32 v13, v8, v9, v177
	s_waitcnt lgkmcnt(2)
	v_add_f64 v[8:9], v[2:3], v[6:7]
	v_add_f64 v[10:11], v[0:1], v[4:5]
	ds_read_b128 v[52:55], v146 offset:3088
	ds_read_b128 v[56:59], v146 offset:4112
	v_cvt_f32_f64_e32 v10, v[10:11]
	v_cvt_f32_f64_e32 v8, v[8:9]
	v_min3_f32 v219, v10, v8, v178
	s_waitcnt lgkmcnt(3)
	v_add_f64 v[8:9], v[42:43], v[6:7]
	v_add_f64 v[10:11], v[40:41], v[4:5]
	v_cvt_f32_f64_e32 v10, v[10:11]
	v_cvt_f32_f64_e32 v8, v[8:9]
	v_min3_f32 v218, v10, v8, v179
	s_waitcnt lgkmcnt(2)
	v_add_f64 v[8:9], v[46:47], v[6:7]
	v_add_f64 v[10:11], v[44:45], v[4:5]
	ds_read_b128 v[60:63], v146 offset:5136
	ds_read_b128 v[64:67], v146 offset:6160
	v_cvt_f32_f64_e32 v10, v[10:11]
	v_cvt_f32_f64_e32 v8, v[8:9]
	;; [unrolled: 1-line block ×3, first 2 shown]
	v_min3_f32 v217, v10, v8, v184
	s_waitcnt lgkmcnt(3)
	v_add_f64 v[8:9], v[54:55], v[6:7]
	v_add_f64 v[10:11], v[52:53], v[4:5]
	v_min3_f32 v188, v68, v70, v69
	ds_read_b128 v[68:71], v146 offset:7184
	ds_read_b128 v[96:99], v209 offset:272
	v_cvt_f32_f64_e32 v10, v[10:11]
	v_cvt_f32_f64_e32 v8, v[8:9]
	v_min3_f32 v216, v10, v8, v185
	s_waitcnt lgkmcnt(4)
	v_add_f64 v[8:9], v[58:59], v[6:7]
	v_add_f64 v[10:11], v[56:57], v[4:5]
	v_cvt_f32_f64_e32 v10, v[10:11]
	v_cvt_f32_f64_e32 v8, v[8:9]
	v_min3_f32 v215, v10, v8, v186
	s_waitcnt lgkmcnt(3)
	v_add_f64 v[8:9], v[62:63], v[6:7]
	v_add_f64 v[10:11], v[60:61], v[4:5]
	v_cvt_f32_f64_e32 v10, v[10:11]
	v_cvt_f32_f64_e32 v8, v[8:9]
	v_min3_f32 v207, v10, v8, v187
	s_waitcnt lgkmcnt(2)
	v_add_f64 v[8:9], v[66:67], v[6:7]
	v_add_f64 v[10:11], v[64:65], v[4:5]
	s_waitcnt lgkmcnt(1)
	v_add_f64 v[6:7], v[70:71], v[6:7]
	v_add_f64 v[4:5], v[68:69], v[4:5]
	v_cvt_f32_f64_e32 v4, v[4:5]
	v_cvt_f32_f64_e32 v5, v[6:7]
	v_min3_f32 v205, v4, v5, v189
	s_waitcnt lgkmcnt(0)
	v_add_f64 v[4:5], v[2:3], v[98:99]
	v_add_f64 v[6:7], v[0:1], v[96:97]
	v_cvt_f32_f64_e32 v6, v[6:7]
	v_cvt_f32_f64_e32 v4, v[4:5]
	v_min3_f32 v204, v6, v4, v182
	v_add_f64 v[4:5], v[42:43], v[98:99]
	v_add_f64 v[6:7], v[40:41], v[96:97]
	v_cvt_f32_f64_e32 v6, v[6:7]
	v_cvt_f32_f64_e32 v4, v[4:5]
	v_min3_f32 v203, v6, v4, v183
	;; [unrolled: 5-line block ×4, first 2 shown]
	v_add_f64 v[4:5], v[58:59], v[98:99]
	v_add_f64 v[6:7], v[56:57], v[96:97]
	v_cvt_f32_f64_e32 v6, v[6:7]
	v_cvt_f32_f64_e32 v4, v[4:5]
	;; [unrolled: 1-line block ×4, first 2 shown]
	v_min3_f32 v200, v6, v4, v105
	v_add_f64 v[4:5], v[62:63], v[98:99]
	v_add_f64 v[6:7], v[60:61], v[96:97]
	v_min3_f32 v108, v92, v93, v108
	ds_read_b128 v[92:95], v209 offset:528
	v_cvt_f32_f64_e32 v6, v[6:7]
	v_cvt_f32_f64_e32 v4, v[4:5]
	v_min3_f32 v199, v6, v4, v106
	v_add_f64 v[4:5], v[66:67], v[98:99]
	v_add_f64 v[6:7], v[64:65], v[96:97]
	v_cvt_f32_f64_e32 v6, v[6:7]
	v_cvt_f32_f64_e32 v4, v[4:5]
	v_min3_f32 v198, v6, v4, v107
	v_add_f64 v[4:5], v[70:71], v[98:99]
	v_add_f64 v[6:7], v[68:69], v[96:97]
	v_cvt_f32_f64_e32 v88, v[88:89]
	v_cvt_f32_f64_e32 v89, v[90:91]
	;; [unrolled: 1-line block ×4, first 2 shown]
	v_min3_f32 v116, v88, v89, v116
	ds_read_b128 v[88:91], v209 offset:784
	v_min3_f32 v197, v6, v4, v108
	s_waitcnt lgkmcnt(1)
	v_add_f64 v[4:5], v[2:3], v[94:95]
	v_add_f64 v[6:7], v[0:1], v[92:93]
	v_cvt_f32_f64_e32 v6, v[6:7]
	v_cvt_f32_f64_e32 v4, v[4:5]
	v_min3_f32 v196, v6, v4, v109
	v_add_f64 v[4:5], v[42:43], v[94:95]
	v_add_f64 v[6:7], v[40:41], v[92:93]
	v_cvt_f32_f64_e32 v6, v[6:7]
	v_cvt_f32_f64_e32 v4, v[4:5]
	v_min3_f32 v195, v6, v4, v110
	;; [unrolled: 5-line block ×8, first 2 shown]
	s_waitcnt lgkmcnt(0)
	v_add_f64 v[4:5], v[2:3], v[90:91]
	v_add_f64 v[6:7], v[0:1], v[88:89]
	v_cvt_f32_f64_e32 v10, v[10:11]
	v_cvt_f32_f64_e32 v8, v[8:9]
	;; [unrolled: 1-line block ×4, first 2 shown]
	v_min3_f32 v206, v10, v8, v188
	v_min3_f32 v188, v6, v4, v117
	v_add_f64 v[4:5], v[42:43], v[90:91]
	v_add_f64 v[6:7], v[40:41], v[88:89]
	v_cvt_f32_f64_e32 v6, v[6:7]
	v_cvt_f32_f64_e32 v4, v[4:5]
	v_min3_f32 v187, v6, v4, v118
	v_add_f64 v[4:5], v[46:47], v[90:91]
	v_add_f64 v[6:7], v[44:45], v[88:89]
	v_cvt_f32_f64_e32 v6, v[6:7]
	v_cvt_f32_f64_e32 v4, v[4:5]
	;; [unrolled: 5-line block ×4, first 2 shown]
	v_cvt_f32_f64_e32 v84, v[84:85]
	v_cvt_f32_f64_e32 v85, v[86:87]
	v_min3_f32 v184, v6, v4, v121
	v_add_f64 v[4:5], v[62:63], v[90:91]
	v_add_f64 v[6:7], v[60:61], v[88:89]
	v_min3_f32 v124, v84, v85, v124
	ds_read_b128 v[84:87], v209 offset:1040
	v_cvt_f32_f64_e32 v6, v[6:7]
	v_cvt_f32_f64_e32 v4, v[4:5]
	v_min3_f32 v183, v6, v4, v122
	v_add_f64 v[4:5], v[66:67], v[90:91]
	v_add_f64 v[6:7], v[64:65], v[88:89]
	v_cvt_f32_f64_e32 v6, v[6:7]
	v_cvt_f32_f64_e32 v4, v[4:5]
	v_min3_f32 v182, v6, v4, v123
	v_add_f64 v[4:5], v[70:71], v[90:91]
	v_add_f64 v[6:7], v[68:69], v[88:89]
	v_cvt_f32_f64_e32 v80, v[80:81]
	v_cvt_f32_f64_e32 v81, v[82:83]
	;; [unrolled: 1-line block ×4, first 2 shown]
	v_min3_f32 v152, v80, v81, v152
	ds_read_b128 v[80:83], v209 offset:1296
	v_min3_f32 v181, v6, v4, v124
	s_waitcnt lgkmcnt(1)
	v_add_f64 v[4:5], v[2:3], v[86:87]
	v_add_f64 v[6:7], v[0:1], v[84:85]
	v_cvt_f32_f64_e32 v6, v[6:7]
	v_cvt_f32_f64_e32 v4, v[4:5]
	v_min3_f32 v180, v6, v4, v125
	v_add_f64 v[4:5], v[42:43], v[86:87]
	v_add_f64 v[6:7], v[40:41], v[84:85]
	v_cvt_f32_f64_e32 v6, v[6:7]
	v_cvt_f32_f64_e32 v4, v[4:5]
	v_min3_f32 v179, v6, v4, v126
	;; [unrolled: 5-line block ×4, first 2 shown]
	v_add_f64 v[4:5], v[58:59], v[86:87]
	v_add_f64 v[6:7], v[56:57], v[84:85]
	v_cvt_f32_f64_e32 v6, v[6:7]
	v_cvt_f32_f64_e32 v4, v[4:5]
	v_add_f64 v[18:19], v[18:19], v[26:27]
	v_add_f64 v[16:17], v[16:17], v[24:25]
	v_min3_f32 v176, v6, v4, v149
	v_add_f64 v[4:5], v[62:63], v[86:87]
	v_add_f64 v[6:7], v[60:61], v[84:85]
	v_cvt_f32_f64_e32 v16, v[16:17]
	v_cvt_f32_f64_e32 v17, v[18:19]
	v_cvt_f32_f64_e32 v6, v[6:7]
	v_cvt_f32_f64_e32 v4, v[4:5]
	v_add_f64 v[22:23], v[22:23], v[26:27]
	v_add_f64 v[20:21], v[20:21], v[24:25]
	v_min3_f32 v16, v16, v17, v175
	v_min3_f32 v175, v6, v4, v150
	v_add_f64 v[4:5], v[66:67], v[86:87]
	v_add_f64 v[6:7], v[64:65], v[84:85]
	v_cvt_f32_f64_e32 v20, v[20:21]
	v_cvt_f32_f64_e32 v21, v[22:23]
	v_cvt_f32_f64_e32 v6, v[6:7]
	v_cvt_f32_f64_e32 v4, v[4:5]
	v_add_f64 v[30:31], v[30:31], v[26:27]
	v_add_f64 v[28:29], v[28:29], v[24:25]
	v_min3_f32 v20, v20, v21, v174
	;; [unrolled: 10-line block ×3, first 2 shown]
	v_min3_f32 v173, v6, v4, v152
	s_waitcnt lgkmcnt(0)
	v_add_f64 v[4:5], v[2:3], v[82:83]
	v_add_f64 v[6:7], v[0:1], v[80:81]
	v_cvt_f32_f64_e32 v32, v[32:33]
	v_cvt_f32_f64_e32 v33, v[34:35]
	;; [unrolled: 1-line block ×4, first 2 shown]
	v_add_f64 v[38:39], v[38:39], v[26:27]
	v_add_f64 v[36:37], v[36:37], v[24:25]
	v_min3_f32 v32, v32, v33, v172
	v_min3_f32 v172, v6, v4, v153
	v_add_f64 v[4:5], v[42:43], v[82:83]
	v_add_f64 v[6:7], v[40:41], v[80:81]
	v_cvt_f32_f64_e32 v36, v[36:37]
	v_cvt_f32_f64_e32 v37, v[38:39]
	;; [unrolled: 1-line block ×4, first 2 shown]
	v_add_f64 v[50:51], v[50:51], v[26:27]
	v_add_f64 v[48:49], v[48:49], v[24:25]
	v_min3_f32 v36, v36, v37, v171
	v_min3_f32 v171, v6, v4, v154
	v_add_f64 v[4:5], v[46:47], v[82:83]
	v_add_f64 v[6:7], v[44:45], v[80:81]
	v_cvt_f32_f64_e32 v48, v[48:49]
	v_cvt_f32_f64_e32 v49, v[50:51]
	;; [unrolled: 1-line block ×4, first 2 shown]
	v_min3_f32 v48, v48, v49, v170
	v_min3_f32 v170, v6, v4, v155
	v_add_f64 v[4:5], v[54:55], v[82:83]
	v_add_f64 v[6:7], v[52:53], v[80:81]
	v_cvt_f32_f64_e32 v72, v[72:73]
	v_cvt_f32_f64_e32 v73, v[74:75]
	;; [unrolled: 1-line block ×5, first 2 shown]
	v_min3_f32 v101, v72, v73, v169
	v_min3_f32 v169, v6, v4, v156
	v_add_f64 v[4:5], v[58:59], v[82:83]
	v_add_f64 v[6:7], v[56:57], v[80:81]
	v_cvt_f32_f64_e32 v102, v[102:103]
	v_cvt_f32_f64_e32 v6, v[6:7]
	;; [unrolled: 1-line block ×5, first 2 shown]
	v_min3_f32 v100, v102, v100, v168
	v_min3_f32 v168, v6, v4, v157
	v_add_f64 v[4:5], v[62:63], v[82:83]
	v_add_f64 v[6:7], v[60:61], v[80:81]
	v_min3_f32 v160, v76, v77, v160
	ds_read_b128 v[76:79], v209 offset:1552
	ds_read_b128 v[72:75], v209 offset:1808
	v_cvt_f32_f64_e32 v6, v[6:7]
	v_cvt_f32_f64_e32 v4, v[4:5]
	v_min3_f32 v167, v6, v4, v158
	v_add_f64 v[4:5], v[66:67], v[82:83]
	v_add_f64 v[6:7], v[64:65], v[80:81]
	v_cvt_f32_f64_e32 v6, v[6:7]
	v_cvt_f32_f64_e32 v4, v[4:5]
	v_min3_f32 v166, v6, v4, v159
	v_add_f64 v[4:5], v[70:71], v[82:83]
	v_add_f64 v[6:7], v[68:69], v[80:81]
	v_cvt_f32_f64_e32 v6, v[6:7]
	v_cvt_f32_f64_e32 v4, v[4:5]
	v_min3_f32 v165, v6, v4, v160
	s_waitcnt lgkmcnt(1)
	v_add_f64 v[4:5], v[2:3], v[78:79]
	v_add_f64 v[6:7], v[0:1], v[76:77]
	s_waitcnt lgkmcnt(0)
	v_add_f64 v[2:3], v[2:3], v[74:75]
	v_add_f64 v[0:1], v[0:1], v[72:73]
	v_cvt_f32_f64_e32 v6, v[6:7]
	v_cvt_f32_f64_e32 v4, v[4:5]
	v_cvt_f32_f64_e32 v0, v[0:1]
	v_cvt_f32_f64_e32 v1, v[2:3]
	v_min3_f32 v164, v6, v4, v161
	v_add_f64 v[4:5], v[42:43], v[78:79]
	v_add_f64 v[6:7], v[40:41], v[76:77]
	v_min3_f32 v155, v0, v1, v48
	v_add_f64 v[0:1], v[42:43], v[74:75]
	v_add_f64 v[2:3], v[40:41], v[72:73]
	v_cvt_f32_f64_e32 v6, v[6:7]
	v_cvt_f32_f64_e32 v4, v[4:5]
	v_cvt_f32_f64_e32 v2, v[2:3]
	v_cvt_f32_f64_e32 v0, v[0:1]
	v_min3_f32 v162, v6, v4, v162
	v_add_f64 v[4:5], v[46:47], v[78:79]
	v_add_f64 v[6:7], v[44:45], v[76:77]
	v_min3_f32 v154, v2, v0, v36
	;; [unrolled: 10-line block ×7, first 2 shown]
	v_add_f64 v[0:1], v[70:71], v[74:75]
	v_add_f64 v[2:3], v[68:69], v[72:73]
	v_cvt_f32_f64_e32 v6, v[6:7]
	v_cvt_f32_f64_e32 v4, v[4:5]
	v_cvt_f32_f64_e32 v2, v[2:3]
	v_cvt_f32_f64_e32 v0, v[0:1]
	s_add_i32 s36, s36, 8
	v_min3_f32 v156, v6, v4, v101
	v_min3_f32 v148, v2, v0, v13
	s_cmp_ge_i32 s36, s39
	v_lshl_add_u64 v[130:131], v[130:131], 0, 64
	ds_write2st64_b64 v210, v[132:133], v[134:135] offset1:4
	ds_write2st64_b64 v210, v[136:137], v[138:139] offset0:8 offset1:12
	ds_write_b64 v211, v[140:141]
	s_waitcnt lgkmcnt(0)
	s_barrier
	s_cbranch_scc1 .LBB161_51
.LBB161_31:                             ; =>This Inner Loop Header: Depth=1
	v_add_u32_e32 v220, s36, v144
	v_add_u32_e32 v0, 8, v220
	v_cmp_le_i32_e64 s[10:11], s26, v0
	v_min_i32_e32 v0, s38, v0
	v_mad_i64_i32 v[0:1], s[14:15], v0, s27, 0
	v_lshl_add_u64 v[0:1], v[0:1], 3, s[34:35]
	s_or_b64 s[14:15], vcc, s[10:11]
	v_cndmask_b32_e64 v133, 0, v214, s[14:15]
	s_nor_b64 s[40:41], s[16:17], s[14:15]
	v_cndmask_b32_e64 v132, 0, -1, s[14:15]
	v_lshl_add_u64 v[0:1], v[128:129], 3, v[0:1]
	s_and_saveexec_b64 s[14:15], s[40:41]
	s_cbranch_execz .LBB161_33
; %bb.32:                               ;   in Loop: Header=BB161_31 Depth=1
	global_load_dwordx2 v[2:3], v[0:1], off
	s_waitcnt vmcnt(0)
	v_mul_f64 v[132:133], s[28:29], v[2:3]
.LBB161_33:                             ;   in Loop: Header=BB161_31 Depth=1
	s_or_b64 exec, exec, s[14:15]
	s_or_b64 s[14:15], s[12:13], s[10:11]
	v_cndmask_b32_e64 v135, 0, v214, s[14:15]
	s_nor_b64 s[40:41], s[16:17], s[14:15]
	v_cndmask_b32_e64 v134, 0, -1, s[14:15]
	s_and_saveexec_b64 s[14:15], s[40:41]
	s_cbranch_execz .LBB161_35
; %bb.34:                               ;   in Loop: Header=BB161_31 Depth=1
	global_load_dwordx2 v[2:3], v[0:1], off offset:512
	s_waitcnt vmcnt(0)
	v_mul_f64 v[134:135], s[28:29], v[2:3]
.LBB161_35:                             ;   in Loop: Header=BB161_31 Depth=1
	s_or_b64 exec, exec, s[14:15]
	s_or_b64 s[14:15], s[4:5], s[10:11]
	v_cndmask_b32_e64 v137, 0, v214, s[14:15]
	s_nor_b64 s[40:41], s[16:17], s[14:15]
	v_cndmask_b32_e64 v136, 0, -1, s[14:15]
	s_and_saveexec_b64 s[14:15], s[40:41]
	s_cbranch_execz .LBB161_37
; %bb.36:                               ;   in Loop: Header=BB161_31 Depth=1
	global_load_dwordx2 v[2:3], v[0:1], off offset:1024
	s_waitcnt vmcnt(0)
	v_mul_f64 v[136:137], s[28:29], v[2:3]
.LBB161_37:                             ;   in Loop: Header=BB161_31 Depth=1
	;; [unrolled: 12-line block ×3, first 2 shown]
	s_or_b64 exec, exec, s[10:11]
	v_add_u32_e32 v221, s36, v147
	v_add_u32_e32 v0, 8, v221
	v_cmp_le_i32_e64 s[10:11], s26, v0
	s_or_b64 s[10:11], s[10:11], s[8:9]
	s_nor_b64 s[14:15], s[16:17], s[10:11]
	v_cndmask_b32_e64 v141, 0, v214, s[10:11]
	v_cndmask_b32_e64 v140, 0, -1, s[10:11]
	s_and_saveexec_b64 s[10:11], s[14:15]
	s_cbranch_execz .LBB161_41
; %bb.40:                               ;   in Loop: Header=BB161_31 Depth=1
	global_load_dwordx2 v[0:1], v[130:131], off
	s_waitcnt vmcnt(0)
	v_mul_f64 v[140:141], s[28:29], v[0:1]
.LBB161_41:                             ;   in Loop: Header=BB161_31 Depth=1
	s_or_b64 exec, exec, s[10:11]
	ds_read_b128 v[124:127], v213
	ds_read_b128 v[60:63], v213 offset:16
	ds_read_b128 v[96:99], v212
	ds_read_b128 v[32:35], v212 offset:16
	ds_read_b128 v[92:95], v212 offset:1024
	;; [unrolled: 1-line block ×29, first 2 shown]
	ds_write2st64_b64 v163, v[132:133], v[134:135] offset1:4
	ds_write2st64_b64 v163, v[136:137], v[138:139] offset0:8 offset1:12
	ds_write_b64 v208, v[140:141]
	v_add_u32_e32 v132, 12, v220
	v_cmp_le_i32_e64 s[10:11], s26, v132
	v_min_i32_e32 v132, s38, v132
	v_mad_i64_i32 v[132:133], s[14:15], v132, s27, 0
	v_lshl_add_u64 v[134:135], v[132:133], 3, s[34:35]
	s_or_b64 s[14:15], vcc, s[10:11]
	v_cndmask_b32_e64 v133, 0, v214, s[14:15]
	s_nor_b64 s[40:41], s[16:17], s[14:15]
	v_cndmask_b32_e64 v132, 0, -1, s[14:15]
	v_lshl_add_u64 v[140:141], v[128:129], 3, v[134:135]
	s_waitcnt lgkmcnt(0)
	s_barrier
	s_and_saveexec_b64 s[14:15], s[40:41]
	s_cbranch_execz .LBB161_43
; %bb.42:                               ;   in Loop: Header=BB161_31 Depth=1
	global_load_dwordx2 v[132:133], v[140:141], off
	s_waitcnt vmcnt(0)
	v_mul_f64 v[132:133], s[28:29], v[132:133]
.LBB161_43:                             ;   in Loop: Header=BB161_31 Depth=1
	s_or_b64 exec, exec, s[14:15]
	s_or_b64 s[14:15], s[12:13], s[10:11]
	v_cndmask_b32_e64 v135, 0, v214, s[14:15]
	s_nor_b64 s[40:41], s[16:17], s[14:15]
	v_cndmask_b32_e64 v134, 0, -1, s[14:15]
	s_and_saveexec_b64 s[14:15], s[40:41]
	s_cbranch_execz .LBB161_45
; %bb.44:                               ;   in Loop: Header=BB161_31 Depth=1
	global_load_dwordx2 v[134:135], v[140:141], off offset:512
	s_waitcnt vmcnt(0)
	v_mul_f64 v[134:135], s[28:29], v[134:135]
.LBB161_45:                             ;   in Loop: Header=BB161_31 Depth=1
	s_or_b64 exec, exec, s[14:15]
	s_or_b64 s[14:15], s[4:5], s[10:11]
	v_cndmask_b32_e64 v137, 0, v214, s[14:15]
	s_nor_b64 s[40:41], s[16:17], s[14:15]
	v_cndmask_b32_e64 v136, 0, -1, s[14:15]
	s_and_saveexec_b64 s[14:15], s[40:41]
	s_cbranch_execz .LBB161_47
; %bb.46:                               ;   in Loop: Header=BB161_31 Depth=1
	global_load_dwordx2 v[136:137], v[140:141], off offset:1024
	s_waitcnt vmcnt(0)
	v_mul_f64 v[136:137], s[28:29], v[136:137]
.LBB161_47:                             ;   in Loop: Header=BB161_31 Depth=1
	;; [unrolled: 12-line block ×3, first 2 shown]
	s_or_b64 exec, exec, s[10:11]
	v_add_u32_e32 v140, 12, v221
	v_cmp_le_i32_e64 s[10:11], s26, v140
	s_or_b64 s[10:11], s[10:11], s[8:9]
	s_nor_b64 s[14:15], s[16:17], s[10:11]
	v_cndmask_b32_e64 v141, 0, v214, s[10:11]
	v_cndmask_b32_e64 v140, 0, -1, s[10:11]
	s_and_saveexec_b64 s[10:11], s[14:15]
	s_cbranch_execz .LBB161_30
; %bb.50:                               ;   in Loop: Header=BB161_31 Depth=1
	global_load_dwordx2 v[140:141], v[130:131], off offset:32
	s_waitcnt vmcnt(0)
	v_mul_f64 v[140:141], s[28:29], v[140:141]
	s_branch .LBB161_30
.LBB161_51:
	s_load_dwordx2 s[4:5], s[0:1], 0x78
	s_load_dword s29, s[0:1], 0x58
	s_load_dword s28, s[0:1], 0x70
	ds_read_b128 v[68:71], v146 offset:8192
	ds_read_b128 v[64:67], v146 offset:8208
	;; [unrolled: 1-line block ×32, first 2 shown]
	v_add_u32_e32 v163, s33, v143
	s_waitcnt lgkmcnt(0)
	s_mul_i32 s1, s5, s3
	s_mul_hi_u32 s5, s4, s3
	s_mul_i32 s0, s4, s3
	s_add_i32 s1, s5, s1
	s_lshl_b64 s[0:1], s[0:1], 3
	s_add_u32 s26, s18, s0
	s_addc_u32 s27, s19, s1
	v_mad_i64_i32 v[130:131], s[0:1], v163, s29, 0
	v_add_u32_e32 v128, s2, v142
	v_lshl_add_u64 v[146:147], v[130:131], 3, s[30:31]
	v_mad_i64_i32 v[130:131], s[0:1], v163, s28, 0
	v_cmp_gt_i32_e64 s[2:3], s24, v128
	v_cmp_gt_i32_e64 s[18:19], s25, v163
	v_lshl_add_u64 v[144:145], v[130:131], 3, s[26:27]
	v_cndmask_b32_e64 v130, 0, 1, s[20:21]
	v_ashrrev_i32_e32 v129, 31, v128
	s_and_b64 s[6:7], s[2:3], s[18:19]
	v_cmp_ne_u32_e64 s[0:1], 1, v130
	s_and_saveexec_b64 s[4:5], s[6:7]
	s_cbranch_execz .LBB161_56
; %bb.52:
	s_and_b64 vcc, exec, s[0:1]
	s_cbranch_vccnz .LBB161_54
; %bb.53:
	v_lshl_add_u64 v[130:131], v[128:129], 3, v[146:147]
	global_load_dwordx2 v[130:131], v[130:131], off
	s_waitcnt vmcnt(0)
	v_mul_f64 v[130:131], s[22:23], v[130:131]
	v_cvt_f32_f64_e32 v130, v[130:131]
	s_branch .LBB161_55
.LBB161_54:
	v_mov_b32_e32 v130, 0
.LBB161_55:
	v_add_f64 v[132:133], v[70:71], v[126:127]
	v_add_f64 v[134:135], v[68:69], v[124:125]
	v_cvt_f32_f64_e32 v131, v[134:135]
	v_cvt_f32_f64_e32 v132, v[132:133]
	v_min3_f32 v131, v131, v132, v219
	v_add_f64 v[132:133], v[66:67], v[122:123]
	v_add_f64 v[134:135], v[64:65], v[120:121]
	v_cvt_f32_f64_e32 v134, v[134:135]
	v_cvt_f32_f64_e32 v132, v[132:133]
	v_min_f32_e32 v132, v134, v132
	v_min3_f32 v130, v130, v132, v131
	v_cvt_f64_f32_e32 v[130:131], v130
	v_lshl_add_u64 v[132:133], v[128:129], 3, v[144:145]
	global_store_dwordx2 v[132:133], v[130:131], off
.LBB161_56:
	s_or_b64 exec, exec, s[4:5]
	v_add_u32_e32 v130, 32, v128
	v_cmp_gt_i32_e64 s[4:5], s24, v130
	v_ashrrev_i32_e32 v131, 31, v130
	s_and_b64 s[8:9], s[4:5], s[18:19]
	s_and_saveexec_b64 s[6:7], s[8:9]
	s_cbranch_execz .LBB161_61
; %bb.57:
	s_and_b64 vcc, exec, s[0:1]
	s_cbranch_vccnz .LBB161_59
; %bb.58:
	v_lshl_add_u64 v[132:133], v[130:131], 3, v[146:147]
	global_load_dwordx2 v[132:133], v[132:133], off
	s_waitcnt vmcnt(0)
	v_mul_f64 v[132:133], s[22:23], v[132:133]
	v_cvt_f32_f64_e32 v132, v[132:133]
	s_branch .LBB161_60
.LBB161_59:
	v_mov_b32_e32 v132, 0
.LBB161_60:
	v_add_f64 v[134:135], v[62:63], v[126:127]
	v_add_f64 v[136:137], v[60:61], v[124:125]
	v_cvt_f32_f64_e32 v133, v[136:137]
	v_cvt_f32_f64_e32 v134, v[134:135]
	v_min3_f32 v133, v133, v134, v218
	v_add_f64 v[134:135], v[58:59], v[122:123]
	v_add_f64 v[136:137], v[56:57], v[120:121]
	v_cvt_f32_f64_e32 v136, v[136:137]
	v_cvt_f32_f64_e32 v134, v[134:135]
	v_min_f32_e32 v134, v136, v134
	v_min3_f32 v132, v132, v134, v133
	v_cvt_f64_f32_e32 v[132:133], v132
	v_lshl_add_u64 v[134:135], v[130:131], 3, v[144:145]
	global_store_dwordx2 v[134:135], v[132:133], off
.LBB161_61:
	s_or_b64 exec, exec, s[6:7]
	v_add_u32_e32 v132, 64, v128
	v_cmp_gt_i32_e64 s[6:7], s24, v132
	v_ashrrev_i32_e32 v133, 31, v132
	s_and_b64 s[10:11], s[6:7], s[18:19]
	;; [unrolled: 35-line block ×7, first 2 shown]
	s_and_saveexec_b64 s[18:19], s[20:21]
	s_cbranch_execz .LBB161_91
; %bb.87:
	s_and_b64 vcc, exec, s[0:1]
	s_cbranch_vccnz .LBB161_89
; %bb.88:
	v_lshl_add_u64 v[146:147], v[142:143], 3, v[146:147]
	global_load_dwordx2 v[146:147], v[146:147], off
	s_waitcnt vmcnt(0)
	v_mul_f64 v[146:147], s[22:23], v[146:147]
	v_cvt_f32_f64_e32 v146, v[146:147]
	s_branch .LBB161_90
.LBB161_89:
	v_mov_b32_e32 v146, 0
.LBB161_90:
	v_add_f64 v[126:127], v[6:7], v[126:127]
	v_add_f64 v[124:125], v[4:5], v[124:125]
	;; [unrolled: 1-line block ×4, first 2 shown]
	v_cvt_f32_f64_e32 v124, v[124:125]
	v_cvt_f32_f64_e32 v125, v[126:127]
	;; [unrolled: 1-line block ×4, first 2 shown]
	v_min3_f32 v124, v124, v125, v205
	v_min_f32_e32 v120, v120, v121
	v_min3_f32 v120, v146, v120, v124
	v_cvt_f64_f32_e32 v[120:121], v120
	v_lshl_add_u64 v[122:123], v[142:143], 3, v[144:145]
	global_store_dwordx2 v[122:123], v[120:121], off
.LBB161_91:
	s_or_b64 exec, exec, s[18:19]
	v_add_u32_e32 v124, 8, v163
	v_mad_i64_i32 v[120:121], s[20:21], v124, s29, 0
	v_cmp_gt_i32_e64 s[18:19], s25, v124
	v_lshl_add_u64 v[122:123], v[120:121], 3, s[30:31]
	v_mad_i64_i32 v[120:121], s[20:21], v124, s28, 0
	v_lshl_add_u64 v[120:121], v[120:121], 3, s[26:27]
	s_and_b64 s[34:35], s[2:3], s[18:19]
	s_and_saveexec_b64 s[20:21], s[34:35]
	s_cbranch_execnz .LBB161_99
; %bb.92:
	s_or_b64 exec, exec, s[20:21]
	s_and_b64 s[34:35], s[4:5], s[18:19]
	s_and_saveexec_b64 s[20:21], s[34:35]
	s_cbranch_execnz .LBB161_103
.LBB161_93:
	s_or_b64 exec, exec, s[20:21]
	s_and_b64 s[34:35], s[6:7], s[18:19]
	s_and_saveexec_b64 s[20:21], s[34:35]
	s_cbranch_execnz .LBB161_107
.LBB161_94:
	s_or_b64 exec, exec, s[20:21]
	s_and_b64 s[34:35], s[8:9], s[18:19]
	s_and_saveexec_b64 s[20:21], s[34:35]
	s_cbranch_execnz .LBB161_111
.LBB161_95:
	s_or_b64 exec, exec, s[20:21]
	s_and_b64 s[34:35], s[10:11], s[18:19]
	s_and_saveexec_b64 s[20:21], s[34:35]
	s_cbranch_execnz .LBB161_115
.LBB161_96:
	s_or_b64 exec, exec, s[20:21]
	s_and_b64 s[34:35], s[12:13], s[18:19]
	s_and_saveexec_b64 s[20:21], s[34:35]
	s_cbranch_execnz .LBB161_119
.LBB161_97:
	s_or_b64 exec, exec, s[20:21]
	s_and_b64 s[34:35], s[14:15], s[18:19]
	s_and_saveexec_b64 s[20:21], s[34:35]
	s_cbranch_execnz .LBB161_123
.LBB161_98:
	s_or_b64 exec, exec, s[20:21]
	s_and_b64 s[20:21], s[16:17], s[18:19]
	s_and_saveexec_b64 s[18:19], s[20:21]
	s_cbranch_execnz .LBB161_127
	s_branch .LBB161_131
.LBB161_99:
	s_and_b64 vcc, exec, s[0:1]
	s_cbranch_vccnz .LBB161_101
; %bb.100:
	v_lshl_add_u64 v[124:125], v[128:129], 3, v[122:123]
	global_load_dwordx2 v[124:125], v[124:125], off
	s_waitcnt vmcnt(0)
	v_mul_f64 v[124:125], s[22:23], v[124:125]
	v_cvt_f32_f64_e32 v124, v[124:125]
	s_branch .LBB161_102
.LBB161_101:
	v_mov_b32_e32 v124, 0
.LBB161_102:
	v_add_f64 v[126:127], v[70:71], v[118:119]
	v_add_f64 v[144:145], v[68:69], v[116:117]
	v_cvt_f32_f64_e32 v125, v[144:145]
	v_cvt_f32_f64_e32 v126, v[126:127]
	v_min3_f32 v125, v125, v126, v204
	v_add_f64 v[126:127], v[66:67], v[114:115]
	v_add_f64 v[144:145], v[64:65], v[112:113]
	v_cvt_f32_f64_e32 v144, v[144:145]
	v_cvt_f32_f64_e32 v126, v[126:127]
	v_min_f32_e32 v126, v144, v126
	v_min3_f32 v124, v124, v126, v125
	v_cvt_f64_f32_e32 v[124:125], v124
	v_lshl_add_u64 v[126:127], v[128:129], 3, v[120:121]
	global_store_dwordx2 v[126:127], v[124:125], off
	s_or_b64 exec, exec, s[20:21]
	s_and_b64 s[34:35], s[4:5], s[18:19]
	s_and_saveexec_b64 s[20:21], s[34:35]
	s_cbranch_execz .LBB161_93
.LBB161_103:
	s_and_b64 vcc, exec, s[0:1]
	s_cbranch_vccnz .LBB161_105
; %bb.104:
	v_lshl_add_u64 v[124:125], v[130:131], 3, v[122:123]
	global_load_dwordx2 v[124:125], v[124:125], off
	s_waitcnt vmcnt(0)
	v_mul_f64 v[124:125], s[22:23], v[124:125]
	v_cvt_f32_f64_e32 v124, v[124:125]
	s_branch .LBB161_106
.LBB161_105:
	v_mov_b32_e32 v124, 0
.LBB161_106:
	v_add_f64 v[126:127], v[62:63], v[118:119]
	v_add_f64 v[144:145], v[60:61], v[116:117]
	v_cvt_f32_f64_e32 v125, v[144:145]
	v_cvt_f32_f64_e32 v126, v[126:127]
	v_min3_f32 v125, v125, v126, v203
	v_add_f64 v[126:127], v[58:59], v[114:115]
	v_add_f64 v[144:145], v[56:57], v[112:113]
	v_cvt_f32_f64_e32 v144, v[144:145]
	v_cvt_f32_f64_e32 v126, v[126:127]
	v_min_f32_e32 v126, v144, v126
	v_min3_f32 v124, v124, v126, v125
	v_cvt_f64_f32_e32 v[124:125], v124
	v_lshl_add_u64 v[126:127], v[130:131], 3, v[120:121]
	global_store_dwordx2 v[126:127], v[124:125], off
	s_or_b64 exec, exec, s[20:21]
	s_and_b64 s[34:35], s[6:7], s[18:19]
	s_and_saveexec_b64 s[20:21], s[34:35]
	s_cbranch_execz .LBB161_94
.LBB161_107:
	s_and_b64 vcc, exec, s[0:1]
	s_cbranch_vccnz .LBB161_109
; %bb.108:
	v_lshl_add_u64 v[124:125], v[132:133], 3, v[122:123]
	global_load_dwordx2 v[124:125], v[124:125], off
	s_waitcnt vmcnt(0)
	v_mul_f64 v[124:125], s[22:23], v[124:125]
	v_cvt_f32_f64_e32 v124, v[124:125]
	s_branch .LBB161_110
.LBB161_109:
	v_mov_b32_e32 v124, 0
.LBB161_110:
	v_add_f64 v[126:127], v[54:55], v[118:119]
	v_add_f64 v[144:145], v[52:53], v[116:117]
	v_cvt_f32_f64_e32 v125, v[144:145]
	v_cvt_f32_f64_e32 v126, v[126:127]
	v_min3_f32 v125, v125, v126, v202
	v_add_f64 v[126:127], v[50:51], v[114:115]
	v_add_f64 v[144:145], v[48:49], v[112:113]
	v_cvt_f32_f64_e32 v144, v[144:145]
	v_cvt_f32_f64_e32 v126, v[126:127]
	v_min_f32_e32 v126, v144, v126
	v_min3_f32 v124, v124, v126, v125
	v_cvt_f64_f32_e32 v[124:125], v124
	v_lshl_add_u64 v[126:127], v[132:133], 3, v[120:121]
	global_store_dwordx2 v[126:127], v[124:125], off
	s_or_b64 exec, exec, s[20:21]
	s_and_b64 s[34:35], s[8:9], s[18:19]
	s_and_saveexec_b64 s[20:21], s[34:35]
	s_cbranch_execz .LBB161_95
.LBB161_111:
	s_and_b64 vcc, exec, s[0:1]
	s_cbranch_vccnz .LBB161_113
; %bb.112:
	v_lshl_add_u64 v[124:125], v[134:135], 3, v[122:123]
	global_load_dwordx2 v[124:125], v[124:125], off
	s_waitcnt vmcnt(0)
	v_mul_f64 v[124:125], s[22:23], v[124:125]
	v_cvt_f32_f64_e32 v124, v[124:125]
	s_branch .LBB161_114
.LBB161_113:
	v_mov_b32_e32 v124, 0
.LBB161_114:
	v_add_f64 v[126:127], v[46:47], v[118:119]
	v_add_f64 v[144:145], v[44:45], v[116:117]
	v_cvt_f32_f64_e32 v125, v[144:145]
	v_cvt_f32_f64_e32 v126, v[126:127]
	v_min3_f32 v125, v125, v126, v201
	v_add_f64 v[126:127], v[42:43], v[114:115]
	v_add_f64 v[144:145], v[40:41], v[112:113]
	v_cvt_f32_f64_e32 v144, v[144:145]
	v_cvt_f32_f64_e32 v126, v[126:127]
	v_min_f32_e32 v126, v144, v126
	v_min3_f32 v124, v124, v126, v125
	v_cvt_f64_f32_e32 v[124:125], v124
	v_lshl_add_u64 v[126:127], v[134:135], 3, v[120:121]
	global_store_dwordx2 v[126:127], v[124:125], off
	s_or_b64 exec, exec, s[20:21]
	s_and_b64 s[34:35], s[10:11], s[18:19]
	s_and_saveexec_b64 s[20:21], s[34:35]
	s_cbranch_execz .LBB161_96
.LBB161_115:
	s_and_b64 vcc, exec, s[0:1]
	s_cbranch_vccnz .LBB161_117
; %bb.116:
	v_lshl_add_u64 v[124:125], v[136:137], 3, v[122:123]
	global_load_dwordx2 v[124:125], v[124:125], off
	s_waitcnt vmcnt(0)
	v_mul_f64 v[124:125], s[22:23], v[124:125]
	v_cvt_f32_f64_e32 v124, v[124:125]
	s_branch .LBB161_118
.LBB161_117:
	v_mov_b32_e32 v124, 0
.LBB161_118:
	v_add_f64 v[126:127], v[38:39], v[118:119]
	v_add_f64 v[144:145], v[36:37], v[116:117]
	v_cvt_f32_f64_e32 v125, v[144:145]
	v_cvt_f32_f64_e32 v126, v[126:127]
	v_min3_f32 v125, v125, v126, v200
	v_add_f64 v[126:127], v[34:35], v[114:115]
	v_add_f64 v[144:145], v[32:33], v[112:113]
	v_cvt_f32_f64_e32 v144, v[144:145]
	v_cvt_f32_f64_e32 v126, v[126:127]
	v_min_f32_e32 v126, v144, v126
	v_min3_f32 v124, v124, v126, v125
	v_cvt_f64_f32_e32 v[124:125], v124
	v_lshl_add_u64 v[126:127], v[136:137], 3, v[120:121]
	global_store_dwordx2 v[126:127], v[124:125], off
	s_or_b64 exec, exec, s[20:21]
	s_and_b64 s[34:35], s[12:13], s[18:19]
	s_and_saveexec_b64 s[20:21], s[34:35]
	s_cbranch_execz .LBB161_97
.LBB161_119:
	s_and_b64 vcc, exec, s[0:1]
	s_cbranch_vccnz .LBB161_121
; %bb.120:
	v_lshl_add_u64 v[124:125], v[138:139], 3, v[122:123]
	global_load_dwordx2 v[124:125], v[124:125], off
	s_waitcnt vmcnt(0)
	v_mul_f64 v[124:125], s[22:23], v[124:125]
	v_cvt_f32_f64_e32 v124, v[124:125]
	s_branch .LBB161_122
.LBB161_121:
	v_mov_b32_e32 v124, 0
.LBB161_122:
	v_add_f64 v[126:127], v[30:31], v[118:119]
	v_add_f64 v[144:145], v[28:29], v[116:117]
	v_cvt_f32_f64_e32 v125, v[144:145]
	v_cvt_f32_f64_e32 v126, v[126:127]
	v_min3_f32 v125, v125, v126, v199
	v_add_f64 v[126:127], v[26:27], v[114:115]
	v_add_f64 v[144:145], v[24:25], v[112:113]
	v_cvt_f32_f64_e32 v144, v[144:145]
	v_cvt_f32_f64_e32 v126, v[126:127]
	v_min_f32_e32 v126, v144, v126
	v_min3_f32 v124, v124, v126, v125
	v_cvt_f64_f32_e32 v[124:125], v124
	v_lshl_add_u64 v[126:127], v[138:139], 3, v[120:121]
	global_store_dwordx2 v[126:127], v[124:125], off
	s_or_b64 exec, exec, s[20:21]
	s_and_b64 s[34:35], s[14:15], s[18:19]
	s_and_saveexec_b64 s[20:21], s[34:35]
	s_cbranch_execz .LBB161_98
.LBB161_123:
	s_and_b64 vcc, exec, s[0:1]
	s_cbranch_vccnz .LBB161_125
; %bb.124:
	v_lshl_add_u64 v[124:125], v[140:141], 3, v[122:123]
	global_load_dwordx2 v[124:125], v[124:125], off
	s_waitcnt vmcnt(0)
	v_mul_f64 v[124:125], s[22:23], v[124:125]
	v_cvt_f32_f64_e32 v124, v[124:125]
	s_branch .LBB161_126
.LBB161_125:
	v_mov_b32_e32 v124, 0
.LBB161_126:
	v_add_f64 v[126:127], v[22:23], v[118:119]
	v_add_f64 v[144:145], v[20:21], v[116:117]
	v_cvt_f32_f64_e32 v125, v[144:145]
	v_cvt_f32_f64_e32 v126, v[126:127]
	v_min3_f32 v125, v125, v126, v198
	v_add_f64 v[126:127], v[18:19], v[114:115]
	v_add_f64 v[144:145], v[16:17], v[112:113]
	v_cvt_f32_f64_e32 v144, v[144:145]
	v_cvt_f32_f64_e32 v126, v[126:127]
	v_min_f32_e32 v126, v144, v126
	v_min3_f32 v124, v124, v126, v125
	v_cvt_f64_f32_e32 v[124:125], v124
	v_lshl_add_u64 v[126:127], v[140:141], 3, v[120:121]
	global_store_dwordx2 v[126:127], v[124:125], off
	s_or_b64 exec, exec, s[20:21]
	s_and_b64 s[20:21], s[16:17], s[18:19]
	s_and_saveexec_b64 s[18:19], s[20:21]
	s_cbranch_execz .LBB161_131
.LBB161_127:
	s_and_b64 vcc, exec, s[0:1]
	s_cbranch_vccnz .LBB161_129
; %bb.128:
	v_lshl_add_u64 v[122:123], v[142:143], 3, v[122:123]
	global_load_dwordx2 v[122:123], v[122:123], off
	s_waitcnt vmcnt(0)
	v_mul_f64 v[122:123], s[22:23], v[122:123]
	v_cvt_f32_f64_e32 v122, v[122:123]
	s_branch .LBB161_130
.LBB161_129:
	v_mov_b32_e32 v122, 0
.LBB161_130:
	v_add_f64 v[118:119], v[6:7], v[118:119]
	v_add_f64 v[116:117], v[4:5], v[116:117]
	;; [unrolled: 1-line block ×4, first 2 shown]
	v_cvt_f32_f64_e32 v116, v[116:117]
	v_cvt_f32_f64_e32 v117, v[118:119]
	;; [unrolled: 1-line block ×4, first 2 shown]
	v_min3_f32 v116, v116, v117, v197
	v_min_f32_e32 v112, v112, v113
	v_min3_f32 v112, v122, v112, v116
	v_cvt_f64_f32_e32 v[112:113], v112
	v_lshl_add_u64 v[114:115], v[142:143], 3, v[120:121]
	global_store_dwordx2 v[114:115], v[112:113], off
.LBB161_131:
	s_or_b64 exec, exec, s[18:19]
	v_add_u32_e32 v116, 16, v163
	v_mad_i64_i32 v[112:113], s[20:21], v116, s29, 0
	v_cmp_gt_i32_e64 s[18:19], s25, v116
	v_lshl_add_u64 v[114:115], v[112:113], 3, s[30:31]
	v_mad_i64_i32 v[112:113], s[20:21], v116, s28, 0
	v_lshl_add_u64 v[112:113], v[112:113], 3, s[26:27]
	s_and_b64 s[34:35], s[2:3], s[18:19]
	s_and_saveexec_b64 s[20:21], s[34:35]
	s_cbranch_execnz .LBB161_139
; %bb.132:
	s_or_b64 exec, exec, s[20:21]
	s_and_b64 s[34:35], s[4:5], s[18:19]
	s_and_saveexec_b64 s[20:21], s[34:35]
	s_cbranch_execnz .LBB161_143
.LBB161_133:
	s_or_b64 exec, exec, s[20:21]
	s_and_b64 s[34:35], s[6:7], s[18:19]
	s_and_saveexec_b64 s[20:21], s[34:35]
	s_cbranch_execnz .LBB161_147
.LBB161_134:
	s_or_b64 exec, exec, s[20:21]
	s_and_b64 s[34:35], s[8:9], s[18:19]
	s_and_saveexec_b64 s[20:21], s[34:35]
	s_cbranch_execnz .LBB161_151
.LBB161_135:
	s_or_b64 exec, exec, s[20:21]
	s_and_b64 s[34:35], s[10:11], s[18:19]
	s_and_saveexec_b64 s[20:21], s[34:35]
	s_cbranch_execnz .LBB161_155
.LBB161_136:
	s_or_b64 exec, exec, s[20:21]
	s_and_b64 s[34:35], s[12:13], s[18:19]
	s_and_saveexec_b64 s[20:21], s[34:35]
	s_cbranch_execnz .LBB161_159
.LBB161_137:
	s_or_b64 exec, exec, s[20:21]
	s_and_b64 s[34:35], s[14:15], s[18:19]
	s_and_saveexec_b64 s[20:21], s[34:35]
	s_cbranch_execnz .LBB161_163
.LBB161_138:
	s_or_b64 exec, exec, s[20:21]
	s_and_b64 s[20:21], s[16:17], s[18:19]
	s_and_saveexec_b64 s[18:19], s[20:21]
	s_cbranch_execnz .LBB161_167
	s_branch .LBB161_171
.LBB161_139:
	s_and_b64 vcc, exec, s[0:1]
	s_cbranch_vccnz .LBB161_141
; %bb.140:
	v_lshl_add_u64 v[116:117], v[128:129], 3, v[114:115]
	global_load_dwordx2 v[116:117], v[116:117], off
	s_waitcnt vmcnt(0)
	v_mul_f64 v[116:117], s[22:23], v[116:117]
	v_cvt_f32_f64_e32 v116, v[116:117]
	s_branch .LBB161_142
.LBB161_141:
	v_mov_b32_e32 v116, 0
.LBB161_142:
	v_add_f64 v[118:119], v[70:71], v[110:111]
	v_add_f64 v[120:121], v[68:69], v[108:109]
	v_cvt_f32_f64_e32 v117, v[120:121]
	v_cvt_f32_f64_e32 v118, v[118:119]
	v_min3_f32 v117, v117, v118, v196
	v_add_f64 v[118:119], v[66:67], v[106:107]
	v_add_f64 v[120:121], v[64:65], v[104:105]
	v_cvt_f32_f64_e32 v120, v[120:121]
	v_cvt_f32_f64_e32 v118, v[118:119]
	v_min_f32_e32 v118, v120, v118
	v_min3_f32 v116, v116, v118, v117
	v_cvt_f64_f32_e32 v[116:117], v116
	v_lshl_add_u64 v[118:119], v[128:129], 3, v[112:113]
	global_store_dwordx2 v[118:119], v[116:117], off
	s_or_b64 exec, exec, s[20:21]
	s_and_b64 s[34:35], s[4:5], s[18:19]
	s_and_saveexec_b64 s[20:21], s[34:35]
	s_cbranch_execz .LBB161_133
.LBB161_143:
	s_and_b64 vcc, exec, s[0:1]
	s_cbranch_vccnz .LBB161_145
; %bb.144:
	v_lshl_add_u64 v[116:117], v[130:131], 3, v[114:115]
	global_load_dwordx2 v[116:117], v[116:117], off
	s_waitcnt vmcnt(0)
	v_mul_f64 v[116:117], s[22:23], v[116:117]
	v_cvt_f32_f64_e32 v116, v[116:117]
	s_branch .LBB161_146
.LBB161_145:
	v_mov_b32_e32 v116, 0
.LBB161_146:
	v_add_f64 v[118:119], v[62:63], v[110:111]
	v_add_f64 v[120:121], v[60:61], v[108:109]
	v_cvt_f32_f64_e32 v117, v[120:121]
	v_cvt_f32_f64_e32 v118, v[118:119]
	v_min3_f32 v117, v117, v118, v195
	v_add_f64 v[118:119], v[58:59], v[106:107]
	v_add_f64 v[120:121], v[56:57], v[104:105]
	v_cvt_f32_f64_e32 v120, v[120:121]
	v_cvt_f32_f64_e32 v118, v[118:119]
	v_min_f32_e32 v118, v120, v118
	v_min3_f32 v116, v116, v118, v117
	v_cvt_f64_f32_e32 v[116:117], v116
	v_lshl_add_u64 v[118:119], v[130:131], 3, v[112:113]
	global_store_dwordx2 v[118:119], v[116:117], off
	s_or_b64 exec, exec, s[20:21]
	s_and_b64 s[34:35], s[6:7], s[18:19]
	s_and_saveexec_b64 s[20:21], s[34:35]
	s_cbranch_execz .LBB161_134
.LBB161_147:
	s_and_b64 vcc, exec, s[0:1]
	s_cbranch_vccnz .LBB161_149
; %bb.148:
	v_lshl_add_u64 v[116:117], v[132:133], 3, v[114:115]
	global_load_dwordx2 v[116:117], v[116:117], off
	s_waitcnt vmcnt(0)
	v_mul_f64 v[116:117], s[22:23], v[116:117]
	v_cvt_f32_f64_e32 v116, v[116:117]
	s_branch .LBB161_150
.LBB161_149:
	v_mov_b32_e32 v116, 0
.LBB161_150:
	v_add_f64 v[118:119], v[54:55], v[110:111]
	v_add_f64 v[120:121], v[52:53], v[108:109]
	v_cvt_f32_f64_e32 v117, v[120:121]
	v_cvt_f32_f64_e32 v118, v[118:119]
	v_min3_f32 v117, v117, v118, v194
	v_add_f64 v[118:119], v[50:51], v[106:107]
	v_add_f64 v[120:121], v[48:49], v[104:105]
	v_cvt_f32_f64_e32 v120, v[120:121]
	v_cvt_f32_f64_e32 v118, v[118:119]
	v_min_f32_e32 v118, v120, v118
	v_min3_f32 v116, v116, v118, v117
	v_cvt_f64_f32_e32 v[116:117], v116
	v_lshl_add_u64 v[118:119], v[132:133], 3, v[112:113]
	global_store_dwordx2 v[118:119], v[116:117], off
	s_or_b64 exec, exec, s[20:21]
	s_and_b64 s[34:35], s[8:9], s[18:19]
	s_and_saveexec_b64 s[20:21], s[34:35]
	s_cbranch_execz .LBB161_135
.LBB161_151:
	s_and_b64 vcc, exec, s[0:1]
	s_cbranch_vccnz .LBB161_153
; %bb.152:
	v_lshl_add_u64 v[116:117], v[134:135], 3, v[114:115]
	global_load_dwordx2 v[116:117], v[116:117], off
	s_waitcnt vmcnt(0)
	v_mul_f64 v[116:117], s[22:23], v[116:117]
	v_cvt_f32_f64_e32 v116, v[116:117]
	s_branch .LBB161_154
.LBB161_153:
	v_mov_b32_e32 v116, 0
.LBB161_154:
	v_add_f64 v[118:119], v[46:47], v[110:111]
	v_add_f64 v[120:121], v[44:45], v[108:109]
	v_cvt_f32_f64_e32 v117, v[120:121]
	v_cvt_f32_f64_e32 v118, v[118:119]
	v_min3_f32 v117, v117, v118, v193
	v_add_f64 v[118:119], v[42:43], v[106:107]
	v_add_f64 v[120:121], v[40:41], v[104:105]
	v_cvt_f32_f64_e32 v120, v[120:121]
	v_cvt_f32_f64_e32 v118, v[118:119]
	v_min_f32_e32 v118, v120, v118
	v_min3_f32 v116, v116, v118, v117
	v_cvt_f64_f32_e32 v[116:117], v116
	v_lshl_add_u64 v[118:119], v[134:135], 3, v[112:113]
	global_store_dwordx2 v[118:119], v[116:117], off
	s_or_b64 exec, exec, s[20:21]
	s_and_b64 s[34:35], s[10:11], s[18:19]
	s_and_saveexec_b64 s[20:21], s[34:35]
	s_cbranch_execz .LBB161_136
.LBB161_155:
	s_and_b64 vcc, exec, s[0:1]
	s_cbranch_vccnz .LBB161_157
; %bb.156:
	v_lshl_add_u64 v[116:117], v[136:137], 3, v[114:115]
	global_load_dwordx2 v[116:117], v[116:117], off
	s_waitcnt vmcnt(0)
	v_mul_f64 v[116:117], s[22:23], v[116:117]
	v_cvt_f32_f64_e32 v116, v[116:117]
	s_branch .LBB161_158
.LBB161_157:
	v_mov_b32_e32 v116, 0
.LBB161_158:
	v_add_f64 v[118:119], v[38:39], v[110:111]
	v_add_f64 v[120:121], v[36:37], v[108:109]
	v_cvt_f32_f64_e32 v117, v[120:121]
	v_cvt_f32_f64_e32 v118, v[118:119]
	v_min3_f32 v117, v117, v118, v192
	v_add_f64 v[118:119], v[34:35], v[106:107]
	v_add_f64 v[120:121], v[32:33], v[104:105]
	v_cvt_f32_f64_e32 v120, v[120:121]
	v_cvt_f32_f64_e32 v118, v[118:119]
	v_min_f32_e32 v118, v120, v118
	v_min3_f32 v116, v116, v118, v117
	v_cvt_f64_f32_e32 v[116:117], v116
	v_lshl_add_u64 v[118:119], v[136:137], 3, v[112:113]
	global_store_dwordx2 v[118:119], v[116:117], off
	s_or_b64 exec, exec, s[20:21]
	s_and_b64 s[34:35], s[12:13], s[18:19]
	s_and_saveexec_b64 s[20:21], s[34:35]
	s_cbranch_execz .LBB161_137
.LBB161_159:
	s_and_b64 vcc, exec, s[0:1]
	s_cbranch_vccnz .LBB161_161
; %bb.160:
	v_lshl_add_u64 v[116:117], v[138:139], 3, v[114:115]
	global_load_dwordx2 v[116:117], v[116:117], off
	s_waitcnt vmcnt(0)
	v_mul_f64 v[116:117], s[22:23], v[116:117]
	v_cvt_f32_f64_e32 v116, v[116:117]
	s_branch .LBB161_162
.LBB161_161:
	v_mov_b32_e32 v116, 0
.LBB161_162:
	v_add_f64 v[118:119], v[30:31], v[110:111]
	v_add_f64 v[120:121], v[28:29], v[108:109]
	v_cvt_f32_f64_e32 v117, v[120:121]
	v_cvt_f32_f64_e32 v118, v[118:119]
	v_min3_f32 v117, v117, v118, v191
	v_add_f64 v[118:119], v[26:27], v[106:107]
	v_add_f64 v[120:121], v[24:25], v[104:105]
	v_cvt_f32_f64_e32 v120, v[120:121]
	v_cvt_f32_f64_e32 v118, v[118:119]
	v_min_f32_e32 v118, v120, v118
	v_min3_f32 v116, v116, v118, v117
	v_cvt_f64_f32_e32 v[116:117], v116
	v_lshl_add_u64 v[118:119], v[138:139], 3, v[112:113]
	global_store_dwordx2 v[118:119], v[116:117], off
	s_or_b64 exec, exec, s[20:21]
	s_and_b64 s[34:35], s[14:15], s[18:19]
	s_and_saveexec_b64 s[20:21], s[34:35]
	s_cbranch_execz .LBB161_138
.LBB161_163:
	s_and_b64 vcc, exec, s[0:1]
	s_cbranch_vccnz .LBB161_165
; %bb.164:
	v_lshl_add_u64 v[116:117], v[140:141], 3, v[114:115]
	global_load_dwordx2 v[116:117], v[116:117], off
	s_waitcnt vmcnt(0)
	v_mul_f64 v[116:117], s[22:23], v[116:117]
	v_cvt_f32_f64_e32 v116, v[116:117]
	s_branch .LBB161_166
.LBB161_165:
	v_mov_b32_e32 v116, 0
.LBB161_166:
	v_add_f64 v[118:119], v[22:23], v[110:111]
	v_add_f64 v[120:121], v[20:21], v[108:109]
	v_cvt_f32_f64_e32 v117, v[120:121]
	v_cvt_f32_f64_e32 v118, v[118:119]
	v_min3_f32 v117, v117, v118, v190
	v_add_f64 v[118:119], v[18:19], v[106:107]
	v_add_f64 v[120:121], v[16:17], v[104:105]
	v_cvt_f32_f64_e32 v120, v[120:121]
	v_cvt_f32_f64_e32 v118, v[118:119]
	v_min_f32_e32 v118, v120, v118
	v_min3_f32 v116, v116, v118, v117
	v_cvt_f64_f32_e32 v[116:117], v116
	v_lshl_add_u64 v[118:119], v[140:141], 3, v[112:113]
	global_store_dwordx2 v[118:119], v[116:117], off
	s_or_b64 exec, exec, s[20:21]
	s_and_b64 s[20:21], s[16:17], s[18:19]
	s_and_saveexec_b64 s[18:19], s[20:21]
	s_cbranch_execz .LBB161_171
.LBB161_167:
	s_and_b64 vcc, exec, s[0:1]
	s_cbranch_vccnz .LBB161_169
; %bb.168:
	v_lshl_add_u64 v[114:115], v[142:143], 3, v[114:115]
	global_load_dwordx2 v[114:115], v[114:115], off
	s_waitcnt vmcnt(0)
	v_mul_f64 v[114:115], s[22:23], v[114:115]
	v_cvt_f32_f64_e32 v114, v[114:115]
	s_branch .LBB161_170
.LBB161_169:
	v_mov_b32_e32 v114, 0
.LBB161_170:
	v_add_f64 v[110:111], v[6:7], v[110:111]
	v_add_f64 v[108:109], v[4:5], v[108:109]
	v_add_f64 v[106:107], v[2:3], v[106:107]
	v_add_f64 v[104:105], v[0:1], v[104:105]
	v_cvt_f32_f64_e32 v108, v[108:109]
	v_cvt_f32_f64_e32 v109, v[110:111]
	;; [unrolled: 1-line block ×4, first 2 shown]
	v_min3_f32 v108, v108, v109, v189
	v_min_f32_e32 v104, v104, v105
	v_min3_f32 v104, v114, v104, v108
	v_cvt_f64_f32_e32 v[104:105], v104
	v_lshl_add_u64 v[106:107], v[142:143], 3, v[112:113]
	global_store_dwordx2 v[106:107], v[104:105], off
.LBB161_171:
	s_or_b64 exec, exec, s[18:19]
	v_add_u32_e32 v108, 24, v163
	v_mad_i64_i32 v[104:105], s[20:21], v108, s29, 0
	v_cmp_gt_i32_e64 s[18:19], s25, v108
	v_lshl_add_u64 v[106:107], v[104:105], 3, s[30:31]
	v_mad_i64_i32 v[104:105], s[20:21], v108, s28, 0
	v_lshl_add_u64 v[104:105], v[104:105], 3, s[26:27]
	s_and_b64 s[34:35], s[2:3], s[18:19]
	s_and_saveexec_b64 s[20:21], s[34:35]
	s_cbranch_execnz .LBB161_179
; %bb.172:
	s_or_b64 exec, exec, s[20:21]
	s_and_b64 s[34:35], s[4:5], s[18:19]
	s_and_saveexec_b64 s[20:21], s[34:35]
	s_cbranch_execnz .LBB161_183
.LBB161_173:
	s_or_b64 exec, exec, s[20:21]
	s_and_b64 s[34:35], s[6:7], s[18:19]
	s_and_saveexec_b64 s[20:21], s[34:35]
	s_cbranch_execnz .LBB161_187
.LBB161_174:
	s_or_b64 exec, exec, s[20:21]
	s_and_b64 s[34:35], s[8:9], s[18:19]
	s_and_saveexec_b64 s[20:21], s[34:35]
	s_cbranch_execnz .LBB161_191
.LBB161_175:
	s_or_b64 exec, exec, s[20:21]
	s_and_b64 s[34:35], s[10:11], s[18:19]
	s_and_saveexec_b64 s[20:21], s[34:35]
	s_cbranch_execnz .LBB161_195
.LBB161_176:
	s_or_b64 exec, exec, s[20:21]
	s_and_b64 s[34:35], s[12:13], s[18:19]
	s_and_saveexec_b64 s[20:21], s[34:35]
	s_cbranch_execnz .LBB161_199
.LBB161_177:
	s_or_b64 exec, exec, s[20:21]
	s_and_b64 s[34:35], s[14:15], s[18:19]
	s_and_saveexec_b64 s[20:21], s[34:35]
	s_cbranch_execnz .LBB161_203
.LBB161_178:
	s_or_b64 exec, exec, s[20:21]
	s_and_b64 s[20:21], s[16:17], s[18:19]
	s_and_saveexec_b64 s[18:19], s[20:21]
	s_cbranch_execnz .LBB161_207
	s_branch .LBB161_211
.LBB161_179:
	s_and_b64 vcc, exec, s[0:1]
	s_cbranch_vccnz .LBB161_181
; %bb.180:
	v_lshl_add_u64 v[108:109], v[128:129], 3, v[106:107]
	global_load_dwordx2 v[108:109], v[108:109], off
	s_waitcnt vmcnt(0)
	v_mul_f64 v[108:109], s[22:23], v[108:109]
	v_cvt_f32_f64_e32 v108, v[108:109]
	s_branch .LBB161_182
.LBB161_181:
	v_mov_b32_e32 v108, 0
.LBB161_182:
	v_add_f64 v[110:111], v[70:71], v[102:103]
	v_add_f64 v[112:113], v[68:69], v[100:101]
	v_cvt_f32_f64_e32 v109, v[112:113]
	v_cvt_f32_f64_e32 v110, v[110:111]
	v_min3_f32 v109, v109, v110, v188
	v_add_f64 v[110:111], v[66:67], v[98:99]
	v_add_f64 v[112:113], v[64:65], v[96:97]
	v_cvt_f32_f64_e32 v112, v[112:113]
	v_cvt_f32_f64_e32 v110, v[110:111]
	v_min_f32_e32 v110, v112, v110
	v_min3_f32 v108, v108, v110, v109
	v_cvt_f64_f32_e32 v[108:109], v108
	v_lshl_add_u64 v[110:111], v[128:129], 3, v[104:105]
	global_store_dwordx2 v[110:111], v[108:109], off
	s_or_b64 exec, exec, s[20:21]
	s_and_b64 s[34:35], s[4:5], s[18:19]
	s_and_saveexec_b64 s[20:21], s[34:35]
	s_cbranch_execz .LBB161_173
.LBB161_183:
	s_and_b64 vcc, exec, s[0:1]
	s_cbranch_vccnz .LBB161_185
; %bb.184:
	v_lshl_add_u64 v[108:109], v[130:131], 3, v[106:107]
	global_load_dwordx2 v[108:109], v[108:109], off
	s_waitcnt vmcnt(0)
	v_mul_f64 v[108:109], s[22:23], v[108:109]
	v_cvt_f32_f64_e32 v108, v[108:109]
	s_branch .LBB161_186
.LBB161_185:
	v_mov_b32_e32 v108, 0
.LBB161_186:
	v_add_f64 v[110:111], v[62:63], v[102:103]
	v_add_f64 v[112:113], v[60:61], v[100:101]
	v_cvt_f32_f64_e32 v109, v[112:113]
	v_cvt_f32_f64_e32 v110, v[110:111]
	v_min3_f32 v109, v109, v110, v187
	v_add_f64 v[110:111], v[58:59], v[98:99]
	v_add_f64 v[112:113], v[56:57], v[96:97]
	v_cvt_f32_f64_e32 v112, v[112:113]
	v_cvt_f32_f64_e32 v110, v[110:111]
	v_min_f32_e32 v110, v112, v110
	v_min3_f32 v108, v108, v110, v109
	v_cvt_f64_f32_e32 v[108:109], v108
	v_lshl_add_u64 v[110:111], v[130:131], 3, v[104:105]
	global_store_dwordx2 v[110:111], v[108:109], off
	s_or_b64 exec, exec, s[20:21]
	s_and_b64 s[34:35], s[6:7], s[18:19]
	s_and_saveexec_b64 s[20:21], s[34:35]
	s_cbranch_execz .LBB161_174
.LBB161_187:
	s_and_b64 vcc, exec, s[0:1]
	s_cbranch_vccnz .LBB161_189
; %bb.188:
	v_lshl_add_u64 v[108:109], v[132:133], 3, v[106:107]
	global_load_dwordx2 v[108:109], v[108:109], off
	s_waitcnt vmcnt(0)
	v_mul_f64 v[108:109], s[22:23], v[108:109]
	v_cvt_f32_f64_e32 v108, v[108:109]
	s_branch .LBB161_190
.LBB161_189:
	v_mov_b32_e32 v108, 0
.LBB161_190:
	v_add_f64 v[110:111], v[54:55], v[102:103]
	v_add_f64 v[112:113], v[52:53], v[100:101]
	v_cvt_f32_f64_e32 v109, v[112:113]
	v_cvt_f32_f64_e32 v110, v[110:111]
	v_min3_f32 v109, v109, v110, v186
	v_add_f64 v[110:111], v[50:51], v[98:99]
	v_add_f64 v[112:113], v[48:49], v[96:97]
	v_cvt_f32_f64_e32 v112, v[112:113]
	v_cvt_f32_f64_e32 v110, v[110:111]
	v_min_f32_e32 v110, v112, v110
	v_min3_f32 v108, v108, v110, v109
	v_cvt_f64_f32_e32 v[108:109], v108
	v_lshl_add_u64 v[110:111], v[132:133], 3, v[104:105]
	global_store_dwordx2 v[110:111], v[108:109], off
	s_or_b64 exec, exec, s[20:21]
	s_and_b64 s[34:35], s[8:9], s[18:19]
	s_and_saveexec_b64 s[20:21], s[34:35]
	s_cbranch_execz .LBB161_175
.LBB161_191:
	s_and_b64 vcc, exec, s[0:1]
	s_cbranch_vccnz .LBB161_193
; %bb.192:
	v_lshl_add_u64 v[108:109], v[134:135], 3, v[106:107]
	global_load_dwordx2 v[108:109], v[108:109], off
	s_waitcnt vmcnt(0)
	v_mul_f64 v[108:109], s[22:23], v[108:109]
	v_cvt_f32_f64_e32 v108, v[108:109]
	s_branch .LBB161_194
.LBB161_193:
	v_mov_b32_e32 v108, 0
.LBB161_194:
	v_add_f64 v[110:111], v[46:47], v[102:103]
	v_add_f64 v[112:113], v[44:45], v[100:101]
	v_cvt_f32_f64_e32 v109, v[112:113]
	v_cvt_f32_f64_e32 v110, v[110:111]
	v_min3_f32 v109, v109, v110, v185
	v_add_f64 v[110:111], v[42:43], v[98:99]
	v_add_f64 v[112:113], v[40:41], v[96:97]
	v_cvt_f32_f64_e32 v112, v[112:113]
	v_cvt_f32_f64_e32 v110, v[110:111]
	v_min_f32_e32 v110, v112, v110
	v_min3_f32 v108, v108, v110, v109
	v_cvt_f64_f32_e32 v[108:109], v108
	v_lshl_add_u64 v[110:111], v[134:135], 3, v[104:105]
	global_store_dwordx2 v[110:111], v[108:109], off
	s_or_b64 exec, exec, s[20:21]
	s_and_b64 s[34:35], s[10:11], s[18:19]
	s_and_saveexec_b64 s[20:21], s[34:35]
	s_cbranch_execz .LBB161_176
.LBB161_195:
	s_and_b64 vcc, exec, s[0:1]
	s_cbranch_vccnz .LBB161_197
; %bb.196:
	v_lshl_add_u64 v[108:109], v[136:137], 3, v[106:107]
	global_load_dwordx2 v[108:109], v[108:109], off
	s_waitcnt vmcnt(0)
	v_mul_f64 v[108:109], s[22:23], v[108:109]
	v_cvt_f32_f64_e32 v108, v[108:109]
	s_branch .LBB161_198
.LBB161_197:
	v_mov_b32_e32 v108, 0
.LBB161_198:
	v_add_f64 v[110:111], v[38:39], v[102:103]
	v_add_f64 v[112:113], v[36:37], v[100:101]
	v_cvt_f32_f64_e32 v109, v[112:113]
	v_cvt_f32_f64_e32 v110, v[110:111]
	v_min3_f32 v109, v109, v110, v184
	v_add_f64 v[110:111], v[34:35], v[98:99]
	v_add_f64 v[112:113], v[32:33], v[96:97]
	v_cvt_f32_f64_e32 v112, v[112:113]
	v_cvt_f32_f64_e32 v110, v[110:111]
	v_min_f32_e32 v110, v112, v110
	v_min3_f32 v108, v108, v110, v109
	v_cvt_f64_f32_e32 v[108:109], v108
	v_lshl_add_u64 v[110:111], v[136:137], 3, v[104:105]
	global_store_dwordx2 v[110:111], v[108:109], off
	s_or_b64 exec, exec, s[20:21]
	s_and_b64 s[34:35], s[12:13], s[18:19]
	s_and_saveexec_b64 s[20:21], s[34:35]
	s_cbranch_execz .LBB161_177
.LBB161_199:
	s_and_b64 vcc, exec, s[0:1]
	s_cbranch_vccnz .LBB161_201
; %bb.200:
	v_lshl_add_u64 v[108:109], v[138:139], 3, v[106:107]
	global_load_dwordx2 v[108:109], v[108:109], off
	s_waitcnt vmcnt(0)
	v_mul_f64 v[108:109], s[22:23], v[108:109]
	v_cvt_f32_f64_e32 v108, v[108:109]
	s_branch .LBB161_202
.LBB161_201:
	v_mov_b32_e32 v108, 0
.LBB161_202:
	v_add_f64 v[110:111], v[30:31], v[102:103]
	v_add_f64 v[112:113], v[28:29], v[100:101]
	v_cvt_f32_f64_e32 v109, v[112:113]
	v_cvt_f32_f64_e32 v110, v[110:111]
	v_min3_f32 v109, v109, v110, v183
	v_add_f64 v[110:111], v[26:27], v[98:99]
	v_add_f64 v[112:113], v[24:25], v[96:97]
	v_cvt_f32_f64_e32 v112, v[112:113]
	v_cvt_f32_f64_e32 v110, v[110:111]
	v_min_f32_e32 v110, v112, v110
	v_min3_f32 v108, v108, v110, v109
	v_cvt_f64_f32_e32 v[108:109], v108
	v_lshl_add_u64 v[110:111], v[138:139], 3, v[104:105]
	global_store_dwordx2 v[110:111], v[108:109], off
	s_or_b64 exec, exec, s[20:21]
	s_and_b64 s[34:35], s[14:15], s[18:19]
	s_and_saveexec_b64 s[20:21], s[34:35]
	s_cbranch_execz .LBB161_178
.LBB161_203:
	s_and_b64 vcc, exec, s[0:1]
	s_cbranch_vccnz .LBB161_205
; %bb.204:
	v_lshl_add_u64 v[108:109], v[140:141], 3, v[106:107]
	global_load_dwordx2 v[108:109], v[108:109], off
	s_waitcnt vmcnt(0)
	v_mul_f64 v[108:109], s[22:23], v[108:109]
	v_cvt_f32_f64_e32 v108, v[108:109]
	s_branch .LBB161_206
.LBB161_205:
	v_mov_b32_e32 v108, 0
.LBB161_206:
	v_add_f64 v[110:111], v[22:23], v[102:103]
	v_add_f64 v[112:113], v[20:21], v[100:101]
	v_cvt_f32_f64_e32 v109, v[112:113]
	v_cvt_f32_f64_e32 v110, v[110:111]
	v_min3_f32 v109, v109, v110, v182
	v_add_f64 v[110:111], v[18:19], v[98:99]
	v_add_f64 v[112:113], v[16:17], v[96:97]
	v_cvt_f32_f64_e32 v112, v[112:113]
	v_cvt_f32_f64_e32 v110, v[110:111]
	v_min_f32_e32 v110, v112, v110
	v_min3_f32 v108, v108, v110, v109
	v_cvt_f64_f32_e32 v[108:109], v108
	v_lshl_add_u64 v[110:111], v[140:141], 3, v[104:105]
	global_store_dwordx2 v[110:111], v[108:109], off
	s_or_b64 exec, exec, s[20:21]
	s_and_b64 s[20:21], s[16:17], s[18:19]
	s_and_saveexec_b64 s[18:19], s[20:21]
	s_cbranch_execz .LBB161_211
.LBB161_207:
	s_and_b64 vcc, exec, s[0:1]
	s_cbranch_vccnz .LBB161_209
; %bb.208:
	v_lshl_add_u64 v[106:107], v[142:143], 3, v[106:107]
	global_load_dwordx2 v[106:107], v[106:107], off
	s_waitcnt vmcnt(0)
	v_mul_f64 v[106:107], s[22:23], v[106:107]
	v_cvt_f32_f64_e32 v106, v[106:107]
	s_branch .LBB161_210
.LBB161_209:
	v_mov_b32_e32 v106, 0
.LBB161_210:
	v_add_f64 v[102:103], v[6:7], v[102:103]
	v_add_f64 v[100:101], v[4:5], v[100:101]
	;; [unrolled: 1-line block ×4, first 2 shown]
	v_cvt_f32_f64_e32 v100, v[100:101]
	v_cvt_f32_f64_e32 v101, v[102:103]
	;; [unrolled: 1-line block ×4, first 2 shown]
	v_min3_f32 v100, v100, v101, v181
	v_min_f32_e32 v96, v96, v97
	v_min3_f32 v96, v106, v96, v100
	v_cvt_f64_f32_e32 v[96:97], v96
	v_lshl_add_u64 v[98:99], v[142:143], 3, v[104:105]
	global_store_dwordx2 v[98:99], v[96:97], off
.LBB161_211:
	s_or_b64 exec, exec, s[18:19]
	v_add_u32_e32 v100, 32, v163
	v_mad_i64_i32 v[96:97], s[20:21], v100, s29, 0
	v_cmp_gt_i32_e64 s[18:19], s25, v100
	v_lshl_add_u64 v[98:99], v[96:97], 3, s[30:31]
	v_mad_i64_i32 v[96:97], s[20:21], v100, s28, 0
	v_lshl_add_u64 v[96:97], v[96:97], 3, s[26:27]
	s_and_b64 s[34:35], s[2:3], s[18:19]
	s_and_saveexec_b64 s[20:21], s[34:35]
	s_cbranch_execnz .LBB161_219
; %bb.212:
	s_or_b64 exec, exec, s[20:21]
	s_and_b64 s[34:35], s[4:5], s[18:19]
	s_and_saveexec_b64 s[20:21], s[34:35]
	s_cbranch_execnz .LBB161_223
.LBB161_213:
	s_or_b64 exec, exec, s[20:21]
	s_and_b64 s[34:35], s[6:7], s[18:19]
	s_and_saveexec_b64 s[20:21], s[34:35]
	s_cbranch_execnz .LBB161_227
.LBB161_214:
	s_or_b64 exec, exec, s[20:21]
	s_and_b64 s[34:35], s[8:9], s[18:19]
	s_and_saveexec_b64 s[20:21], s[34:35]
	s_cbranch_execnz .LBB161_231
.LBB161_215:
	s_or_b64 exec, exec, s[20:21]
	s_and_b64 s[34:35], s[10:11], s[18:19]
	s_and_saveexec_b64 s[20:21], s[34:35]
	s_cbranch_execnz .LBB161_235
.LBB161_216:
	s_or_b64 exec, exec, s[20:21]
	s_and_b64 s[34:35], s[12:13], s[18:19]
	s_and_saveexec_b64 s[20:21], s[34:35]
	s_cbranch_execnz .LBB161_239
.LBB161_217:
	s_or_b64 exec, exec, s[20:21]
	s_and_b64 s[34:35], s[14:15], s[18:19]
	s_and_saveexec_b64 s[20:21], s[34:35]
	s_cbranch_execnz .LBB161_243
.LBB161_218:
	s_or_b64 exec, exec, s[20:21]
	s_and_b64 s[20:21], s[16:17], s[18:19]
	s_and_saveexec_b64 s[18:19], s[20:21]
	s_cbranch_execnz .LBB161_247
	s_branch .LBB161_251
.LBB161_219:
	s_and_b64 vcc, exec, s[0:1]
	s_cbranch_vccnz .LBB161_221
; %bb.220:
	v_lshl_add_u64 v[100:101], v[128:129], 3, v[98:99]
	global_load_dwordx2 v[100:101], v[100:101], off
	s_waitcnt vmcnt(0)
	v_mul_f64 v[100:101], s[22:23], v[100:101]
	v_cvt_f32_f64_e32 v100, v[100:101]
	s_branch .LBB161_222
.LBB161_221:
	v_mov_b32_e32 v100, 0
.LBB161_222:
	v_add_f64 v[102:103], v[70:71], v[94:95]
	v_add_f64 v[104:105], v[68:69], v[92:93]
	v_cvt_f32_f64_e32 v101, v[104:105]
	v_cvt_f32_f64_e32 v102, v[102:103]
	v_min3_f32 v101, v101, v102, v180
	v_add_f64 v[102:103], v[66:67], v[90:91]
	v_add_f64 v[104:105], v[64:65], v[88:89]
	v_cvt_f32_f64_e32 v104, v[104:105]
	v_cvt_f32_f64_e32 v102, v[102:103]
	v_min_f32_e32 v102, v104, v102
	v_min3_f32 v100, v100, v102, v101
	v_cvt_f64_f32_e32 v[100:101], v100
	v_lshl_add_u64 v[102:103], v[128:129], 3, v[96:97]
	global_store_dwordx2 v[102:103], v[100:101], off
	s_or_b64 exec, exec, s[20:21]
	s_and_b64 s[34:35], s[4:5], s[18:19]
	s_and_saveexec_b64 s[20:21], s[34:35]
	s_cbranch_execz .LBB161_213
.LBB161_223:
	s_and_b64 vcc, exec, s[0:1]
	s_cbranch_vccnz .LBB161_225
; %bb.224:
	v_lshl_add_u64 v[100:101], v[130:131], 3, v[98:99]
	global_load_dwordx2 v[100:101], v[100:101], off
	s_waitcnt vmcnt(0)
	v_mul_f64 v[100:101], s[22:23], v[100:101]
	v_cvt_f32_f64_e32 v100, v[100:101]
	s_branch .LBB161_226
.LBB161_225:
	v_mov_b32_e32 v100, 0
.LBB161_226:
	v_add_f64 v[102:103], v[62:63], v[94:95]
	v_add_f64 v[104:105], v[60:61], v[92:93]
	v_cvt_f32_f64_e32 v101, v[104:105]
	v_cvt_f32_f64_e32 v102, v[102:103]
	v_min3_f32 v101, v101, v102, v179
	v_add_f64 v[102:103], v[58:59], v[90:91]
	v_add_f64 v[104:105], v[56:57], v[88:89]
	v_cvt_f32_f64_e32 v104, v[104:105]
	v_cvt_f32_f64_e32 v102, v[102:103]
	v_min_f32_e32 v102, v104, v102
	v_min3_f32 v100, v100, v102, v101
	v_cvt_f64_f32_e32 v[100:101], v100
	v_lshl_add_u64 v[102:103], v[130:131], 3, v[96:97]
	global_store_dwordx2 v[102:103], v[100:101], off
	s_or_b64 exec, exec, s[20:21]
	s_and_b64 s[34:35], s[6:7], s[18:19]
	s_and_saveexec_b64 s[20:21], s[34:35]
	s_cbranch_execz .LBB161_214
.LBB161_227:
	s_and_b64 vcc, exec, s[0:1]
	s_cbranch_vccnz .LBB161_229
; %bb.228:
	v_lshl_add_u64 v[100:101], v[132:133], 3, v[98:99]
	global_load_dwordx2 v[100:101], v[100:101], off
	s_waitcnt vmcnt(0)
	v_mul_f64 v[100:101], s[22:23], v[100:101]
	v_cvt_f32_f64_e32 v100, v[100:101]
	s_branch .LBB161_230
.LBB161_229:
	v_mov_b32_e32 v100, 0
.LBB161_230:
	v_add_f64 v[102:103], v[54:55], v[94:95]
	v_add_f64 v[104:105], v[52:53], v[92:93]
	v_cvt_f32_f64_e32 v101, v[104:105]
	v_cvt_f32_f64_e32 v102, v[102:103]
	v_min3_f32 v101, v101, v102, v178
	v_add_f64 v[102:103], v[50:51], v[90:91]
	v_add_f64 v[104:105], v[48:49], v[88:89]
	v_cvt_f32_f64_e32 v104, v[104:105]
	v_cvt_f32_f64_e32 v102, v[102:103]
	v_min_f32_e32 v102, v104, v102
	v_min3_f32 v100, v100, v102, v101
	v_cvt_f64_f32_e32 v[100:101], v100
	v_lshl_add_u64 v[102:103], v[132:133], 3, v[96:97]
	global_store_dwordx2 v[102:103], v[100:101], off
	s_or_b64 exec, exec, s[20:21]
	s_and_b64 s[34:35], s[8:9], s[18:19]
	s_and_saveexec_b64 s[20:21], s[34:35]
	s_cbranch_execz .LBB161_215
.LBB161_231:
	s_and_b64 vcc, exec, s[0:1]
	s_cbranch_vccnz .LBB161_233
; %bb.232:
	v_lshl_add_u64 v[100:101], v[134:135], 3, v[98:99]
	global_load_dwordx2 v[100:101], v[100:101], off
	s_waitcnt vmcnt(0)
	v_mul_f64 v[100:101], s[22:23], v[100:101]
	v_cvt_f32_f64_e32 v100, v[100:101]
	s_branch .LBB161_234
.LBB161_233:
	v_mov_b32_e32 v100, 0
.LBB161_234:
	v_add_f64 v[102:103], v[46:47], v[94:95]
	v_add_f64 v[104:105], v[44:45], v[92:93]
	v_cvt_f32_f64_e32 v101, v[104:105]
	v_cvt_f32_f64_e32 v102, v[102:103]
	v_min3_f32 v101, v101, v102, v177
	v_add_f64 v[102:103], v[42:43], v[90:91]
	v_add_f64 v[104:105], v[40:41], v[88:89]
	v_cvt_f32_f64_e32 v104, v[104:105]
	v_cvt_f32_f64_e32 v102, v[102:103]
	v_min_f32_e32 v102, v104, v102
	v_min3_f32 v100, v100, v102, v101
	v_cvt_f64_f32_e32 v[100:101], v100
	v_lshl_add_u64 v[102:103], v[134:135], 3, v[96:97]
	global_store_dwordx2 v[102:103], v[100:101], off
	s_or_b64 exec, exec, s[20:21]
	s_and_b64 s[34:35], s[10:11], s[18:19]
	s_and_saveexec_b64 s[20:21], s[34:35]
	s_cbranch_execz .LBB161_216
.LBB161_235:
	s_and_b64 vcc, exec, s[0:1]
	s_cbranch_vccnz .LBB161_237
; %bb.236:
	v_lshl_add_u64 v[100:101], v[136:137], 3, v[98:99]
	global_load_dwordx2 v[100:101], v[100:101], off
	s_waitcnt vmcnt(0)
	v_mul_f64 v[100:101], s[22:23], v[100:101]
	v_cvt_f32_f64_e32 v100, v[100:101]
	s_branch .LBB161_238
.LBB161_237:
	v_mov_b32_e32 v100, 0
.LBB161_238:
	v_add_f64 v[102:103], v[38:39], v[94:95]
	v_add_f64 v[104:105], v[36:37], v[92:93]
	v_cvt_f32_f64_e32 v101, v[104:105]
	v_cvt_f32_f64_e32 v102, v[102:103]
	v_min3_f32 v101, v101, v102, v176
	v_add_f64 v[102:103], v[34:35], v[90:91]
	v_add_f64 v[104:105], v[32:33], v[88:89]
	v_cvt_f32_f64_e32 v104, v[104:105]
	v_cvt_f32_f64_e32 v102, v[102:103]
	v_min_f32_e32 v102, v104, v102
	v_min3_f32 v100, v100, v102, v101
	v_cvt_f64_f32_e32 v[100:101], v100
	v_lshl_add_u64 v[102:103], v[136:137], 3, v[96:97]
	global_store_dwordx2 v[102:103], v[100:101], off
	s_or_b64 exec, exec, s[20:21]
	s_and_b64 s[34:35], s[12:13], s[18:19]
	s_and_saveexec_b64 s[20:21], s[34:35]
	s_cbranch_execz .LBB161_217
.LBB161_239:
	s_and_b64 vcc, exec, s[0:1]
	s_cbranch_vccnz .LBB161_241
; %bb.240:
	v_lshl_add_u64 v[100:101], v[138:139], 3, v[98:99]
	global_load_dwordx2 v[100:101], v[100:101], off
	s_waitcnt vmcnt(0)
	v_mul_f64 v[100:101], s[22:23], v[100:101]
	v_cvt_f32_f64_e32 v100, v[100:101]
	s_branch .LBB161_242
.LBB161_241:
	v_mov_b32_e32 v100, 0
.LBB161_242:
	v_add_f64 v[102:103], v[30:31], v[94:95]
	v_add_f64 v[104:105], v[28:29], v[92:93]
	v_cvt_f32_f64_e32 v101, v[104:105]
	v_cvt_f32_f64_e32 v102, v[102:103]
	v_min3_f32 v101, v101, v102, v175
	v_add_f64 v[102:103], v[26:27], v[90:91]
	v_add_f64 v[104:105], v[24:25], v[88:89]
	v_cvt_f32_f64_e32 v104, v[104:105]
	v_cvt_f32_f64_e32 v102, v[102:103]
	v_min_f32_e32 v102, v104, v102
	v_min3_f32 v100, v100, v102, v101
	v_cvt_f64_f32_e32 v[100:101], v100
	v_lshl_add_u64 v[102:103], v[138:139], 3, v[96:97]
	global_store_dwordx2 v[102:103], v[100:101], off
	s_or_b64 exec, exec, s[20:21]
	s_and_b64 s[34:35], s[14:15], s[18:19]
	s_and_saveexec_b64 s[20:21], s[34:35]
	s_cbranch_execz .LBB161_218
.LBB161_243:
	s_and_b64 vcc, exec, s[0:1]
	s_cbranch_vccnz .LBB161_245
; %bb.244:
	v_lshl_add_u64 v[100:101], v[140:141], 3, v[98:99]
	global_load_dwordx2 v[100:101], v[100:101], off
	s_waitcnt vmcnt(0)
	v_mul_f64 v[100:101], s[22:23], v[100:101]
	v_cvt_f32_f64_e32 v100, v[100:101]
	s_branch .LBB161_246
.LBB161_245:
	v_mov_b32_e32 v100, 0
.LBB161_246:
	v_add_f64 v[102:103], v[22:23], v[94:95]
	v_add_f64 v[104:105], v[20:21], v[92:93]
	v_cvt_f32_f64_e32 v101, v[104:105]
	v_cvt_f32_f64_e32 v102, v[102:103]
	v_min3_f32 v101, v101, v102, v174
	v_add_f64 v[102:103], v[18:19], v[90:91]
	v_add_f64 v[104:105], v[16:17], v[88:89]
	v_cvt_f32_f64_e32 v104, v[104:105]
	v_cvt_f32_f64_e32 v102, v[102:103]
	v_min_f32_e32 v102, v104, v102
	v_min3_f32 v100, v100, v102, v101
	v_cvt_f64_f32_e32 v[100:101], v100
	v_lshl_add_u64 v[102:103], v[140:141], 3, v[96:97]
	global_store_dwordx2 v[102:103], v[100:101], off
	s_or_b64 exec, exec, s[20:21]
	s_and_b64 s[20:21], s[16:17], s[18:19]
	s_and_saveexec_b64 s[18:19], s[20:21]
	s_cbranch_execz .LBB161_251
.LBB161_247:
	s_and_b64 vcc, exec, s[0:1]
	s_cbranch_vccnz .LBB161_249
; %bb.248:
	v_lshl_add_u64 v[98:99], v[142:143], 3, v[98:99]
	global_load_dwordx2 v[98:99], v[98:99], off
	s_waitcnt vmcnt(0)
	v_mul_f64 v[98:99], s[22:23], v[98:99]
	v_cvt_f32_f64_e32 v98, v[98:99]
	s_branch .LBB161_250
.LBB161_249:
	v_mov_b32_e32 v98, 0
.LBB161_250:
	v_add_f64 v[94:95], v[6:7], v[94:95]
	v_add_f64 v[92:93], v[4:5], v[92:93]
	;; [unrolled: 1-line block ×4, first 2 shown]
	v_cvt_f32_f64_e32 v92, v[92:93]
	v_cvt_f32_f64_e32 v93, v[94:95]
	;; [unrolled: 1-line block ×4, first 2 shown]
	v_min3_f32 v92, v92, v93, v173
	v_min_f32_e32 v88, v88, v89
	v_min3_f32 v88, v98, v88, v92
	v_cvt_f64_f32_e32 v[88:89], v88
	v_lshl_add_u64 v[90:91], v[142:143], 3, v[96:97]
	global_store_dwordx2 v[90:91], v[88:89], off
.LBB161_251:
	s_or_b64 exec, exec, s[18:19]
	v_add_u32_e32 v92, 40, v163
	v_mad_i64_i32 v[88:89], s[20:21], v92, s29, 0
	v_cmp_gt_i32_e64 s[18:19], s25, v92
	v_lshl_add_u64 v[90:91], v[88:89], 3, s[30:31]
	v_mad_i64_i32 v[88:89], s[20:21], v92, s28, 0
	v_lshl_add_u64 v[88:89], v[88:89], 3, s[26:27]
	s_and_b64 s[34:35], s[2:3], s[18:19]
	s_and_saveexec_b64 s[20:21], s[34:35]
	s_cbranch_execnz .LBB161_259
; %bb.252:
	s_or_b64 exec, exec, s[20:21]
	s_and_b64 s[34:35], s[4:5], s[18:19]
	s_and_saveexec_b64 s[20:21], s[34:35]
	s_cbranch_execnz .LBB161_263
.LBB161_253:
	s_or_b64 exec, exec, s[20:21]
	s_and_b64 s[34:35], s[6:7], s[18:19]
	s_and_saveexec_b64 s[20:21], s[34:35]
	s_cbranch_execnz .LBB161_267
.LBB161_254:
	s_or_b64 exec, exec, s[20:21]
	s_and_b64 s[34:35], s[8:9], s[18:19]
	s_and_saveexec_b64 s[20:21], s[34:35]
	s_cbranch_execnz .LBB161_271
.LBB161_255:
	s_or_b64 exec, exec, s[20:21]
	s_and_b64 s[34:35], s[10:11], s[18:19]
	s_and_saveexec_b64 s[20:21], s[34:35]
	s_cbranch_execnz .LBB161_275
.LBB161_256:
	s_or_b64 exec, exec, s[20:21]
	s_and_b64 s[34:35], s[12:13], s[18:19]
	s_and_saveexec_b64 s[20:21], s[34:35]
	s_cbranch_execnz .LBB161_279
.LBB161_257:
	s_or_b64 exec, exec, s[20:21]
	s_and_b64 s[34:35], s[14:15], s[18:19]
	s_and_saveexec_b64 s[20:21], s[34:35]
	s_cbranch_execnz .LBB161_283
.LBB161_258:
	s_or_b64 exec, exec, s[20:21]
	s_and_b64 s[20:21], s[16:17], s[18:19]
	s_and_saveexec_b64 s[18:19], s[20:21]
	s_cbranch_execnz .LBB161_287
	s_branch .LBB161_291
.LBB161_259:
	s_and_b64 vcc, exec, s[0:1]
	s_cbranch_vccnz .LBB161_261
; %bb.260:
	v_lshl_add_u64 v[92:93], v[128:129], 3, v[90:91]
	global_load_dwordx2 v[92:93], v[92:93], off
	s_waitcnt vmcnt(0)
	v_mul_f64 v[92:93], s[22:23], v[92:93]
	v_cvt_f32_f64_e32 v92, v[92:93]
	s_branch .LBB161_262
.LBB161_261:
	v_mov_b32_e32 v92, 0
.LBB161_262:
	v_add_f64 v[94:95], v[70:71], v[86:87]
	v_add_f64 v[96:97], v[68:69], v[84:85]
	v_cvt_f32_f64_e32 v93, v[96:97]
	v_cvt_f32_f64_e32 v94, v[94:95]
	v_min3_f32 v93, v93, v94, v172
	v_add_f64 v[94:95], v[66:67], v[82:83]
	v_add_f64 v[96:97], v[64:65], v[80:81]
	v_cvt_f32_f64_e32 v96, v[96:97]
	v_cvt_f32_f64_e32 v94, v[94:95]
	v_min_f32_e32 v94, v96, v94
	v_min3_f32 v92, v92, v94, v93
	v_cvt_f64_f32_e32 v[92:93], v92
	v_lshl_add_u64 v[94:95], v[128:129], 3, v[88:89]
	global_store_dwordx2 v[94:95], v[92:93], off
	s_or_b64 exec, exec, s[20:21]
	s_and_b64 s[34:35], s[4:5], s[18:19]
	s_and_saveexec_b64 s[20:21], s[34:35]
	s_cbranch_execz .LBB161_253
.LBB161_263:
	s_and_b64 vcc, exec, s[0:1]
	s_cbranch_vccnz .LBB161_265
; %bb.264:
	v_lshl_add_u64 v[92:93], v[130:131], 3, v[90:91]
	global_load_dwordx2 v[92:93], v[92:93], off
	s_waitcnt vmcnt(0)
	v_mul_f64 v[92:93], s[22:23], v[92:93]
	v_cvt_f32_f64_e32 v92, v[92:93]
	s_branch .LBB161_266
.LBB161_265:
	v_mov_b32_e32 v92, 0
.LBB161_266:
	v_add_f64 v[94:95], v[62:63], v[86:87]
	v_add_f64 v[96:97], v[60:61], v[84:85]
	v_cvt_f32_f64_e32 v93, v[96:97]
	v_cvt_f32_f64_e32 v94, v[94:95]
	v_min3_f32 v93, v93, v94, v171
	v_add_f64 v[94:95], v[58:59], v[82:83]
	v_add_f64 v[96:97], v[56:57], v[80:81]
	v_cvt_f32_f64_e32 v96, v[96:97]
	v_cvt_f32_f64_e32 v94, v[94:95]
	v_min_f32_e32 v94, v96, v94
	v_min3_f32 v92, v92, v94, v93
	v_cvt_f64_f32_e32 v[92:93], v92
	v_lshl_add_u64 v[94:95], v[130:131], 3, v[88:89]
	global_store_dwordx2 v[94:95], v[92:93], off
	s_or_b64 exec, exec, s[20:21]
	s_and_b64 s[34:35], s[6:7], s[18:19]
	s_and_saveexec_b64 s[20:21], s[34:35]
	s_cbranch_execz .LBB161_254
.LBB161_267:
	s_and_b64 vcc, exec, s[0:1]
	s_cbranch_vccnz .LBB161_269
; %bb.268:
	v_lshl_add_u64 v[92:93], v[132:133], 3, v[90:91]
	global_load_dwordx2 v[92:93], v[92:93], off
	s_waitcnt vmcnt(0)
	v_mul_f64 v[92:93], s[22:23], v[92:93]
	v_cvt_f32_f64_e32 v92, v[92:93]
	s_branch .LBB161_270
.LBB161_269:
	v_mov_b32_e32 v92, 0
.LBB161_270:
	v_add_f64 v[94:95], v[54:55], v[86:87]
	v_add_f64 v[96:97], v[52:53], v[84:85]
	v_cvt_f32_f64_e32 v93, v[96:97]
	v_cvt_f32_f64_e32 v94, v[94:95]
	v_min3_f32 v93, v93, v94, v170
	v_add_f64 v[94:95], v[50:51], v[82:83]
	v_add_f64 v[96:97], v[48:49], v[80:81]
	v_cvt_f32_f64_e32 v96, v[96:97]
	v_cvt_f32_f64_e32 v94, v[94:95]
	v_min_f32_e32 v94, v96, v94
	v_min3_f32 v92, v92, v94, v93
	v_cvt_f64_f32_e32 v[92:93], v92
	v_lshl_add_u64 v[94:95], v[132:133], 3, v[88:89]
	global_store_dwordx2 v[94:95], v[92:93], off
	s_or_b64 exec, exec, s[20:21]
	s_and_b64 s[34:35], s[8:9], s[18:19]
	s_and_saveexec_b64 s[20:21], s[34:35]
	s_cbranch_execz .LBB161_255
.LBB161_271:
	s_and_b64 vcc, exec, s[0:1]
	s_cbranch_vccnz .LBB161_273
; %bb.272:
	v_lshl_add_u64 v[92:93], v[134:135], 3, v[90:91]
	global_load_dwordx2 v[92:93], v[92:93], off
	s_waitcnt vmcnt(0)
	v_mul_f64 v[92:93], s[22:23], v[92:93]
	v_cvt_f32_f64_e32 v92, v[92:93]
	s_branch .LBB161_274
.LBB161_273:
	v_mov_b32_e32 v92, 0
.LBB161_274:
	v_add_f64 v[94:95], v[46:47], v[86:87]
	v_add_f64 v[96:97], v[44:45], v[84:85]
	v_cvt_f32_f64_e32 v93, v[96:97]
	v_cvt_f32_f64_e32 v94, v[94:95]
	v_min3_f32 v93, v93, v94, v169
	v_add_f64 v[94:95], v[42:43], v[82:83]
	v_add_f64 v[96:97], v[40:41], v[80:81]
	v_cvt_f32_f64_e32 v96, v[96:97]
	v_cvt_f32_f64_e32 v94, v[94:95]
	v_min_f32_e32 v94, v96, v94
	v_min3_f32 v92, v92, v94, v93
	v_cvt_f64_f32_e32 v[92:93], v92
	v_lshl_add_u64 v[94:95], v[134:135], 3, v[88:89]
	global_store_dwordx2 v[94:95], v[92:93], off
	s_or_b64 exec, exec, s[20:21]
	s_and_b64 s[34:35], s[10:11], s[18:19]
	s_and_saveexec_b64 s[20:21], s[34:35]
	s_cbranch_execz .LBB161_256
.LBB161_275:
	s_and_b64 vcc, exec, s[0:1]
	s_cbranch_vccnz .LBB161_277
; %bb.276:
	v_lshl_add_u64 v[92:93], v[136:137], 3, v[90:91]
	global_load_dwordx2 v[92:93], v[92:93], off
	s_waitcnt vmcnt(0)
	v_mul_f64 v[92:93], s[22:23], v[92:93]
	v_cvt_f32_f64_e32 v92, v[92:93]
	s_branch .LBB161_278
.LBB161_277:
	v_mov_b32_e32 v92, 0
.LBB161_278:
	v_add_f64 v[94:95], v[38:39], v[86:87]
	v_add_f64 v[96:97], v[36:37], v[84:85]
	v_cvt_f32_f64_e32 v93, v[96:97]
	v_cvt_f32_f64_e32 v94, v[94:95]
	v_min3_f32 v93, v93, v94, v168
	v_add_f64 v[94:95], v[34:35], v[82:83]
	v_add_f64 v[96:97], v[32:33], v[80:81]
	v_cvt_f32_f64_e32 v96, v[96:97]
	v_cvt_f32_f64_e32 v94, v[94:95]
	v_min_f32_e32 v94, v96, v94
	v_min3_f32 v92, v92, v94, v93
	v_cvt_f64_f32_e32 v[92:93], v92
	v_lshl_add_u64 v[94:95], v[136:137], 3, v[88:89]
	global_store_dwordx2 v[94:95], v[92:93], off
	s_or_b64 exec, exec, s[20:21]
	s_and_b64 s[34:35], s[12:13], s[18:19]
	s_and_saveexec_b64 s[20:21], s[34:35]
	s_cbranch_execz .LBB161_257
.LBB161_279:
	s_and_b64 vcc, exec, s[0:1]
	s_cbranch_vccnz .LBB161_281
; %bb.280:
	v_lshl_add_u64 v[92:93], v[138:139], 3, v[90:91]
	global_load_dwordx2 v[92:93], v[92:93], off
	s_waitcnt vmcnt(0)
	v_mul_f64 v[92:93], s[22:23], v[92:93]
	v_cvt_f32_f64_e32 v92, v[92:93]
	s_branch .LBB161_282
.LBB161_281:
	v_mov_b32_e32 v92, 0
.LBB161_282:
	v_add_f64 v[94:95], v[30:31], v[86:87]
	v_add_f64 v[96:97], v[28:29], v[84:85]
	v_cvt_f32_f64_e32 v93, v[96:97]
	v_cvt_f32_f64_e32 v94, v[94:95]
	v_min3_f32 v93, v93, v94, v167
	v_add_f64 v[94:95], v[26:27], v[82:83]
	v_add_f64 v[96:97], v[24:25], v[80:81]
	v_cvt_f32_f64_e32 v96, v[96:97]
	v_cvt_f32_f64_e32 v94, v[94:95]
	v_min_f32_e32 v94, v96, v94
	v_min3_f32 v92, v92, v94, v93
	v_cvt_f64_f32_e32 v[92:93], v92
	v_lshl_add_u64 v[94:95], v[138:139], 3, v[88:89]
	global_store_dwordx2 v[94:95], v[92:93], off
	s_or_b64 exec, exec, s[20:21]
	s_and_b64 s[34:35], s[14:15], s[18:19]
	s_and_saveexec_b64 s[20:21], s[34:35]
	s_cbranch_execz .LBB161_258
.LBB161_283:
	s_and_b64 vcc, exec, s[0:1]
	s_cbranch_vccnz .LBB161_285
; %bb.284:
	v_lshl_add_u64 v[92:93], v[140:141], 3, v[90:91]
	global_load_dwordx2 v[92:93], v[92:93], off
	s_waitcnt vmcnt(0)
	v_mul_f64 v[92:93], s[22:23], v[92:93]
	v_cvt_f32_f64_e32 v92, v[92:93]
	s_branch .LBB161_286
.LBB161_285:
	v_mov_b32_e32 v92, 0
.LBB161_286:
	v_add_f64 v[94:95], v[22:23], v[86:87]
	v_add_f64 v[96:97], v[20:21], v[84:85]
	v_cvt_f32_f64_e32 v93, v[96:97]
	v_cvt_f32_f64_e32 v94, v[94:95]
	v_min3_f32 v93, v93, v94, v166
	v_add_f64 v[94:95], v[18:19], v[82:83]
	v_add_f64 v[96:97], v[16:17], v[80:81]
	v_cvt_f32_f64_e32 v96, v[96:97]
	v_cvt_f32_f64_e32 v94, v[94:95]
	v_min_f32_e32 v94, v96, v94
	v_min3_f32 v92, v92, v94, v93
	v_cvt_f64_f32_e32 v[92:93], v92
	v_lshl_add_u64 v[94:95], v[140:141], 3, v[88:89]
	global_store_dwordx2 v[94:95], v[92:93], off
	s_or_b64 exec, exec, s[20:21]
	s_and_b64 s[20:21], s[16:17], s[18:19]
	s_and_saveexec_b64 s[18:19], s[20:21]
	s_cbranch_execz .LBB161_291
.LBB161_287:
	s_and_b64 vcc, exec, s[0:1]
	s_cbranch_vccnz .LBB161_289
; %bb.288:
	v_lshl_add_u64 v[90:91], v[142:143], 3, v[90:91]
	global_load_dwordx2 v[90:91], v[90:91], off
	s_waitcnt vmcnt(0)
	v_mul_f64 v[90:91], s[22:23], v[90:91]
	v_cvt_f32_f64_e32 v90, v[90:91]
	s_branch .LBB161_290
.LBB161_289:
	v_mov_b32_e32 v90, 0
.LBB161_290:
	v_add_f64 v[86:87], v[6:7], v[86:87]
	v_add_f64 v[84:85], v[4:5], v[84:85]
	;; [unrolled: 1-line block ×4, first 2 shown]
	v_cvt_f32_f64_e32 v84, v[84:85]
	v_cvt_f32_f64_e32 v85, v[86:87]
	;; [unrolled: 1-line block ×4, first 2 shown]
	v_min3_f32 v84, v84, v85, v165
	v_min_f32_e32 v80, v80, v81
	v_min3_f32 v80, v90, v80, v84
	v_cvt_f64_f32_e32 v[80:81], v80
	v_lshl_add_u64 v[82:83], v[142:143], 3, v[88:89]
	global_store_dwordx2 v[82:83], v[80:81], off
.LBB161_291:
	s_or_b64 exec, exec, s[18:19]
	v_add_u32_e32 v84, 48, v163
	v_mad_i64_i32 v[80:81], s[20:21], v84, s29, 0
	v_cmp_gt_i32_e64 s[18:19], s25, v84
	v_lshl_add_u64 v[82:83], v[80:81], 3, s[30:31]
	v_mad_i64_i32 v[80:81], s[20:21], v84, s28, 0
	v_lshl_add_u64 v[80:81], v[80:81], 3, s[26:27]
	s_and_b64 s[34:35], s[2:3], s[18:19]
	s_and_saveexec_b64 s[20:21], s[34:35]
	s_cbranch_execnz .LBB161_299
; %bb.292:
	s_or_b64 exec, exec, s[20:21]
	s_and_b64 s[34:35], s[4:5], s[18:19]
	s_and_saveexec_b64 s[20:21], s[34:35]
	s_cbranch_execnz .LBB161_303
.LBB161_293:
	s_or_b64 exec, exec, s[20:21]
	s_and_b64 s[34:35], s[6:7], s[18:19]
	s_and_saveexec_b64 s[20:21], s[34:35]
	s_cbranch_execnz .LBB161_307
.LBB161_294:
	s_or_b64 exec, exec, s[20:21]
	s_and_b64 s[34:35], s[8:9], s[18:19]
	s_and_saveexec_b64 s[20:21], s[34:35]
	s_cbranch_execnz .LBB161_311
.LBB161_295:
	s_or_b64 exec, exec, s[20:21]
	s_and_b64 s[34:35], s[10:11], s[18:19]
	s_and_saveexec_b64 s[20:21], s[34:35]
	s_cbranch_execnz .LBB161_315
.LBB161_296:
	s_or_b64 exec, exec, s[20:21]
	s_and_b64 s[34:35], s[12:13], s[18:19]
	s_and_saveexec_b64 s[20:21], s[34:35]
	s_cbranch_execnz .LBB161_319
.LBB161_297:
	s_or_b64 exec, exec, s[20:21]
	s_and_b64 s[34:35], s[14:15], s[18:19]
	s_and_saveexec_b64 s[20:21], s[34:35]
	s_cbranch_execnz .LBB161_323
.LBB161_298:
	s_or_b64 exec, exec, s[20:21]
	s_and_b64 s[20:21], s[16:17], s[18:19]
	s_and_saveexec_b64 s[18:19], s[20:21]
	s_cbranch_execnz .LBB161_327
	s_branch .LBB161_331
.LBB161_299:
	s_and_b64 vcc, exec, s[0:1]
	s_cbranch_vccnz .LBB161_301
; %bb.300:
	v_lshl_add_u64 v[84:85], v[128:129], 3, v[82:83]
	global_load_dwordx2 v[84:85], v[84:85], off
	s_waitcnt vmcnt(0)
	v_mul_f64 v[84:85], s[22:23], v[84:85]
	v_cvt_f32_f64_e32 v84, v[84:85]
	s_branch .LBB161_302
.LBB161_301:
	v_mov_b32_e32 v84, 0
.LBB161_302:
	v_add_f64 v[86:87], v[70:71], v[78:79]
	v_add_f64 v[88:89], v[68:69], v[76:77]
	v_cvt_f32_f64_e32 v85, v[88:89]
	v_cvt_f32_f64_e32 v86, v[86:87]
	v_min3_f32 v85, v85, v86, v164
	v_add_f64 v[86:87], v[66:67], v[74:75]
	v_add_f64 v[88:89], v[64:65], v[72:73]
	v_cvt_f32_f64_e32 v88, v[88:89]
	v_cvt_f32_f64_e32 v86, v[86:87]
	v_min_f32_e32 v86, v88, v86
	v_min3_f32 v84, v84, v86, v85
	v_cvt_f64_f32_e32 v[84:85], v84
	v_lshl_add_u64 v[86:87], v[128:129], 3, v[80:81]
	global_store_dwordx2 v[86:87], v[84:85], off
	s_or_b64 exec, exec, s[20:21]
	s_and_b64 s[34:35], s[4:5], s[18:19]
	s_and_saveexec_b64 s[20:21], s[34:35]
	s_cbranch_execz .LBB161_293
.LBB161_303:
	s_and_b64 vcc, exec, s[0:1]
	s_cbranch_vccnz .LBB161_305
; %bb.304:
	v_lshl_add_u64 v[84:85], v[130:131], 3, v[82:83]
	global_load_dwordx2 v[84:85], v[84:85], off
	s_waitcnt vmcnt(0)
	v_mul_f64 v[84:85], s[22:23], v[84:85]
	v_cvt_f32_f64_e32 v84, v[84:85]
	s_branch .LBB161_306
.LBB161_305:
	v_mov_b32_e32 v84, 0
.LBB161_306:
	v_add_f64 v[86:87], v[62:63], v[78:79]
	v_add_f64 v[88:89], v[60:61], v[76:77]
	v_cvt_f32_f64_e32 v85, v[88:89]
	v_cvt_f32_f64_e32 v86, v[86:87]
	v_min3_f32 v85, v85, v86, v162
	v_add_f64 v[86:87], v[58:59], v[74:75]
	v_add_f64 v[88:89], v[56:57], v[72:73]
	v_cvt_f32_f64_e32 v88, v[88:89]
	v_cvt_f32_f64_e32 v86, v[86:87]
	v_min_f32_e32 v86, v88, v86
	v_min3_f32 v84, v84, v86, v85
	v_cvt_f64_f32_e32 v[84:85], v84
	v_lshl_add_u64 v[86:87], v[130:131], 3, v[80:81]
	global_store_dwordx2 v[86:87], v[84:85], off
	s_or_b64 exec, exec, s[20:21]
	s_and_b64 s[34:35], s[6:7], s[18:19]
	s_and_saveexec_b64 s[20:21], s[34:35]
	s_cbranch_execz .LBB161_294
.LBB161_307:
	s_and_b64 vcc, exec, s[0:1]
	s_cbranch_vccnz .LBB161_309
; %bb.308:
	v_lshl_add_u64 v[84:85], v[132:133], 3, v[82:83]
	global_load_dwordx2 v[84:85], v[84:85], off
	s_waitcnt vmcnt(0)
	v_mul_f64 v[84:85], s[22:23], v[84:85]
	v_cvt_f32_f64_e32 v84, v[84:85]
	s_branch .LBB161_310
.LBB161_309:
	v_mov_b32_e32 v84, 0
.LBB161_310:
	v_add_f64 v[86:87], v[54:55], v[78:79]
	v_add_f64 v[88:89], v[52:53], v[76:77]
	v_cvt_f32_f64_e32 v85, v[88:89]
	v_cvt_f32_f64_e32 v86, v[86:87]
	v_min3_f32 v85, v85, v86, v161
	v_add_f64 v[86:87], v[50:51], v[74:75]
	v_add_f64 v[88:89], v[48:49], v[72:73]
	v_cvt_f32_f64_e32 v88, v[88:89]
	v_cvt_f32_f64_e32 v86, v[86:87]
	v_min_f32_e32 v86, v88, v86
	v_min3_f32 v84, v84, v86, v85
	v_cvt_f64_f32_e32 v[84:85], v84
	v_lshl_add_u64 v[86:87], v[132:133], 3, v[80:81]
	global_store_dwordx2 v[86:87], v[84:85], off
	s_or_b64 exec, exec, s[20:21]
	s_and_b64 s[34:35], s[8:9], s[18:19]
	s_and_saveexec_b64 s[20:21], s[34:35]
	s_cbranch_execz .LBB161_295
.LBB161_311:
	s_and_b64 vcc, exec, s[0:1]
	s_cbranch_vccnz .LBB161_313
; %bb.312:
	v_lshl_add_u64 v[84:85], v[134:135], 3, v[82:83]
	global_load_dwordx2 v[84:85], v[84:85], off
	s_waitcnt vmcnt(0)
	v_mul_f64 v[84:85], s[22:23], v[84:85]
	v_cvt_f32_f64_e32 v84, v[84:85]
	s_branch .LBB161_314
.LBB161_313:
	v_mov_b32_e32 v84, 0
.LBB161_314:
	v_add_f64 v[86:87], v[46:47], v[78:79]
	v_add_f64 v[88:89], v[44:45], v[76:77]
	v_cvt_f32_f64_e32 v85, v[88:89]
	v_cvt_f32_f64_e32 v86, v[86:87]
	v_min3_f32 v85, v85, v86, v160
	v_add_f64 v[86:87], v[42:43], v[74:75]
	v_add_f64 v[88:89], v[40:41], v[72:73]
	v_cvt_f32_f64_e32 v88, v[88:89]
	v_cvt_f32_f64_e32 v86, v[86:87]
	v_min_f32_e32 v86, v88, v86
	v_min3_f32 v84, v84, v86, v85
	v_cvt_f64_f32_e32 v[84:85], v84
	v_lshl_add_u64 v[86:87], v[134:135], 3, v[80:81]
	global_store_dwordx2 v[86:87], v[84:85], off
	s_or_b64 exec, exec, s[20:21]
	s_and_b64 s[34:35], s[10:11], s[18:19]
	s_and_saveexec_b64 s[20:21], s[34:35]
	s_cbranch_execz .LBB161_296
.LBB161_315:
	s_and_b64 vcc, exec, s[0:1]
	s_cbranch_vccnz .LBB161_317
; %bb.316:
	v_lshl_add_u64 v[84:85], v[136:137], 3, v[82:83]
	global_load_dwordx2 v[84:85], v[84:85], off
	s_waitcnt vmcnt(0)
	v_mul_f64 v[84:85], s[22:23], v[84:85]
	v_cvt_f32_f64_e32 v84, v[84:85]
	s_branch .LBB161_318
.LBB161_317:
	v_mov_b32_e32 v84, 0
.LBB161_318:
	v_add_f64 v[86:87], v[38:39], v[78:79]
	v_add_f64 v[88:89], v[36:37], v[76:77]
	v_cvt_f32_f64_e32 v85, v[88:89]
	v_cvt_f32_f64_e32 v86, v[86:87]
	v_min3_f32 v85, v85, v86, v159
	v_add_f64 v[86:87], v[34:35], v[74:75]
	v_add_f64 v[88:89], v[32:33], v[72:73]
	v_cvt_f32_f64_e32 v88, v[88:89]
	v_cvt_f32_f64_e32 v86, v[86:87]
	v_min_f32_e32 v86, v88, v86
	v_min3_f32 v84, v84, v86, v85
	v_cvt_f64_f32_e32 v[84:85], v84
	v_lshl_add_u64 v[86:87], v[136:137], 3, v[80:81]
	global_store_dwordx2 v[86:87], v[84:85], off
	s_or_b64 exec, exec, s[20:21]
	s_and_b64 s[34:35], s[12:13], s[18:19]
	s_and_saveexec_b64 s[20:21], s[34:35]
	s_cbranch_execz .LBB161_297
.LBB161_319:
	s_and_b64 vcc, exec, s[0:1]
	s_cbranch_vccnz .LBB161_321
; %bb.320:
	v_lshl_add_u64 v[84:85], v[138:139], 3, v[82:83]
	global_load_dwordx2 v[84:85], v[84:85], off
	s_waitcnt vmcnt(0)
	v_mul_f64 v[84:85], s[22:23], v[84:85]
	v_cvt_f32_f64_e32 v84, v[84:85]
	s_branch .LBB161_322
.LBB161_321:
	v_mov_b32_e32 v84, 0
.LBB161_322:
	v_add_f64 v[86:87], v[30:31], v[78:79]
	v_add_f64 v[88:89], v[28:29], v[76:77]
	v_cvt_f32_f64_e32 v85, v[88:89]
	v_cvt_f32_f64_e32 v86, v[86:87]
	v_min3_f32 v85, v85, v86, v158
	v_add_f64 v[86:87], v[26:27], v[74:75]
	v_add_f64 v[88:89], v[24:25], v[72:73]
	v_cvt_f32_f64_e32 v88, v[88:89]
	v_cvt_f32_f64_e32 v86, v[86:87]
	v_min_f32_e32 v86, v88, v86
	v_min3_f32 v84, v84, v86, v85
	v_cvt_f64_f32_e32 v[84:85], v84
	v_lshl_add_u64 v[86:87], v[138:139], 3, v[80:81]
	global_store_dwordx2 v[86:87], v[84:85], off
	s_or_b64 exec, exec, s[20:21]
	s_and_b64 s[34:35], s[14:15], s[18:19]
	s_and_saveexec_b64 s[20:21], s[34:35]
	s_cbranch_execz .LBB161_298
.LBB161_323:
	s_and_b64 vcc, exec, s[0:1]
	s_cbranch_vccnz .LBB161_325
; %bb.324:
	v_lshl_add_u64 v[84:85], v[140:141], 3, v[82:83]
	global_load_dwordx2 v[84:85], v[84:85], off
	s_waitcnt vmcnt(0)
	v_mul_f64 v[84:85], s[22:23], v[84:85]
	v_cvt_f32_f64_e32 v84, v[84:85]
	s_branch .LBB161_326
.LBB161_325:
	v_mov_b32_e32 v84, 0
.LBB161_326:
	v_add_f64 v[86:87], v[22:23], v[78:79]
	v_add_f64 v[88:89], v[20:21], v[76:77]
	v_cvt_f32_f64_e32 v85, v[88:89]
	v_cvt_f32_f64_e32 v86, v[86:87]
	v_min3_f32 v85, v85, v86, v157
	v_add_f64 v[86:87], v[18:19], v[74:75]
	v_add_f64 v[88:89], v[16:17], v[72:73]
	v_cvt_f32_f64_e32 v88, v[88:89]
	v_cvt_f32_f64_e32 v86, v[86:87]
	v_min_f32_e32 v86, v88, v86
	v_min3_f32 v84, v84, v86, v85
	v_cvt_f64_f32_e32 v[84:85], v84
	v_lshl_add_u64 v[86:87], v[140:141], 3, v[80:81]
	global_store_dwordx2 v[86:87], v[84:85], off
	s_or_b64 exec, exec, s[20:21]
	s_and_b64 s[20:21], s[16:17], s[18:19]
	s_and_saveexec_b64 s[18:19], s[20:21]
	s_cbranch_execz .LBB161_331
.LBB161_327:
	s_and_b64 vcc, exec, s[0:1]
	s_cbranch_vccnz .LBB161_329
; %bb.328:
	v_lshl_add_u64 v[82:83], v[142:143], 3, v[82:83]
	global_load_dwordx2 v[82:83], v[82:83], off
	s_waitcnt vmcnt(0)
	v_mul_f64 v[82:83], s[22:23], v[82:83]
	v_cvt_f32_f64_e32 v82, v[82:83]
	s_branch .LBB161_330
.LBB161_329:
	v_mov_b32_e32 v82, 0
.LBB161_330:
	v_add_f64 v[78:79], v[6:7], v[78:79]
	v_add_f64 v[76:77], v[4:5], v[76:77]
	;; [unrolled: 1-line block ×4, first 2 shown]
	v_cvt_f32_f64_e32 v76, v[76:77]
	v_cvt_f32_f64_e32 v77, v[78:79]
	;; [unrolled: 1-line block ×4, first 2 shown]
	v_min3_f32 v76, v76, v77, v156
	v_min_f32_e32 v72, v72, v73
	v_min3_f32 v72, v82, v72, v76
	v_cvt_f64_f32_e32 v[72:73], v72
	v_lshl_add_u64 v[74:75], v[142:143], 3, v[80:81]
	global_store_dwordx2 v[74:75], v[72:73], off
.LBB161_331:
	s_or_b64 exec, exec, s[18:19]
	v_add_u32_e32 v76, 56, v163
	v_mad_i64_i32 v[72:73], s[20:21], v76, s29, 0
	v_cmp_gt_i32_e64 s[18:19], s25, v76
	v_lshl_add_u64 v[74:75], v[72:73], 3, s[30:31]
	v_mad_i64_i32 v[72:73], s[20:21], v76, s28, 0
	v_lshl_add_u64 v[72:73], v[72:73], 3, s[26:27]
	s_and_b64 s[20:21], s[2:3], s[18:19]
	s_and_saveexec_b64 s[2:3], s[20:21]
	s_cbranch_execnz .LBB161_340
; %bb.332:
	s_or_b64 exec, exec, s[2:3]
	s_and_b64 s[4:5], s[4:5], s[18:19]
	s_and_saveexec_b64 s[2:3], s[4:5]
	s_cbranch_execnz .LBB161_344
.LBB161_333:
	s_or_b64 exec, exec, s[2:3]
	s_and_b64 s[4:5], s[6:7], s[18:19]
	s_and_saveexec_b64 s[2:3], s[4:5]
	s_cbranch_execnz .LBB161_348
.LBB161_334:
	s_or_b64 exec, exec, s[2:3]
	s_and_b64 s[4:5], s[8:9], s[18:19]
	s_and_saveexec_b64 s[2:3], s[4:5]
	s_cbranch_execnz .LBB161_352
.LBB161_335:
	s_or_b64 exec, exec, s[2:3]
	s_and_b64 s[4:5], s[10:11], s[18:19]
	s_and_saveexec_b64 s[2:3], s[4:5]
	s_cbranch_execnz .LBB161_356
.LBB161_336:
	s_or_b64 exec, exec, s[2:3]
	s_and_b64 s[4:5], s[12:13], s[18:19]
	s_and_saveexec_b64 s[2:3], s[4:5]
	s_cbranch_execnz .LBB161_360
.LBB161_337:
	s_or_b64 exec, exec, s[2:3]
	s_and_b64 s[4:5], s[14:15], s[18:19]
	s_and_saveexec_b64 s[2:3], s[4:5]
	s_cbranch_execnz .LBB161_364
.LBB161_338:
	s_or_b64 exec, exec, s[2:3]
	s_and_b64 s[2:3], s[16:17], s[18:19]
	s_and_saveexec_b64 s[4:5], s[2:3]
	s_cbranch_execnz .LBB161_368
.LBB161_339:
	s_endpgm
.LBB161_340:
	s_and_b64 vcc, exec, s[0:1]
	s_cbranch_vccnz .LBB161_342
; %bb.341:
	v_lshl_add_u64 v[76:77], v[128:129], 3, v[74:75]
	global_load_dwordx2 v[76:77], v[76:77], off
	s_waitcnt vmcnt(0)
	v_mul_f64 v[76:77], s[22:23], v[76:77]
	v_cvt_f32_f64_e32 v76, v[76:77]
	s_branch .LBB161_343
.LBB161_342:
	v_mov_b32_e32 v76, 0
.LBB161_343:
	v_add_f64 v[70:71], v[70:71], v[14:15]
	v_add_f64 v[68:69], v[68:69], v[12:13]
	;; [unrolled: 1-line block ×4, first 2 shown]
	v_cvt_f32_f64_e32 v68, v[68:69]
	v_cvt_f32_f64_e32 v69, v[70:71]
	;; [unrolled: 1-line block ×4, first 2 shown]
	v_min3_f32 v68, v68, v69, v155
	v_min_f32_e32 v64, v64, v65
	v_min3_f32 v64, v76, v64, v68
	v_cvt_f64_f32_e32 v[64:65], v64
	v_lshl_add_u64 v[66:67], v[128:129], 3, v[72:73]
	global_store_dwordx2 v[66:67], v[64:65], off
	s_or_b64 exec, exec, s[2:3]
	s_and_b64 s[4:5], s[4:5], s[18:19]
	s_and_saveexec_b64 s[2:3], s[4:5]
	s_cbranch_execz .LBB161_333
.LBB161_344:
	s_and_b64 vcc, exec, s[0:1]
	s_cbranch_vccnz .LBB161_346
; %bb.345:
	v_lshl_add_u64 v[64:65], v[130:131], 3, v[74:75]
	global_load_dwordx2 v[64:65], v[64:65], off
	s_waitcnt vmcnt(0)
	v_mul_f64 v[64:65], s[22:23], v[64:65]
	v_cvt_f32_f64_e32 v64, v[64:65]
	s_branch .LBB161_347
.LBB161_346:
	v_mov_b32_e32 v64, 0
.LBB161_347:
	v_add_f64 v[62:63], v[62:63], v[14:15]
	v_add_f64 v[60:61], v[60:61], v[12:13]
	;; [unrolled: 1-line block ×4, first 2 shown]
	v_cvt_f32_f64_e32 v60, v[60:61]
	v_cvt_f32_f64_e32 v61, v[62:63]
	;; [unrolled: 1-line block ×4, first 2 shown]
	v_min3_f32 v60, v60, v61, v154
	v_min_f32_e32 v56, v56, v57
	v_min3_f32 v56, v64, v56, v60
	v_cvt_f64_f32_e32 v[56:57], v56
	v_lshl_add_u64 v[58:59], v[130:131], 3, v[72:73]
	global_store_dwordx2 v[58:59], v[56:57], off
	s_or_b64 exec, exec, s[2:3]
	s_and_b64 s[4:5], s[6:7], s[18:19]
	s_and_saveexec_b64 s[2:3], s[4:5]
	s_cbranch_execz .LBB161_334
.LBB161_348:
	s_and_b64 vcc, exec, s[0:1]
	s_cbranch_vccnz .LBB161_350
; %bb.349:
	v_lshl_add_u64 v[56:57], v[132:133], 3, v[74:75]
	global_load_dwordx2 v[56:57], v[56:57], off
	s_waitcnt vmcnt(0)
	v_mul_f64 v[56:57], s[22:23], v[56:57]
	v_cvt_f32_f64_e32 v56, v[56:57]
	s_branch .LBB161_351
.LBB161_350:
	v_mov_b32_e32 v56, 0
.LBB161_351:
	v_add_f64 v[54:55], v[54:55], v[14:15]
	v_add_f64 v[52:53], v[52:53], v[12:13]
	;; [unrolled: 1-line block ×4, first 2 shown]
	v_cvt_f32_f64_e32 v52, v[52:53]
	v_cvt_f32_f64_e32 v53, v[54:55]
	;; [unrolled: 1-line block ×4, first 2 shown]
	v_min3_f32 v52, v52, v53, v153
	v_min_f32_e32 v48, v48, v49
	v_min3_f32 v48, v56, v48, v52
	v_cvt_f64_f32_e32 v[48:49], v48
	v_lshl_add_u64 v[50:51], v[132:133], 3, v[72:73]
	global_store_dwordx2 v[50:51], v[48:49], off
	s_or_b64 exec, exec, s[2:3]
	s_and_b64 s[4:5], s[8:9], s[18:19]
	s_and_saveexec_b64 s[2:3], s[4:5]
	s_cbranch_execz .LBB161_335
.LBB161_352:
	s_and_b64 vcc, exec, s[0:1]
	s_cbranch_vccnz .LBB161_354
; %bb.353:
	v_lshl_add_u64 v[48:49], v[134:135], 3, v[74:75]
	global_load_dwordx2 v[48:49], v[48:49], off
	s_waitcnt vmcnt(0)
	v_mul_f64 v[48:49], s[22:23], v[48:49]
	v_cvt_f32_f64_e32 v48, v[48:49]
	s_branch .LBB161_355
.LBB161_354:
	v_mov_b32_e32 v48, 0
.LBB161_355:
	v_add_f64 v[46:47], v[46:47], v[14:15]
	v_add_f64 v[44:45], v[44:45], v[12:13]
	;; [unrolled: 1-line block ×4, first 2 shown]
	v_cvt_f32_f64_e32 v44, v[44:45]
	v_cvt_f32_f64_e32 v45, v[46:47]
	;; [unrolled: 1-line block ×4, first 2 shown]
	v_min3_f32 v44, v44, v45, v152
	v_min_f32_e32 v40, v40, v41
	v_min3_f32 v40, v48, v40, v44
	v_cvt_f64_f32_e32 v[40:41], v40
	v_lshl_add_u64 v[42:43], v[134:135], 3, v[72:73]
	global_store_dwordx2 v[42:43], v[40:41], off
	s_or_b64 exec, exec, s[2:3]
	s_and_b64 s[4:5], s[10:11], s[18:19]
	s_and_saveexec_b64 s[2:3], s[4:5]
	s_cbranch_execz .LBB161_336
.LBB161_356:
	s_and_b64 vcc, exec, s[0:1]
	s_cbranch_vccnz .LBB161_358
; %bb.357:
	v_lshl_add_u64 v[40:41], v[136:137], 3, v[74:75]
	global_load_dwordx2 v[40:41], v[40:41], off
	s_waitcnt vmcnt(0)
	v_mul_f64 v[40:41], s[22:23], v[40:41]
	v_cvt_f32_f64_e32 v40, v[40:41]
	s_branch .LBB161_359
.LBB161_358:
	v_mov_b32_e32 v40, 0
.LBB161_359:
	v_add_f64 v[38:39], v[38:39], v[14:15]
	v_add_f64 v[36:37], v[36:37], v[12:13]
	;; [unrolled: 1-line block ×4, first 2 shown]
	v_cvt_f32_f64_e32 v36, v[36:37]
	v_cvt_f32_f64_e32 v37, v[38:39]
	;; [unrolled: 1-line block ×4, first 2 shown]
	v_min3_f32 v36, v36, v37, v151
	v_min_f32_e32 v32, v32, v33
	v_min3_f32 v32, v40, v32, v36
	v_cvt_f64_f32_e32 v[32:33], v32
	v_lshl_add_u64 v[34:35], v[136:137], 3, v[72:73]
	global_store_dwordx2 v[34:35], v[32:33], off
	s_or_b64 exec, exec, s[2:3]
	s_and_b64 s[4:5], s[12:13], s[18:19]
	s_and_saveexec_b64 s[2:3], s[4:5]
	s_cbranch_execz .LBB161_337
.LBB161_360:
	s_and_b64 vcc, exec, s[0:1]
	s_cbranch_vccnz .LBB161_362
; %bb.361:
	v_lshl_add_u64 v[32:33], v[138:139], 3, v[74:75]
	global_load_dwordx2 v[32:33], v[32:33], off
	s_waitcnt vmcnt(0)
	v_mul_f64 v[32:33], s[22:23], v[32:33]
	v_cvt_f32_f64_e32 v32, v[32:33]
	s_branch .LBB161_363
.LBB161_362:
	v_mov_b32_e32 v32, 0
.LBB161_363:
	v_add_f64 v[30:31], v[30:31], v[14:15]
	v_add_f64 v[28:29], v[28:29], v[12:13]
	v_add_f64 v[26:27], v[26:27], v[10:11]
	v_add_f64 v[24:25], v[24:25], v[8:9]
	v_cvt_f32_f64_e32 v28, v[28:29]
	v_cvt_f32_f64_e32 v29, v[30:31]
	;; [unrolled: 1-line block ×4, first 2 shown]
	v_min3_f32 v28, v28, v29, v150
	v_min_f32_e32 v24, v24, v25
	v_min3_f32 v24, v32, v24, v28
	v_cvt_f64_f32_e32 v[24:25], v24
	v_lshl_add_u64 v[26:27], v[138:139], 3, v[72:73]
	global_store_dwordx2 v[26:27], v[24:25], off
	s_or_b64 exec, exec, s[2:3]
	s_and_b64 s[4:5], s[14:15], s[18:19]
	s_and_saveexec_b64 s[2:3], s[4:5]
	s_cbranch_execz .LBB161_338
.LBB161_364:
	s_and_b64 vcc, exec, s[0:1]
	s_cbranch_vccnz .LBB161_366
; %bb.365:
	v_lshl_add_u64 v[24:25], v[140:141], 3, v[74:75]
	global_load_dwordx2 v[24:25], v[24:25], off
	s_waitcnt vmcnt(0)
	v_mul_f64 v[24:25], s[22:23], v[24:25]
	v_cvt_f32_f64_e32 v24, v[24:25]
	s_branch .LBB161_367
.LBB161_366:
	v_mov_b32_e32 v24, 0
.LBB161_367:
	v_add_f64 v[22:23], v[22:23], v[14:15]
	v_add_f64 v[20:21], v[20:21], v[12:13]
	;; [unrolled: 1-line block ×4, first 2 shown]
	v_cvt_f32_f64_e32 v20, v[20:21]
	v_cvt_f32_f64_e32 v21, v[22:23]
	v_cvt_f32_f64_e32 v16, v[16:17]
	v_cvt_f32_f64_e32 v17, v[18:19]
	v_min3_f32 v20, v20, v21, v149
	v_min_f32_e32 v16, v16, v17
	v_min3_f32 v16, v24, v16, v20
	v_cvt_f64_f32_e32 v[16:17], v16
	v_lshl_add_u64 v[18:19], v[140:141], 3, v[72:73]
	global_store_dwordx2 v[18:19], v[16:17], off
	s_or_b64 exec, exec, s[2:3]
	s_and_b64 s[2:3], s[16:17], s[18:19]
	s_and_saveexec_b64 s[4:5], s[2:3]
	s_cbranch_execz .LBB161_339
.LBB161_368:
	s_and_b64 vcc, exec, s[0:1]
	s_cbranch_vccnz .LBB161_370
; %bb.369:
	v_lshl_add_u64 v[16:17], v[142:143], 3, v[74:75]
	global_load_dwordx2 v[16:17], v[16:17], off
	s_waitcnt vmcnt(0)
	v_mul_f64 v[16:17], s[22:23], v[16:17]
	v_cvt_f32_f64_e32 v16, v[16:17]
	s_branch .LBB161_371
.LBB161_370:
	v_mov_b32_e32 v16, 0
.LBB161_371:
	v_add_f64 v[6:7], v[6:7], v[14:15]
	v_add_f64 v[4:5], v[4:5], v[12:13]
	;; [unrolled: 1-line block ×4, first 2 shown]
	v_cvt_f32_f64_e32 v4, v[4:5]
	v_cvt_f32_f64_e32 v5, v[6:7]
	v_cvt_f32_f64_e32 v0, v[0:1]
	v_cvt_f32_f64_e32 v1, v[2:3]
	v_min3_f32 v4, v4, v5, v148
	v_min_f32_e32 v0, v0, v1
	v_min3_f32 v0, v16, v0, v4
	v_cvt_f64_f32_e32 v[0:1], v0
	v_lshl_add_u64 v[2:3], v[142:143], 3, v[72:73]
	global_store_dwordx2 v[2:3], v[0:1], off
	s_endpgm
	.section	.rodata,"a",@progbits
	.p2align	6, 0x0
	.amdhsa_kernel _ZN12_GLOBAL__N_120geam_min_plus_kernelId15HIP_vector_typeIdLj2EEdLi32ELi8ELi256ELi64ELi4ELi64ELi4ELi4ELi64ELc78ELc78ELb0ELb1ELb1EdKddEEviiiT16_PT17_ilS6_ilS4_S6_ilPT18_ili26rocblas_geam_ex_operation_
		.amdhsa_group_segment_fixed_size 20480
		.amdhsa_private_segment_fixed_size 0
		.amdhsa_kernarg_size 136
		.amdhsa_user_sgpr_count 2
		.amdhsa_user_sgpr_dispatch_ptr 0
		.amdhsa_user_sgpr_queue_ptr 0
		.amdhsa_user_sgpr_kernarg_segment_ptr 1
		.amdhsa_user_sgpr_dispatch_id 0
		.amdhsa_user_sgpr_kernarg_preload_length 0
		.amdhsa_user_sgpr_kernarg_preload_offset 0
		.amdhsa_user_sgpr_private_segment_size 0
		.amdhsa_uses_dynamic_stack 0
		.amdhsa_enable_private_segment 0
		.amdhsa_system_sgpr_workgroup_id_x 1
		.amdhsa_system_sgpr_workgroup_id_y 0
		.amdhsa_system_sgpr_workgroup_id_z 1
		.amdhsa_system_sgpr_workgroup_info 0
		.amdhsa_system_vgpr_workitem_id 1
		.amdhsa_next_free_vgpr 225
		.amdhsa_next_free_sgpr 44
		.amdhsa_accum_offset 228
		.amdhsa_reserve_vcc 1
		.amdhsa_float_round_mode_32 0
		.amdhsa_float_round_mode_16_64 0
		.amdhsa_float_denorm_mode_32 3
		.amdhsa_float_denorm_mode_16_64 3
		.amdhsa_dx10_clamp 1
		.amdhsa_ieee_mode 1
		.amdhsa_fp16_overflow 0
		.amdhsa_tg_split 0
		.amdhsa_exception_fp_ieee_invalid_op 0
		.amdhsa_exception_fp_denorm_src 0
		.amdhsa_exception_fp_ieee_div_zero 0
		.amdhsa_exception_fp_ieee_overflow 0
		.amdhsa_exception_fp_ieee_underflow 0
		.amdhsa_exception_fp_ieee_inexact 0
		.amdhsa_exception_int_div_zero 0
	.end_amdhsa_kernel
	.section	.text._ZN12_GLOBAL__N_120geam_min_plus_kernelId15HIP_vector_typeIdLj2EEdLi32ELi8ELi256ELi64ELi4ELi64ELi4ELi4ELi64ELc78ELc78ELb0ELb1ELb1EdKddEEviiiT16_PT17_ilS6_ilS4_S6_ilPT18_ili26rocblas_geam_ex_operation_,"axG",@progbits,_ZN12_GLOBAL__N_120geam_min_plus_kernelId15HIP_vector_typeIdLj2EEdLi32ELi8ELi256ELi64ELi4ELi64ELi4ELi4ELi64ELc78ELc78ELb0ELb1ELb1EdKddEEviiiT16_PT17_ilS6_ilS4_S6_ilPT18_ili26rocblas_geam_ex_operation_,comdat
.Lfunc_end161:
	.size	_ZN12_GLOBAL__N_120geam_min_plus_kernelId15HIP_vector_typeIdLj2EEdLi32ELi8ELi256ELi64ELi4ELi64ELi4ELi4ELi64ELc78ELc78ELb0ELb1ELb1EdKddEEviiiT16_PT17_ilS6_ilS4_S6_ilPT18_ili26rocblas_geam_ex_operation_, .Lfunc_end161-_ZN12_GLOBAL__N_120geam_min_plus_kernelId15HIP_vector_typeIdLj2EEdLi32ELi8ELi256ELi64ELi4ELi64ELi4ELi4ELi64ELc78ELc78ELb0ELb1ELb1EdKddEEviiiT16_PT17_ilS6_ilS4_S6_ilPT18_ili26rocblas_geam_ex_operation_
                                        ; -- End function
	.set _ZN12_GLOBAL__N_120geam_min_plus_kernelId15HIP_vector_typeIdLj2EEdLi32ELi8ELi256ELi64ELi4ELi64ELi4ELi4ELi64ELc78ELc78ELb0ELb1ELb1EdKddEEviiiT16_PT17_ilS6_ilS4_S6_ilPT18_ili26rocblas_geam_ex_operation_.num_vgpr, 225
	.set _ZN12_GLOBAL__N_120geam_min_plus_kernelId15HIP_vector_typeIdLj2EEdLi32ELi8ELi256ELi64ELi4ELi64ELi4ELi4ELi64ELc78ELc78ELb0ELb1ELb1EdKddEEviiiT16_PT17_ilS6_ilS4_S6_ilPT18_ili26rocblas_geam_ex_operation_.num_agpr, 0
	.set _ZN12_GLOBAL__N_120geam_min_plus_kernelId15HIP_vector_typeIdLj2EEdLi32ELi8ELi256ELi64ELi4ELi64ELi4ELi4ELi64ELc78ELc78ELb0ELb1ELb1EdKddEEviiiT16_PT17_ilS6_ilS4_S6_ilPT18_ili26rocblas_geam_ex_operation_.numbered_sgpr, 44
	.set _ZN12_GLOBAL__N_120geam_min_plus_kernelId15HIP_vector_typeIdLj2EEdLi32ELi8ELi256ELi64ELi4ELi64ELi4ELi4ELi64ELc78ELc78ELb0ELb1ELb1EdKddEEviiiT16_PT17_ilS6_ilS4_S6_ilPT18_ili26rocblas_geam_ex_operation_.num_named_barrier, 0
	.set _ZN12_GLOBAL__N_120geam_min_plus_kernelId15HIP_vector_typeIdLj2EEdLi32ELi8ELi256ELi64ELi4ELi64ELi4ELi4ELi64ELc78ELc78ELb0ELb1ELb1EdKddEEviiiT16_PT17_ilS6_ilS4_S6_ilPT18_ili26rocblas_geam_ex_operation_.private_seg_size, 0
	.set _ZN12_GLOBAL__N_120geam_min_plus_kernelId15HIP_vector_typeIdLj2EEdLi32ELi8ELi256ELi64ELi4ELi64ELi4ELi4ELi64ELc78ELc78ELb0ELb1ELb1EdKddEEviiiT16_PT17_ilS6_ilS4_S6_ilPT18_ili26rocblas_geam_ex_operation_.uses_vcc, 1
	.set _ZN12_GLOBAL__N_120geam_min_plus_kernelId15HIP_vector_typeIdLj2EEdLi32ELi8ELi256ELi64ELi4ELi64ELi4ELi4ELi64ELc78ELc78ELb0ELb1ELb1EdKddEEviiiT16_PT17_ilS6_ilS4_S6_ilPT18_ili26rocblas_geam_ex_operation_.uses_flat_scratch, 0
	.set _ZN12_GLOBAL__N_120geam_min_plus_kernelId15HIP_vector_typeIdLj2EEdLi32ELi8ELi256ELi64ELi4ELi64ELi4ELi4ELi64ELc78ELc78ELb0ELb1ELb1EdKddEEviiiT16_PT17_ilS6_ilS4_S6_ilPT18_ili26rocblas_geam_ex_operation_.has_dyn_sized_stack, 0
	.set _ZN12_GLOBAL__N_120geam_min_plus_kernelId15HIP_vector_typeIdLj2EEdLi32ELi8ELi256ELi64ELi4ELi64ELi4ELi4ELi64ELc78ELc78ELb0ELb1ELb1EdKddEEviiiT16_PT17_ilS6_ilS4_S6_ilPT18_ili26rocblas_geam_ex_operation_.has_recursion, 0
	.set _ZN12_GLOBAL__N_120geam_min_plus_kernelId15HIP_vector_typeIdLj2EEdLi32ELi8ELi256ELi64ELi4ELi64ELi4ELi4ELi64ELc78ELc78ELb0ELb1ELb1EdKddEEviiiT16_PT17_ilS6_ilS4_S6_ilPT18_ili26rocblas_geam_ex_operation_.has_indirect_call, 0
	.section	.AMDGPU.csdata,"",@progbits
; Kernel info:
; codeLenInByte = 26876
; TotalNumSgprs: 50
; NumVgprs: 225
; NumAgprs: 0
; TotalNumVgprs: 225
; ScratchSize: 0
; MemoryBound: 1
; FloatMode: 240
; IeeeMode: 1
; LDSByteSize: 20480 bytes/workgroup (compile time only)
; SGPRBlocks: 6
; VGPRBlocks: 28
; NumSGPRsForWavesPerEU: 50
; NumVGPRsForWavesPerEU: 225
; AccumOffset: 228
; Occupancy: 2
; WaveLimiterHint : 0
; COMPUTE_PGM_RSRC2:SCRATCH_EN: 0
; COMPUTE_PGM_RSRC2:USER_SGPR: 2
; COMPUTE_PGM_RSRC2:TRAP_HANDLER: 0
; COMPUTE_PGM_RSRC2:TGID_X_EN: 1
; COMPUTE_PGM_RSRC2:TGID_Y_EN: 0
; COMPUTE_PGM_RSRC2:TGID_Z_EN: 1
; COMPUTE_PGM_RSRC2:TIDIG_COMP_CNT: 1
; COMPUTE_PGM_RSRC3_GFX90A:ACCUM_OFFSET: 56
; COMPUTE_PGM_RSRC3_GFX90A:TG_SPLIT: 0
	.section	.text._ZN12_GLOBAL__N_120geam_min_plus_kernelId15HIP_vector_typeIdLj2EEdLi32ELi8ELi128ELi128ELi4ELi4ELi64ELi4ELi64ELc84ELc78ELb0ELb0ELb1EPKdS3_dEEviiiT16_PT17_ilS7_ilS5_S7_ilPT18_ili26rocblas_geam_ex_operation_,"axG",@progbits,_ZN12_GLOBAL__N_120geam_min_plus_kernelId15HIP_vector_typeIdLj2EEdLi32ELi8ELi128ELi128ELi4ELi4ELi64ELi4ELi64ELc84ELc78ELb0ELb0ELb1EPKdS3_dEEviiiT16_PT17_ilS7_ilS5_S7_ilPT18_ili26rocblas_geam_ex_operation_,comdat
	.globl	_ZN12_GLOBAL__N_120geam_min_plus_kernelId15HIP_vector_typeIdLj2EEdLi32ELi8ELi128ELi128ELi4ELi4ELi64ELi4ELi64ELc84ELc78ELb0ELb0ELb1EPKdS3_dEEviiiT16_PT17_ilS7_ilS5_S7_ilPT18_ili26rocblas_geam_ex_operation_ ; -- Begin function _ZN12_GLOBAL__N_120geam_min_plus_kernelId15HIP_vector_typeIdLj2EEdLi32ELi8ELi128ELi128ELi4ELi4ELi64ELi4ELi64ELc84ELc78ELb0ELb0ELb1EPKdS3_dEEviiiT16_PT17_ilS7_ilS5_S7_ilPT18_ili26rocblas_geam_ex_operation_
	.p2align	8
	.type	_ZN12_GLOBAL__N_120geam_min_plus_kernelId15HIP_vector_typeIdLj2EEdLi32ELi8ELi128ELi128ELi4ELi4ELi64ELi4ELi64ELc84ELc78ELb0ELb0ELb1EPKdS3_dEEviiiT16_PT17_ilS7_ilS5_S7_ilPT18_ili26rocblas_geam_ex_operation_,@function
_ZN12_GLOBAL__N_120geam_min_plus_kernelId15HIP_vector_typeIdLj2EEdLi32ELi8ELi128ELi128ELi4ELi4ELi64ELi4ELi64ELc84ELc78ELb0ELb0ELb1EPKdS3_dEEviiiT16_PT17_ilS7_ilS5_S7_ilPT18_ili26rocblas_geam_ex_operation_: ; @_ZN12_GLOBAL__N_120geam_min_plus_kernelId15HIP_vector_typeIdLj2EEdLi32ELi8ELi128ELi128ELi4ELi4ELi64ELi4ELi64ELc84ELc78ELb0ELb0ELb1EPKdS3_dEEviiiT16_PT17_ilS7_ilS5_S7_ilPT18_ili26rocblas_geam_ex_operation_
; %bb.0:
	s_load_dwordx4 s[4:7], s[0:1], 0x10
	s_load_dwordx4 s[8:11], s[0:1], 0x28
	;; [unrolled: 1-line block ×3, first 2 shown]
	s_mov_b32 s18, s3
	s_mov_b32 s19, 0
	s_lshl_b64 s[16:17], s[18:19], 3
	s_waitcnt lgkmcnt(0)
	s_add_u32 s4, s4, s16
	s_addc_u32 s5, s5, s17
	s_load_dwordx2 s[20:21], s[4:5], 0x0
	s_load_dwordx2 s[26:27], s[0:1], 0x50
	s_add_u32 s14, s14, s16
	s_addc_u32 s15, s15, s17
	s_mov_b64 s[24:25], 0
	s_waitcnt lgkmcnt(0)
	v_cmp_eq_f64_e64 s[4:5], s[20:21], 0
	s_and_b64 s[4:5], exec, s[4:5]
	v_cmp_neq_f64_e64 s[28:29], s[20:21], 0
	s_mov_b64 s[22:23], 0
	s_mov_b64 vcc, s[4:5]
	s_cbranch_vccnz .LBB162_2
; %bb.1:
	s_mul_i32 s3, s9, s18
	s_mul_hi_u32 s9, s8, s18
	s_add_i32 s9, s9, s3
	s_mul_i32 s8, s8, s18
	s_lshl_b64 s[8:9], s[8:9], 3
	s_add_u32 s22, s6, s8
	s_addc_u32 s23, s7, s9
.LBB162_2:
	s_load_dwordx2 s[16:17], s[14:15], 0x0
	v_cndmask_b32_e64 v1, 0, 1, s[28:29]
	v_cmp_ne_u32_e64 s[6:7], 1, v1
	s_andn2_b64 vcc, exec, s[28:29]
	s_cbranch_vccnz .LBB162_4
; %bb.3:
	s_mul_i32 s3, s13, s18
	s_mul_hi_u32 s8, s12, s18
	s_add_i32 s9, s8, s3
	s_mul_i32 s8, s12, s18
	s_lshl_b64 s[8:9], s[8:9], 3
	s_add_u32 s24, s10, s8
	s_addc_u32 s25, s11, s9
.LBB162_4:
	s_load_dwordx4 s[12:15], s[0:1], 0x60
	s_waitcnt lgkmcnt(0)
	v_cmp_eq_f64_e64 s[8:9], s[16:17], 0
	s_and_b64 s[8:9], exec, s[8:9]
	s_mov_b64 s[10:11], 0
	s_mov_b64 vcc, s[8:9]
	s_cbranch_vccnz .LBB162_6
; %bb.5:
	s_mul_i32 s3, s13, s18
	s_mul_hi_u32 s10, s12, s18
	s_add_i32 s11, s10, s3
	s_mul_i32 s10, s12, s18
	s_lshl_b64 s[10:11], s[10:11], 3
	s_add_u32 s10, s26, s10
	s_addc_u32 s11, s27, s11
.LBB162_6:
	s_load_dword s3, s[0:1], 0x0
	s_load_dword s19, s[0:1], 0x20
	v_and_b32_e32 v176, 0x3ff, v0
	v_bfe_u32 v177, v0, 10, 10
	v_and_b32_e32 v12, 3, v0
	s_waitcnt lgkmcnt(0)
	s_add_i32 s3, s3, -1
	s_ashr_i32 s12, s3, 31
	s_lshr_b32 s12, s12, 25
	s_add_i32 s3, s3, s12
	s_ashr_i32 s3, s3, 7
	s_add_i32 s12, s3, 1
	v_cvt_f32_u32_e32 v1, s12
	s_not_b32 s3, s3
	v_lshl_add_u32 v3, v177, 5, v176
	v_lshrrev_b32_e32 v13, 2, v3
	v_rcp_iflag_f32_e32 v2, v1
	v_mov_b32_e32 v1, 0
	v_mul_f32_e32 v0, 0x4f7ffffe, v2
	v_cvt_u32_f32_e32 v2, v0
	v_lshlrev_b32_e32 v0, 3, v12
	v_lshl_add_u64 v[4:5], s[22:23], 0, v[0:1]
	v_readfirstlane_b32 s13, v2
	s_mul_i32 s3, s3, s13
	s_mul_hi_u32 s3, s13, s3
	s_add_i32 s13, s13, s3
	s_mul_hi_u32 s3, s2, s13
	s_mul_i32 s13, s3, s12
	s_sub_i32 s13, s2, s13
	s_add_i32 s26, s3, 1
	s_sub_i32 s27, s13, s12
	s_cmp_ge_u32 s13, s12
	s_cselect_b32 s3, s26, s3
	s_cselect_b32 s13, s27, s13
	s_add_i32 s26, s3, 1
	s_cmp_ge_u32 s13, s12
	s_cselect_b32 s3, s26, s3
	s_mul_i32 s12, s3, s12
	s_sub_i32 s2, s2, s12
	s_lshl_b32 s12, s2, 7
	s_and_b64 vcc, exec, s[6:7]
	v_add_u32_e32 v108, s12, v13
	s_cbranch_vccnz .LBB162_9
; %bb.7:
	v_mad_i64_i32 v[2:3], s[26:27], v108, s19, 0
	v_lshl_add_u64 v[2:3], v[2:3], 3, v[4:5]
	global_load_dwordx2 v[2:3], v[2:3], off
	s_waitcnt vmcnt(0)
	v_mul_f64 v[2:3], s[20:21], v[2:3]
	s_load_dword s27, s[0:1], 0x38
	s_lshl_b32 s13, s3, 7
	s_mov_b64 vcc, s[4:5]
	s_cbranch_vccz .LBB162_10
.LBB162_8:
	s_mov_b32 s2, 0
	v_mov_b32_e32 v6, s2
	v_mov_b32_e32 v7, s2
	s_mov_b64 s[2:3], 0
	s_branch .LBB162_11
.LBB162_9:
	v_mov_b64_e32 v[2:3], 0
	s_load_dword s27, s[0:1], 0x38
	s_lshl_b32 s13, s3, 7
	s_mov_b64 vcc, s[4:5]
	s_cbranch_vccnz .LBB162_8
.LBB162_10:
	s_mov_b64 s[2:3], -1
                                        ; implicit-def: $vgpr6_vgpr7
.LBB162_11:
	v_add_u32_e32 v110, s13, v13
	v_mov_b64_e32 v[100:101], 0
	s_andn2_b64 vcc, exec, s[2:3]
	v_add_u32_e32 v109, 64, v108
	v_add_u32_e32 v111, 64, v110
	v_mov_b64_e32 v[8:9], 0
	v_mov_b64_e32 v[10:11], 0
	s_cbranch_vccnz .LBB162_13
; %bb.12:
	v_mov_b32_e32 v1, 0
	v_mad_i64_i32 v[6:7], s[2:3], v109, s19, 0
	v_lshl_add_u64 v[8:9], s[24:25], 0, v[0:1]
	s_waitcnt lgkmcnt(0)
	v_mad_i64_i32 v[10:11], s[2:3], v110, s27, 0
	v_lshl_add_u64 v[6:7], v[6:7], 3, v[4:5]
	v_lshl_add_u64 v[10:11], v[10:11], 3, v[8:9]
	v_mad_i64_i32 v[14:15], s[2:3], v111, s27, 0
	global_load_dwordx2 v[6:7], v[6:7], off
	v_lshl_add_u64 v[8:9], v[14:15], 3, v[8:9]
	global_load_dwordx2 v[14:15], v[10:11], off
	global_load_dwordx2 v[16:17], v[8:9], off
	s_waitcnt vmcnt(2)
	v_mul_f64 v[6:7], s[20:21], v[6:7]
	s_waitcnt vmcnt(1)
	v_mul_f64 v[10:11], s[20:21], v[14:15]
	;; [unrolled: 2-line block ×3, first 2 shown]
.LBB162_13:
	s_and_b64 vcc, exec, s[6:7]
	s_cbranch_vccnz .LBB162_15
; %bb.14:
	v_mad_i64_i32 v[14:15], s[2:3], v108, s19, 0
	v_lshl_add_u64 v[14:15], v[14:15], 3, v[4:5]
	global_load_dwordx2 v[14:15], v[14:15], off offset:32
	s_waitcnt vmcnt(0)
	v_mul_f64 v[100:101], s[20:21], v[14:15]
.LBB162_15:
	s_mov_b64 vcc, s[4:5]
	s_cbranch_vccz .LBB162_17
; %bb.16:
	s_mov_b32 s2, 0
	v_mov_b32_e32 v102, s2
	v_mov_b32_e32 v103, s2
	v_mov_b64_e32 v[104:105], 0
	v_mov_b64_e32 v[106:107], 0
	s_cbranch_execz .LBB162_18
	s_branch .LBB162_19
.LBB162_17:
                                        ; implicit-def: $vgpr102_vgpr103
	v_mov_b64_e32 v[104:105], 0
	v_mov_b64_e32 v[106:107], 0
.LBB162_18:
	v_mad_i64_i32 v[14:15], s[2:3], v109, s19, 0
	v_mov_b32_e32 v1, 0
	v_lshl_add_u64 v[4:5], v[14:15], 3, v[4:5]
	v_lshl_add_u64 v[0:1], s[24:25], 0, v[0:1]
	s_waitcnt lgkmcnt(0)
	v_mad_i64_i32 v[14:15], s[2:3], v110, s27, 0
	v_lshl_add_u64 v[14:15], v[14:15], 3, v[0:1]
	v_mad_i64_i32 v[16:17], s[2:3], v111, s27, 0
	global_load_dwordx2 v[4:5], v[4:5], off offset:32
	v_lshl_add_u64 v[0:1], v[16:17], 3, v[0:1]
	global_load_dwordx2 v[16:17], v[14:15], off offset:32
	global_load_dwordx2 v[18:19], v[0:1], off offset:32
	s_waitcnt vmcnt(2)
	v_mul_f64 v[102:103], s[20:21], v[4:5]
	s_waitcnt vmcnt(1)
	v_mul_f64 v[106:107], s[20:21], v[16:17]
	;; [unrolled: 2-line block ×3, first 2 shown]
.LBB162_19:
	v_lshlrev_b32_e32 v0, 5, v13
	v_lshl_or_b32 v193, v12, 3, v0
	v_lshlrev_b32_e32 v189, 5, v176
	ds_write2st64_b64 v193, v[2:3], v[6:7] offset1:4
	ds_write2st64_b64 v193, v[10:11], v[8:9] offset0:16 offset1:20
	s_waitcnt lgkmcnt(0)
	s_barrier
	v_lshlrev_b32_e32 v188, 5, v177
	ds_read_b128 v[16:19], v189 offset:1024
	ds_read_b128 v[12:15], v189 offset:2048
	ds_read_b128 v[8:11], v189 offset:3072
	ds_read_b128 v[92:95], v188 offset:8448
	ds_read_b128 v[88:91], v188 offset:8704
	ds_read_b128 v[84:87], v188 offset:8960
	ds_read_b128 v[80:83], v188 offset:9216
	ds_read_b128 v[76:79], v188 offset:9472
	ds_read_b128 v[72:75], v188 offset:9728
	ds_read_b128 v[68:71], v188 offset:9984
	ds_read_b128 v[64:67], v188 offset:10240
	ds_read_b128 v[60:63], v188 offset:10496
	ds_read_b128 v[44:47], v188 offset:10752
	ds_read_b128 v[40:43], v188 offset:11008
	ds_read_b128 v[36:39], v188 offset:11264
	ds_read_b128 v[32:35], v188 offset:11520
	ds_read_b128 v[24:27], v189
	ds_read_b128 v[96:99], v188 offset:8192
	ds_read_b128 v[28:31], v188 offset:11776
	;; [unrolled: 1-line block ×5, first 2 shown]
	s_waitcnt lgkmcnt(5)
	v_add_f64 v[114:115], v[26:27], v[94:95]
	v_add_f64 v[116:117], v[24:25], v[92:93]
	s_mov_b32 s2, 0x7f800000
	v_cvt_f32_f64_e32 v113, v[116:117]
	v_cvt_f32_f64_e32 v114, v[114:115]
	v_min3_f32 v172, v113, v114, s2
	v_add_f64 v[114:115], v[18:19], v[94:95]
	v_add_f64 v[116:117], v[16:17], v[92:93]
	v_cvt_f32_f64_e32 v113, v[116:117]
	v_cvt_f32_f64_e32 v114, v[114:115]
	v_min3_f32 v173, v113, v114, s2
	v_add_f64 v[114:115], v[14:15], v[94:95]
	v_add_f64 v[116:117], v[12:13], v[92:93]
	;; [unrolled: 5-line block ×36, first 2 shown]
	s_waitcnt lgkmcnt(4)
	v_add_f64 v[48:49], v[26:27], v[98:99]
	v_add_f64 v[50:51], v[24:25], v[96:97]
	v_cvt_f32_f64_e32 v113, v[116:117]
	v_cvt_f32_f64_e32 v114, v[114:115]
	;; [unrolled: 1-line block ×4, first 2 shown]
	v_min3_f32 v122, v113, v114, s2
	v_add_f64 v[114:115], v[18:19], v[34:35]
	v_add_f64 v[116:117], v[16:17], v[32:33]
	v_min3_f32 v112, v50, v48, s2
	v_add_f64 v[48:49], v[18:19], v[98:99]
	v_add_f64 v[50:51], v[16:17], v[96:97]
	v_cvt_f32_f64_e32 v113, v[116:117]
	v_cvt_f32_f64_e32 v114, v[114:115]
	;; [unrolled: 1-line block ×4, first 2 shown]
	v_min3_f32 v120, v113, v114, s2
	v_add_f64 v[114:115], v[14:15], v[34:35]
	v_add_f64 v[116:117], v[12:13], v[32:33]
	ds_read_b128 v[52:55], v189 offset:1040
	v_min3_f32 v165, v50, v48, s2
	v_add_f64 v[48:49], v[14:15], v[98:99]
	v_add_f64 v[50:51], v[12:13], v[96:97]
	v_cvt_f32_f64_e32 v113, v[116:117]
	v_cvt_f32_f64_e32 v114, v[114:115]
	s_waitcnt lgkmcnt(4)
	v_add_f64 v[166:167], v[26:27], v[30:31]
	v_add_f64 v[168:169], v[24:25], v[28:29]
	v_cvt_f32_f64_e32 v50, v[50:51]
	v_cvt_f32_f64_e32 v48, v[48:49]
	v_min3_f32 v117, v113, v114, s2
	v_cvt_f32_f64_e32 v113, v[168:169]
	v_cvt_f32_f64_e32 v114, v[166:167]
	v_add_f64 v[166:167], v[18:19], v[30:31]
	v_add_f64 v[168:169], v[16:17], v[28:29]
	ds_read_b128 v[56:59], v189 offset:2064
	v_min3_f32 v170, v50, v48, s2
	ds_read_b128 v[48:51], v189 offset:3088
	v_add_f64 v[98:99], v[10:11], v[98:99]
	v_add_f64 v[96:97], v[8:9], v[96:97]
	;; [unrolled: 1-line block ×28, first 2 shown]
	v_min3_f32 v118, v113, v114, s2
	v_cvt_f32_f64_e32 v113, v[168:169]
	v_cvt_f32_f64_e32 v114, v[166:167]
	v_add_f64 v[166:167], v[14:15], v[30:31]
	v_add_f64 v[168:169], v[12:13], v[28:29]
	;; [unrolled: 1-line block ×4, first 2 shown]
	s_waitcnt lgkmcnt(5)
	v_add_f64 v[14:15], v[14:15], v[22:23]
	v_add_f64 v[12:13], v[12:13], v[20:21]
	;; [unrolled: 1-line block ×4, first 2 shown]
	v_cvt_f32_f64_e32 v96, v[96:97]
	v_cvt_f32_f64_e32 v97, v[98:99]
	;; [unrolled: 1-line block ×6, first 2 shown]
	s_waitcnt lgkmcnt(3)
	v_add_f64 v[10:11], v[2:3], v[6:7]
	v_add_f64 v[14:15], v[0:1], v[4:5]
	v_min3_f32 v171, v96, v97, s2
	ds_read_b128 v[96:99], v188 offset:8464
	v_min3_f32 v116, v113, v114, s2
	v_cvt_f32_f64_e32 v113, v[168:169]
	v_cvt_f32_f64_e32 v114, v[166:167]
	;; [unrolled: 1-line block ×4, first 2 shown]
	v_min3_f32 v8, v8, v9, s2
	v_cvt_f32_f64_e32 v9, v[14:15]
	v_cvt_f32_f64_e32 v10, v[10:11]
	v_min3_f32 v114, v113, v114, s2
	v_min3_f32 v113, v28, v29, s2
	ds_read_b128 v[28:31], v188 offset:12048
	v_min3_f32 v186, v9, v10, v112
	s_waitcnt lgkmcnt(4)
	v_add_f64 v[10:11], v[54:55], v[6:7]
	v_add_f64 v[14:15], v[52:53], v[4:5]
	v_cvt_f32_f64_e32 v9, v[14:15]
	v_cvt_f32_f64_e32 v10, v[10:11]
	v_min3_f32 v255, v9, v10, v165
	s_waitcnt lgkmcnt(3)
	v_add_f64 v[10:11], v[58:59], v[6:7]
	v_add_f64 v[14:15], v[56:57], v[4:5]
	s_waitcnt lgkmcnt(2)
	v_add_f64 v[6:7], v[50:51], v[6:7]
	v_add_f64 v[4:5], v[48:49], v[4:5]
	v_cvt_f32_f64_e32 v92, v[92:93]
	v_cvt_f32_f64_e32 v93, v[94:95]
	v_cvt_f32_f64_e32 v4, v[4:5]
	v_cvt_f32_f64_e32 v5, v[6:7]
	v_min3_f32 v163, v92, v93, s2
	ds_read_b128 v[92:95], v188 offset:8720
	v_min3_f32 v254, v4, v5, v171
	s_waitcnt lgkmcnt(2)
	v_add_f64 v[4:5], v[2:3], v[98:99]
	v_add_f64 v[6:7], v[0:1], v[96:97]
	v_cvt_f32_f64_e32 v6, v[6:7]
	v_cvt_f32_f64_e32 v4, v[4:5]
	v_min3_f32 v253, v6, v4, v172
	v_add_f64 v[4:5], v[54:55], v[98:99]
	v_add_f64 v[6:7], v[52:53], v[96:97]
	v_cvt_f32_f64_e32 v6, v[6:7]
	v_cvt_f32_f64_e32 v4, v[4:5]
	v_min3_f32 v252, v6, v4, v173
	v_add_f64 v[4:5], v[58:59], v[98:99]
	v_add_f64 v[6:7], v[56:57], v[96:97]
	v_cvt_f32_f64_e32 v6, v[6:7]
	v_cvt_f32_f64_e32 v4, v[4:5]
	v_min3_f32 v251, v6, v4, v174
	v_add_f64 v[4:5], v[50:51], v[98:99]
	v_add_f64 v[6:7], v[48:49], v[96:97]
	v_cvt_f32_f64_e32 v6, v[6:7]
	v_cvt_f32_f64_e32 v4, v[4:5]
	v_min3_f32 v247, v6, v4, v163
	s_waitcnt lgkmcnt(0)
	v_add_f64 v[4:5], v[2:3], v[94:95]
	v_add_f64 v[6:7], v[0:1], v[92:93]
	v_cvt_f32_f64_e32 v6, v[6:7]
	v_cvt_f32_f64_e32 v4, v[4:5]
	v_cvt_f32_f64_e32 v88, v[88:89]
	v_cvt_f32_f64_e32 v89, v[90:91]
	v_min3_f32 v246, v6, v4, v175
	v_add_f64 v[4:5], v[54:55], v[94:95]
	v_add_f64 v[6:7], v[52:53], v[92:93]
	v_min3_f32 v159, v88, v89, s2
	ds_read_b128 v[88:91], v188 offset:8976
	v_cvt_f32_f64_e32 v6, v[6:7]
	v_cvt_f32_f64_e32 v4, v[4:5]
	v_min3_f32 v245, v6, v4, v164
	v_add_f64 v[4:5], v[58:59], v[94:95]
	v_add_f64 v[6:7], v[56:57], v[92:93]
	v_cvt_f32_f64_e32 v6, v[6:7]
	v_cvt_f32_f64_e32 v4, v[4:5]
	v_min3_f32 v244, v6, v4, v161
	v_add_f64 v[4:5], v[50:51], v[94:95]
	v_add_f64 v[6:7], v[48:49], v[92:93]
	v_cvt_f32_f64_e32 v84, v[84:85]
	v_cvt_f32_f64_e32 v85, v[86:87]
	v_cvt_f32_f64_e32 v6, v[6:7]
	v_cvt_f32_f64_e32 v4, v[4:5]
	v_min3_f32 v155, v84, v85, s2
	ds_read_b128 v[84:87], v188 offset:9232
	v_min3_f32 v243, v6, v4, v159
	s_waitcnt lgkmcnt(1)
	v_add_f64 v[4:5], v[2:3], v[90:91]
	v_add_f64 v[6:7], v[0:1], v[88:89]
	v_cvt_f32_f64_e32 v6, v[6:7]
	v_cvt_f32_f64_e32 v4, v[4:5]
	v_min3_f32 v242, v6, v4, v162
	v_add_f64 v[4:5], v[54:55], v[90:91]
	v_add_f64 v[6:7], v[52:53], v[88:89]
	v_cvt_f32_f64_e32 v6, v[6:7]
	v_cvt_f32_f64_e32 v4, v[4:5]
	v_min3_f32 v241, v6, v4, v160
	v_add_f64 v[4:5], v[58:59], v[90:91]
	v_add_f64 v[6:7], v[56:57], v[88:89]
	v_cvt_f32_f64_e32 v6, v[6:7]
	v_cvt_f32_f64_e32 v4, v[4:5]
	v_min3_f32 v240, v6, v4, v157
	v_add_f64 v[4:5], v[50:51], v[90:91]
	v_add_f64 v[6:7], v[48:49], v[88:89]
	v_cvt_f32_f64_e32 v6, v[6:7]
	v_cvt_f32_f64_e32 v4, v[4:5]
	v_min3_f32 v239, v6, v4, v155
	s_waitcnt lgkmcnt(0)
	v_add_f64 v[4:5], v[2:3], v[86:87]
	v_add_f64 v[6:7], v[0:1], v[84:85]
	v_cvt_f32_f64_e32 v6, v[6:7]
	v_cvt_f32_f64_e32 v4, v[4:5]
	v_cvt_f32_f64_e32 v80, v[80:81]
	v_cvt_f32_f64_e32 v81, v[82:83]
	v_min3_f32 v238, v6, v4, v158
	v_add_f64 v[4:5], v[54:55], v[86:87]
	v_add_f64 v[6:7], v[52:53], v[84:85]
	v_min3_f32 v151, v80, v81, s2
	ds_read_b128 v[80:83], v188 offset:9488
	v_cvt_f32_f64_e32 v6, v[6:7]
	v_cvt_f32_f64_e32 v4, v[4:5]
	v_min3_f32 v237, v6, v4, v156
	v_add_f64 v[4:5], v[58:59], v[86:87]
	v_add_f64 v[6:7], v[56:57], v[84:85]
	v_cvt_f32_f64_e32 v6, v[6:7]
	v_cvt_f32_f64_e32 v4, v[4:5]
	v_min3_f32 v236, v6, v4, v153
	;; [unrolled: 50-line block ×6, first 2 shown]
	v_add_f64 v[4:5], v[50:51], v[42:43]
	v_add_f64 v[6:7], v[48:49], v[40:41]
	v_cvt_f32_f64_e32 v32, v[32:33]
	v_cvt_f32_f64_e32 v33, v[34:35]
	;; [unrolled: 1-line block ×4, first 2 shown]
	v_min3_f32 v115, v32, v33, s2
	ds_read_b128 v[32:35], v188 offset:11792
	v_min3_f32 v203, v6, v4, v119
	s_waitcnt lgkmcnt(1)
	v_add_f64 v[4:5], v[2:3], v[38:39]
	v_add_f64 v[6:7], v[0:1], v[36:37]
	v_cvt_f32_f64_e32 v6, v[6:7]
	v_cvt_f32_f64_e32 v4, v[4:5]
	v_min3_f32 v202, v6, v4, v122
	v_add_f64 v[4:5], v[54:55], v[38:39]
	v_add_f64 v[6:7], v[52:53], v[36:37]
	v_cvt_f32_f64_e32 v6, v[6:7]
	v_cvt_f32_f64_e32 v4, v[4:5]
	v_min3_f32 v201, v6, v4, v120
	;; [unrolled: 5-line block ×3, first 2 shown]
	v_add_f64 v[4:5], v[50:51], v[38:39]
	v_add_f64 v[6:7], v[48:49], v[36:37]
	;; [unrolled: 1-line block ×4, first 2 shown]
	v_cvt_f32_f64_e32 v6, v[6:7]
	v_cvt_f32_f64_e32 v4, v[4:5]
	;; [unrolled: 1-line block ×4, first 2 shown]
	v_min3_f32 v199, v6, v4, v115
	s_waitcnt lgkmcnt(0)
	v_add_f64 v[4:5], v[2:3], v[34:35]
	v_add_f64 v[6:7], v[0:1], v[32:33]
	;; [unrolled: 1-line block ×4, first 2 shown]
	v_min3_f32 v24, v24, v25, s2
	v_add_f64 v[18:19], v[18:19], v[22:23]
	v_add_f64 v[16:17], v[16:17], v[20:21]
	v_cvt_f32_f64_e32 v6, v[6:7]
	v_cvt_f32_f64_e32 v4, v[4:5]
	;; [unrolled: 1-line block ×6, first 2 shown]
	v_min3_f32 v198, v6, v4, v118
	v_add_f64 v[4:5], v[54:55], v[34:35]
	v_add_f64 v[6:7], v[52:53], v[32:33]
	v_min3_f32 v194, v0, v1, v24
	v_add_f64 v[0:1], v[54:55], v[30:31]
	v_add_f64 v[2:3], v[52:53], v[28:29]
	s_load_dword s26, s[0:1], 0x8
	v_min3_f32 v16, v16, v17, s2
	v_cvt_f32_f64_e32 v6, v[6:7]
	v_cvt_f32_f64_e32 v4, v[4:5]
	;; [unrolled: 1-line block ×4, first 2 shown]
	v_min3_f32 v197, v6, v4, v116
	v_add_f64 v[4:5], v[58:59], v[34:35]
	v_add_f64 v[6:7], v[56:57], v[32:33]
	v_min3_f32 v192, v2, v0, v16
	v_add_f64 v[0:1], v[58:59], v[30:31]
	v_add_f64 v[2:3], v[56:57], v[28:29]
	v_min3_f32 v12, v12, v13, s2
	v_cvt_f32_f64_e32 v6, v[6:7]
	v_cvt_f32_f64_e32 v4, v[4:5]
	;; [unrolled: 1-line block ×4, first 2 shown]
	v_min3_f32 v196, v6, v4, v114
	v_add_f64 v[4:5], v[50:51], v[34:35]
	v_add_f64 v[6:7], v[48:49], v[32:33]
	v_min3_f32 v191, v2, v0, v12
	v_add_f64 v[0:1], v[50:51], v[30:31]
	v_add_f64 v[2:3], v[48:49], v[28:29]
	v_cvt_f32_f64_e32 v9, v[14:15]
	v_cvt_f32_f64_e32 v10, v[10:11]
	;; [unrolled: 1-line block ×6, first 2 shown]
	v_min3_f32 v187, v9, v10, v170
	v_min3_f32 v195, v6, v4, v113
	;; [unrolled: 1-line block ×3, first 2 shown]
	s_waitcnt lgkmcnt(0)
	s_cmp_lt_i32 s26, 9
	ds_write2st64_b64 v193, v[100:101], v[102:103] offset0:8 offset1:12
	ds_write2st64_b64 v193, v[106:107], v[104:105] offset0:24 offset1:28
	s_waitcnt lgkmcnt(0)
	s_barrier
	s_cbranch_scc1 .LBB162_35
; %bb.20:
	v_mov_b32_e32 v0, 0x1000
	v_lshl_add_u32 v249, v176, 5, v0
	v_mov_b32_e32 v0, 0x3000
	v_lshl_add_u32 v250, v177, 5, v0
	v_and_b32_e32 v0, 3, v176
	v_lshlrev_b32_e32 v164, 3, v0
	v_mad_i64_i32 v[0:1], s[2:3], s27, v111, 0
	v_lshl_add_u64 v[166:167], v[0:1], 3, s[24:25]
	v_mad_i64_i32 v[0:1], s[2:3], s27, v110, 0
	v_lshl_add_u64 v[168:169], v[0:1], 3, s[24:25]
	;; [unrolled: 2-line block ×3, first 2 shown]
	v_mad_i64_i32 v[0:1], s[2:3], s19, v108, 0
	v_add_u32_e32 v248, 0x2000, v188
	s_add_i32 s26, s26, -8
	v_accvgpr_write_b32 a1, v177
	v_accvgpr_write_b32 a0, v176
	v_mov_b32_e32 v165, 0
	v_lshl_add_u64 v[172:173], v[0:1], 3, s[22:23]
	s_mov_b32 s19, 0
	s_mov_b32 s22, 0
	s_branch .LBB162_22
.LBB162_21:                             ;   in Loop: Header=BB162_22 Depth=1
	v_add_f64 v[2:3], v[96:97], v[160:161]
	v_cvt_f32_f64_e32 v180, v[2:3]
	v_add_f64 v[2:3], v[98:99], v[162:163]
	v_cvt_f32_f64_e32 v2, v[2:3]
	v_min3_f32 v180, v180, v2, v186
	v_add_f64 v[2:3], v[92:93], v[160:161]
	v_cvt_f32_f64_e32 v181, v[2:3]
	v_add_f64 v[2:3], v[94:95], v[162:163]
	v_cvt_f32_f64_e32 v2, v[2:3]
	v_min3_f32 v181, v181, v2, v255
	v_add_f64 v[2:3], v[88:89], v[160:161]
	v_cvt_f32_f64_e32 v182, v[2:3]
	v_add_f64 v[2:3], v[90:91], v[162:163]
	v_cvt_f32_f64_e32 v2, v[2:3]
	v_min3_f32 v182, v182, v2, v187
	v_add_f64 v[2:3], v[86:87], v[162:163]
	v_add_f64 v[160:161], v[84:85], v[160:161]
	v_cvt_f32_f64_e32 v160, v[160:161]
	v_cvt_f32_f64_e32 v2, v[2:3]
	v_min3_f32 v160, v160, v2, v254
	v_add_f64 v[2:3], v[96:97], v[156:157]
	v_cvt_f32_f64_e32 v161, v[2:3]
	v_add_f64 v[2:3], v[98:99], v[158:159]
	v_cvt_f32_f64_e32 v2, v[2:3]
	v_min3_f32 v161, v161, v2, v253
	v_add_f64 v[2:3], v[92:93], v[156:157]
	v_cvt_f32_f64_e32 v162, v[2:3]
	v_add_f64 v[2:3], v[94:95], v[158:159]
	;; [unrolled: 5-line block ×3, first 2 shown]
	v_cvt_f32_f64_e32 v2, v[2:3]
	v_min3_f32 v163, v163, v2, v251
	v_add_f64 v[2:3], v[86:87], v[158:159]
	v_add_f64 v[156:157], v[84:85], v[156:157]
	v_cvt_f32_f64_e32 v156, v[156:157]
	v_cvt_f32_f64_e32 v2, v[2:3]
	v_min3_f32 v158, v156, v2, v247
	v_add_f64 v[2:3], v[98:99], v[154:155]
	v_add_f64 v[156:157], v[96:97], v[152:153]
	v_cvt_f32_f64_e32 v156, v[156:157]
	;; [unrolled: 5-line block ×121, first 2 shown]
	v_cvt_f32_f64_e32 v2, v[2:3]
	v_min3_f32 v180, v4, v2, v86
	ds_read_b128 v[18:21], v189 offset:1024
	ds_read_b128 v[14:17], v189 offset:2048
	;; [unrolled: 1-line block ×16, first 2 shown]
	ds_read_b128 v[98:101], v248
	ds_read_b128 v[34:37], v189
	ds_read_b128 v[42:45], v248 offset:3584
	ds_read_b128 v[22:25], v248 offset:3840
	;; [unrolled: 1-line block ×4, first 2 shown]
	s_waitcnt lgkmcnt(5)
	v_add_f64 v[30:31], v[20:21], v[100:101]
	v_add_f64 v[32:33], v[18:19], v[98:99]
	;; [unrolled: 1-line block ×4, first 2 shown]
	s_waitcnt lgkmcnt(4)
	v_add_f64 v[26:27], v[36:37], v[100:101]
	v_add_f64 v[28:29], v[34:35], v[98:99]
	v_cvt_f32_f64_e32 v32, v[32:33]
	v_cvt_f32_f64_e32 v30, v[30:31]
	;; [unrolled: 1-line block ×4, first 2 shown]
	v_add_f64 v[100:101], v[12:13], v[100:101]
	v_add_f64 v[98:99], v[10:11], v[98:99]
	v_cvt_f32_f64_e32 v28, v[28:29]
	v_cvt_f32_f64_e32 v26, v[26:27]
	v_min3_f32 v184, v32, v30, v102
	v_min3_f32 v185, v40, v38, v103
	v_cvt_f32_f64_e32 v98, v[98:99]
	v_cvt_f32_f64_e32 v99, v[100:101]
	v_add_f64 v[102:103], v[36:37], v[96:97]
	v_add_f64 v[182:183], v[34:35], v[94:95]
	v_min3_f32 v181, v28, v26, v190
	v_min3_f32 v190, v98, v99, v104
	v_cvt_f32_f64_e32 v104, v[182:183]
	v_cvt_f32_f64_e32 v102, v[102:103]
	v_min3_f32 v182, v104, v102, v105
	v_add_f64 v[102:103], v[20:21], v[96:97]
	v_add_f64 v[104:105], v[18:19], v[94:95]
	v_cvt_f32_f64_e32 v104, v[104:105]
	v_cvt_f32_f64_e32 v102, v[102:103]
	v_min3_f32 v106, v104, v102, v106
	v_add_f64 v[102:103], v[16:17], v[96:97]
	v_add_f64 v[104:105], v[14:15], v[94:95]
	v_cvt_f32_f64_e32 v104, v[104:105]
	v_cvt_f32_f64_e32 v102, v[102:103]
	v_min3_f32 v107, v104, v102, v107
	v_add_f64 v[102:103], v[36:37], v[92:93]
	v_add_f64 v[104:105], v[34:35], v[90:91]
	v_cvt_f32_f64_e32 v104, v[104:105]
	v_cvt_f32_f64_e32 v102, v[102:103]
	v_min3_f32 v109, v104, v102, v109
	v_add_f64 v[102:103], v[20:21], v[92:93]
	v_add_f64 v[104:105], v[18:19], v[90:91]
	v_cvt_f32_f64_e32 v104, v[104:105]
	v_cvt_f32_f64_e32 v102, v[102:103]
	v_min3_f32 v110, v104, v102, v110
	v_add_f64 v[102:103], v[16:17], v[92:93]
	v_add_f64 v[104:105], v[14:15], v[90:91]
	v_cvt_f32_f64_e32 v104, v[104:105]
	v_cvt_f32_f64_e32 v102, v[102:103]
	v_min3_f32 v111, v104, v102, v111
	v_add_f64 v[102:103], v[36:37], v[88:89]
	v_add_f64 v[104:105], v[34:35], v[86:87]
	v_cvt_f32_f64_e32 v104, v[104:105]
	v_cvt_f32_f64_e32 v102, v[102:103]
	v_min3_f32 v113, v104, v102, v113
	v_add_f64 v[102:103], v[20:21], v[88:89]
	v_add_f64 v[104:105], v[18:19], v[86:87]
	v_cvt_f32_f64_e32 v104, v[104:105]
	v_cvt_f32_f64_e32 v102, v[102:103]
	v_min3_f32 v114, v104, v102, v114
	v_add_f64 v[102:103], v[16:17], v[88:89]
	v_add_f64 v[104:105], v[14:15], v[86:87]
	v_cvt_f32_f64_e32 v104, v[104:105]
	v_cvt_f32_f64_e32 v102, v[102:103]
	v_min3_f32 v115, v104, v102, v115
	v_add_f64 v[102:103], v[36:37], v[84:85]
	v_add_f64 v[104:105], v[34:35], v[82:83]
	v_cvt_f32_f64_e32 v104, v[104:105]
	v_cvt_f32_f64_e32 v102, v[102:103]
	v_min3_f32 v117, v104, v102, v117
	v_add_f64 v[102:103], v[20:21], v[84:85]
	v_add_f64 v[104:105], v[18:19], v[82:83]
	v_cvt_f32_f64_e32 v104, v[104:105]
	v_cvt_f32_f64_e32 v102, v[102:103]
	v_min3_f32 v118, v104, v102, v118
	v_add_f64 v[102:103], v[16:17], v[84:85]
	v_add_f64 v[104:105], v[14:15], v[82:83]
	v_cvt_f32_f64_e32 v104, v[104:105]
	v_cvt_f32_f64_e32 v102, v[102:103]
	v_min3_f32 v119, v104, v102, v119
	v_add_f64 v[102:103], v[36:37], v[80:81]
	v_add_f64 v[104:105], v[34:35], v[78:79]
	v_cvt_f32_f64_e32 v104, v[104:105]
	v_cvt_f32_f64_e32 v102, v[102:103]
	v_min3_f32 v121, v104, v102, v121
	v_add_f64 v[102:103], v[20:21], v[80:81]
	v_add_f64 v[104:105], v[18:19], v[78:79]
	v_cvt_f32_f64_e32 v104, v[104:105]
	v_cvt_f32_f64_e32 v102, v[102:103]
	v_min3_f32 v122, v104, v102, v122
	v_add_f64 v[102:103], v[16:17], v[80:81]
	v_add_f64 v[104:105], v[14:15], v[78:79]
	v_cvt_f32_f64_e32 v104, v[104:105]
	v_cvt_f32_f64_e32 v102, v[102:103]
	v_min3_f32 v123, v104, v102, v123
	v_add_f64 v[102:103], v[36:37], v[76:77]
	v_add_f64 v[104:105], v[34:35], v[74:75]
	v_cvt_f32_f64_e32 v104, v[104:105]
	v_cvt_f32_f64_e32 v102, v[102:103]
	v_min3_f32 v125, v104, v102, v125
	v_add_f64 v[102:103], v[20:21], v[76:77]
	v_add_f64 v[104:105], v[18:19], v[74:75]
	v_cvt_f32_f64_e32 v104, v[104:105]
	v_cvt_f32_f64_e32 v102, v[102:103]
	v_min3_f32 v126, v104, v102, v126
	v_add_f64 v[102:103], v[16:17], v[76:77]
	v_add_f64 v[104:105], v[14:15], v[74:75]
	v_cvt_f32_f64_e32 v104, v[104:105]
	v_cvt_f32_f64_e32 v102, v[102:103]
	v_min3_f32 v127, v104, v102, v127
	v_add_f64 v[102:103], v[36:37], v[72:73]
	v_add_f64 v[104:105], v[34:35], v[70:71]
	v_cvt_f32_f64_e32 v104, v[104:105]
	v_cvt_f32_f64_e32 v102, v[102:103]
	v_min3_f32 v129, v104, v102, v129
	v_add_f64 v[102:103], v[20:21], v[72:73]
	v_add_f64 v[104:105], v[18:19], v[70:71]
	v_cvt_f32_f64_e32 v104, v[104:105]
	v_cvt_f32_f64_e32 v102, v[102:103]
	v_min3_f32 v130, v104, v102, v130
	v_add_f64 v[102:103], v[16:17], v[72:73]
	v_add_f64 v[104:105], v[14:15], v[70:71]
	v_cvt_f32_f64_e32 v104, v[104:105]
	v_cvt_f32_f64_e32 v102, v[102:103]
	v_min3_f32 v131, v104, v102, v131
	v_add_f64 v[102:103], v[36:37], v[68:69]
	v_add_f64 v[104:105], v[34:35], v[66:67]
	v_cvt_f32_f64_e32 v104, v[104:105]
	v_cvt_f32_f64_e32 v102, v[102:103]
	v_min3_f32 v133, v104, v102, v133
	v_add_f64 v[102:103], v[20:21], v[68:69]
	v_add_f64 v[104:105], v[18:19], v[66:67]
	v_cvt_f32_f64_e32 v104, v[104:105]
	v_cvt_f32_f64_e32 v102, v[102:103]
	v_min3_f32 v134, v104, v102, v134
	v_add_f64 v[102:103], v[16:17], v[68:69]
	v_add_f64 v[104:105], v[14:15], v[66:67]
	v_cvt_f32_f64_e32 v104, v[104:105]
	v_cvt_f32_f64_e32 v102, v[102:103]
	v_min3_f32 v135, v104, v102, v135
	v_add_f64 v[102:103], v[36:37], v[64:65]
	v_add_f64 v[104:105], v[34:35], v[62:63]
	v_cvt_f32_f64_e32 v104, v[104:105]
	v_cvt_f32_f64_e32 v102, v[102:103]
	v_min3_f32 v137, v104, v102, v137
	v_add_f64 v[102:103], v[20:21], v[64:65]
	v_add_f64 v[104:105], v[18:19], v[62:63]
	v_cvt_f32_f64_e32 v104, v[104:105]
	v_cvt_f32_f64_e32 v102, v[102:103]
	v_min3_f32 v138, v104, v102, v138
	v_add_f64 v[102:103], v[16:17], v[64:65]
	v_add_f64 v[104:105], v[14:15], v[62:63]
	v_cvt_f32_f64_e32 v104, v[104:105]
	v_cvt_f32_f64_e32 v102, v[102:103]
	v_min3_f32 v139, v104, v102, v139
	v_add_f64 v[102:103], v[36:37], v[60:61]
	v_add_f64 v[104:105], v[34:35], v[58:59]
	v_cvt_f32_f64_e32 v104, v[104:105]
	v_cvt_f32_f64_e32 v102, v[102:103]
	v_min3_f32 v141, v104, v102, v141
	v_add_f64 v[102:103], v[20:21], v[60:61]
	v_add_f64 v[104:105], v[18:19], v[58:59]
	v_cvt_f32_f64_e32 v104, v[104:105]
	v_cvt_f32_f64_e32 v102, v[102:103]
	v_min3_f32 v142, v104, v102, v142
	v_add_f64 v[102:103], v[16:17], v[60:61]
	v_add_f64 v[104:105], v[14:15], v[58:59]
	v_cvt_f32_f64_e32 v104, v[104:105]
	v_cvt_f32_f64_e32 v102, v[102:103]
	v_min3_f32 v143, v104, v102, v143
	v_add_f64 v[102:103], v[36:37], v[56:57]
	v_add_f64 v[104:105], v[34:35], v[54:55]
	v_cvt_f32_f64_e32 v104, v[104:105]
	v_cvt_f32_f64_e32 v102, v[102:103]
	v_min3_f32 v145, v104, v102, v145
	v_add_f64 v[102:103], v[20:21], v[56:57]
	v_add_f64 v[104:105], v[18:19], v[54:55]
	v_cvt_f32_f64_e32 v104, v[104:105]
	v_cvt_f32_f64_e32 v102, v[102:103]
	v_min3_f32 v146, v104, v102, v146
	v_add_f64 v[102:103], v[16:17], v[56:57]
	v_add_f64 v[104:105], v[14:15], v[54:55]
	v_cvt_f32_f64_e32 v104, v[104:105]
	v_cvt_f32_f64_e32 v102, v[102:103]
	v_min3_f32 v147, v104, v102, v147
	v_add_f64 v[102:103], v[36:37], v[52:53]
	v_add_f64 v[104:105], v[34:35], v[50:51]
	v_cvt_f32_f64_e32 v104, v[104:105]
	v_cvt_f32_f64_e32 v102, v[102:103]
	v_min3_f32 v149, v104, v102, v149
	v_add_f64 v[102:103], v[20:21], v[52:53]
	v_add_f64 v[104:105], v[18:19], v[50:51]
	v_cvt_f32_f64_e32 v104, v[104:105]
	v_cvt_f32_f64_e32 v102, v[102:103]
	v_min3_f32 v150, v104, v102, v150
	v_add_f64 v[102:103], v[16:17], v[52:53]
	v_add_f64 v[104:105], v[14:15], v[50:51]
	v_cvt_f32_f64_e32 v104, v[104:105]
	v_cvt_f32_f64_e32 v102, v[102:103]
	v_min3_f32 v151, v104, v102, v151
	v_add_f64 v[102:103], v[36:37], v[48:49]
	v_add_f64 v[104:105], v[34:35], v[46:47]
	v_cvt_f32_f64_e32 v104, v[104:105]
	v_cvt_f32_f64_e32 v102, v[102:103]
	v_min3_f32 v153, v104, v102, v153
	v_add_f64 v[102:103], v[20:21], v[48:49]
	v_add_f64 v[104:105], v[18:19], v[46:47]
	v_cvt_f32_f64_e32 v104, v[104:105]
	v_cvt_f32_f64_e32 v102, v[102:103]
	v_min3_f32 v154, v104, v102, v154
	v_add_f64 v[102:103], v[16:17], v[48:49]
	v_add_f64 v[104:105], v[14:15], v[46:47]
	v_cvt_f32_f64_e32 v104, v[104:105]
	v_cvt_f32_f64_e32 v102, v[102:103]
	v_min3_f32 v155, v104, v102, v155
	s_waitcnt lgkmcnt(3)
	v_add_f64 v[102:103], v[36:37], v[44:45]
	v_add_f64 v[104:105], v[34:35], v[42:43]
	v_cvt_f32_f64_e32 v104, v[104:105]
	v_cvt_f32_f64_e32 v102, v[102:103]
	v_min3_f32 v157, v104, v102, v157
	v_add_f64 v[102:103], v[20:21], v[44:45]
	v_add_f64 v[104:105], v[18:19], v[42:43]
	ds_read_b128 v[26:29], v189 offset:1040
	ds_read_b128 v[30:33], v189 offset:2064
	v_cvt_f32_f64_e32 v104, v[104:105]
	v_cvt_f32_f64_e32 v102, v[102:103]
	v_add_f64 v[96:97], v[12:13], v[96:97]
	v_add_f64 v[94:95], v[10:11], v[94:95]
	;; [unrolled: 1-line block ×26, first 2 shown]
	v_min3_f32 v158, v104, v102, v158
	v_add_f64 v[102:103], v[16:17], v[44:45]
	v_add_f64 v[104:105], v[14:15], v[42:43]
	;; [unrolled: 1-line block ×4, first 2 shown]
	s_waitcnt lgkmcnt(4)
	v_add_f64 v[16:17], v[16:17], v[24:25]
	v_add_f64 v[14:15], v[14:15], v[22:23]
	;; [unrolled: 1-line block ×4, first 2 shown]
	ds_read_b128 v[38:41], v189 offset:3088
	ds_read_b128 v[98:101], v248 offset:272
	v_cvt_f32_f64_e32 v14, v[14:15]
	v_cvt_f32_f64_e32 v15, v[16:17]
	;; [unrolled: 1-line block ×4, first 2 shown]
	v_min3_f32 v14, v14, v15, v163
	v_min3_f32 v15, v10, v11, v180
	s_waitcnt lgkmcnt(4)
	v_add_f64 v[10:11], v[4:5], v[8:9]
	v_add_f64 v[12:13], v[2:3], v[6:7]
	v_cvt_f32_f64_e32 v12, v[12:13]
	v_cvt_f32_f64_e32 v10, v[10:11]
	v_min3_f32 v186, v12, v10, v181
	s_waitcnt lgkmcnt(3)
	v_add_f64 v[10:11], v[28:29], v[8:9]
	v_add_f64 v[12:13], v[26:27], v[6:7]
	v_cvt_f32_f64_e32 v12, v[12:13]
	v_cvt_f32_f64_e32 v10, v[10:11]
	v_min3_f32 v255, v12, v10, v184
	s_waitcnt lgkmcnt(2)
	v_add_f64 v[10:11], v[32:33], v[8:9]
	v_add_f64 v[12:13], v[30:31], v[6:7]
	s_waitcnt lgkmcnt(1)
	v_add_f64 v[8:9], v[40:41], v[8:9]
	v_add_f64 v[6:7], v[38:39], v[6:7]
	v_cvt_f32_f64_e32 v6, v[6:7]
	v_cvt_f32_f64_e32 v7, v[8:9]
	v_min3_f32 v254, v6, v7, v190
	s_waitcnt lgkmcnt(0)
	v_add_f64 v[6:7], v[4:5], v[100:101]
	v_add_f64 v[8:9], v[2:3], v[98:99]
	v_cvt_f32_f64_e32 v8, v[8:9]
	v_cvt_f32_f64_e32 v6, v[6:7]
	v_cvt_f32_f64_e32 v94, v[94:95]
	v_cvt_f32_f64_e32 v95, v[96:97]
	v_min3_f32 v253, v8, v6, v182
	v_add_f64 v[6:7], v[28:29], v[100:101]
	v_add_f64 v[8:9], v[26:27], v[98:99]
	v_min3_f32 v108, v94, v95, v108
	ds_read_b128 v[94:97], v248 offset:528
	v_cvt_f32_f64_e32 v8, v[8:9]
	v_cvt_f32_f64_e32 v6, v[6:7]
	v_min3_f32 v252, v8, v6, v106
	v_add_f64 v[6:7], v[32:33], v[100:101]
	v_add_f64 v[8:9], v[30:31], v[98:99]
	v_cvt_f32_f64_e32 v8, v[8:9]
	v_cvt_f32_f64_e32 v6, v[6:7]
	v_min3_f32 v251, v8, v6, v107
	v_add_f64 v[6:7], v[40:41], v[100:101]
	v_add_f64 v[8:9], v[38:39], v[98:99]
	v_cvt_f32_f64_e32 v90, v[90:91]
	v_cvt_f32_f64_e32 v91, v[92:93]
	v_cvt_f32_f64_e32 v8, v[8:9]
	v_cvt_f32_f64_e32 v6, v[6:7]
	v_min3_f32 v112, v90, v91, v112
	ds_read_b128 v[90:93], v248 offset:784
	v_min3_f32 v247, v8, v6, v108
	s_waitcnt lgkmcnt(1)
	v_add_f64 v[6:7], v[4:5], v[96:97]
	v_add_f64 v[8:9], v[2:3], v[94:95]
	v_cvt_f32_f64_e32 v8, v[8:9]
	v_cvt_f32_f64_e32 v6, v[6:7]
	v_min3_f32 v246, v8, v6, v109
	v_add_f64 v[6:7], v[28:29], v[96:97]
	v_add_f64 v[8:9], v[26:27], v[94:95]
	v_cvt_f32_f64_e32 v8, v[8:9]
	v_cvt_f32_f64_e32 v6, v[6:7]
	v_min3_f32 v245, v8, v6, v110
	v_add_f64 v[6:7], v[32:33], v[96:97]
	v_add_f64 v[8:9], v[30:31], v[94:95]
	v_cvt_f32_f64_e32 v8, v[8:9]
	v_cvt_f32_f64_e32 v6, v[6:7]
	v_min3_f32 v244, v8, v6, v111
	v_add_f64 v[6:7], v[40:41], v[96:97]
	v_add_f64 v[8:9], v[38:39], v[94:95]
	v_cvt_f32_f64_e32 v8, v[8:9]
	v_cvt_f32_f64_e32 v6, v[6:7]
	v_min3_f32 v243, v8, v6, v112
	s_waitcnt lgkmcnt(0)
	v_add_f64 v[6:7], v[4:5], v[92:93]
	v_add_f64 v[8:9], v[2:3], v[90:91]
	v_cvt_f32_f64_e32 v8, v[8:9]
	v_cvt_f32_f64_e32 v6, v[6:7]
	v_cvt_f32_f64_e32 v86, v[86:87]
	v_cvt_f32_f64_e32 v87, v[88:89]
	v_min3_f32 v242, v8, v6, v113
	v_add_f64 v[6:7], v[28:29], v[92:93]
	v_add_f64 v[8:9], v[26:27], v[90:91]
	v_min3_f32 v116, v86, v87, v116
	ds_read_b128 v[86:89], v248 offset:1040
	v_cvt_f32_f64_e32 v8, v[8:9]
	v_cvt_f32_f64_e32 v6, v[6:7]
	v_min3_f32 v241, v8, v6, v114
	v_add_f64 v[6:7], v[32:33], v[92:93]
	v_add_f64 v[8:9], v[30:31], v[90:91]
	v_cvt_f32_f64_e32 v8, v[8:9]
	v_cvt_f32_f64_e32 v6, v[6:7]
	v_min3_f32 v240, v8, v6, v115
	v_add_f64 v[6:7], v[40:41], v[92:93]
	v_add_f64 v[8:9], v[38:39], v[90:91]
	v_cvt_f32_f64_e32 v82, v[82:83]
	v_cvt_f32_f64_e32 v83, v[84:85]
	v_cvt_f32_f64_e32 v8, v[8:9]
	v_cvt_f32_f64_e32 v6, v[6:7]
	v_min3_f32 v120, v82, v83, v120
	ds_read_b128 v[82:85], v248 offset:1296
	v_min3_f32 v239, v8, v6, v116
	s_waitcnt lgkmcnt(1)
	v_add_f64 v[6:7], v[4:5], v[88:89]
	v_add_f64 v[8:9], v[2:3], v[86:87]
	v_cvt_f32_f64_e32 v8, v[8:9]
	v_cvt_f32_f64_e32 v6, v[6:7]
	v_min3_f32 v238, v8, v6, v117
	v_add_f64 v[6:7], v[28:29], v[88:89]
	v_add_f64 v[8:9], v[26:27], v[86:87]
	v_cvt_f32_f64_e32 v8, v[8:9]
	v_cvt_f32_f64_e32 v6, v[6:7]
	v_min3_f32 v237, v8, v6, v118
	v_add_f64 v[6:7], v[32:33], v[88:89]
	v_add_f64 v[8:9], v[30:31], v[86:87]
	v_cvt_f32_f64_e32 v8, v[8:9]
	v_cvt_f32_f64_e32 v6, v[6:7]
	v_min3_f32 v236, v8, v6, v119
	;; [unrolled: 50-line block ×6, first 2 shown]
	v_add_f64 v[6:7], v[40:41], v[56:57]
	v_add_f64 v[8:9], v[38:39], v[54:55]
	v_cvt_f32_f64_e32 v8, v[8:9]
	v_cvt_f32_f64_e32 v6, v[6:7]
	v_min3_f32 v203, v8, v6, v152
	s_waitcnt lgkmcnt(0)
	v_add_f64 v[6:7], v[4:5], v[52:53]
	v_add_f64 v[8:9], v[2:3], v[50:51]
	v_cvt_f32_f64_e32 v8, v[8:9]
	v_cvt_f32_f64_e32 v6, v[6:7]
	;; [unrolled: 1-line block ×6, first 2 shown]
	v_min3_f32 v202, v8, v6, v153
	v_add_f64 v[6:7], v[28:29], v[52:53]
	v_add_f64 v[8:9], v[26:27], v[50:51]
	v_min3_f32 v156, v46, v47, v156
	ds_read_b128 v[46:49], v248 offset:3600
	v_cvt_f32_f64_e32 v102, v[102:103]
	v_min3_f32 v103, v42, v43, v160
	ds_read_b128 v[42:45], v248 offset:3856
	v_cvt_f32_f64_e32 v8, v[8:9]
	v_cvt_f32_f64_e32 v6, v[6:7]
	v_min3_f32 v201, v8, v6, v154
	v_add_f64 v[6:7], v[32:33], v[52:53]
	v_add_f64 v[8:9], v[30:31], v[50:51]
	v_cvt_f32_f64_e32 v8, v[8:9]
	v_cvt_f32_f64_e32 v6, v[6:7]
	v_min3_f32 v200, v8, v6, v155
	v_add_f64 v[6:7], v[40:41], v[52:53]
	v_add_f64 v[8:9], v[38:39], v[50:51]
	;; [unrolled: 1-line block ×4, first 2 shown]
	v_cvt_f32_f64_e32 v8, v[8:9]
	v_cvt_f32_f64_e32 v6, v[6:7]
	;; [unrolled: 1-line block ×4, first 2 shown]
	v_min3_f32 v199, v8, v6, v156
	s_waitcnt lgkmcnt(1)
	v_add_f64 v[6:7], v[4:5], v[48:49]
	v_add_f64 v[8:9], v[2:3], v[46:47]
	s_waitcnt lgkmcnt(0)
	v_add_f64 v[4:5], v[4:5], v[44:45]
	v_add_f64 v[2:3], v[2:3], v[42:43]
	v_min3_f32 v34, v34, v35, v161
	v_add_f64 v[20:21], v[20:21], v[24:25]
	v_add_f64 v[18:19], v[18:19], v[22:23]
	v_cvt_f32_f64_e32 v2, v[2:3]
	v_cvt_f32_f64_e32 v3, v[4:5]
	;; [unrolled: 1-line block ×6, first 2 shown]
	v_min3_f32 v194, v2, v3, v34
	v_add_f64 v[2:3], v[28:29], v[44:45]
	v_add_f64 v[4:5], v[26:27], v[42:43]
	v_min3_f32 v18, v18, v19, v162
	v_min3_f32 v198, v8, v6, v157
	v_add_f64 v[6:7], v[28:29], v[48:49]
	v_add_f64 v[8:9], v[26:27], v[46:47]
	v_cvt_f32_f64_e32 v4, v[4:5]
	v_cvt_f32_f64_e32 v2, v[2:3]
	;; [unrolled: 1-line block ×4, first 2 shown]
	v_min3_f32 v192, v4, v2, v18
	v_add_f64 v[2:3], v[32:33], v[44:45]
	v_add_f64 v[4:5], v[30:31], v[42:43]
	v_cvt_f32_f64_e32 v104, v[104:105]
	v_min3_f32 v197, v8, v6, v158
	v_add_f64 v[6:7], v[32:33], v[48:49]
	v_add_f64 v[8:9], v[30:31], v[46:47]
	v_cvt_f32_f64_e32 v4, v[4:5]
	v_cvt_f32_f64_e32 v2, v[2:3]
	v_min3_f32 v102, v104, v102, v159
	v_cvt_f32_f64_e32 v8, v[8:9]
	v_cvt_f32_f64_e32 v6, v[6:7]
	v_min3_f32 v191, v4, v2, v14
	v_add_f64 v[2:3], v[40:41], v[44:45]
	v_add_f64 v[4:5], v[38:39], v[42:43]
	v_min3_f32 v196, v8, v6, v102
	v_add_f64 v[6:7], v[40:41], v[48:49]
	v_add_f64 v[8:9], v[38:39], v[46:47]
	v_cvt_f32_f64_e32 v4, v[4:5]
	v_cvt_f32_f64_e32 v2, v[2:3]
	;; [unrolled: 1-line block ×6, first 2 shown]
	v_min3_f32 v190, v4, v2, v15
	v_add_u32_e32 v2, 0x1000, v193
	s_add_i32 s22, s22, 8
	v_min3_f32 v187, v12, v10, v185
	v_min3_f32 v195, v8, v6, v103
	ds_write2st64_b64 v2, v[174:175], v[176:177] offset1:4
	v_add_u32_e32 v2, 0x3000, v193
	v_lshl_add_u64 v[166:167], v[166:167], 0, 64
	v_lshl_add_u64 v[168:169], v[168:169], 0, 64
	;; [unrolled: 1-line block ×3, first 2 shown]
	s_cmp_ge_i32 s22, s26
	v_lshl_add_u64 v[172:173], v[172:173], 0, 64
	ds_write2st64_b64 v2, v[0:1], v[178:179] offset1:4
	s_waitcnt lgkmcnt(0)
	s_barrier
	s_cbranch_scc1 .LBB162_34
.LBB162_22:                             ; =>This Inner Loop Header: Depth=1
	s_and_b64 vcc, exec, s[6:7]
	v_lshl_add_u64 v[176:177], v[172:173], 0, v[164:165]
	s_cbranch_vccnz .LBB162_33
; %bb.23:                               ;   in Loop: Header=BB162_22 Depth=1
	global_load_dwordx2 v[0:1], v[176:177], off offset:64
	s_waitcnt vmcnt(0)
	v_mul_f64 v[20:21], s[20:21], v[0:1]
	s_mov_b64 s[2:3], -1
                                        ; implicit-def: $vgpr0_vgpr1_vgpr2_vgpr3
	s_mov_b64 vcc, s[4:5]
                                        ; implicit-def: $vgpr2_vgpr3
	s_cbranch_vccz .LBB162_25
.LBB162_24:                             ;   in Loop: Header=BB162_22 Depth=1
	v_mov_b32_e32 v2, s19
	v_mov_b32_e32 v3, s19
	;; [unrolled: 1-line block ×4, first 2 shown]
	s_mov_b64 s[2:3], 0
.LBB162_25:                             ;   in Loop: Header=BB162_22 Depth=1
	v_mov_b64_e32 v[174:175], 0
	s_andn2_b64 vcc, exec, s[2:3]
	v_lshl_add_u64 v[184:185], v[170:171], 0, v[164:165]
	v_lshl_add_u64 v[182:183], v[168:169], 0, v[164:165]
	;; [unrolled: 1-line block ×3, first 2 shown]
	v_mov_b64_e32 v[22:23], 0
	s_cbranch_vccnz .LBB162_27
; %bb.26:                               ;   in Loop: Header=BB162_22 Depth=1
	global_load_dwordx2 v[0:1], v[184:185], off offset:64
	global_load_dwordx2 v[4:5], v[182:183], off offset:64
	;; [unrolled: 1-line block ×3, first 2 shown]
	s_waitcnt vmcnt(2)
	v_mul_f64 v[2:3], s[20:21], v[0:1]
	s_waitcnt vmcnt(1)
	v_mul_f64 v[0:1], s[20:21], v[4:5]
	;; [unrolled: 2-line block ×3, first 2 shown]
.LBB162_27:                             ;   in Loop: Header=BB162_22 Depth=1
	ds_read_b128 v[160:163], v250
	ds_read_b128 v[80:83], v250 offset:16
	ds_read_b128 v[96:99], v249
	ds_read_b128 v[16:19], v249 offset:16
	ds_read_b128 v[92:95], v249 offset:1024
	;; [unrolled: 1-line block ×33, first 2 shown]
	ds_write2st64_b64 v193, v[20:21], v[2:3] offset1:4
	v_add_u32_e32 v2, 0x2000, v193
	ds_read_b128 v[104:107], v250 offset:3584
	ds_read_b128 v[24:27], v250 offset:3600
	ds_write2st64_b64 v2, v[0:1], v[22:23] offset1:4
	ds_read_b128 v[100:103], v250 offset:3840
	ds_read_b128 v[20:23], v250 offset:3856
	s_and_b64 vcc, exec, s[6:7]
	s_waitcnt lgkmcnt(0)
	s_barrier
	s_cbranch_vccnz .LBB162_29
; %bb.28:                               ;   in Loop: Header=BB162_22 Depth=1
	global_load_dwordx2 v[0:1], v[176:177], off offset:96
	s_waitcnt vmcnt(0)
	v_mul_f64 v[174:175], s[20:21], v[0:1]
.LBB162_29:                             ;   in Loop: Header=BB162_22 Depth=1
	s_mov_b64 s[2:3], -1
	s_mov_b64 vcc, s[4:5]
                                        ; implicit-def: $vgpr0_vgpr1_vgpr2_vgpr3
                                        ; implicit-def: $vgpr176_vgpr177
	s_cbranch_vccz .LBB162_31
; %bb.30:                               ;   in Loop: Header=BB162_22 Depth=1
	v_mov_b32_e32 v176, s19
	v_mov_b32_e32 v177, s19
	;; [unrolled: 1-line block ×4, first 2 shown]
	s_mov_b64 s[2:3], 0
.LBB162_31:                             ;   in Loop: Header=BB162_22 Depth=1
	s_andn2_b64 vcc, exec, s[2:3]
	v_mov_b64_e32 v[178:179], 0
	s_cbranch_vccnz .LBB162_21
; %bb.32:                               ;   in Loop: Header=BB162_22 Depth=1
	global_load_dwordx2 v[0:1], v[184:185], off offset:96
	global_load_dwordx2 v[2:3], v[182:183], off offset:96
	;; [unrolled: 1-line block ×3, first 2 shown]
	s_waitcnt vmcnt(2)
	v_mul_f64 v[176:177], s[20:21], v[0:1]
	s_waitcnt vmcnt(1)
	v_mul_f64 v[0:1], s[20:21], v[2:3]
	s_waitcnt vmcnt(0)
	v_mul_f64 v[178:179], s[20:21], v[178:179]
	s_branch .LBB162_21
.LBB162_33:                             ;   in Loop: Header=BB162_22 Depth=1
	v_mov_b64_e32 v[20:21], 0
	s_mov_b64 s[2:3], -1
                                        ; implicit-def: $vgpr0_vgpr1_vgpr2_vgpr3
	s_mov_b64 vcc, s[4:5]
                                        ; implicit-def: $vgpr2_vgpr3
	s_cbranch_vccz .LBB162_25
	s_branch .LBB162_24
.LBB162_34:
	v_accvgpr_read_b32 v176, a0
	v_accvgpr_read_b32 v177, a1
.LBB162_35:
	s_load_dwordx2 s[2:3], s[0:1], 0x78
	s_load_dword s4, s[0:1], 0x58
	s_load_dword s5, s[0:1], 0x70
	ds_read_b128 v[36:39], v189 offset:4096
	ds_read_b128 v[156:159], v188 offset:12288
	;; [unrolled: 1-line block ×4, first 2 shown]
	s_waitcnt lgkmcnt(0)
	s_mul_i32 s1, s3, s18
	s_mul_hi_u32 s3, s2, s18
	s_mul_i32 s0, s2, s18
	v_add_f64 v[0:1], v[38:39], v[158:159]
	v_add_f64 v[2:3], v[36:37], v[156:157]
	s_add_i32 s1, s3, s1
	v_cvt_f32_f64_e32 v2, v[2:3]
	v_cvt_f32_f64_e32 v0, v[0:1]
	s_lshl_b64 s[0:1], s[0:1], 3
	v_min3_f32 v4, v2, v0, v186
	v_add_f64 v[0:1], v[34:35], v[154:155]
	v_add_f64 v[2:3], v[32:33], v[152:153]
	s_add_u32 s0, s14, s0
	v_cvt_f32_f64_e32 v2, v[2:3]
	v_cvt_f32_f64_e32 v0, v[0:1]
	v_add_u32_e32 v162, s12, v176
	v_add_u32_e32 v176, s13, v177
	s_addc_u32 s1, s15, s1
	v_min3_f32 v2, v2, v0, v4
	v_mad_i64_i32 v[0:1], s[2:3], v176, s5, 0
	v_add_u32_e32 v160, 32, v162
	v_lshl_add_u64 v[172:173], v[0:1], 3, s[0:1]
	v_mad_i64_i32 v[0:1], s[2:3], v176, s4, 0
	v_ashrrev_i32_e32 v163, 31, v162
	v_ashrrev_i32_e32 v161, 31, v160
	s_mov_b64 s[2:3], -1
	v_max_f32_e32 v2, v2, v2
	s_mov_b64 vcc, s[8:9]
	s_cbranch_vccz .LBB162_37
; %bb.36:
	v_min_f32_e32 v3, 0, v2
	v_cvt_f64_f32_e32 v[4:5], v3
	v_lshl_add_u64 v[6:7], v[162:163], 3, v[172:173]
	global_store_dwordx2 v[6:7], v[4:5], off
	s_mov_b64 s[2:3], 0
.LBB162_37:
	ds_read_b128 v[28:31], v189 offset:5120
	ds_read_b128 v[16:19], v189 offset:5136
	;; [unrolled: 1-line block ×4, first 2 shown]
	v_lshl_add_u64 v[174:175], v[0:1], 3, s[10:11]
	v_mov_b32_e32 v170, 0
	s_andn2_b64 vcc, exec, s[2:3]
	v_lshlrev_b64 v[166:167], 3, v[162:163]
	s_cbranch_vccnz .LBB162_39
; %bb.38:
	v_lshl_add_u64 v[0:1], v[174:175], 0, v[166:167]
	global_load_dwordx2 v[0:1], v[0:1], off
	v_lshl_add_u64 v[4:5], v[172:173], 0, v[166:167]
	s_waitcnt vmcnt(0)
	v_mul_f64 v[0:1], s[16:17], v[0:1]
	v_cvt_f32_f64_e32 v0, v[0:1]
	v_min_f32_e32 v0, v0, v2
	v_cvt_f64_f32_e32 v[0:1], v0
	global_store_dwordx2 v[4:5], v[0:1], off
	v_lshl_add_u64 v[0:1], v[160:161], 3, v[174:175]
	global_load_dwordx2 v[0:1], v[0:1], off
	s_waitcnt vmcnt(0)
	v_mul_f64 v[0:1], s[16:17], v[0:1]
	v_cvt_f32_f64_e32 v170, v[0:1]
.LBB162_39:
	ds_read_b128 v[0:3], v189 offset:7168
	ds_read_b128 v[4:7], v189 offset:7184
	;; [unrolled: 1-line block ×32, first 2 shown]
	s_waitcnt lgkmcnt(14)
	v_add_f64 v[164:165], v[30:31], v[158:159]
	v_add_f64 v[168:169], v[28:29], v[156:157]
	v_cvt_f32_f64_e32 v168, v[168:169]
	v_cvt_f32_f64_e32 v164, v[164:165]
	v_min3_f32 v171, v168, v164, v255
	v_add_f64 v[164:165], v[26:27], v[158:159]
	v_add_f64 v[168:169], v[24:25], v[156:157]
	v_cvt_f32_f64_e32 v168, v[168:169]
	v_cvt_f32_f64_e32 v164, v[164:165]
	v_min3_f32 v177, v168, v164, v187
	v_add_f64 v[164:165], v[18:19], v[154:155]
	v_add_f64 v[168:169], v[16:17], v[152:153]
	v_cvt_f32_f64_e32 v168, v[168:169]
	v_cvt_f32_f64_e32 v164, v[164:165]
	v_min_f32_e32 v178, v168, v164
	v_add_f64 v[164:165], v[10:11], v[154:155]
	v_add_f64 v[168:169], v[8:9], v[152:153]
	v_cvt_f32_f64_e32 v168, v[168:169]
	v_cvt_f32_f64_e32 v164, v[164:165]
	v_min3_f32 v170, v170, v178, v171
	v_min3_f32 v177, v168, v164, v177
	v_add_u32_e32 v168, 64, v162
	v_add_u32_e32 v164, 0x60, v162
	v_cvt_f64_f32_e32 v[170:171], v170
	v_lshl_add_u64 v[178:179], v[160:161], 3, v[172:173]
	v_ashrrev_i32_e32 v169, 31, v168
	v_ashrrev_i32_e32 v165, 31, v164
	global_store_dwordx2 v[178:179], v[170:171], off
	s_mov_b64 s[2:3], -1
	v_max_f32_e32 v178, v177, v177
	s_mov_b64 vcc, s[8:9]
	s_cbranch_vccz .LBB162_41
; %bb.40:
	v_min_f32_e32 v170, 0, v178
	v_cvt_f64_f32_e32 v[170:171], v170
	v_lshl_add_u64 v[180:181], v[168:169], 3, v[172:173]
	global_store_dwordx2 v[180:181], v[170:171], off
	s_mov_b64 s[2:3], 0
.LBB162_41:
	v_mov_b32_e32 v177, 0
	s_andn2_b64 vcc, exec, s[2:3]
	v_lshlrev_b64 v[170:171], 3, v[168:169]
	s_cbranch_vccnz .LBB162_43
; %bb.42:
	v_lshl_add_u64 v[180:181], v[174:175], 0, v[170:171]
	global_load_dwordx2 v[180:181], v[180:181], off
	v_lshl_add_u64 v[182:183], v[172:173], 0, v[170:171]
	v_lshl_add_u64 v[174:175], v[164:165], 3, v[174:175]
	s_waitcnt vmcnt(0)
	v_mul_f64 v[180:181], s[16:17], v[180:181]
	v_cvt_f32_f64_e32 v177, v[180:181]
	v_min_f32_e32 v177, v177, v178
	v_cvt_f64_f32_e32 v[178:179], v177
	global_store_dwordx2 v[182:183], v[178:179], off
	global_load_dwordx2 v[174:175], v[174:175], off
	s_waitcnt vmcnt(0)
	v_mul_f64 v[174:175], s[16:17], v[174:175]
	v_cvt_f32_f64_e32 v177, v[174:175]
.LBB162_43:
	v_add_f64 v[158:159], v[2:3], v[158:159]
	v_add_f64 v[156:157], v[0:1], v[156:157]
	v_cvt_f32_f64_e32 v156, v[156:157]
	v_cvt_f32_f64_e32 v157, v[158:159]
	v_add_f64 v[154:155], v[6:7], v[154:155]
	v_add_f64 v[152:153], v[4:5], v[152:153]
	v_min3_f32 v174, v156, v157, v254
	v_add_f64 v[156:157], v[38:39], v[150:151]
	v_add_f64 v[158:159], v[36:37], v[148:149]
	v_cvt_f32_f64_e32 v152, v[152:153]
	v_cvt_f32_f64_e32 v153, v[154:155]
	;; [unrolled: 1-line block ×4, first 2 shown]
	v_min_f32_e32 v157, v152, v153
	v_add_f64 v[152:153], v[34:35], v[146:147]
	v_add_f64 v[154:155], v[32:33], v[144:145]
	v_min3_f32 v156, v158, v156, v253
	v_cvt_f32_f64_e32 v154, v[154:155]
	v_cvt_f32_f64_e32 v152, v[152:153]
	v_min3_f32 v156, v154, v152, v156
	v_min3_f32 v152, v177, v157, v174
	v_cvt_f64_f32_e32 v[152:153], v152
	v_lshl_add_u64 v[154:155], v[164:165], 3, v[172:173]
	global_store_dwordx2 v[154:155], v[152:153], off
	v_add_u32_e32 v154, 8, v176
	v_mad_i64_i32 v[152:153], s[2:3], v154, s5, 0
	v_mad_i64_i32 v[154:155], s[2:3], v154, s4, 0
	v_lshl_add_u64 v[152:153], v[152:153], 3, s[0:1]
	s_mov_b64 s[2:3], -1
	v_max_f32_e32 v157, v156, v156
	s_mov_b64 vcc, s[8:9]
	s_cbranch_vccz .LBB162_45
; %bb.44:
	v_min_f32_e32 v156, 0, v157
	v_cvt_f64_f32_e32 v[158:159], v156
	v_lshl_add_u64 v[172:173], v[162:163], 3, v[152:153]
	global_store_dwordx2 v[172:173], v[158:159], off
	s_mov_b64 s[2:3], 0
.LBB162_45:
	v_lshl_add_u64 v[154:155], v[154:155], 3, s[10:11]
	s_andn2_b64 vcc, exec, s[2:3]
	v_mov_b32_e32 v156, 0
	s_cbranch_vccnz .LBB162_47
; %bb.46:
	v_lshl_add_u64 v[158:159], v[154:155], 0, v[166:167]
	global_load_dwordx2 v[158:159], v[158:159], off
	v_lshl_add_u64 v[172:173], v[152:153], 0, v[166:167]
	s_waitcnt vmcnt(0)
	v_mul_f64 v[158:159], s[16:17], v[158:159]
	v_cvt_f32_f64_e32 v156, v[158:159]
	v_min_f32_e32 v156, v156, v157
	v_cvt_f64_f32_e32 v[156:157], v156
	global_store_dwordx2 v[172:173], v[156:157], off
	v_lshl_add_u64 v[156:157], v[160:161], 3, v[154:155]
	global_load_dwordx2 v[156:157], v[156:157], off
	s_waitcnt vmcnt(0)
	v_mul_f64 v[156:157], s[16:17], v[156:157]
	v_cvt_f32_f64_e32 v156, v[156:157]
.LBB162_47:
	v_add_f64 v[158:159], v[30:31], v[150:151]
	v_add_f64 v[172:173], v[28:29], v[148:149]
	v_cvt_f32_f64_e32 v157, v[172:173]
	v_cvt_f32_f64_e32 v158, v[158:159]
	v_min3_f32 v157, v157, v158, v252
	v_add_f64 v[158:159], v[26:27], v[150:151]
	v_add_f64 v[172:173], v[24:25], v[148:149]
	v_cvt_f32_f64_e32 v172, v[172:173]
	v_cvt_f32_f64_e32 v158, v[158:159]
	v_min3_f32 v174, v172, v158, v251
	v_add_f64 v[158:159], v[18:19], v[146:147]
	v_add_f64 v[172:173], v[16:17], v[144:145]
	v_cvt_f32_f64_e32 v172, v[172:173]
	v_cvt_f32_f64_e32 v158, v[158:159]
	v_min_f32_e32 v175, v172, v158
	v_add_f64 v[158:159], v[10:11], v[146:147]
	v_add_f64 v[172:173], v[8:9], v[144:145]
	v_cvt_f32_f64_e32 v172, v[172:173]
	v_cvt_f32_f64_e32 v158, v[158:159]
	v_min3_f32 v156, v156, v175, v157
	v_min3_f32 v172, v172, v158, v174
	v_cvt_f64_f32_e32 v[156:157], v156
	v_lshl_add_u64 v[158:159], v[160:161], 3, v[152:153]
	global_store_dwordx2 v[158:159], v[156:157], off
	s_mov_b64 s[2:3], -1
	v_max_f32_e32 v157, v172, v172
	s_mov_b64 vcc, s[8:9]
	s_cbranch_vccz .LBB162_49
; %bb.48:
	v_min_f32_e32 v156, 0, v157
	v_cvt_f64_f32_e32 v[158:159], v156
	v_lshl_add_u64 v[172:173], v[168:169], 3, v[152:153]
	global_store_dwordx2 v[172:173], v[158:159], off
	s_mov_b64 s[2:3], 0
.LBB162_49:
	s_andn2_b64 vcc, exec, s[2:3]
	v_mov_b32_e32 v156, 0
	s_cbranch_vccnz .LBB162_51
; %bb.50:
	v_lshl_add_u64 v[158:159], v[154:155], 0, v[170:171]
	global_load_dwordx2 v[158:159], v[158:159], off
	v_lshl_add_u64 v[172:173], v[152:153], 0, v[170:171]
	v_lshl_add_u64 v[154:155], v[164:165], 3, v[154:155]
	s_waitcnt vmcnt(0)
	v_mul_f64 v[158:159], s[16:17], v[158:159]
	v_cvt_f32_f64_e32 v156, v[158:159]
	v_min_f32_e32 v156, v156, v157
	v_cvt_f64_f32_e32 v[156:157], v156
	global_store_dwordx2 v[172:173], v[156:157], off
	global_load_dwordx2 v[154:155], v[154:155], off
	s_waitcnt vmcnt(0)
	v_mul_f64 v[154:155], s[16:17], v[154:155]
	v_cvt_f32_f64_e32 v156, v[154:155]
.LBB162_51:
	v_add_f64 v[150:151], v[2:3], v[150:151]
	v_add_f64 v[148:149], v[0:1], v[148:149]
	v_cvt_f32_f64_e32 v148, v[148:149]
	v_cvt_f32_f64_e32 v149, v[150:151]
	v_add_f64 v[146:147], v[6:7], v[146:147]
	v_add_f64 v[144:145], v[4:5], v[144:145]
	v_min3_f32 v154, v148, v149, v247
	v_add_f64 v[148:149], v[38:39], v[142:143]
	v_add_f64 v[150:151], v[36:37], v[140:141]
	v_cvt_f32_f64_e32 v144, v[144:145]
	v_cvt_f32_f64_e32 v145, v[146:147]
	;; [unrolled: 1-line block ×4, first 2 shown]
	v_min_f32_e32 v149, v144, v145
	v_add_f64 v[144:145], v[34:35], v[138:139]
	v_add_f64 v[146:147], v[32:33], v[136:137]
	v_min3_f32 v148, v150, v148, v246
	v_cvt_f32_f64_e32 v146, v[146:147]
	v_cvt_f32_f64_e32 v144, v[144:145]
	v_min3_f32 v148, v146, v144, v148
	v_min3_f32 v144, v156, v149, v154
	v_cvt_f64_f32_e32 v[144:145], v144
	v_lshl_add_u64 v[146:147], v[164:165], 3, v[152:153]
	global_store_dwordx2 v[146:147], v[144:145], off
	v_add_u32_e32 v146, 16, v176
	v_mad_i64_i32 v[144:145], s[2:3], v146, s5, 0
	v_mad_i64_i32 v[146:147], s[2:3], v146, s4, 0
	v_lshl_add_u64 v[144:145], v[144:145], 3, s[0:1]
	s_mov_b64 s[2:3], -1
	v_max_f32_e32 v149, v148, v148
	s_mov_b64 vcc, s[8:9]
	s_cbranch_vccz .LBB162_53
; %bb.52:
	v_min_f32_e32 v148, 0, v149
	v_cvt_f64_f32_e32 v[150:151], v148
	v_lshl_add_u64 v[152:153], v[162:163], 3, v[144:145]
	global_store_dwordx2 v[152:153], v[150:151], off
	s_mov_b64 s[2:3], 0
.LBB162_53:
	v_lshl_add_u64 v[146:147], v[146:147], 3, s[10:11]
	s_andn2_b64 vcc, exec, s[2:3]
	v_mov_b32_e32 v148, 0
	s_cbranch_vccnz .LBB162_55
; %bb.54:
	v_lshl_add_u64 v[150:151], v[146:147], 0, v[166:167]
	global_load_dwordx2 v[150:151], v[150:151], off
	v_lshl_add_u64 v[152:153], v[144:145], 0, v[166:167]
	s_waitcnt vmcnt(0)
	v_mul_f64 v[150:151], s[16:17], v[150:151]
	v_cvt_f32_f64_e32 v148, v[150:151]
	v_min_f32_e32 v148, v148, v149
	v_cvt_f64_f32_e32 v[148:149], v148
	global_store_dwordx2 v[152:153], v[148:149], off
	v_lshl_add_u64 v[148:149], v[160:161], 3, v[146:147]
	global_load_dwordx2 v[148:149], v[148:149], off
	s_waitcnt vmcnt(0)
	v_mul_f64 v[148:149], s[16:17], v[148:149]
	v_cvt_f32_f64_e32 v148, v[148:149]
.LBB162_55:
	v_add_f64 v[150:151], v[30:31], v[142:143]
	v_add_f64 v[152:153], v[28:29], v[140:141]
	v_cvt_f32_f64_e32 v149, v[152:153]
	v_cvt_f32_f64_e32 v150, v[150:151]
	v_min3_f32 v149, v149, v150, v245
	v_add_f64 v[150:151], v[26:27], v[142:143]
	v_add_f64 v[152:153], v[24:25], v[140:141]
	v_cvt_f32_f64_e32 v152, v[152:153]
	v_cvt_f32_f64_e32 v150, v[150:151]
	v_min3_f32 v154, v152, v150, v244
	v_add_f64 v[150:151], v[18:19], v[138:139]
	v_add_f64 v[152:153], v[16:17], v[136:137]
	v_cvt_f32_f64_e32 v152, v[152:153]
	v_cvt_f32_f64_e32 v150, v[150:151]
	v_min_f32_e32 v155, v152, v150
	v_add_f64 v[150:151], v[10:11], v[138:139]
	v_add_f64 v[152:153], v[8:9], v[136:137]
	v_cvt_f32_f64_e32 v152, v[152:153]
	v_cvt_f32_f64_e32 v150, v[150:151]
	v_min3_f32 v148, v148, v155, v149
	v_min3_f32 v152, v152, v150, v154
	v_cvt_f64_f32_e32 v[148:149], v148
	v_lshl_add_u64 v[150:151], v[160:161], 3, v[144:145]
	global_store_dwordx2 v[150:151], v[148:149], off
	s_mov_b64 s[2:3], -1
	v_max_f32_e32 v149, v152, v152
	s_mov_b64 vcc, s[8:9]
	s_cbranch_vccz .LBB162_57
; %bb.56:
	v_min_f32_e32 v148, 0, v149
	v_cvt_f64_f32_e32 v[150:151], v148
	v_lshl_add_u64 v[152:153], v[168:169], 3, v[144:145]
	global_store_dwordx2 v[152:153], v[150:151], off
	s_mov_b64 s[2:3], 0
.LBB162_57:
	s_andn2_b64 vcc, exec, s[2:3]
	v_mov_b32_e32 v148, 0
	s_cbranch_vccnz .LBB162_59
; %bb.58:
	v_lshl_add_u64 v[150:151], v[146:147], 0, v[170:171]
	global_load_dwordx2 v[150:151], v[150:151], off
	v_lshl_add_u64 v[152:153], v[144:145], 0, v[170:171]
	v_lshl_add_u64 v[146:147], v[164:165], 3, v[146:147]
	s_waitcnt vmcnt(0)
	v_mul_f64 v[150:151], s[16:17], v[150:151]
	v_cvt_f32_f64_e32 v148, v[150:151]
	v_min_f32_e32 v148, v148, v149
	v_cvt_f64_f32_e32 v[148:149], v148
	global_store_dwordx2 v[152:153], v[148:149], off
	global_load_dwordx2 v[146:147], v[146:147], off
	s_waitcnt vmcnt(0)
	v_mul_f64 v[146:147], s[16:17], v[146:147]
	v_cvt_f32_f64_e32 v148, v[146:147]
.LBB162_59:
	v_add_f64 v[142:143], v[2:3], v[142:143]
	v_add_f64 v[140:141], v[0:1], v[140:141]
	v_cvt_f32_f64_e32 v140, v[140:141]
	v_cvt_f32_f64_e32 v141, v[142:143]
	v_add_f64 v[138:139], v[6:7], v[138:139]
	v_add_f64 v[136:137], v[4:5], v[136:137]
	v_min3_f32 v146, v140, v141, v243
	v_add_f64 v[140:141], v[38:39], v[134:135]
	v_add_f64 v[142:143], v[36:37], v[132:133]
	v_cvt_f32_f64_e32 v136, v[136:137]
	v_cvt_f32_f64_e32 v137, v[138:139]
	;; [unrolled: 1-line block ×4, first 2 shown]
	v_min_f32_e32 v141, v136, v137
	v_add_f64 v[136:137], v[34:35], v[130:131]
	v_add_f64 v[138:139], v[32:33], v[128:129]
	v_min3_f32 v140, v142, v140, v242
	v_cvt_f32_f64_e32 v138, v[138:139]
	v_cvt_f32_f64_e32 v136, v[136:137]
	v_min3_f32 v140, v138, v136, v140
	v_min3_f32 v136, v148, v141, v146
	v_cvt_f64_f32_e32 v[136:137], v136
	v_lshl_add_u64 v[138:139], v[164:165], 3, v[144:145]
	global_store_dwordx2 v[138:139], v[136:137], off
	v_add_u32_e32 v138, 24, v176
	v_mad_i64_i32 v[136:137], s[2:3], v138, s5, 0
	v_mad_i64_i32 v[138:139], s[2:3], v138, s4, 0
	v_lshl_add_u64 v[136:137], v[136:137], 3, s[0:1]
	s_mov_b64 s[2:3], -1
	v_max_f32_e32 v141, v140, v140
	s_mov_b64 vcc, s[8:9]
	s_cbranch_vccz .LBB162_61
; %bb.60:
	v_min_f32_e32 v140, 0, v141
	v_cvt_f64_f32_e32 v[142:143], v140
	v_lshl_add_u64 v[144:145], v[162:163], 3, v[136:137]
	global_store_dwordx2 v[144:145], v[142:143], off
	s_mov_b64 s[2:3], 0
.LBB162_61:
	v_lshl_add_u64 v[138:139], v[138:139], 3, s[10:11]
	s_andn2_b64 vcc, exec, s[2:3]
	v_mov_b32_e32 v140, 0
	s_cbranch_vccnz .LBB162_63
; %bb.62:
	v_lshl_add_u64 v[142:143], v[138:139], 0, v[166:167]
	global_load_dwordx2 v[142:143], v[142:143], off
	v_lshl_add_u64 v[144:145], v[136:137], 0, v[166:167]
	s_waitcnt vmcnt(0)
	v_mul_f64 v[142:143], s[16:17], v[142:143]
	v_cvt_f32_f64_e32 v140, v[142:143]
	v_min_f32_e32 v140, v140, v141
	v_cvt_f64_f32_e32 v[140:141], v140
	global_store_dwordx2 v[144:145], v[140:141], off
	v_lshl_add_u64 v[140:141], v[160:161], 3, v[138:139]
	global_load_dwordx2 v[140:141], v[140:141], off
	s_waitcnt vmcnt(0)
	v_mul_f64 v[140:141], s[16:17], v[140:141]
	v_cvt_f32_f64_e32 v140, v[140:141]
.LBB162_63:
	v_add_f64 v[142:143], v[30:31], v[134:135]
	v_add_f64 v[144:145], v[28:29], v[132:133]
	v_cvt_f32_f64_e32 v141, v[144:145]
	v_cvt_f32_f64_e32 v142, v[142:143]
	v_min3_f32 v141, v141, v142, v241
	v_add_f64 v[142:143], v[26:27], v[134:135]
	v_add_f64 v[144:145], v[24:25], v[132:133]
	v_cvt_f32_f64_e32 v144, v[144:145]
	v_cvt_f32_f64_e32 v142, v[142:143]
	v_min3_f32 v146, v144, v142, v240
	v_add_f64 v[142:143], v[18:19], v[130:131]
	v_add_f64 v[144:145], v[16:17], v[128:129]
	v_cvt_f32_f64_e32 v144, v[144:145]
	v_cvt_f32_f64_e32 v142, v[142:143]
	v_min_f32_e32 v147, v144, v142
	v_add_f64 v[142:143], v[10:11], v[130:131]
	v_add_f64 v[144:145], v[8:9], v[128:129]
	v_cvt_f32_f64_e32 v144, v[144:145]
	v_cvt_f32_f64_e32 v142, v[142:143]
	v_min3_f32 v140, v140, v147, v141
	v_min3_f32 v144, v144, v142, v146
	v_cvt_f64_f32_e32 v[140:141], v140
	v_lshl_add_u64 v[142:143], v[160:161], 3, v[136:137]
	global_store_dwordx2 v[142:143], v[140:141], off
	s_mov_b64 s[2:3], -1
	v_max_f32_e32 v141, v144, v144
	s_mov_b64 vcc, s[8:9]
	s_cbranch_vccz .LBB162_65
; %bb.64:
	v_min_f32_e32 v140, 0, v141
	v_cvt_f64_f32_e32 v[142:143], v140
	v_lshl_add_u64 v[144:145], v[168:169], 3, v[136:137]
	global_store_dwordx2 v[144:145], v[142:143], off
	s_mov_b64 s[2:3], 0
.LBB162_65:
	s_andn2_b64 vcc, exec, s[2:3]
	v_mov_b32_e32 v140, 0
	s_cbranch_vccnz .LBB162_67
; %bb.66:
	v_lshl_add_u64 v[142:143], v[138:139], 0, v[170:171]
	global_load_dwordx2 v[142:143], v[142:143], off
	v_lshl_add_u64 v[144:145], v[136:137], 0, v[170:171]
	v_lshl_add_u64 v[138:139], v[164:165], 3, v[138:139]
	s_waitcnt vmcnt(0)
	v_mul_f64 v[142:143], s[16:17], v[142:143]
	v_cvt_f32_f64_e32 v140, v[142:143]
	v_min_f32_e32 v140, v140, v141
	v_cvt_f64_f32_e32 v[140:141], v140
	global_store_dwordx2 v[144:145], v[140:141], off
	global_load_dwordx2 v[138:139], v[138:139], off
	s_waitcnt vmcnt(0)
	v_mul_f64 v[138:139], s[16:17], v[138:139]
	v_cvt_f32_f64_e32 v140, v[138:139]
.LBB162_67:
	v_add_f64 v[134:135], v[2:3], v[134:135]
	v_add_f64 v[132:133], v[0:1], v[132:133]
	v_cvt_f32_f64_e32 v132, v[132:133]
	v_cvt_f32_f64_e32 v133, v[134:135]
	v_add_f64 v[130:131], v[6:7], v[130:131]
	v_add_f64 v[128:129], v[4:5], v[128:129]
	v_min3_f32 v138, v132, v133, v239
	v_add_f64 v[132:133], v[38:39], v[126:127]
	v_add_f64 v[134:135], v[36:37], v[124:125]
	v_cvt_f32_f64_e32 v128, v[128:129]
	v_cvt_f32_f64_e32 v129, v[130:131]
	;; [unrolled: 1-line block ×4, first 2 shown]
	v_min_f32_e32 v133, v128, v129
	v_add_f64 v[128:129], v[34:35], v[122:123]
	v_add_f64 v[130:131], v[32:33], v[120:121]
	v_min3_f32 v132, v134, v132, v238
	v_cvt_f32_f64_e32 v130, v[130:131]
	v_cvt_f32_f64_e32 v128, v[128:129]
	v_min3_f32 v132, v130, v128, v132
	v_min3_f32 v128, v140, v133, v138
	v_cvt_f64_f32_e32 v[128:129], v128
	v_lshl_add_u64 v[130:131], v[164:165], 3, v[136:137]
	global_store_dwordx2 v[130:131], v[128:129], off
	v_add_u32_e32 v130, 32, v176
	v_mad_i64_i32 v[128:129], s[2:3], v130, s5, 0
	v_mad_i64_i32 v[130:131], s[2:3], v130, s4, 0
	v_lshl_add_u64 v[128:129], v[128:129], 3, s[0:1]
	s_mov_b64 s[2:3], -1
	v_max_f32_e32 v133, v132, v132
	s_mov_b64 vcc, s[8:9]
	s_cbranch_vccz .LBB162_69
; %bb.68:
	v_min_f32_e32 v132, 0, v133
	v_cvt_f64_f32_e32 v[134:135], v132
	v_lshl_add_u64 v[136:137], v[162:163], 3, v[128:129]
	global_store_dwordx2 v[136:137], v[134:135], off
	s_mov_b64 s[2:3], 0
.LBB162_69:
	v_lshl_add_u64 v[130:131], v[130:131], 3, s[10:11]
	s_andn2_b64 vcc, exec, s[2:3]
	v_mov_b32_e32 v132, 0
	s_cbranch_vccnz .LBB162_71
; %bb.70:
	v_lshl_add_u64 v[134:135], v[130:131], 0, v[166:167]
	global_load_dwordx2 v[134:135], v[134:135], off
	v_lshl_add_u64 v[136:137], v[128:129], 0, v[166:167]
	s_waitcnt vmcnt(0)
	v_mul_f64 v[134:135], s[16:17], v[134:135]
	v_cvt_f32_f64_e32 v132, v[134:135]
	v_min_f32_e32 v132, v132, v133
	v_cvt_f64_f32_e32 v[132:133], v132
	global_store_dwordx2 v[136:137], v[132:133], off
	v_lshl_add_u64 v[132:133], v[160:161], 3, v[130:131]
	global_load_dwordx2 v[132:133], v[132:133], off
	s_waitcnt vmcnt(0)
	v_mul_f64 v[132:133], s[16:17], v[132:133]
	v_cvt_f32_f64_e32 v132, v[132:133]
.LBB162_71:
	v_add_f64 v[134:135], v[30:31], v[126:127]
	v_add_f64 v[136:137], v[28:29], v[124:125]
	v_cvt_f32_f64_e32 v133, v[136:137]
	v_cvt_f32_f64_e32 v134, v[134:135]
	v_min3_f32 v133, v133, v134, v237
	v_add_f64 v[134:135], v[26:27], v[126:127]
	v_add_f64 v[136:137], v[24:25], v[124:125]
	v_cvt_f32_f64_e32 v136, v[136:137]
	v_cvt_f32_f64_e32 v134, v[134:135]
	v_min3_f32 v138, v136, v134, v236
	v_add_f64 v[134:135], v[18:19], v[122:123]
	v_add_f64 v[136:137], v[16:17], v[120:121]
	v_cvt_f32_f64_e32 v136, v[136:137]
	v_cvt_f32_f64_e32 v134, v[134:135]
	v_min_f32_e32 v139, v136, v134
	v_add_f64 v[134:135], v[10:11], v[122:123]
	v_add_f64 v[136:137], v[8:9], v[120:121]
	v_cvt_f32_f64_e32 v136, v[136:137]
	v_cvt_f32_f64_e32 v134, v[134:135]
	v_min3_f32 v132, v132, v139, v133
	v_min3_f32 v136, v136, v134, v138
	v_cvt_f64_f32_e32 v[132:133], v132
	v_lshl_add_u64 v[134:135], v[160:161], 3, v[128:129]
	global_store_dwordx2 v[134:135], v[132:133], off
	s_mov_b64 s[2:3], -1
	v_max_f32_e32 v133, v136, v136
	s_mov_b64 vcc, s[8:9]
	s_cbranch_vccz .LBB162_73
; %bb.72:
	v_min_f32_e32 v132, 0, v133
	v_cvt_f64_f32_e32 v[134:135], v132
	v_lshl_add_u64 v[136:137], v[168:169], 3, v[128:129]
	global_store_dwordx2 v[136:137], v[134:135], off
	s_mov_b64 s[2:3], 0
.LBB162_73:
	s_andn2_b64 vcc, exec, s[2:3]
	v_mov_b32_e32 v132, 0
	s_cbranch_vccnz .LBB162_75
; %bb.74:
	v_lshl_add_u64 v[134:135], v[130:131], 0, v[170:171]
	global_load_dwordx2 v[134:135], v[134:135], off
	v_lshl_add_u64 v[136:137], v[128:129], 0, v[170:171]
	v_lshl_add_u64 v[130:131], v[164:165], 3, v[130:131]
	s_waitcnt vmcnt(0)
	v_mul_f64 v[134:135], s[16:17], v[134:135]
	v_cvt_f32_f64_e32 v132, v[134:135]
	v_min_f32_e32 v132, v132, v133
	v_cvt_f64_f32_e32 v[132:133], v132
	global_store_dwordx2 v[136:137], v[132:133], off
	global_load_dwordx2 v[130:131], v[130:131], off
	s_waitcnt vmcnt(0)
	v_mul_f64 v[130:131], s[16:17], v[130:131]
	v_cvt_f32_f64_e32 v132, v[130:131]
.LBB162_75:
	v_add_f64 v[126:127], v[2:3], v[126:127]
	v_add_f64 v[124:125], v[0:1], v[124:125]
	v_cvt_f32_f64_e32 v124, v[124:125]
	v_cvt_f32_f64_e32 v125, v[126:127]
	v_add_f64 v[122:123], v[6:7], v[122:123]
	v_add_f64 v[120:121], v[4:5], v[120:121]
	v_min3_f32 v130, v124, v125, v235
	v_add_f64 v[124:125], v[38:39], v[118:119]
	v_add_f64 v[126:127], v[36:37], v[116:117]
	v_cvt_f32_f64_e32 v120, v[120:121]
	v_cvt_f32_f64_e32 v121, v[122:123]
	;; [unrolled: 1-line block ×4, first 2 shown]
	v_min_f32_e32 v125, v120, v121
	v_add_f64 v[120:121], v[34:35], v[114:115]
	v_add_f64 v[122:123], v[32:33], v[112:113]
	v_min3_f32 v124, v126, v124, v234
	v_cvt_f32_f64_e32 v122, v[122:123]
	v_cvt_f32_f64_e32 v120, v[120:121]
	v_min3_f32 v124, v122, v120, v124
	v_min3_f32 v120, v132, v125, v130
	v_cvt_f64_f32_e32 v[120:121], v120
	v_lshl_add_u64 v[122:123], v[164:165], 3, v[128:129]
	global_store_dwordx2 v[122:123], v[120:121], off
	v_add_u32_e32 v122, 40, v176
	v_mad_i64_i32 v[120:121], s[2:3], v122, s5, 0
	v_mad_i64_i32 v[122:123], s[2:3], v122, s4, 0
	v_lshl_add_u64 v[120:121], v[120:121], 3, s[0:1]
	s_mov_b64 s[2:3], -1
	v_max_f32_e32 v125, v124, v124
	s_mov_b64 vcc, s[8:9]
	s_cbranch_vccz .LBB162_77
; %bb.76:
	v_min_f32_e32 v124, 0, v125
	v_cvt_f64_f32_e32 v[126:127], v124
	v_lshl_add_u64 v[128:129], v[162:163], 3, v[120:121]
	global_store_dwordx2 v[128:129], v[126:127], off
	s_mov_b64 s[2:3], 0
.LBB162_77:
	v_lshl_add_u64 v[122:123], v[122:123], 3, s[10:11]
	s_andn2_b64 vcc, exec, s[2:3]
	v_mov_b32_e32 v124, 0
	s_cbranch_vccnz .LBB162_79
; %bb.78:
	v_lshl_add_u64 v[126:127], v[122:123], 0, v[166:167]
	global_load_dwordx2 v[126:127], v[126:127], off
	v_lshl_add_u64 v[128:129], v[120:121], 0, v[166:167]
	s_waitcnt vmcnt(0)
	v_mul_f64 v[126:127], s[16:17], v[126:127]
	v_cvt_f32_f64_e32 v124, v[126:127]
	v_min_f32_e32 v124, v124, v125
	v_cvt_f64_f32_e32 v[124:125], v124
	global_store_dwordx2 v[128:129], v[124:125], off
	v_lshl_add_u64 v[124:125], v[160:161], 3, v[122:123]
	global_load_dwordx2 v[124:125], v[124:125], off
	s_waitcnt vmcnt(0)
	v_mul_f64 v[124:125], s[16:17], v[124:125]
	v_cvt_f32_f64_e32 v124, v[124:125]
.LBB162_79:
	v_add_f64 v[126:127], v[30:31], v[118:119]
	v_add_f64 v[128:129], v[28:29], v[116:117]
	v_cvt_f32_f64_e32 v125, v[128:129]
	v_cvt_f32_f64_e32 v126, v[126:127]
	v_min3_f32 v125, v125, v126, v233
	v_add_f64 v[126:127], v[26:27], v[118:119]
	v_add_f64 v[128:129], v[24:25], v[116:117]
	v_cvt_f32_f64_e32 v128, v[128:129]
	v_cvt_f32_f64_e32 v126, v[126:127]
	v_min3_f32 v130, v128, v126, v232
	v_add_f64 v[126:127], v[18:19], v[114:115]
	v_add_f64 v[128:129], v[16:17], v[112:113]
	v_cvt_f32_f64_e32 v128, v[128:129]
	v_cvt_f32_f64_e32 v126, v[126:127]
	v_min_f32_e32 v131, v128, v126
	v_add_f64 v[126:127], v[10:11], v[114:115]
	v_add_f64 v[128:129], v[8:9], v[112:113]
	v_cvt_f32_f64_e32 v128, v[128:129]
	v_cvt_f32_f64_e32 v126, v[126:127]
	v_min3_f32 v124, v124, v131, v125
	v_min3_f32 v128, v128, v126, v130
	v_cvt_f64_f32_e32 v[124:125], v124
	v_lshl_add_u64 v[126:127], v[160:161], 3, v[120:121]
	global_store_dwordx2 v[126:127], v[124:125], off
	s_mov_b64 s[2:3], -1
	v_max_f32_e32 v125, v128, v128
	s_mov_b64 vcc, s[8:9]
	s_cbranch_vccz .LBB162_81
; %bb.80:
	v_min_f32_e32 v124, 0, v125
	v_cvt_f64_f32_e32 v[126:127], v124
	v_lshl_add_u64 v[128:129], v[168:169], 3, v[120:121]
	global_store_dwordx2 v[128:129], v[126:127], off
	s_mov_b64 s[2:3], 0
.LBB162_81:
	s_andn2_b64 vcc, exec, s[2:3]
	v_mov_b32_e32 v124, 0
	s_cbranch_vccnz .LBB162_83
; %bb.82:
	v_lshl_add_u64 v[126:127], v[122:123], 0, v[170:171]
	global_load_dwordx2 v[126:127], v[126:127], off
	v_lshl_add_u64 v[128:129], v[120:121], 0, v[170:171]
	v_lshl_add_u64 v[122:123], v[164:165], 3, v[122:123]
	s_waitcnt vmcnt(0)
	v_mul_f64 v[126:127], s[16:17], v[126:127]
	v_cvt_f32_f64_e32 v124, v[126:127]
	v_min_f32_e32 v124, v124, v125
	v_cvt_f64_f32_e32 v[124:125], v124
	global_store_dwordx2 v[128:129], v[124:125], off
	global_load_dwordx2 v[122:123], v[122:123], off
	s_waitcnt vmcnt(0)
	v_mul_f64 v[122:123], s[16:17], v[122:123]
	v_cvt_f32_f64_e32 v124, v[122:123]
.LBB162_83:
	v_add_f64 v[118:119], v[2:3], v[118:119]
	v_add_f64 v[116:117], v[0:1], v[116:117]
	v_cvt_f32_f64_e32 v116, v[116:117]
	v_cvt_f32_f64_e32 v117, v[118:119]
	v_add_f64 v[114:115], v[6:7], v[114:115]
	v_add_f64 v[112:113], v[4:5], v[112:113]
	v_min3_f32 v122, v116, v117, v231
	v_add_f64 v[116:117], v[38:39], v[110:111]
	v_add_f64 v[118:119], v[36:37], v[108:109]
	v_cvt_f32_f64_e32 v112, v[112:113]
	v_cvt_f32_f64_e32 v113, v[114:115]
	;; [unrolled: 1-line block ×4, first 2 shown]
	v_min_f32_e32 v117, v112, v113
	v_add_f64 v[112:113], v[34:35], v[106:107]
	v_add_f64 v[114:115], v[32:33], v[104:105]
	v_min3_f32 v116, v118, v116, v230
	v_cvt_f32_f64_e32 v114, v[114:115]
	v_cvt_f32_f64_e32 v112, v[112:113]
	v_min3_f32 v116, v114, v112, v116
	v_min3_f32 v112, v124, v117, v122
	v_cvt_f64_f32_e32 v[112:113], v112
	v_lshl_add_u64 v[114:115], v[164:165], 3, v[120:121]
	global_store_dwordx2 v[114:115], v[112:113], off
	v_add_u32_e32 v114, 48, v176
	v_mad_i64_i32 v[112:113], s[2:3], v114, s5, 0
	v_mad_i64_i32 v[114:115], s[2:3], v114, s4, 0
	v_lshl_add_u64 v[112:113], v[112:113], 3, s[0:1]
	s_mov_b64 s[2:3], -1
	v_max_f32_e32 v117, v116, v116
	s_mov_b64 vcc, s[8:9]
	s_cbranch_vccz .LBB162_85
; %bb.84:
	v_min_f32_e32 v116, 0, v117
	v_cvt_f64_f32_e32 v[118:119], v116
	v_lshl_add_u64 v[120:121], v[162:163], 3, v[112:113]
	global_store_dwordx2 v[120:121], v[118:119], off
	s_mov_b64 s[2:3], 0
.LBB162_85:
	v_lshl_add_u64 v[114:115], v[114:115], 3, s[10:11]
	s_andn2_b64 vcc, exec, s[2:3]
	v_mov_b32_e32 v116, 0
	s_cbranch_vccnz .LBB162_87
; %bb.86:
	v_lshl_add_u64 v[118:119], v[114:115], 0, v[166:167]
	global_load_dwordx2 v[118:119], v[118:119], off
	v_lshl_add_u64 v[120:121], v[112:113], 0, v[166:167]
	s_waitcnt vmcnt(0)
	v_mul_f64 v[118:119], s[16:17], v[118:119]
	v_cvt_f32_f64_e32 v116, v[118:119]
	v_min_f32_e32 v116, v116, v117
	v_cvt_f64_f32_e32 v[116:117], v116
	global_store_dwordx2 v[120:121], v[116:117], off
	v_lshl_add_u64 v[116:117], v[160:161], 3, v[114:115]
	global_load_dwordx2 v[116:117], v[116:117], off
	s_waitcnt vmcnt(0)
	v_mul_f64 v[116:117], s[16:17], v[116:117]
	v_cvt_f32_f64_e32 v116, v[116:117]
.LBB162_87:
	v_add_f64 v[118:119], v[30:31], v[110:111]
	v_add_f64 v[120:121], v[28:29], v[108:109]
	v_cvt_f32_f64_e32 v117, v[120:121]
	v_cvt_f32_f64_e32 v118, v[118:119]
	v_min3_f32 v117, v117, v118, v229
	v_add_f64 v[118:119], v[26:27], v[110:111]
	v_add_f64 v[120:121], v[24:25], v[108:109]
	v_cvt_f32_f64_e32 v120, v[120:121]
	v_cvt_f32_f64_e32 v118, v[118:119]
	v_min3_f32 v122, v120, v118, v228
	v_add_f64 v[118:119], v[18:19], v[106:107]
	v_add_f64 v[120:121], v[16:17], v[104:105]
	v_cvt_f32_f64_e32 v120, v[120:121]
	v_cvt_f32_f64_e32 v118, v[118:119]
	v_min_f32_e32 v123, v120, v118
	v_add_f64 v[118:119], v[10:11], v[106:107]
	v_add_f64 v[120:121], v[8:9], v[104:105]
	v_cvt_f32_f64_e32 v120, v[120:121]
	v_cvt_f32_f64_e32 v118, v[118:119]
	v_min3_f32 v116, v116, v123, v117
	v_min3_f32 v120, v120, v118, v122
	v_cvt_f64_f32_e32 v[116:117], v116
	v_lshl_add_u64 v[118:119], v[160:161], 3, v[112:113]
	global_store_dwordx2 v[118:119], v[116:117], off
	s_mov_b64 s[2:3], -1
	v_max_f32_e32 v117, v120, v120
	s_mov_b64 vcc, s[8:9]
	s_cbranch_vccz .LBB162_89
; %bb.88:
	v_min_f32_e32 v116, 0, v117
	v_cvt_f64_f32_e32 v[118:119], v116
	v_lshl_add_u64 v[120:121], v[168:169], 3, v[112:113]
	global_store_dwordx2 v[120:121], v[118:119], off
	s_mov_b64 s[2:3], 0
.LBB162_89:
	s_andn2_b64 vcc, exec, s[2:3]
	v_mov_b32_e32 v116, 0
	s_cbranch_vccnz .LBB162_91
; %bb.90:
	v_lshl_add_u64 v[118:119], v[114:115], 0, v[170:171]
	global_load_dwordx2 v[118:119], v[118:119], off
	v_lshl_add_u64 v[120:121], v[112:113], 0, v[170:171]
	v_lshl_add_u64 v[114:115], v[164:165], 3, v[114:115]
	s_waitcnt vmcnt(0)
	v_mul_f64 v[118:119], s[16:17], v[118:119]
	v_cvt_f32_f64_e32 v116, v[118:119]
	v_min_f32_e32 v116, v116, v117
	v_cvt_f64_f32_e32 v[116:117], v116
	global_store_dwordx2 v[120:121], v[116:117], off
	global_load_dwordx2 v[114:115], v[114:115], off
	s_waitcnt vmcnt(0)
	v_mul_f64 v[114:115], s[16:17], v[114:115]
	v_cvt_f32_f64_e32 v116, v[114:115]
.LBB162_91:
	v_add_f64 v[110:111], v[2:3], v[110:111]
	v_add_f64 v[108:109], v[0:1], v[108:109]
	v_cvt_f32_f64_e32 v108, v[108:109]
	v_cvt_f32_f64_e32 v109, v[110:111]
	v_add_f64 v[106:107], v[6:7], v[106:107]
	v_add_f64 v[104:105], v[4:5], v[104:105]
	v_min3_f32 v114, v108, v109, v227
	v_add_f64 v[108:109], v[38:39], v[102:103]
	v_add_f64 v[110:111], v[36:37], v[100:101]
	v_cvt_f32_f64_e32 v104, v[104:105]
	v_cvt_f32_f64_e32 v105, v[106:107]
	;; [unrolled: 1-line block ×4, first 2 shown]
	v_min_f32_e32 v109, v104, v105
	v_add_f64 v[104:105], v[34:35], v[98:99]
	v_add_f64 v[106:107], v[32:33], v[96:97]
	v_min3_f32 v108, v110, v108, v226
	v_cvt_f32_f64_e32 v106, v[106:107]
	v_cvt_f32_f64_e32 v104, v[104:105]
	v_min3_f32 v108, v106, v104, v108
	v_min3_f32 v104, v116, v109, v114
	v_cvt_f64_f32_e32 v[104:105], v104
	v_lshl_add_u64 v[106:107], v[164:165], 3, v[112:113]
	global_store_dwordx2 v[106:107], v[104:105], off
	v_add_u32_e32 v106, 56, v176
	v_mad_i64_i32 v[104:105], s[2:3], v106, s5, 0
	v_mad_i64_i32 v[106:107], s[2:3], v106, s4, 0
	v_lshl_add_u64 v[104:105], v[104:105], 3, s[0:1]
	s_mov_b64 s[2:3], -1
	v_max_f32_e32 v109, v108, v108
	s_mov_b64 vcc, s[8:9]
	s_cbranch_vccz .LBB162_93
; %bb.92:
	v_min_f32_e32 v108, 0, v109
	v_cvt_f64_f32_e32 v[110:111], v108
	v_lshl_add_u64 v[112:113], v[162:163], 3, v[104:105]
	global_store_dwordx2 v[112:113], v[110:111], off
	s_mov_b64 s[2:3], 0
.LBB162_93:
	v_lshl_add_u64 v[106:107], v[106:107], 3, s[10:11]
	s_andn2_b64 vcc, exec, s[2:3]
	v_mov_b32_e32 v108, 0
	s_cbranch_vccnz .LBB162_95
; %bb.94:
	v_lshl_add_u64 v[110:111], v[106:107], 0, v[166:167]
	global_load_dwordx2 v[110:111], v[110:111], off
	v_lshl_add_u64 v[112:113], v[104:105], 0, v[166:167]
	s_waitcnt vmcnt(0)
	v_mul_f64 v[110:111], s[16:17], v[110:111]
	v_cvt_f32_f64_e32 v108, v[110:111]
	v_min_f32_e32 v108, v108, v109
	v_cvt_f64_f32_e32 v[108:109], v108
	global_store_dwordx2 v[112:113], v[108:109], off
	v_lshl_add_u64 v[108:109], v[160:161], 3, v[106:107]
	global_load_dwordx2 v[108:109], v[108:109], off
	s_waitcnt vmcnt(0)
	v_mul_f64 v[108:109], s[16:17], v[108:109]
	v_cvt_f32_f64_e32 v108, v[108:109]
.LBB162_95:
	v_add_f64 v[110:111], v[30:31], v[102:103]
	v_add_f64 v[112:113], v[28:29], v[100:101]
	v_cvt_f32_f64_e32 v109, v[112:113]
	v_cvt_f32_f64_e32 v110, v[110:111]
	v_min3_f32 v109, v109, v110, v225
	v_add_f64 v[110:111], v[26:27], v[102:103]
	v_add_f64 v[112:113], v[24:25], v[100:101]
	v_cvt_f32_f64_e32 v112, v[112:113]
	v_cvt_f32_f64_e32 v110, v[110:111]
	v_min3_f32 v114, v112, v110, v224
	v_add_f64 v[110:111], v[18:19], v[98:99]
	v_add_f64 v[112:113], v[16:17], v[96:97]
	v_cvt_f32_f64_e32 v112, v[112:113]
	v_cvt_f32_f64_e32 v110, v[110:111]
	v_min_f32_e32 v115, v112, v110
	v_add_f64 v[110:111], v[10:11], v[98:99]
	v_add_f64 v[112:113], v[8:9], v[96:97]
	v_cvt_f32_f64_e32 v112, v[112:113]
	v_cvt_f32_f64_e32 v110, v[110:111]
	v_min3_f32 v108, v108, v115, v109
	v_min3_f32 v112, v112, v110, v114
	v_cvt_f64_f32_e32 v[108:109], v108
	v_lshl_add_u64 v[110:111], v[160:161], 3, v[104:105]
	global_store_dwordx2 v[110:111], v[108:109], off
	s_mov_b64 s[2:3], -1
	v_max_f32_e32 v109, v112, v112
	s_mov_b64 vcc, s[8:9]
	s_cbranch_vccz .LBB162_97
; %bb.96:
	v_min_f32_e32 v108, 0, v109
	v_cvt_f64_f32_e32 v[110:111], v108
	v_lshl_add_u64 v[112:113], v[168:169], 3, v[104:105]
	global_store_dwordx2 v[112:113], v[110:111], off
	s_mov_b64 s[2:3], 0
.LBB162_97:
	s_andn2_b64 vcc, exec, s[2:3]
	v_mov_b32_e32 v108, 0
	s_cbranch_vccnz .LBB162_99
; %bb.98:
	v_lshl_add_u64 v[110:111], v[106:107], 0, v[170:171]
	global_load_dwordx2 v[110:111], v[110:111], off
	v_lshl_add_u64 v[112:113], v[104:105], 0, v[170:171]
	v_lshl_add_u64 v[106:107], v[164:165], 3, v[106:107]
	s_waitcnt vmcnt(0)
	v_mul_f64 v[110:111], s[16:17], v[110:111]
	v_cvt_f32_f64_e32 v108, v[110:111]
	v_min_f32_e32 v108, v108, v109
	v_cvt_f64_f32_e32 v[108:109], v108
	global_store_dwordx2 v[112:113], v[108:109], off
	global_load_dwordx2 v[106:107], v[106:107], off
	s_waitcnt vmcnt(0)
	v_mul_f64 v[106:107], s[16:17], v[106:107]
	v_cvt_f32_f64_e32 v108, v[106:107]
.LBB162_99:
	v_add_f64 v[102:103], v[2:3], v[102:103]
	v_add_f64 v[100:101], v[0:1], v[100:101]
	v_cvt_f32_f64_e32 v100, v[100:101]
	v_cvt_f32_f64_e32 v101, v[102:103]
	v_add_f64 v[98:99], v[6:7], v[98:99]
	v_add_f64 v[96:97], v[4:5], v[96:97]
	v_min3_f32 v106, v100, v101, v223
	v_add_f64 v[100:101], v[38:39], v[94:95]
	v_add_f64 v[102:103], v[36:37], v[92:93]
	v_cvt_f32_f64_e32 v96, v[96:97]
	v_cvt_f32_f64_e32 v97, v[98:99]
	;; [unrolled: 1-line block ×4, first 2 shown]
	v_min_f32_e32 v101, v96, v97
	v_add_f64 v[96:97], v[34:35], v[90:91]
	v_add_f64 v[98:99], v[32:33], v[88:89]
	v_min3_f32 v100, v102, v100, v222
	v_cvt_f32_f64_e32 v98, v[98:99]
	v_cvt_f32_f64_e32 v96, v[96:97]
	v_min3_f32 v100, v98, v96, v100
	v_min3_f32 v96, v108, v101, v106
	v_cvt_f64_f32_e32 v[96:97], v96
	v_lshl_add_u64 v[98:99], v[164:165], 3, v[104:105]
	global_store_dwordx2 v[98:99], v[96:97], off
	v_add_u32_e32 v98, 64, v176
	v_mad_i64_i32 v[96:97], s[2:3], v98, s5, 0
	v_mad_i64_i32 v[98:99], s[2:3], v98, s4, 0
	v_lshl_add_u64 v[96:97], v[96:97], 3, s[0:1]
	s_mov_b64 s[2:3], -1
	v_max_f32_e32 v101, v100, v100
	s_mov_b64 vcc, s[8:9]
	s_cbranch_vccz .LBB162_101
; %bb.100:
	v_min_f32_e32 v100, 0, v101
	v_cvt_f64_f32_e32 v[102:103], v100
	v_lshl_add_u64 v[104:105], v[162:163], 3, v[96:97]
	global_store_dwordx2 v[104:105], v[102:103], off
	s_mov_b64 s[2:3], 0
.LBB162_101:
	v_lshl_add_u64 v[98:99], v[98:99], 3, s[10:11]
	s_andn2_b64 vcc, exec, s[2:3]
	v_mov_b32_e32 v100, 0
	s_cbranch_vccnz .LBB162_103
; %bb.102:
	v_lshl_add_u64 v[102:103], v[98:99], 0, v[166:167]
	global_load_dwordx2 v[102:103], v[102:103], off
	v_lshl_add_u64 v[104:105], v[96:97], 0, v[166:167]
	s_waitcnt vmcnt(0)
	v_mul_f64 v[102:103], s[16:17], v[102:103]
	v_cvt_f32_f64_e32 v100, v[102:103]
	v_min_f32_e32 v100, v100, v101
	v_cvt_f64_f32_e32 v[100:101], v100
	global_store_dwordx2 v[104:105], v[100:101], off
	v_lshl_add_u64 v[100:101], v[160:161], 3, v[98:99]
	global_load_dwordx2 v[100:101], v[100:101], off
	s_waitcnt vmcnt(0)
	v_mul_f64 v[100:101], s[16:17], v[100:101]
	v_cvt_f32_f64_e32 v100, v[100:101]
.LBB162_103:
	v_add_f64 v[102:103], v[30:31], v[94:95]
	v_add_f64 v[104:105], v[28:29], v[92:93]
	v_cvt_f32_f64_e32 v101, v[104:105]
	v_cvt_f32_f64_e32 v102, v[102:103]
	v_min3_f32 v101, v101, v102, v221
	v_add_f64 v[102:103], v[26:27], v[94:95]
	v_add_f64 v[104:105], v[24:25], v[92:93]
	v_cvt_f32_f64_e32 v104, v[104:105]
	v_cvt_f32_f64_e32 v102, v[102:103]
	v_min3_f32 v106, v104, v102, v220
	v_add_f64 v[102:103], v[18:19], v[90:91]
	v_add_f64 v[104:105], v[16:17], v[88:89]
	v_cvt_f32_f64_e32 v104, v[104:105]
	v_cvt_f32_f64_e32 v102, v[102:103]
	v_min_f32_e32 v107, v104, v102
	v_add_f64 v[102:103], v[10:11], v[90:91]
	v_add_f64 v[104:105], v[8:9], v[88:89]
	v_cvt_f32_f64_e32 v104, v[104:105]
	v_cvt_f32_f64_e32 v102, v[102:103]
	v_min3_f32 v100, v100, v107, v101
	v_min3_f32 v104, v104, v102, v106
	v_cvt_f64_f32_e32 v[100:101], v100
	v_lshl_add_u64 v[102:103], v[160:161], 3, v[96:97]
	global_store_dwordx2 v[102:103], v[100:101], off
	s_mov_b64 s[2:3], -1
	v_max_f32_e32 v101, v104, v104
	s_mov_b64 vcc, s[8:9]
	s_cbranch_vccz .LBB162_105
; %bb.104:
	v_min_f32_e32 v100, 0, v101
	v_cvt_f64_f32_e32 v[102:103], v100
	v_lshl_add_u64 v[104:105], v[168:169], 3, v[96:97]
	global_store_dwordx2 v[104:105], v[102:103], off
	s_mov_b64 s[2:3], 0
.LBB162_105:
	s_andn2_b64 vcc, exec, s[2:3]
	v_mov_b32_e32 v100, 0
	s_cbranch_vccnz .LBB162_107
; %bb.106:
	v_lshl_add_u64 v[102:103], v[98:99], 0, v[170:171]
	global_load_dwordx2 v[102:103], v[102:103], off
	v_lshl_add_u64 v[104:105], v[96:97], 0, v[170:171]
	v_lshl_add_u64 v[98:99], v[164:165], 3, v[98:99]
	s_waitcnt vmcnt(0)
	v_mul_f64 v[102:103], s[16:17], v[102:103]
	v_cvt_f32_f64_e32 v100, v[102:103]
	v_min_f32_e32 v100, v100, v101
	v_cvt_f64_f32_e32 v[100:101], v100
	global_store_dwordx2 v[104:105], v[100:101], off
	global_load_dwordx2 v[98:99], v[98:99], off
	s_waitcnt vmcnt(0)
	v_mul_f64 v[98:99], s[16:17], v[98:99]
	v_cvt_f32_f64_e32 v100, v[98:99]
.LBB162_107:
	v_add_f64 v[94:95], v[2:3], v[94:95]
	v_add_f64 v[92:93], v[0:1], v[92:93]
	v_cvt_f32_f64_e32 v92, v[92:93]
	v_cvt_f32_f64_e32 v93, v[94:95]
	v_add_f64 v[90:91], v[6:7], v[90:91]
	v_add_f64 v[88:89], v[4:5], v[88:89]
	v_min3_f32 v98, v92, v93, v219
	s_waitcnt lgkmcnt(13)
	v_add_f64 v[92:93], v[38:39], v[86:87]
	v_add_f64 v[94:95], v[36:37], v[84:85]
	v_cvt_f32_f64_e32 v88, v[88:89]
	v_cvt_f32_f64_e32 v89, v[90:91]
	;; [unrolled: 1-line block ×4, first 2 shown]
	v_min_f32_e32 v93, v88, v89
	s_waitcnt lgkmcnt(12)
	v_add_f64 v[88:89], v[34:35], v[82:83]
	v_add_f64 v[90:91], v[32:33], v[80:81]
	v_min3_f32 v92, v94, v92, v218
	v_cvt_f32_f64_e32 v90, v[90:91]
	v_cvt_f32_f64_e32 v88, v[88:89]
	v_min3_f32 v92, v90, v88, v92
	v_min3_f32 v88, v100, v93, v98
	v_cvt_f64_f32_e32 v[88:89], v88
	v_lshl_add_u64 v[90:91], v[164:165], 3, v[96:97]
	global_store_dwordx2 v[90:91], v[88:89], off
	v_add_u32_e32 v90, 0x48, v176
	v_mad_i64_i32 v[88:89], s[2:3], v90, s5, 0
	v_mad_i64_i32 v[90:91], s[2:3], v90, s4, 0
	v_lshl_add_u64 v[88:89], v[88:89], 3, s[0:1]
	s_mov_b64 s[2:3], -1
	v_max_f32_e32 v93, v92, v92
	s_mov_b64 vcc, s[8:9]
	s_cbranch_vccz .LBB162_109
; %bb.108:
	v_min_f32_e32 v92, 0, v93
	v_cvt_f64_f32_e32 v[94:95], v92
	v_lshl_add_u64 v[96:97], v[162:163], 3, v[88:89]
	global_store_dwordx2 v[96:97], v[94:95], off
	s_mov_b64 s[2:3], 0
.LBB162_109:
	v_lshl_add_u64 v[90:91], v[90:91], 3, s[10:11]
	s_andn2_b64 vcc, exec, s[2:3]
	v_mov_b32_e32 v92, 0
	s_cbranch_vccnz .LBB162_111
; %bb.110:
	v_lshl_add_u64 v[94:95], v[90:91], 0, v[166:167]
	global_load_dwordx2 v[94:95], v[94:95], off
	v_lshl_add_u64 v[96:97], v[88:89], 0, v[166:167]
	s_waitcnt vmcnt(0)
	v_mul_f64 v[94:95], s[16:17], v[94:95]
	v_cvt_f32_f64_e32 v92, v[94:95]
	v_min_f32_e32 v92, v92, v93
	v_cvt_f64_f32_e32 v[92:93], v92
	global_store_dwordx2 v[96:97], v[92:93], off
	v_lshl_add_u64 v[92:93], v[160:161], 3, v[90:91]
	global_load_dwordx2 v[92:93], v[92:93], off
	s_waitcnt vmcnt(0)
	v_mul_f64 v[92:93], s[16:17], v[92:93]
	v_cvt_f32_f64_e32 v92, v[92:93]
.LBB162_111:
	v_add_f64 v[94:95], v[30:31], v[86:87]
	v_add_f64 v[96:97], v[28:29], v[84:85]
	v_cvt_f32_f64_e32 v93, v[96:97]
	v_cvt_f32_f64_e32 v94, v[94:95]
	v_min3_f32 v93, v93, v94, v217
	v_add_f64 v[94:95], v[26:27], v[86:87]
	v_add_f64 v[96:97], v[24:25], v[84:85]
	v_cvt_f32_f64_e32 v96, v[96:97]
	v_cvt_f32_f64_e32 v94, v[94:95]
	v_min3_f32 v98, v96, v94, v216
	v_add_f64 v[94:95], v[18:19], v[82:83]
	v_add_f64 v[96:97], v[16:17], v[80:81]
	v_cvt_f32_f64_e32 v96, v[96:97]
	v_cvt_f32_f64_e32 v94, v[94:95]
	v_min_f32_e32 v99, v96, v94
	v_add_f64 v[94:95], v[10:11], v[82:83]
	v_add_f64 v[96:97], v[8:9], v[80:81]
	v_cvt_f32_f64_e32 v96, v[96:97]
	v_cvt_f32_f64_e32 v94, v[94:95]
	v_min3_f32 v92, v92, v99, v93
	v_min3_f32 v96, v96, v94, v98
	v_cvt_f64_f32_e32 v[92:93], v92
	v_lshl_add_u64 v[94:95], v[160:161], 3, v[88:89]
	global_store_dwordx2 v[94:95], v[92:93], off
	s_mov_b64 s[2:3], -1
	v_max_f32_e32 v93, v96, v96
	s_mov_b64 vcc, s[8:9]
	s_cbranch_vccz .LBB162_113
; %bb.112:
	v_min_f32_e32 v92, 0, v93
	v_cvt_f64_f32_e32 v[94:95], v92
	v_lshl_add_u64 v[96:97], v[168:169], 3, v[88:89]
	global_store_dwordx2 v[96:97], v[94:95], off
	s_mov_b64 s[2:3], 0
.LBB162_113:
	s_andn2_b64 vcc, exec, s[2:3]
	v_mov_b32_e32 v92, 0
	s_cbranch_vccnz .LBB162_115
; %bb.114:
	v_lshl_add_u64 v[94:95], v[90:91], 0, v[170:171]
	global_load_dwordx2 v[94:95], v[94:95], off
	v_lshl_add_u64 v[96:97], v[88:89], 0, v[170:171]
	v_lshl_add_u64 v[90:91], v[164:165], 3, v[90:91]
	s_waitcnt vmcnt(0)
	v_mul_f64 v[94:95], s[16:17], v[94:95]
	v_cvt_f32_f64_e32 v92, v[94:95]
	v_min_f32_e32 v92, v92, v93
	v_cvt_f64_f32_e32 v[92:93], v92
	global_store_dwordx2 v[96:97], v[92:93], off
	global_load_dwordx2 v[90:91], v[90:91], off
	s_waitcnt vmcnt(0)
	v_mul_f64 v[90:91], s[16:17], v[90:91]
	v_cvt_f32_f64_e32 v92, v[90:91]
.LBB162_115:
	v_add_f64 v[86:87], v[2:3], v[86:87]
	v_add_f64 v[84:85], v[0:1], v[84:85]
	v_cvt_f32_f64_e32 v84, v[84:85]
	v_cvt_f32_f64_e32 v85, v[86:87]
	v_add_f64 v[82:83], v[6:7], v[82:83]
	v_add_f64 v[80:81], v[4:5], v[80:81]
	v_min3_f32 v90, v84, v85, v215
	s_waitcnt lgkmcnt(11)
	v_add_f64 v[84:85], v[38:39], v[78:79]
	v_add_f64 v[86:87], v[36:37], v[76:77]
	v_cvt_f32_f64_e32 v80, v[80:81]
	v_cvt_f32_f64_e32 v81, v[82:83]
	;; [unrolled: 1-line block ×4, first 2 shown]
	v_min_f32_e32 v85, v80, v81
	s_waitcnt lgkmcnt(10)
	v_add_f64 v[80:81], v[34:35], v[74:75]
	v_add_f64 v[82:83], v[32:33], v[72:73]
	v_min3_f32 v84, v86, v84, v214
	v_cvt_f32_f64_e32 v82, v[82:83]
	v_cvt_f32_f64_e32 v80, v[80:81]
	v_min3_f32 v84, v82, v80, v84
	v_min3_f32 v80, v92, v85, v90
	v_cvt_f64_f32_e32 v[80:81], v80
	v_lshl_add_u64 v[82:83], v[164:165], 3, v[88:89]
	global_store_dwordx2 v[82:83], v[80:81], off
	v_add_u32_e32 v82, 0x50, v176
	v_mad_i64_i32 v[80:81], s[2:3], v82, s5, 0
	v_mad_i64_i32 v[82:83], s[2:3], v82, s4, 0
	v_lshl_add_u64 v[80:81], v[80:81], 3, s[0:1]
	s_mov_b64 s[2:3], -1
	v_max_f32_e32 v85, v84, v84
	s_mov_b64 vcc, s[8:9]
	s_cbranch_vccz .LBB162_117
; %bb.116:
	v_min_f32_e32 v84, 0, v85
	v_cvt_f64_f32_e32 v[86:87], v84
	v_lshl_add_u64 v[88:89], v[162:163], 3, v[80:81]
	global_store_dwordx2 v[88:89], v[86:87], off
	s_mov_b64 s[2:3], 0
.LBB162_117:
	v_lshl_add_u64 v[82:83], v[82:83], 3, s[10:11]
	s_andn2_b64 vcc, exec, s[2:3]
	v_mov_b32_e32 v84, 0
	s_cbranch_vccnz .LBB162_119
; %bb.118:
	v_lshl_add_u64 v[86:87], v[82:83], 0, v[166:167]
	global_load_dwordx2 v[86:87], v[86:87], off
	v_lshl_add_u64 v[88:89], v[80:81], 0, v[166:167]
	s_waitcnt vmcnt(0)
	v_mul_f64 v[86:87], s[16:17], v[86:87]
	v_cvt_f32_f64_e32 v84, v[86:87]
	v_min_f32_e32 v84, v84, v85
	v_cvt_f64_f32_e32 v[84:85], v84
	global_store_dwordx2 v[88:89], v[84:85], off
	v_lshl_add_u64 v[84:85], v[160:161], 3, v[82:83]
	global_load_dwordx2 v[84:85], v[84:85], off
	s_waitcnt vmcnt(0)
	v_mul_f64 v[84:85], s[16:17], v[84:85]
	v_cvt_f32_f64_e32 v84, v[84:85]
.LBB162_119:
	v_add_f64 v[86:87], v[30:31], v[78:79]
	v_add_f64 v[88:89], v[28:29], v[76:77]
	v_cvt_f32_f64_e32 v85, v[88:89]
	v_cvt_f32_f64_e32 v86, v[86:87]
	v_min3_f32 v85, v85, v86, v213
	v_add_f64 v[86:87], v[26:27], v[78:79]
	v_add_f64 v[88:89], v[24:25], v[76:77]
	v_cvt_f32_f64_e32 v88, v[88:89]
	v_cvt_f32_f64_e32 v86, v[86:87]
	v_min3_f32 v90, v88, v86, v212
	v_add_f64 v[86:87], v[18:19], v[74:75]
	v_add_f64 v[88:89], v[16:17], v[72:73]
	v_cvt_f32_f64_e32 v88, v[88:89]
	v_cvt_f32_f64_e32 v86, v[86:87]
	v_min_f32_e32 v91, v88, v86
	v_add_f64 v[86:87], v[10:11], v[74:75]
	v_add_f64 v[88:89], v[8:9], v[72:73]
	v_cvt_f32_f64_e32 v88, v[88:89]
	v_cvt_f32_f64_e32 v86, v[86:87]
	v_min3_f32 v84, v84, v91, v85
	v_min3_f32 v88, v88, v86, v90
	v_cvt_f64_f32_e32 v[84:85], v84
	v_lshl_add_u64 v[86:87], v[160:161], 3, v[80:81]
	global_store_dwordx2 v[86:87], v[84:85], off
	s_mov_b64 s[2:3], -1
	v_max_f32_e32 v85, v88, v88
	s_mov_b64 vcc, s[8:9]
	s_cbranch_vccz .LBB162_121
; %bb.120:
	v_min_f32_e32 v84, 0, v85
	v_cvt_f64_f32_e32 v[86:87], v84
	v_lshl_add_u64 v[88:89], v[168:169], 3, v[80:81]
	global_store_dwordx2 v[88:89], v[86:87], off
	s_mov_b64 s[2:3], 0
.LBB162_121:
	s_andn2_b64 vcc, exec, s[2:3]
	v_mov_b32_e32 v84, 0
	s_cbranch_vccnz .LBB162_123
; %bb.122:
	v_lshl_add_u64 v[86:87], v[82:83], 0, v[170:171]
	global_load_dwordx2 v[86:87], v[86:87], off
	v_lshl_add_u64 v[88:89], v[80:81], 0, v[170:171]
	v_lshl_add_u64 v[82:83], v[164:165], 3, v[82:83]
	s_waitcnt vmcnt(0)
	v_mul_f64 v[86:87], s[16:17], v[86:87]
	v_cvt_f32_f64_e32 v84, v[86:87]
	v_min_f32_e32 v84, v84, v85
	v_cvt_f64_f32_e32 v[84:85], v84
	global_store_dwordx2 v[88:89], v[84:85], off
	global_load_dwordx2 v[82:83], v[82:83], off
	s_waitcnt vmcnt(0)
	v_mul_f64 v[82:83], s[16:17], v[82:83]
	v_cvt_f32_f64_e32 v84, v[82:83]
.LBB162_123:
	v_add_f64 v[78:79], v[2:3], v[78:79]
	v_add_f64 v[76:77], v[0:1], v[76:77]
	v_cvt_f32_f64_e32 v76, v[76:77]
	v_cvt_f32_f64_e32 v77, v[78:79]
	v_add_f64 v[74:75], v[6:7], v[74:75]
	v_add_f64 v[72:73], v[4:5], v[72:73]
	v_min3_f32 v82, v76, v77, v211
	s_waitcnt lgkmcnt(9)
	v_add_f64 v[76:77], v[38:39], v[70:71]
	v_add_f64 v[78:79], v[36:37], v[68:69]
	v_cvt_f32_f64_e32 v72, v[72:73]
	v_cvt_f32_f64_e32 v73, v[74:75]
	;; [unrolled: 1-line block ×4, first 2 shown]
	v_min_f32_e32 v77, v72, v73
	s_waitcnt lgkmcnt(8)
	v_add_f64 v[72:73], v[34:35], v[66:67]
	v_add_f64 v[74:75], v[32:33], v[64:65]
	v_min3_f32 v76, v78, v76, v210
	v_cvt_f32_f64_e32 v74, v[74:75]
	v_cvt_f32_f64_e32 v72, v[72:73]
	v_min3_f32 v76, v74, v72, v76
	v_min3_f32 v72, v84, v77, v82
	v_cvt_f64_f32_e32 v[72:73], v72
	v_lshl_add_u64 v[74:75], v[164:165], 3, v[80:81]
	global_store_dwordx2 v[74:75], v[72:73], off
	v_add_u32_e32 v74, 0x58, v176
	v_mad_i64_i32 v[72:73], s[2:3], v74, s5, 0
	v_mad_i64_i32 v[74:75], s[2:3], v74, s4, 0
	v_lshl_add_u64 v[72:73], v[72:73], 3, s[0:1]
	s_mov_b64 s[2:3], -1
	v_max_f32_e32 v77, v76, v76
	s_mov_b64 vcc, s[8:9]
	s_cbranch_vccz .LBB162_125
; %bb.124:
	v_min_f32_e32 v76, 0, v77
	v_cvt_f64_f32_e32 v[78:79], v76
	v_lshl_add_u64 v[80:81], v[162:163], 3, v[72:73]
	global_store_dwordx2 v[80:81], v[78:79], off
	s_mov_b64 s[2:3], 0
.LBB162_125:
	v_lshl_add_u64 v[74:75], v[74:75], 3, s[10:11]
	s_andn2_b64 vcc, exec, s[2:3]
	v_mov_b32_e32 v76, 0
	s_cbranch_vccnz .LBB162_127
; %bb.126:
	v_lshl_add_u64 v[78:79], v[74:75], 0, v[166:167]
	global_load_dwordx2 v[78:79], v[78:79], off
	v_lshl_add_u64 v[80:81], v[72:73], 0, v[166:167]
	s_waitcnt vmcnt(0)
	v_mul_f64 v[78:79], s[16:17], v[78:79]
	v_cvt_f32_f64_e32 v76, v[78:79]
	v_min_f32_e32 v76, v76, v77
	v_cvt_f64_f32_e32 v[76:77], v76
	global_store_dwordx2 v[80:81], v[76:77], off
	v_lshl_add_u64 v[76:77], v[160:161], 3, v[74:75]
	global_load_dwordx2 v[76:77], v[76:77], off
	s_waitcnt vmcnt(0)
	v_mul_f64 v[76:77], s[16:17], v[76:77]
	v_cvt_f32_f64_e32 v76, v[76:77]
.LBB162_127:
	v_add_f64 v[78:79], v[30:31], v[70:71]
	v_add_f64 v[80:81], v[28:29], v[68:69]
	v_cvt_f32_f64_e32 v77, v[80:81]
	v_cvt_f32_f64_e32 v78, v[78:79]
	v_min3_f32 v77, v77, v78, v209
	v_add_f64 v[78:79], v[26:27], v[70:71]
	v_add_f64 v[80:81], v[24:25], v[68:69]
	v_cvt_f32_f64_e32 v80, v[80:81]
	v_cvt_f32_f64_e32 v78, v[78:79]
	v_min3_f32 v82, v80, v78, v208
	v_add_f64 v[78:79], v[18:19], v[66:67]
	v_add_f64 v[80:81], v[16:17], v[64:65]
	v_cvt_f32_f64_e32 v80, v[80:81]
	v_cvt_f32_f64_e32 v78, v[78:79]
	v_min_f32_e32 v83, v80, v78
	v_add_f64 v[78:79], v[10:11], v[66:67]
	v_add_f64 v[80:81], v[8:9], v[64:65]
	v_cvt_f32_f64_e32 v80, v[80:81]
	v_cvt_f32_f64_e32 v78, v[78:79]
	v_min3_f32 v76, v76, v83, v77
	v_min3_f32 v80, v80, v78, v82
	v_cvt_f64_f32_e32 v[76:77], v76
	v_lshl_add_u64 v[78:79], v[160:161], 3, v[72:73]
	global_store_dwordx2 v[78:79], v[76:77], off
	s_mov_b64 s[2:3], -1
	v_max_f32_e32 v77, v80, v80
	s_mov_b64 vcc, s[8:9]
	s_cbranch_vccz .LBB162_129
; %bb.128:
	v_min_f32_e32 v76, 0, v77
	v_cvt_f64_f32_e32 v[78:79], v76
	v_lshl_add_u64 v[80:81], v[168:169], 3, v[72:73]
	global_store_dwordx2 v[80:81], v[78:79], off
	s_mov_b64 s[2:3], 0
.LBB162_129:
	s_andn2_b64 vcc, exec, s[2:3]
	v_mov_b32_e32 v76, 0
	s_cbranch_vccnz .LBB162_131
; %bb.130:
	v_lshl_add_u64 v[78:79], v[74:75], 0, v[170:171]
	global_load_dwordx2 v[78:79], v[78:79], off
	v_lshl_add_u64 v[80:81], v[72:73], 0, v[170:171]
	v_lshl_add_u64 v[74:75], v[164:165], 3, v[74:75]
	s_waitcnt vmcnt(0)
	v_mul_f64 v[78:79], s[16:17], v[78:79]
	v_cvt_f32_f64_e32 v76, v[78:79]
	v_min_f32_e32 v76, v76, v77
	v_cvt_f64_f32_e32 v[76:77], v76
	global_store_dwordx2 v[80:81], v[76:77], off
	global_load_dwordx2 v[74:75], v[74:75], off
	s_waitcnt vmcnt(0)
	v_mul_f64 v[74:75], s[16:17], v[74:75]
	v_cvt_f32_f64_e32 v76, v[74:75]
.LBB162_131:
	v_add_f64 v[70:71], v[2:3], v[70:71]
	v_add_f64 v[68:69], v[0:1], v[68:69]
	v_cvt_f32_f64_e32 v68, v[68:69]
	v_cvt_f32_f64_e32 v69, v[70:71]
	v_add_f64 v[66:67], v[6:7], v[66:67]
	v_add_f64 v[64:65], v[4:5], v[64:65]
	v_min3_f32 v74, v68, v69, v207
	s_waitcnt lgkmcnt(7)
	v_add_f64 v[68:69], v[38:39], v[62:63]
	v_add_f64 v[70:71], v[36:37], v[60:61]
	v_cvt_f32_f64_e32 v64, v[64:65]
	v_cvt_f32_f64_e32 v65, v[66:67]
	;; [unrolled: 1-line block ×4, first 2 shown]
	v_min_f32_e32 v69, v64, v65
	s_waitcnt lgkmcnt(6)
	v_add_f64 v[64:65], v[34:35], v[58:59]
	v_add_f64 v[66:67], v[32:33], v[56:57]
	v_min3_f32 v68, v70, v68, v206
	v_cvt_f32_f64_e32 v66, v[66:67]
	v_cvt_f32_f64_e32 v64, v[64:65]
	v_min3_f32 v68, v66, v64, v68
	v_min3_f32 v64, v76, v69, v74
	v_cvt_f64_f32_e32 v[64:65], v64
	v_lshl_add_u64 v[66:67], v[164:165], 3, v[72:73]
	global_store_dwordx2 v[66:67], v[64:65], off
	v_add_u32_e32 v66, 0x60, v176
	v_mad_i64_i32 v[64:65], s[2:3], v66, s5, 0
	v_mad_i64_i32 v[66:67], s[2:3], v66, s4, 0
	v_lshl_add_u64 v[64:65], v[64:65], 3, s[0:1]
	s_mov_b64 s[2:3], -1
	v_max_f32_e32 v69, v68, v68
	s_mov_b64 vcc, s[8:9]
	s_cbranch_vccz .LBB162_133
; %bb.132:
	v_min_f32_e32 v68, 0, v69
	v_cvt_f64_f32_e32 v[70:71], v68
	v_lshl_add_u64 v[72:73], v[162:163], 3, v[64:65]
	global_store_dwordx2 v[72:73], v[70:71], off
	s_mov_b64 s[2:3], 0
.LBB162_133:
	v_lshl_add_u64 v[66:67], v[66:67], 3, s[10:11]
	s_andn2_b64 vcc, exec, s[2:3]
	v_mov_b32_e32 v68, 0
	s_cbranch_vccnz .LBB162_135
; %bb.134:
	v_lshl_add_u64 v[70:71], v[66:67], 0, v[166:167]
	global_load_dwordx2 v[70:71], v[70:71], off
	v_lshl_add_u64 v[72:73], v[64:65], 0, v[166:167]
	s_waitcnt vmcnt(0)
	v_mul_f64 v[70:71], s[16:17], v[70:71]
	v_cvt_f32_f64_e32 v68, v[70:71]
	v_min_f32_e32 v68, v68, v69
	v_cvt_f64_f32_e32 v[68:69], v68
	global_store_dwordx2 v[72:73], v[68:69], off
	v_lshl_add_u64 v[68:69], v[160:161], 3, v[66:67]
	global_load_dwordx2 v[68:69], v[68:69], off
	s_waitcnt vmcnt(0)
	v_mul_f64 v[68:69], s[16:17], v[68:69]
	v_cvt_f32_f64_e32 v68, v[68:69]
.LBB162_135:
	v_add_f64 v[70:71], v[30:31], v[62:63]
	v_add_f64 v[72:73], v[28:29], v[60:61]
	v_cvt_f32_f64_e32 v69, v[72:73]
	v_cvt_f32_f64_e32 v70, v[70:71]
	v_min3_f32 v69, v69, v70, v205
	v_add_f64 v[70:71], v[26:27], v[62:63]
	v_add_f64 v[72:73], v[24:25], v[60:61]
	v_cvt_f32_f64_e32 v72, v[72:73]
	v_cvt_f32_f64_e32 v70, v[70:71]
	v_min3_f32 v74, v72, v70, v204
	v_add_f64 v[70:71], v[18:19], v[58:59]
	v_add_f64 v[72:73], v[16:17], v[56:57]
	v_cvt_f32_f64_e32 v72, v[72:73]
	v_cvt_f32_f64_e32 v70, v[70:71]
	v_min_f32_e32 v75, v72, v70
	v_add_f64 v[70:71], v[10:11], v[58:59]
	v_add_f64 v[72:73], v[8:9], v[56:57]
	v_cvt_f32_f64_e32 v72, v[72:73]
	v_cvt_f32_f64_e32 v70, v[70:71]
	v_min3_f32 v68, v68, v75, v69
	v_min3_f32 v72, v72, v70, v74
	v_cvt_f64_f32_e32 v[68:69], v68
	v_lshl_add_u64 v[70:71], v[160:161], 3, v[64:65]
	global_store_dwordx2 v[70:71], v[68:69], off
	s_mov_b64 s[2:3], -1
	v_max_f32_e32 v69, v72, v72
	s_mov_b64 vcc, s[8:9]
	s_cbranch_vccz .LBB162_137
; %bb.136:
	v_min_f32_e32 v68, 0, v69
	v_cvt_f64_f32_e32 v[70:71], v68
	v_lshl_add_u64 v[72:73], v[168:169], 3, v[64:65]
	global_store_dwordx2 v[72:73], v[70:71], off
	s_mov_b64 s[2:3], 0
.LBB162_137:
	s_andn2_b64 vcc, exec, s[2:3]
	v_mov_b32_e32 v68, 0
	s_cbranch_vccnz .LBB162_139
; %bb.138:
	v_lshl_add_u64 v[70:71], v[66:67], 0, v[170:171]
	global_load_dwordx2 v[70:71], v[70:71], off
	v_lshl_add_u64 v[72:73], v[64:65], 0, v[170:171]
	v_lshl_add_u64 v[66:67], v[164:165], 3, v[66:67]
	s_waitcnt vmcnt(0)
	v_mul_f64 v[70:71], s[16:17], v[70:71]
	v_cvt_f32_f64_e32 v68, v[70:71]
	v_min_f32_e32 v68, v68, v69
	v_cvt_f64_f32_e32 v[68:69], v68
	global_store_dwordx2 v[72:73], v[68:69], off
	global_load_dwordx2 v[66:67], v[66:67], off
	s_waitcnt vmcnt(0)
	v_mul_f64 v[66:67], s[16:17], v[66:67]
	v_cvt_f32_f64_e32 v68, v[66:67]
.LBB162_139:
	v_add_f64 v[62:63], v[2:3], v[62:63]
	v_add_f64 v[60:61], v[0:1], v[60:61]
	v_cvt_f32_f64_e32 v60, v[60:61]
	v_cvt_f32_f64_e32 v61, v[62:63]
	v_add_f64 v[58:59], v[6:7], v[58:59]
	v_add_f64 v[56:57], v[4:5], v[56:57]
	v_min3_f32 v66, v60, v61, v203
	s_waitcnt lgkmcnt(5)
	v_add_f64 v[60:61], v[38:39], v[54:55]
	v_add_f64 v[62:63], v[36:37], v[52:53]
	v_cvt_f32_f64_e32 v56, v[56:57]
	v_cvt_f32_f64_e32 v57, v[58:59]
	;; [unrolled: 1-line block ×4, first 2 shown]
	v_min_f32_e32 v61, v56, v57
	s_waitcnt lgkmcnt(4)
	v_add_f64 v[56:57], v[34:35], v[50:51]
	v_add_f64 v[58:59], v[32:33], v[48:49]
	v_min3_f32 v60, v62, v60, v202
	v_cvt_f32_f64_e32 v58, v[58:59]
	v_cvt_f32_f64_e32 v56, v[56:57]
	v_min3_f32 v60, v58, v56, v60
	v_min3_f32 v56, v68, v61, v66
	v_cvt_f64_f32_e32 v[56:57], v56
	v_lshl_add_u64 v[58:59], v[164:165], 3, v[64:65]
	global_store_dwordx2 v[58:59], v[56:57], off
	v_add_u32_e32 v58, 0x68, v176
	v_mad_i64_i32 v[56:57], s[2:3], v58, s5, 0
	v_mad_i64_i32 v[58:59], s[2:3], v58, s4, 0
	v_lshl_add_u64 v[56:57], v[56:57], 3, s[0:1]
	s_mov_b64 s[2:3], -1
	v_max_f32_e32 v61, v60, v60
	s_mov_b64 vcc, s[8:9]
	s_cbranch_vccz .LBB162_141
; %bb.140:
	v_min_f32_e32 v60, 0, v61
	v_cvt_f64_f32_e32 v[62:63], v60
	v_lshl_add_u64 v[64:65], v[162:163], 3, v[56:57]
	global_store_dwordx2 v[64:65], v[62:63], off
	s_mov_b64 s[2:3], 0
.LBB162_141:
	v_lshl_add_u64 v[58:59], v[58:59], 3, s[10:11]
	s_andn2_b64 vcc, exec, s[2:3]
	v_mov_b32_e32 v60, 0
	s_cbranch_vccnz .LBB162_143
; %bb.142:
	v_lshl_add_u64 v[62:63], v[58:59], 0, v[166:167]
	global_load_dwordx2 v[62:63], v[62:63], off
	v_lshl_add_u64 v[64:65], v[56:57], 0, v[166:167]
	s_waitcnt vmcnt(0)
	v_mul_f64 v[62:63], s[16:17], v[62:63]
	v_cvt_f32_f64_e32 v60, v[62:63]
	v_min_f32_e32 v60, v60, v61
	v_cvt_f64_f32_e32 v[60:61], v60
	global_store_dwordx2 v[64:65], v[60:61], off
	v_lshl_add_u64 v[60:61], v[160:161], 3, v[58:59]
	global_load_dwordx2 v[60:61], v[60:61], off
	s_waitcnt vmcnt(0)
	v_mul_f64 v[60:61], s[16:17], v[60:61]
	v_cvt_f32_f64_e32 v60, v[60:61]
.LBB162_143:
	v_add_f64 v[62:63], v[30:31], v[54:55]
	v_add_f64 v[64:65], v[28:29], v[52:53]
	v_cvt_f32_f64_e32 v61, v[64:65]
	v_cvt_f32_f64_e32 v62, v[62:63]
	v_min3_f32 v61, v61, v62, v201
	v_add_f64 v[62:63], v[26:27], v[54:55]
	v_add_f64 v[64:65], v[24:25], v[52:53]
	v_cvt_f32_f64_e32 v64, v[64:65]
	v_cvt_f32_f64_e32 v62, v[62:63]
	v_min3_f32 v66, v64, v62, v200
	v_add_f64 v[62:63], v[18:19], v[50:51]
	v_add_f64 v[64:65], v[16:17], v[48:49]
	v_cvt_f32_f64_e32 v64, v[64:65]
	v_cvt_f32_f64_e32 v62, v[62:63]
	v_min_f32_e32 v67, v64, v62
	v_add_f64 v[62:63], v[10:11], v[50:51]
	v_add_f64 v[64:65], v[8:9], v[48:49]
	v_cvt_f32_f64_e32 v64, v[64:65]
	v_cvt_f32_f64_e32 v62, v[62:63]
	v_min3_f32 v60, v60, v67, v61
	v_min3_f32 v64, v64, v62, v66
	v_cvt_f64_f32_e32 v[60:61], v60
	v_lshl_add_u64 v[62:63], v[160:161], 3, v[56:57]
	global_store_dwordx2 v[62:63], v[60:61], off
	s_mov_b64 s[2:3], -1
	v_max_f32_e32 v61, v64, v64
	s_mov_b64 vcc, s[8:9]
	s_cbranch_vccz .LBB162_145
; %bb.144:
	v_min_f32_e32 v60, 0, v61
	v_cvt_f64_f32_e32 v[62:63], v60
	v_lshl_add_u64 v[64:65], v[168:169], 3, v[56:57]
	global_store_dwordx2 v[64:65], v[62:63], off
	s_mov_b64 s[2:3], 0
.LBB162_145:
	s_andn2_b64 vcc, exec, s[2:3]
	v_mov_b32_e32 v60, 0
	s_cbranch_vccnz .LBB162_147
; %bb.146:
	v_lshl_add_u64 v[62:63], v[58:59], 0, v[170:171]
	global_load_dwordx2 v[62:63], v[62:63], off
	v_lshl_add_u64 v[64:65], v[56:57], 0, v[170:171]
	v_lshl_add_u64 v[58:59], v[164:165], 3, v[58:59]
	s_waitcnt vmcnt(0)
	v_mul_f64 v[62:63], s[16:17], v[62:63]
	v_cvt_f32_f64_e32 v60, v[62:63]
	v_min_f32_e32 v60, v60, v61
	v_cvt_f64_f32_e32 v[60:61], v60
	global_store_dwordx2 v[64:65], v[60:61], off
	global_load_dwordx2 v[58:59], v[58:59], off
	s_waitcnt vmcnt(0)
	v_mul_f64 v[58:59], s[16:17], v[58:59]
	v_cvt_f32_f64_e32 v60, v[58:59]
.LBB162_147:
	v_add_f64 v[54:55], v[2:3], v[54:55]
	v_add_f64 v[52:53], v[0:1], v[52:53]
	v_cvt_f32_f64_e32 v52, v[52:53]
	v_cvt_f32_f64_e32 v53, v[54:55]
	v_add_f64 v[50:51], v[6:7], v[50:51]
	v_add_f64 v[48:49], v[4:5], v[48:49]
	v_min3_f32 v58, v52, v53, v199
	s_waitcnt lgkmcnt(3)
	v_add_f64 v[52:53], v[38:39], v[46:47]
	v_add_f64 v[54:55], v[36:37], v[44:45]
	v_cvt_f32_f64_e32 v48, v[48:49]
	v_cvt_f32_f64_e32 v49, v[50:51]
	v_cvt_f32_f64_e32 v54, v[54:55]
	v_cvt_f32_f64_e32 v52, v[52:53]
	v_min_f32_e32 v53, v48, v49
	s_waitcnt lgkmcnt(2)
	v_add_f64 v[48:49], v[34:35], v[42:43]
	v_add_f64 v[50:51], v[32:33], v[40:41]
	v_min3_f32 v52, v54, v52, v198
	v_cvt_f32_f64_e32 v50, v[50:51]
	v_cvt_f32_f64_e32 v48, v[48:49]
	v_min3_f32 v52, v50, v48, v52
	v_min3_f32 v48, v60, v53, v58
	v_cvt_f64_f32_e32 v[48:49], v48
	v_lshl_add_u64 v[50:51], v[164:165], 3, v[56:57]
	global_store_dwordx2 v[50:51], v[48:49], off
	v_add_u32_e32 v50, 0x70, v176
	v_mad_i64_i32 v[48:49], s[2:3], v50, s5, 0
	v_mad_i64_i32 v[50:51], s[2:3], v50, s4, 0
	v_lshl_add_u64 v[48:49], v[48:49], 3, s[0:1]
	s_mov_b64 s[2:3], -1
	v_max_f32_e32 v53, v52, v52
	s_mov_b64 vcc, s[8:9]
	s_cbranch_vccz .LBB162_149
; %bb.148:
	v_min_f32_e32 v52, 0, v53
	v_cvt_f64_f32_e32 v[54:55], v52
	v_lshl_add_u64 v[56:57], v[162:163], 3, v[48:49]
	global_store_dwordx2 v[56:57], v[54:55], off
	s_mov_b64 s[2:3], 0
.LBB162_149:
	v_lshl_add_u64 v[50:51], v[50:51], 3, s[10:11]
	s_andn2_b64 vcc, exec, s[2:3]
	v_mov_b32_e32 v52, 0
	s_cbranch_vccnz .LBB162_151
; %bb.150:
	v_lshl_add_u64 v[54:55], v[50:51], 0, v[166:167]
	global_load_dwordx2 v[54:55], v[54:55], off
	v_lshl_add_u64 v[56:57], v[48:49], 0, v[166:167]
	s_waitcnt vmcnt(0)
	v_mul_f64 v[54:55], s[16:17], v[54:55]
	v_cvt_f32_f64_e32 v52, v[54:55]
	v_min_f32_e32 v52, v52, v53
	v_cvt_f64_f32_e32 v[52:53], v52
	global_store_dwordx2 v[56:57], v[52:53], off
	v_lshl_add_u64 v[52:53], v[160:161], 3, v[50:51]
	global_load_dwordx2 v[52:53], v[52:53], off
	s_waitcnt vmcnt(0)
	v_mul_f64 v[52:53], s[16:17], v[52:53]
	v_cvt_f32_f64_e32 v52, v[52:53]
.LBB162_151:
	v_add_f64 v[54:55], v[30:31], v[46:47]
	v_add_f64 v[56:57], v[28:29], v[44:45]
	v_cvt_f32_f64_e32 v53, v[56:57]
	v_cvt_f32_f64_e32 v54, v[54:55]
	v_min3_f32 v53, v53, v54, v197
	v_add_f64 v[54:55], v[26:27], v[46:47]
	v_add_f64 v[56:57], v[24:25], v[44:45]
	v_cvt_f32_f64_e32 v56, v[56:57]
	v_cvt_f32_f64_e32 v54, v[54:55]
	v_min3_f32 v58, v56, v54, v196
	v_add_f64 v[54:55], v[18:19], v[42:43]
	v_add_f64 v[56:57], v[16:17], v[40:41]
	v_cvt_f32_f64_e32 v56, v[56:57]
	v_cvt_f32_f64_e32 v54, v[54:55]
	v_min_f32_e32 v59, v56, v54
	v_add_f64 v[54:55], v[10:11], v[42:43]
	v_add_f64 v[56:57], v[8:9], v[40:41]
	v_cvt_f32_f64_e32 v56, v[56:57]
	v_cvt_f32_f64_e32 v54, v[54:55]
	v_min3_f32 v52, v52, v59, v53
	v_min3_f32 v56, v56, v54, v58
	v_cvt_f64_f32_e32 v[52:53], v52
	v_lshl_add_u64 v[54:55], v[160:161], 3, v[48:49]
	global_store_dwordx2 v[54:55], v[52:53], off
	s_mov_b64 s[2:3], -1
	v_max_f32_e32 v53, v56, v56
	s_mov_b64 vcc, s[8:9]
	s_cbranch_vccz .LBB162_153
; %bb.152:
	v_min_f32_e32 v52, 0, v53
	v_cvt_f64_f32_e32 v[54:55], v52
	v_lshl_add_u64 v[56:57], v[168:169], 3, v[48:49]
	global_store_dwordx2 v[56:57], v[54:55], off
	s_mov_b64 s[2:3], 0
.LBB162_153:
	s_andn2_b64 vcc, exec, s[2:3]
	v_mov_b32_e32 v52, 0
	s_cbranch_vccnz .LBB162_155
; %bb.154:
	v_lshl_add_u64 v[54:55], v[50:51], 0, v[170:171]
	global_load_dwordx2 v[54:55], v[54:55], off
	v_lshl_add_u64 v[56:57], v[48:49], 0, v[170:171]
	v_lshl_add_u64 v[50:51], v[164:165], 3, v[50:51]
	s_waitcnt vmcnt(0)
	v_mul_f64 v[54:55], s[16:17], v[54:55]
	v_cvt_f32_f64_e32 v52, v[54:55]
	v_min_f32_e32 v52, v52, v53
	v_cvt_f64_f32_e32 v[52:53], v52
	global_store_dwordx2 v[56:57], v[52:53], off
	global_load_dwordx2 v[50:51], v[50:51], off
	s_waitcnt vmcnt(0)
	v_mul_f64 v[50:51], s[16:17], v[50:51]
	v_cvt_f32_f64_e32 v52, v[50:51]
.LBB162_155:
	v_add_f64 v[46:47], v[2:3], v[46:47]
	v_add_f64 v[44:45], v[0:1], v[44:45]
	s_waitcnt lgkmcnt(1)
	v_add_f64 v[38:39], v[38:39], v[14:15]
	v_add_f64 v[36:37], v[36:37], v[12:13]
	v_cvt_f32_f64_e32 v44, v[44:45]
	v_cvt_f32_f64_e32 v45, v[46:47]
	;; [unrolled: 1-line block ×4, first 2 shown]
	v_min3_f32 v44, v44, v45, v195
	v_min3_f32 v45, v36, v37, v194
	v_add_f64 v[36:37], v[6:7], v[42:43]
	v_add_f64 v[38:39], v[4:5], v[40:41]
	v_cvt_f32_f64_e32 v38, v[38:39]
	v_cvt_f32_f64_e32 v36, v[36:37]
	s_waitcnt lgkmcnt(0)
	v_add_f64 v[34:35], v[34:35], v[22:23]
	v_add_f64 v[32:33], v[32:33], v[20:21]
	v_min_f32_e32 v36, v38, v36
	v_cvt_f32_f64_e32 v32, v[32:33]
	v_cvt_f32_f64_e32 v33, v[34:35]
	v_min3_f32 v37, v32, v33, v45
	v_min3_f32 v32, v52, v36, v44
	v_cvt_f64_f32_e32 v[32:33], v32
	v_lshl_add_u64 v[34:35], v[164:165], 3, v[48:49]
	global_store_dwordx2 v[34:35], v[32:33], off
	v_add_u32_e32 v34, 0x78, v176
	v_mad_i64_i32 v[32:33], s[2:3], v34, s5, 0
	v_lshl_add_u64 v[32:33], v[32:33], 3, s[0:1]
	v_mad_i64_i32 v[34:35], s[0:1], v34, s4, 0
	s_mov_b64 s[0:1], -1
	v_max_f32_e32 v37, v37, v37
	s_mov_b64 vcc, s[8:9]
	s_cbranch_vccz .LBB162_157
; %bb.156:
	v_min_f32_e32 v36, 0, v37
	v_cvt_f64_f32_e32 v[38:39], v36
	v_lshl_add_u64 v[40:41], v[162:163], 3, v[32:33]
	global_store_dwordx2 v[40:41], v[38:39], off
	s_mov_b64 s[0:1], 0
.LBB162_157:
	v_lshl_add_u64 v[34:35], v[34:35], 3, s[10:11]
	s_andn2_b64 vcc, exec, s[0:1]
	v_mov_b32_e32 v36, 0
	s_cbranch_vccnz .LBB162_159
; %bb.158:
	v_lshl_add_u64 v[38:39], v[34:35], 0, v[166:167]
	global_load_dwordx2 v[38:39], v[38:39], off
	v_lshl_add_u64 v[40:41], v[32:33], 0, v[166:167]
	s_waitcnt vmcnt(0)
	v_mul_f64 v[38:39], s[16:17], v[38:39]
	v_cvt_f32_f64_e32 v36, v[38:39]
	v_min_f32_e32 v36, v36, v37
	v_cvt_f64_f32_e32 v[36:37], v36
	global_store_dwordx2 v[40:41], v[36:37], off
	v_lshl_add_u64 v[36:37], v[160:161], 3, v[34:35]
	global_load_dwordx2 v[36:37], v[36:37], off
	s_waitcnt vmcnt(0)
	v_mul_f64 v[36:37], s[16:17], v[36:37]
	v_cvt_f32_f64_e32 v36, v[36:37]
.LBB162_159:
	v_add_f64 v[30:31], v[30:31], v[14:15]
	v_add_f64 v[28:29], v[28:29], v[12:13]
	;; [unrolled: 1-line block ×6, first 2 shown]
	v_cvt_f32_f64_e32 v28, v[28:29]
	v_cvt_f32_f64_e32 v29, v[30:31]
	;; [unrolled: 1-line block ×6, first 2 shown]
	v_add_f64 v[10:11], v[10:11], v[22:23]
	v_add_f64 v[8:9], v[8:9], v[20:21]
	v_min3_f32 v28, v28, v29, v192
	v_min3_f32 v24, v24, v25, v191
	v_min_f32_e32 v16, v16, v17
	v_cvt_f32_f64_e32 v8, v[8:9]
	v_cvt_f32_f64_e32 v9, v[10:11]
	v_min3_f32 v17, v8, v9, v24
	v_min3_f32 v8, v36, v16, v28
	v_cvt_f64_f32_e32 v[8:9], v8
	v_lshl_add_u64 v[10:11], v[160:161], 3, v[32:33]
	global_store_dwordx2 v[10:11], v[8:9], off
	s_mov_b64 s[0:1], -1
	v_max_f32_e32 v9, v17, v17
	s_mov_b64 vcc, s[8:9]
	s_cbranch_vccz .LBB162_161
; %bb.160:
	v_min_f32_e32 v8, 0, v9
	v_cvt_f64_f32_e32 v[10:11], v8
	v_lshl_add_u64 v[16:17], v[168:169], 3, v[32:33]
	global_store_dwordx2 v[16:17], v[10:11], off
	s_mov_b64 s[0:1], 0
.LBB162_161:
	s_andn2_b64 vcc, exec, s[0:1]
	v_mov_b32_e32 v8, 0
	s_cbranch_vccnz .LBB162_163
; %bb.162:
	v_lshl_add_u64 v[10:11], v[34:35], 0, v[170:171]
	global_load_dwordx2 v[10:11], v[10:11], off
	v_lshl_add_u64 v[16:17], v[32:33], 0, v[170:171]
	s_waitcnt vmcnt(0)
	v_mul_f64 v[10:11], s[16:17], v[10:11]
	v_cvt_f32_f64_e32 v8, v[10:11]
	v_min_f32_e32 v8, v8, v9
	v_cvt_f64_f32_e32 v[8:9], v8
	global_store_dwordx2 v[16:17], v[8:9], off
	v_lshl_add_u64 v[8:9], v[164:165], 3, v[34:35]
	global_load_dwordx2 v[8:9], v[8:9], off
	s_waitcnt vmcnt(0)
	v_mul_f64 v[8:9], s[16:17], v[8:9]
	v_cvt_f32_f64_e32 v8, v[8:9]
.LBB162_163:
	v_add_f64 v[6:7], v[6:7], v[22:23]
	v_add_f64 v[4:5], v[4:5], v[20:21]
	;; [unrolled: 1-line block ×4, first 2 shown]
	v_cvt_f32_f64_e32 v4, v[4:5]
	v_cvt_f32_f64_e32 v5, v[6:7]
	;; [unrolled: 1-line block ×4, first 2 shown]
	v_min_f32_e32 v4, v4, v5
	v_min3_f32 v0, v0, v1, v190
	v_min3_f32 v0, v8, v4, v0
	v_cvt_f64_f32_e32 v[0:1], v0
	v_lshl_add_u64 v[2:3], v[164:165], 3, v[32:33]
	global_store_dwordx2 v[2:3], v[0:1], off
	s_endpgm
	.section	.rodata,"a",@progbits
	.p2align	6, 0x0
	.amdhsa_kernel _ZN12_GLOBAL__N_120geam_min_plus_kernelId15HIP_vector_typeIdLj2EEdLi32ELi8ELi128ELi128ELi4ELi4ELi64ELi4ELi64ELc84ELc78ELb0ELb0ELb1EPKdS3_dEEviiiT16_PT17_ilS7_ilS5_S7_ilPT18_ili26rocblas_geam_ex_operation_
		.amdhsa_group_segment_fixed_size 16384
		.amdhsa_private_segment_fixed_size 0
		.amdhsa_kernarg_size 136
		.amdhsa_user_sgpr_count 2
		.amdhsa_user_sgpr_dispatch_ptr 0
		.amdhsa_user_sgpr_queue_ptr 0
		.amdhsa_user_sgpr_kernarg_segment_ptr 1
		.amdhsa_user_sgpr_dispatch_id 0
		.amdhsa_user_sgpr_kernarg_preload_length 0
		.amdhsa_user_sgpr_kernarg_preload_offset 0
		.amdhsa_user_sgpr_private_segment_size 0
		.amdhsa_uses_dynamic_stack 0
		.amdhsa_enable_private_segment 0
		.amdhsa_system_sgpr_workgroup_id_x 1
		.amdhsa_system_sgpr_workgroup_id_y 0
		.amdhsa_system_sgpr_workgroup_id_z 1
		.amdhsa_system_sgpr_workgroup_info 0
		.amdhsa_system_vgpr_workitem_id 1
		.amdhsa_next_free_vgpr 258
		.amdhsa_next_free_sgpr 30
		.amdhsa_accum_offset 256
		.amdhsa_reserve_vcc 1
		.amdhsa_float_round_mode_32 0
		.amdhsa_float_round_mode_16_64 0
		.amdhsa_float_denorm_mode_32 3
		.amdhsa_float_denorm_mode_16_64 3
		.amdhsa_dx10_clamp 1
		.amdhsa_ieee_mode 1
		.amdhsa_fp16_overflow 0
		.amdhsa_tg_split 0
		.amdhsa_exception_fp_ieee_invalid_op 0
		.amdhsa_exception_fp_denorm_src 0
		.amdhsa_exception_fp_ieee_div_zero 0
		.amdhsa_exception_fp_ieee_overflow 0
		.amdhsa_exception_fp_ieee_underflow 0
		.amdhsa_exception_fp_ieee_inexact 0
		.amdhsa_exception_int_div_zero 0
	.end_amdhsa_kernel
	.section	.text._ZN12_GLOBAL__N_120geam_min_plus_kernelId15HIP_vector_typeIdLj2EEdLi32ELi8ELi128ELi128ELi4ELi4ELi64ELi4ELi64ELc84ELc78ELb0ELb0ELb1EPKdS3_dEEviiiT16_PT17_ilS7_ilS5_S7_ilPT18_ili26rocblas_geam_ex_operation_,"axG",@progbits,_ZN12_GLOBAL__N_120geam_min_plus_kernelId15HIP_vector_typeIdLj2EEdLi32ELi8ELi128ELi128ELi4ELi4ELi64ELi4ELi64ELc84ELc78ELb0ELb0ELb1EPKdS3_dEEviiiT16_PT17_ilS7_ilS5_S7_ilPT18_ili26rocblas_geam_ex_operation_,comdat
.Lfunc_end162:
	.size	_ZN12_GLOBAL__N_120geam_min_plus_kernelId15HIP_vector_typeIdLj2EEdLi32ELi8ELi128ELi128ELi4ELi4ELi64ELi4ELi64ELc84ELc78ELb0ELb0ELb1EPKdS3_dEEviiiT16_PT17_ilS7_ilS5_S7_ilPT18_ili26rocblas_geam_ex_operation_, .Lfunc_end162-_ZN12_GLOBAL__N_120geam_min_plus_kernelId15HIP_vector_typeIdLj2EEdLi32ELi8ELi128ELi128ELi4ELi4ELi64ELi4ELi64ELc84ELc78ELb0ELb0ELb1EPKdS3_dEEviiiT16_PT17_ilS7_ilS5_S7_ilPT18_ili26rocblas_geam_ex_operation_
                                        ; -- End function
	.set _ZN12_GLOBAL__N_120geam_min_plus_kernelId15HIP_vector_typeIdLj2EEdLi32ELi8ELi128ELi128ELi4ELi4ELi64ELi4ELi64ELc84ELc78ELb0ELb0ELb1EPKdS3_dEEviiiT16_PT17_ilS7_ilS5_S7_ilPT18_ili26rocblas_geam_ex_operation_.num_vgpr, 256
	.set _ZN12_GLOBAL__N_120geam_min_plus_kernelId15HIP_vector_typeIdLj2EEdLi32ELi8ELi128ELi128ELi4ELi4ELi64ELi4ELi64ELc84ELc78ELb0ELb0ELb1EPKdS3_dEEviiiT16_PT17_ilS7_ilS5_S7_ilPT18_ili26rocblas_geam_ex_operation_.num_agpr, 2
	.set _ZN12_GLOBAL__N_120geam_min_plus_kernelId15HIP_vector_typeIdLj2EEdLi32ELi8ELi128ELi128ELi4ELi4ELi64ELi4ELi64ELc84ELc78ELb0ELb0ELb1EPKdS3_dEEviiiT16_PT17_ilS7_ilS5_S7_ilPT18_ili26rocblas_geam_ex_operation_.numbered_sgpr, 30
	.set _ZN12_GLOBAL__N_120geam_min_plus_kernelId15HIP_vector_typeIdLj2EEdLi32ELi8ELi128ELi128ELi4ELi4ELi64ELi4ELi64ELc84ELc78ELb0ELb0ELb1EPKdS3_dEEviiiT16_PT17_ilS7_ilS5_S7_ilPT18_ili26rocblas_geam_ex_operation_.num_named_barrier, 0
	.set _ZN12_GLOBAL__N_120geam_min_plus_kernelId15HIP_vector_typeIdLj2EEdLi32ELi8ELi128ELi128ELi4ELi4ELi64ELi4ELi64ELc84ELc78ELb0ELb0ELb1EPKdS3_dEEviiiT16_PT17_ilS7_ilS5_S7_ilPT18_ili26rocblas_geam_ex_operation_.private_seg_size, 0
	.set _ZN12_GLOBAL__N_120geam_min_plus_kernelId15HIP_vector_typeIdLj2EEdLi32ELi8ELi128ELi128ELi4ELi4ELi64ELi4ELi64ELc84ELc78ELb0ELb0ELb1EPKdS3_dEEviiiT16_PT17_ilS7_ilS5_S7_ilPT18_ili26rocblas_geam_ex_operation_.uses_vcc, 1
	.set _ZN12_GLOBAL__N_120geam_min_plus_kernelId15HIP_vector_typeIdLj2EEdLi32ELi8ELi128ELi128ELi4ELi4ELi64ELi4ELi64ELc84ELc78ELb0ELb0ELb1EPKdS3_dEEviiiT16_PT17_ilS7_ilS5_S7_ilPT18_ili26rocblas_geam_ex_operation_.uses_flat_scratch, 0
	.set _ZN12_GLOBAL__N_120geam_min_plus_kernelId15HIP_vector_typeIdLj2EEdLi32ELi8ELi128ELi128ELi4ELi4ELi64ELi4ELi64ELc84ELc78ELb0ELb0ELb1EPKdS3_dEEviiiT16_PT17_ilS7_ilS5_S7_ilPT18_ili26rocblas_geam_ex_operation_.has_dyn_sized_stack, 0
	.set _ZN12_GLOBAL__N_120geam_min_plus_kernelId15HIP_vector_typeIdLj2EEdLi32ELi8ELi128ELi128ELi4ELi4ELi64ELi4ELi64ELc84ELc78ELb0ELb0ELb1EPKdS3_dEEviiiT16_PT17_ilS7_ilS5_S7_ilPT18_ili26rocblas_geam_ex_operation_.has_recursion, 0
	.set _ZN12_GLOBAL__N_120geam_min_plus_kernelId15HIP_vector_typeIdLj2EEdLi32ELi8ELi128ELi128ELi4ELi4ELi64ELi4ELi64ELc84ELc78ELb0ELb0ELb1EPKdS3_dEEviiiT16_PT17_ilS7_ilS5_S7_ilPT18_ili26rocblas_geam_ex_operation_.has_indirect_call, 0
	.section	.AMDGPU.csdata,"",@progbits
; Kernel info:
; codeLenInByte = 25632
; TotalNumSgprs: 36
; NumVgprs: 256
; NumAgprs: 2
; TotalNumVgprs: 258
; ScratchSize: 0
; MemoryBound: 0
; FloatMode: 240
; IeeeMode: 1
; LDSByteSize: 16384 bytes/workgroup (compile time only)
; SGPRBlocks: 4
; VGPRBlocks: 32
; NumSGPRsForWavesPerEU: 36
; NumVGPRsForWavesPerEU: 258
; AccumOffset: 256
; Occupancy: 1
; WaveLimiterHint : 0
; COMPUTE_PGM_RSRC2:SCRATCH_EN: 0
; COMPUTE_PGM_RSRC2:USER_SGPR: 2
; COMPUTE_PGM_RSRC2:TRAP_HANDLER: 0
; COMPUTE_PGM_RSRC2:TGID_X_EN: 1
; COMPUTE_PGM_RSRC2:TGID_Y_EN: 0
; COMPUTE_PGM_RSRC2:TGID_Z_EN: 1
; COMPUTE_PGM_RSRC2:TIDIG_COMP_CNT: 1
; COMPUTE_PGM_RSRC3_GFX90A:ACCUM_OFFSET: 63
; COMPUTE_PGM_RSRC3_GFX90A:TG_SPLIT: 0
	.section	.text._ZN12_GLOBAL__N_120geam_min_plus_kernelId15HIP_vector_typeIdLj2EEdLi32ELi8ELi128ELi128ELi4ELi4ELi64ELi4ELi64ELc84ELc78ELb1ELb0ELb1EdKddEEviiiT16_PT17_ilS6_ilS4_S6_ilPT18_ili26rocblas_geam_ex_operation_,"axG",@progbits,_ZN12_GLOBAL__N_120geam_min_plus_kernelId15HIP_vector_typeIdLj2EEdLi32ELi8ELi128ELi128ELi4ELi4ELi64ELi4ELi64ELc84ELc78ELb1ELb0ELb1EdKddEEviiiT16_PT17_ilS6_ilS4_S6_ilPT18_ili26rocblas_geam_ex_operation_,comdat
	.globl	_ZN12_GLOBAL__N_120geam_min_plus_kernelId15HIP_vector_typeIdLj2EEdLi32ELi8ELi128ELi128ELi4ELi4ELi64ELi4ELi64ELc84ELc78ELb1ELb0ELb1EdKddEEviiiT16_PT17_ilS6_ilS4_S6_ilPT18_ili26rocblas_geam_ex_operation_ ; -- Begin function _ZN12_GLOBAL__N_120geam_min_plus_kernelId15HIP_vector_typeIdLj2EEdLi32ELi8ELi128ELi128ELi4ELi4ELi64ELi4ELi64ELc84ELc78ELb1ELb0ELb1EdKddEEviiiT16_PT17_ilS6_ilS4_S6_ilPT18_ili26rocblas_geam_ex_operation_
	.p2align	8
	.type	_ZN12_GLOBAL__N_120geam_min_plus_kernelId15HIP_vector_typeIdLj2EEdLi32ELi8ELi128ELi128ELi4ELi4ELi64ELi4ELi64ELc84ELc78ELb1ELb0ELb1EdKddEEviiiT16_PT17_ilS6_ilS4_S6_ilPT18_ili26rocblas_geam_ex_operation_,@function
_ZN12_GLOBAL__N_120geam_min_plus_kernelId15HIP_vector_typeIdLj2EEdLi32ELi8ELi128ELi128ELi4ELi4ELi64ELi4ELi64ELc84ELc78ELb1ELb0ELb1EdKddEEviiiT16_PT17_ilS6_ilS4_S6_ilPT18_ili26rocblas_geam_ex_operation_: ; @_ZN12_GLOBAL__N_120geam_min_plus_kernelId15HIP_vector_typeIdLj2EEdLi32ELi8ELi128ELi128ELi4ELi4ELi64ELi4ELi64ELc84ELc78ELb1ELb0ELb1EdKddEEviiiT16_PT17_ilS6_ilS4_S6_ilPT18_ili26rocblas_geam_ex_operation_
; %bb.0:
	s_load_dwordx4 s[4:7], s[0:1], 0x10
	s_load_dwordx4 s[8:11], s[0:1], 0x28
	s_mov_b64 s[14:15], 0
	s_waitcnt lgkmcnt(0)
	v_cmp_eq_f64_e64 s[12:13], s[4:5], 0
	s_and_b64 vcc, exec, s[12:13]
	s_cbranch_vccnz .LBB163_2
; %bb.1:
	s_mul_i32 s4, s9, s3
	s_mul_hi_u32 s5, s8, s3
	s_add_i32 s5, s5, s4
	s_mul_i32 s4, s8, s3
	s_lshl_b64 s[4:5], s[4:5], 3
	s_add_u32 s14, s6, s4
	s_addc_u32 s15, s7, s5
.LBB163_2:
	s_load_dwordx4 s[4:7], s[0:1], 0x40
	s_load_dwordx2 s[18:19], s[0:1], 0x50
	s_andn2_b64 vcc, exec, s[12:13]
	s_mov_b64 s[8:9], -1
	s_cbranch_vccnz .LBB163_4
; %bb.3:
	s_mov_b64 s[8:9], 0
.LBB163_4:
	s_mov_b64 s[12:13], 0
	s_andn2_b64 vcc, exec, s[8:9]
	s_mov_b64 s[16:17], 0
	s_cbranch_vccnz .LBB163_6
; %bb.5:
	s_waitcnt lgkmcnt(0)
	s_mul_i32 s5, s5, s3
	s_mul_hi_u32 s8, s4, s3
	s_add_i32 s5, s8, s5
	s_mul_i32 s4, s4, s3
	s_lshl_b64 s[4:5], s[4:5], 3
	s_add_u32 s16, s10, s4
	s_addc_u32 s17, s11, s5
.LBB163_6:
	s_load_dwordx4 s[8:11], s[0:1], 0x60
	s_waitcnt lgkmcnt(0)
	v_cmp_eq_f64_e64 s[4:5], s[6:7], 0
	s_and_b64 s[4:5], exec, s[4:5]
	s_mov_b64 vcc, s[4:5]
	s_cbranch_vccnz .LBB163_8
; %bb.7:
	s_mul_i32 s9, s9, s3
	s_mul_hi_u32 s12, s8, s3
	s_add_i32 s9, s12, s9
	s_mul_i32 s8, s8, s3
	s_lshl_b64 s[8:9], s[8:9], 3
	s_add_u32 s12, s18, s8
	s_addc_u32 s13, s19, s9
.LBB163_8:
	s_load_dword s8, s[0:1], 0x0
	s_load_dword s20, s[0:1], 0x38
	s_load_dword s9, s[0:1], 0x8
	v_and_b32_e32 v118, 0x3ff, v0
	v_bfe_u32 v119, v0, 10, 10
	s_waitcnt lgkmcnt(0)
	s_add_i32 s8, s8, -1
	s_ashr_i32 s18, s8, 31
	s_lshr_b32 s18, s18, 25
	s_add_i32 s8, s8, s18
	s_ashr_i32 s8, s8, 7
	s_add_i32 s18, s8, 1
	v_cvt_f32_u32_e32 v1, s18
	v_lshlrev_b32_e32 v0, 3, v0
	v_and_b32_e32 v100, 24, v0
	s_not_b32 s8, s8
	v_rcp_iflag_f32_e32 v1, v1
	s_load_dword s21, s[0:1], 0x20
	v_lshlrev_b32_e32 v164, 5, v119
	v_mov_b32_e32 v101, 0
	v_mul_f32_e32 v0, 0x4f7ffffe, v1
	v_cvt_u32_f32_e32 v0, v0
	v_add_u32_e32 v1, v164, v118
	v_lshrrev_b32_e32 v16, 2, v1
	v_lshl_or_b32 v121, v16, 5, v100
	v_readfirstlane_b32 s19, v0
	s_mul_i32 s8, s8, s19
	s_mul_hi_u32 s8, s19, s8
	s_add_i32 s19, s19, s8
	s_mul_hi_u32 s8, s2, s19
	s_mul_i32 s19, s8, s18
	s_sub_i32 s19, s2, s19
	s_add_i32 s22, s8, 1
	s_sub_i32 s23, s19, s18
	s_cmp_ge_u32 s19, s18
	s_cselect_b32 s8, s22, s8
	s_cselect_b32 s19, s23, s19
	s_add_i32 s22, s8, 1
	s_cmp_ge_u32 s19, s18
	s_cselect_b32 s8, s22, s8
	s_mul_i32 s18, s8, s18
	s_sub_i32 s2, s2, s18
	s_lshl_b32 s2, s2, 7
	s_lshl_b32 s8, s8, 7
	v_add_u32_e32 v4, s2, v16
	s_waitcnt lgkmcnt(0)
	v_mad_i64_i32 v[102:103], s[18:19], v4, s21, 0
	v_add_u32_e32 v4, 64, v4
	v_add_u32_e32 v8, s8, v16
	v_mad_i64_i32 v[104:105], s[18:19], v4, s21, 0
	v_lshl_add_u64 v[4:5], s[16:17], 0, v[100:101]
	v_mad_i64_i32 v[106:107], s[18:19], v8, s20, 0
	v_add_u32_e32 v8, 64, v8
	v_lshl_add_u64 v[0:1], s[14:15], 0, v[100:101]
	v_lshl_add_u64 v[6:7], v[106:107], 3, v[4:5]
	v_mad_i64_i32 v[108:109], s[18:19], v8, s20, 0
	v_lshl_add_u64 v[2:3], v[102:103], 3, v[0:1]
	v_lshl_add_u64 v[0:1], v[104:105], 3, v[0:1]
	;; [unrolled: 1-line block ×3, first 2 shown]
	global_load_dwordx2 v[8:9], v[6:7], off
	global_load_dwordx2 v[10:11], v[4:5], off
	;; [unrolled: 1-line block ×4, first 2 shown]
	v_lshlrev_b32_e32 v120, 5, v118
	global_load_dwordx2 v[110:111], v[4:5], off offset:32
	global_load_dwordx2 v[112:113], v[6:7], off offset:32
	;; [unrolled: 1-line block ×4, first 2 shown]
	s_mov_b32 s18, 0x7f800000
	s_cmp_lt_i32 s9, 9
	s_waitcnt vmcnt(6)
	ds_write2st64_b64 v121, v[8:9], v[10:11] offset0:16 offset1:20
	s_waitcnt vmcnt(4)
	ds_write2st64_b64 v121, v[12:13], v[14:15] offset1:4
	s_waitcnt lgkmcnt(0)
	s_barrier
	ds_read_b128 v[80:83], v164 offset:8704
	ds_read_b128 v[76:79], v164 offset:8960
	;; [unrolled: 1-line block ×14, first 2 shown]
	ds_read_b128 v[16:19], v120
	ds_read_b128 v[0:3], v120 offset:16
	ds_read_b128 v[84:87], v164 offset:8192
	;; [unrolled: 1-line block ×11, first 2 shown]
	s_waitcnt lgkmcnt(9)
	v_add_f64 v[122:123], v[18:19], v[86:87]
	v_add_f64 v[128:129], v[16:17], v[84:85]
	s_waitcnt lgkmcnt(7)
	v_add_f64 v[130:131], v[14:15], v[86:87]
	v_add_f64 v[132:133], v[12:13], v[84:85]
	;; [unrolled: 3-line block ×5, first 2 shown]
	v_add_f64 v[148:149], v[92:93], v[124:125]
	v_cvt_f32_f64_e32 v84, v[84:85]
	v_cvt_f32_f64_e32 v85, v[86:87]
	;; [unrolled: 1-line block ×4, first 2 shown]
	v_add_f64 v[142:143], v[14:15], v[126:127]
	v_add_f64 v[144:145], v[12:13], v[124:125]
	;; [unrolled: 1-line block ×3, first 2 shown]
	v_cvt_f32_f64_e32 v100, v[128:129]
	v_cvt_f32_f64_e32 v122, v[122:123]
	;; [unrolled: 1-line block ×5, first 2 shown]
	v_min3_f32 v158, v84, v85, s18
	v_min3_f32 v149, v86, v87, s18
	v_add_f64 v[84:85], v[98:99], v[126:127]
	v_add_f64 v[86:87], v[96:97], v[124:125]
	;; [unrolled: 1-line block ×4, first 2 shown]
	v_min3_f32 v122, v100, v122, s18
	v_min3_f32 v165, v123, v128, s18
	v_cvt_f32_f64_e32 v100, v[126:127]
	v_cvt_f32_f64_e32 v123, v[124:125]
	v_add_f64 v[124:125], v[14:15], v[82:83]
	v_add_f64 v[126:127], v[12:13], v[80:81]
	v_min3_f32 v152, v100, v123, s18
	v_cvt_f32_f64_e32 v100, v[126:127]
	v_cvt_f32_f64_e32 v123, v[124:125]
	v_add_f64 v[124:125], v[94:95], v[82:83]
	v_add_f64 v[126:127], v[92:93], v[80:81]
	;; [unrolled: 5-line block ×15, first 2 shown]
	v_cvt_f32_f64_e32 v131, v[144:145]
	v_min3_f32 v144, v100, v123, s18
	v_cvt_f32_f64_e32 v100, v[126:127]
	v_cvt_f32_f64_e32 v123, v[124:125]
	v_add_f64 v[124:125], v[14:15], v[62:63]
	v_add_f64 v[126:127], v[12:13], v[60:61]
	v_min3_f32 v145, v100, v123, s18
	v_cvt_f32_f64_e32 v100, v[126:127]
	v_cvt_f32_f64_e32 v123, v[124:125]
	v_add_f64 v[124:125], v[94:95], v[62:63]
	v_add_f64 v[126:127], v[92:93], v[60:61]
	;; [unrolled: 5-line block ×5, first 2 shown]
	v_cvt_f32_f64_e32 v129, v[136:137]
	v_cvt_f32_f64_e32 v130, v[134:135]
	;; [unrolled: 1-line block ×3, first 2 shown]
	v_min3_f32 v137, v100, v123, s18
	v_cvt_f32_f64_e32 v100, v[126:127]
	v_cvt_f32_f64_e32 v123, v[124:125]
	v_add_f64 v[124:125], v[18:19], v[54:55]
	v_add_f64 v[126:127], v[16:17], v[52:53]
	v_cvt_f32_f64_e32 v132, v[142:143]
	v_min3_f32 v142, v133, v134, s18
	v_min3_f32 v134, v100, v123, s18
	v_cvt_f32_f64_e32 v100, v[126:127]
	v_cvt_f32_f64_e32 v123, v[124:125]
	v_add_f64 v[124:125], v[14:15], v[54:55]
	v_add_f64 v[126:127], v[12:13], v[52:53]
	v_min3_f32 v135, v100, v123, s18
	v_cvt_f32_f64_e32 v100, v[126:127]
	v_cvt_f32_f64_e32 v123, v[124:125]
	v_add_f64 v[124:125], v[94:95], v[54:55]
	v_add_f64 v[126:127], v[92:93], v[52:53]
	;; [unrolled: 5-line block ×3, first 2 shown]
	v_min3_f32 v161, v129, v130, s18
	v_min3_f32 v130, v100, v123, s18
	v_cvt_f32_f64_e32 v100, v[126:127]
	v_cvt_f32_f64_e32 v123, v[124:125]
	v_add_f64 v[124:125], v[14:15], v[50:51]
	v_add_f64 v[126:127], v[12:13], v[48:49]
	v_min3_f32 v146, v131, v132, s18
	v_min3_f32 v131, v100, v123, s18
	v_cvt_f32_f64_e32 v100, v[126:127]
	v_cvt_f32_f64_e32 v123, v[124:125]
	v_add_f64 v[124:125], v[94:95], v[50:51]
	v_add_f64 v[126:127], v[92:93], v[48:49]
	v_min3_f32 v129, v100, v123, s18
	v_cvt_f32_f64_e32 v100, v[126:127]
	v_cvt_f32_f64_e32 v123, v[124:125]
	v_add_f64 v[172:173], v[18:19], v[46:47]
	v_add_f64 v[174:175], v[16:17], v[44:45]
	;; [unrolled: 5-line block ×5, first 2 shown]
	v_cvt_f32_f64_e32 v168, v[174:175]
	v_cvt_f32_f64_e32 v171, v[172:173]
	v_add_f64 v[172:173], v[14:15], v[30:31]
	v_add_f64 v[176:177], v[12:13], v[28:29]
	v_min3_f32 v174, v168, v171, s18
	v_cvt_f32_f64_e32 v168, v[176:177]
	v_cvt_f32_f64_e32 v171, v[172:173]
	v_add_f64 v[176:177], v[94:95], v[30:31]
	v_add_f64 v[178:179], v[92:93], v[28:29]
	v_min3_f32 v173, v168, v171, s18
	;; [unrolled: 5-line block ×4, first 2 shown]
	v_cvt_f32_f64_e32 v168, v[180:181]
	v_cvt_f32_f64_e32 v175, v[176:177]
	v_add_f64 v[180:181], v[94:95], v[26:27]
	v_min3_f32 v177, v168, v175, s18
	v_add_f64 v[182:183], v[92:93], v[24:25]
	v_cvt_f32_f64_e32 v175, v[180:181]
	v_add_f64 v[180:181], v[18:19], v[22:23]
	v_cvt_f32_f64_e32 v168, v[182:183]
	;; [unrolled: 2-line block ×3, first 2 shown]
	v_add_f64 v[180:181], v[14:15], v[22:23]
	v_add_f64 v[184:185], v[12:13], v[20:21]
	;; [unrolled: 1-line block ×6, first 2 shown]
	v_cvt_f32_f64_e32 v16, v[16:17]
	v_cvt_f32_f64_e32 v17, v[18:19]
	;; [unrolled: 1-line block ×4, first 2 shown]
	v_min3_f32 v16, v16, v17, s18
	v_min3_f32 v17, v12, v13, s18
	v_add_f64 v[12:13], v[94:95], v[10:11]
	v_add_f64 v[14:15], v[92:93], v[8:9]
	v_cvt_f32_f64_e32 v14, v[14:15]
	v_cvt_f32_f64_e32 v12, v[12:13]
	v_add_f64 v[10:11], v[98:99], v[10:11]
	v_add_f64 v[8:9], v[96:97], v[8:9]
	v_min3_f32 v14, v14, v12, s18
	v_cvt_f32_f64_e32 v8, v[8:9]
	v_cvt_f32_f64_e32 v9, v[10:11]
	v_add_f64 v[10:11], v[2:3], v[6:7]
	v_add_f64 v[12:13], v[0:1], v[4:5]
	v_min3_f32 v8, v8, v9, s18
	v_cvt_f32_f64_e32 v9, v[12:13]
	v_cvt_f32_f64_e32 v10, v[10:11]
	v_min3_f32 v122, v9, v10, v122
	v_add_f64 v[10:11], v[42:43], v[6:7]
	v_add_f64 v[12:13], v[40:41], v[4:5]
	v_cvt_f32_f64_e32 v9, v[12:13]
	v_cvt_f32_f64_e32 v10, v[10:11]
	v_min3_f32 v165, v9, v10, v165
	v_add_f64 v[10:11], v[38:39], v[6:7]
	v_add_f64 v[12:13], v[36:37], v[4:5]
	;; [unrolled: 1-line block ×4, first 2 shown]
	v_cvt_f32_f64_e32 v4, v[4:5]
	v_cvt_f32_f64_e32 v5, v[6:7]
	v_min3_f32 v235, v4, v5, v158
	s_waitcnt lgkmcnt(0)
	v_add_f64 v[4:5], v[2:3], v[90:91]
	v_add_f64 v[6:7], v[0:1], v[88:89]
	v_cvt_f32_f64_e32 v6, v[6:7]
	v_cvt_f32_f64_e32 v4, v[4:5]
	v_cvt_f32_f64_e32 v86, v[86:87]
	v_cvt_f32_f64_e32 v84, v[84:85]
	v_min3_f32 v236, v6, v4, v149
	v_add_f64 v[4:5], v[42:43], v[90:91]
	v_add_f64 v[6:7], v[40:41], v[88:89]
	v_min3_f32 v143, v86, v84, s18
	ds_read_b128 v[84:87], v164 offset:8720
	v_cvt_f32_f64_e32 v6, v[6:7]
	v_cvt_f32_f64_e32 v4, v[4:5]
	v_min3_f32 v233, v6, v4, v146
	v_add_f64 v[4:5], v[38:39], v[90:91]
	v_add_f64 v[6:7], v[36:37], v[88:89]
	v_cvt_f32_f64_e32 v6, v[6:7]
	v_cvt_f32_f64_e32 v4, v[4:5]
	v_add_f64 v[82:83], v[98:99], v[82:83]
	v_add_f64 v[80:81], v[96:97], v[80:81]
	v_min3_f32 v234, v6, v4, v142
	v_add_f64 v[4:5], v[34:35], v[90:91]
	v_add_f64 v[6:7], v[32:33], v[88:89]
	v_cvt_f32_f64_e32 v80, v[80:81]
	v_cvt_f32_f64_e32 v81, v[82:83]
	v_cvt_f32_f64_e32 v6, v[6:7]
	v_cvt_f32_f64_e32 v4, v[4:5]
	v_min3_f32 v155, v80, v81, s18
	ds_read_b128 v[80:83], v164 offset:8976
	v_min3_f32 v231, v6, v4, v143
	s_waitcnt lgkmcnt(1)
	v_add_f64 v[4:5], v[2:3], v[86:87]
	v_add_f64 v[6:7], v[0:1], v[84:85]
	v_cvt_f32_f64_e32 v6, v[6:7]
	v_cvt_f32_f64_e32 v4, v[4:5]
	v_min3_f32 v232, v6, v4, v152
	v_add_f64 v[4:5], v[42:43], v[86:87]
	v_add_f64 v[6:7], v[40:41], v[84:85]
	v_cvt_f32_f64_e32 v6, v[6:7]
	v_cvt_f32_f64_e32 v4, v[4:5]
	v_min3_f32 v229, v6, v4, v153
	v_add_f64 v[4:5], v[38:39], v[86:87]
	v_add_f64 v[6:7], v[36:37], v[84:85]
	v_cvt_f32_f64_e32 v6, v[6:7]
	v_cvt_f32_f64_e32 v4, v[4:5]
	v_min3_f32 v230, v6, v4, v154
	v_add_f64 v[4:5], v[34:35], v[86:87]
	v_add_f64 v[6:7], v[32:33], v[84:85]
	v_cvt_f32_f64_e32 v6, v[6:7]
	v_cvt_f32_f64_e32 v4, v[4:5]
	v_min3_f32 v227, v6, v4, v155
	s_waitcnt lgkmcnt(0)
	v_add_f64 v[4:5], v[2:3], v[82:83]
	v_add_f64 v[6:7], v[0:1], v[80:81]
	v_add_f64 v[78:79], v[98:99], v[78:79]
	v_add_f64 v[76:77], v[96:97], v[76:77]
	v_cvt_f32_f64_e32 v6, v[6:7]
	v_cvt_f32_f64_e32 v4, v[4:5]
	v_cvt_f32_f64_e32 v76, v[76:77]
	v_cvt_f32_f64_e32 v77, v[78:79]
	v_min3_f32 v228, v6, v4, v166
	v_add_f64 v[4:5], v[42:43], v[82:83]
	v_add_f64 v[6:7], v[40:41], v[80:81]
	v_min3_f32 v162, v76, v77, s18
	ds_read_b128 v[76:79], v164 offset:9232
	v_cvt_f32_f64_e32 v6, v[6:7]
	v_cvt_f32_f64_e32 v4, v[4:5]
	v_min3_f32 v225, v6, v4, v167
	v_add_f64 v[4:5], v[38:39], v[82:83]
	v_add_f64 v[6:7], v[36:37], v[80:81]
	v_cvt_f32_f64_e32 v6, v[6:7]
	v_cvt_f32_f64_e32 v4, v[4:5]
	v_add_f64 v[74:75], v[98:99], v[74:75]
	v_add_f64 v[72:73], v[96:97], v[72:73]
	v_min3_f32 v226, v6, v4, v169
	v_add_f64 v[4:5], v[34:35], v[82:83]
	v_add_f64 v[6:7], v[32:33], v[80:81]
	v_cvt_f32_f64_e32 v72, v[72:73]
	v_cvt_f32_f64_e32 v73, v[74:75]
	v_cvt_f32_f64_e32 v6, v[6:7]
	v_cvt_f32_f64_e32 v4, v[4:5]
	v_min3_f32 v156, v72, v73, s18
	ds_read_b128 v[72:75], v164 offset:9488
	v_min3_f32 v223, v6, v4, v162
	s_waitcnt lgkmcnt(1)
	v_add_f64 v[4:5], v[2:3], v[78:79]
	v_add_f64 v[6:7], v[0:1], v[76:77]
	v_cvt_f32_f64_e32 v6, v[6:7]
	v_cvt_f32_f64_e32 v4, v[4:5]
	v_min3_f32 v224, v6, v4, v170
	v_add_f64 v[4:5], v[42:43], v[78:79]
	v_add_f64 v[6:7], v[40:41], v[76:77]
	v_cvt_f32_f64_e32 v6, v[6:7]
	v_cvt_f32_f64_e32 v4, v[4:5]
	v_min3_f32 v221, v6, v4, v163
	v_add_f64 v[4:5], v[38:39], v[78:79]
	v_add_f64 v[6:7], v[36:37], v[76:77]
	v_cvt_f32_f64_e32 v6, v[6:7]
	v_cvt_f32_f64_e32 v4, v[4:5]
	v_min3_f32 v222, v6, v4, v159
	v_add_f64 v[4:5], v[34:35], v[78:79]
	v_add_f64 v[6:7], v[32:33], v[76:77]
	v_cvt_f32_f64_e32 v6, v[6:7]
	v_cvt_f32_f64_e32 v4, v[4:5]
	v_min3_f32 v219, v6, v4, v156
	s_waitcnt lgkmcnt(0)
	v_add_f64 v[4:5], v[2:3], v[74:75]
	v_add_f64 v[6:7], v[0:1], v[72:73]
	;; [unrolled: 54-line block ×5, first 2 shown]
	v_add_f64 v[46:47], v[98:99], v[46:47]
	v_add_f64 v[44:45], v[96:97], v[44:45]
	v_cvt_f32_f64_e32 v6, v[6:7]
	v_cvt_f32_f64_e32 v4, v[4:5]
	;; [unrolled: 1-line block ×4, first 2 shown]
	v_min3_f32 v195, v6, v4, v127
	v_add_f64 v[4:5], v[42:43], v[50:51]
	v_add_f64 v[6:7], v[40:41], v[48:49]
	v_min3_f32 v123, v100, v123, s18
	v_min3_f32 v100, v44, v45, s18
	ds_read_b128 v[44:47], v164 offset:11280
	v_cvt_f32_f64_e32 v6, v[6:7]
	v_cvt_f32_f64_e32 v4, v[4:5]
	v_min3_f32 v192, v6, v4, v125
	v_add_f64 v[4:5], v[38:39], v[50:51]
	v_add_f64 v[6:7], v[36:37], v[48:49]
	v_cvt_f32_f64_e32 v6, v[6:7]
	v_cvt_f32_f64_e32 v4, v[4:5]
	v_add_f64 v[30:31], v[98:99], v[30:31]
	v_add_f64 v[28:29], v[96:97], v[28:29]
	v_min3_f32 v193, v6, v4, v123
	v_add_f64 v[4:5], v[34:35], v[50:51]
	v_add_f64 v[6:7], v[32:33], v[48:49]
	v_cvt_f32_f64_e32 v28, v[28:29]
	v_cvt_f32_f64_e32 v29, v[30:31]
	;; [unrolled: 1-line block ×4, first 2 shown]
	v_min3_f32 v171, v28, v29, s18
	ds_read_b128 v[28:31], v164 offset:11536
	v_min3_f32 v190, v6, v4, v100
	s_waitcnt lgkmcnt(1)
	v_add_f64 v[4:5], v[2:3], v[46:47]
	v_add_f64 v[6:7], v[0:1], v[44:45]
	v_cvt_f32_f64_e32 v6, v[6:7]
	v_cvt_f32_f64_e32 v4, v[4:5]
	v_min3_f32 v191, v6, v4, v174
	v_add_f64 v[4:5], v[42:43], v[46:47]
	v_add_f64 v[6:7], v[40:41], v[44:45]
	v_cvt_f32_f64_e32 v6, v[6:7]
	v_cvt_f32_f64_e32 v4, v[4:5]
	v_min3_f32 v188, v6, v4, v173
	;; [unrolled: 5-line block ×3, first 2 shown]
	v_cvt_f32_f64_e32 v168, v[182:183]
	v_min3_f32 v189, v6, v4, v172
	v_add_f64 v[4:5], v[34:35], v[46:47]
	v_add_f64 v[6:7], v[32:33], v[44:45]
	v_min3_f32 v183, v168, v179, s18
	v_cvt_f32_f64_e32 v168, v[184:185]
	v_cvt_f32_f64_e32 v179, v[180:181]
	v_add_f64 v[186:187], v[92:93], v[20:21]
	v_cvt_f32_f64_e32 v6, v[6:7]
	v_cvt_f32_f64_e32 v4, v[4:5]
	v_min3_f32 v180, v168, v179, s18
	v_cvt_f32_f64_e32 v168, v[186:187]
	v_min3_f32 v186, v6, v4, v171
	s_waitcnt lgkmcnt(0)
	v_add_f64 v[4:5], v[2:3], v[30:31]
	v_add_f64 v[6:7], v[0:1], v[28:29]
	;; [unrolled: 1-line block ×4, first 2 shown]
	v_cvt_f32_f64_e32 v6, v[6:7]
	v_cvt_f32_f64_e32 v4, v[4:5]
	;; [unrolled: 1-line block ×4, first 2 shown]
	v_min3_f32 v187, v6, v4, v178
	v_add_f64 v[4:5], v[42:43], v[30:31]
	v_add_f64 v[6:7], v[40:41], v[28:29]
	v_min3_f32 v175, v24, v25, s18
	ds_read_b128 v[24:27], v164 offset:11792
	v_add_f64 v[184:185], v[94:95], v[22:23]
	v_cvt_f32_f64_e32 v6, v[6:7]
	v_cvt_f32_f64_e32 v4, v[4:5]
	;; [unrolled: 1-line block ×3, first 2 shown]
	v_min3_f32 v184, v6, v4, v177
	v_add_f64 v[4:5], v[38:39], v[30:31]
	v_add_f64 v[6:7], v[36:37], v[28:29]
	v_cvt_f32_f64_e32 v6, v[6:7]
	v_cvt_f32_f64_e32 v4, v[4:5]
	v_add_f64 v[22:23], v[98:99], v[22:23]
	v_add_f64 v[20:21], v[96:97], v[20:21]
	v_min3_f32 v185, v6, v4, v176
	v_add_f64 v[4:5], v[34:35], v[30:31]
	v_add_f64 v[6:7], v[32:33], v[28:29]
	v_cvt_f32_f64_e32 v20, v[20:21]
	v_cvt_f32_f64_e32 v21, v[22:23]
	;; [unrolled: 1-line block ×4, first 2 shown]
	v_min3_f32 v181, v168, v179, s18
	v_min3_f32 v179, v20, v21, s18
	ds_read_b128 v[20:23], v164 offset:12048
	v_min3_f32 v182, v6, v4, v175
	s_waitcnt lgkmcnt(1)
	v_add_f64 v[4:5], v[2:3], v[26:27]
	v_add_f64 v[6:7], v[0:1], v[24:25]
	v_cvt_f32_f64_e32 v6, v[6:7]
	v_cvt_f32_f64_e32 v4, v[4:5]
	v_min3_f32 v183, v6, v4, v183
	v_add_f64 v[4:5], v[42:43], v[26:27]
	v_add_f64 v[6:7], v[40:41], v[24:25]
	v_cvt_f32_f64_e32 v6, v[6:7]
	v_cvt_f32_f64_e32 v4, v[4:5]
	v_min3_f32 v180, v6, v4, v180
	v_add_f64 v[4:5], v[38:39], v[26:27]
	v_add_f64 v[6:7], v[36:37], v[24:25]
	v_cvt_f32_f64_e32 v6, v[6:7]
	v_cvt_f32_f64_e32 v4, v[4:5]
	v_min3_f32 v181, v6, v4, v181
	v_add_f64 v[4:5], v[34:35], v[26:27]
	v_add_f64 v[6:7], v[32:33], v[24:25]
	s_waitcnt lgkmcnt(0)
	v_add_f64 v[2:3], v[2:3], v[22:23]
	v_add_f64 v[0:1], v[0:1], v[20:21]
	v_cvt_f32_f64_e32 v6, v[6:7]
	v_cvt_f32_f64_e32 v4, v[4:5]
	;; [unrolled: 1-line block ×4, first 2 shown]
	v_min3_f32 v178, v6, v4, v179
	v_min3_f32 v179, v0, v1, v16
	v_add_f64 v[0:1], v[42:43], v[22:23]
	v_add_f64 v[2:3], v[40:41], v[20:21]
	v_cvt_f32_f64_e32 v2, v[2:3]
	v_cvt_f32_f64_e32 v0, v[0:1]
	v_min3_f32 v176, v2, v0, v17
	v_add_f64 v[0:1], v[38:39], v[22:23]
	v_add_f64 v[2:3], v[36:37], v[20:21]
	v_cvt_f32_f64_e32 v2, v[2:3]
	v_cvt_f32_f64_e32 v0, v[0:1]
	;; [unrolled: 5-line block ×3, first 2 shown]
	v_cvt_f32_f64_e32 v2, v[2:3]
	v_cvt_f32_f64_e32 v0, v[0:1]
	v_min3_f32 v168, v9, v10, v161
	v_min3_f32 v218, v2, v0, v8
	s_waitcnt vmcnt(0)
	ds_write2st64_b64 v121, v[116:117], v[114:115] offset0:8 offset1:12
	ds_write2st64_b64 v121, v[112:113], v[110:111] offset0:24 offset1:28
	s_waitcnt lgkmcnt(0)
	s_barrier
	s_cbranch_scc1 .LBB163_11
; %bb.9:
	v_mov_b32_e32 v0, 0x1000
	v_lshl_add_u32 v114, v118, 5, v0
	v_mov_b32_e32 v0, 0x3000
	v_lshl_add_u32 v115, v119, 5, v0
	v_and_b32_e32 v0, 3, v118
	v_add_u32_e32 v110, 0x2000, v121
	v_add_u32_e32 v111, 0x2000, v164
	;; [unrolled: 1-line block ×4, first 2 shown]
	s_add_i32 s9, s9, -8
	v_lshlrev_b32_e32 v100, 3, v0
	v_lshl_add_u64 v[80:81], v[106:107], 3, s[16:17]
	v_lshl_add_u64 v[82:83], v[108:109], 3, s[16:17]
	;; [unrolled: 1-line block ×4, first 2 shown]
	s_mov_b32 s14, 0
.LBB163_10:                             ; =>This Inner Loop Header: Depth=1
	v_lshl_add_u64 v[88:89], v[84:85], 0, v[100:101]
	v_lshl_add_u64 v[96:97], v[86:87], 0, v[100:101]
	;; [unrolled: 1-line block ×4, first 2 shown]
	global_load_dwordx2 v[94:95], v[88:89], off offset:64
	global_load_dwordx2 v[104:105], v[96:97], off offset:64
	global_load_dwordx2 v[90:91], v[98:99], off offset:64
	global_load_dwordx2 v[92:93], v[102:103], off offset:64
	ds_read_b128 v[12:15], v114 offset:1024
	ds_read_b128 v[8:11], v114 offset:2048
	;; [unrolled: 1-line block ×18, first 2 shown]
	ds_read_b128 v[124:127], v115
	ds_read_b128 v[16:19], v115 offset:16
	ds_read_b128 v[56:59], v114
	ds_read_b128 v[0:3], v114 offset:16
	s_add_i32 s14, s14, 8
	v_lshl_add_u64 v[80:81], v[80:81], 0, 64
	v_lshl_add_u64 v[82:83], v[82:83], 0, 64
	s_waitcnt lgkmcnt(1)
	v_add_f64 v[116:117], v[58:59], v[126:127]
	v_add_f64 v[128:129], v[56:57], v[124:125]
	v_cvt_f32_f64_e32 v123, v[128:129]
	v_cvt_f32_f64_e32 v116, v[116:117]
	v_min3_f32 v240, v123, v116, v122
	v_add_f64 v[116:117], v[14:15], v[126:127]
	v_add_f64 v[122:123], v[12:13], v[124:125]
	v_cvt_f32_f64_e32 v122, v[122:123]
	v_cvt_f32_f64_e32 v116, v[116:117]
	v_min3_f32 v239, v122, v116, v165
	;; [unrolled: 5-line block ×6, first 2 shown]
	v_add_f64 v[116:117], v[10:11], v[74:75]
	v_add_f64 v[122:123], v[8:9], v[72:73]
	v_add_f64 v[74:75], v[6:7], v[74:75]
	v_add_f64 v[72:73], v[4:5], v[72:73]
	v_cvt_f32_f64_e32 v72, v[72:73]
	v_cvt_f32_f64_e32 v73, v[74:75]
	v_min3_f32 v173, v72, v73, v231
	v_add_f64 v[72:73], v[58:59], v[78:79]
	v_add_f64 v[74:75], v[56:57], v[76:77]
	v_cvt_f32_f64_e32 v74, v[74:75]
	v_cvt_f32_f64_e32 v72, v[72:73]
	v_min3_f32 v172, v74, v72, v232
	v_add_f64 v[72:73], v[14:15], v[78:79]
	v_add_f64 v[74:75], v[12:13], v[76:77]
	;; [unrolled: 5-line block ×11, first 2 shown]
	v_add_f64 v[70:71], v[6:7], v[70:71]
	v_add_f64 v[68:69], v[4:5], v[68:69]
	v_cvt_f32_f64_e32 v68, v[68:69]
	v_cvt_f32_f64_e32 v69, v[70:71]
	v_min3_f32 v160, v68, v69, v219
	v_add_f64 v[68:69], v[58:59], v[66:67]
	v_add_f64 v[70:71], v[56:57], v[64:65]
	v_cvt_f32_f64_e32 v70, v[70:71]
	v_cvt_f32_f64_e32 v68, v[68:69]
	v_min3_f32 v159, v70, v68, v220
	v_add_f64 v[68:69], v[14:15], v[66:67]
	v_add_f64 v[70:71], v[12:13], v[64:65]
	v_cvt_f32_f64_e32 v70, v[70:71]
	v_cvt_f32_f64_e32 v68, v[68:69]
	v_min3_f32 v158, v70, v68, v216
	v_add_f64 v[68:69], v[10:11], v[66:67]
	v_add_f64 v[70:71], v[8:9], v[64:65]
	v_add_f64 v[66:67], v[6:7], v[66:67]
	v_add_f64 v[64:65], v[4:5], v[64:65]
	v_cvt_f32_f64_e32 v64, v[64:65]
	v_cvt_f32_f64_e32 v65, v[66:67]
	v_min3_f32 v156, v64, v65, v214
	v_add_f64 v[64:65], v[58:59], v[62:63]
	v_add_f64 v[66:67], v[56:57], v[60:61]
	v_cvt_f32_f64_e32 v66, v[66:67]
	v_cvt_f32_f64_e32 v64, v[64:65]
	v_min3_f32 v155, v66, v64, v215
	v_add_f64 v[64:65], v[14:15], v[62:63]
	v_add_f64 v[66:67], v[12:13], v[60:61]
	v_cvt_f32_f64_e32 v66, v[66:67]
	v_cvt_f32_f64_e32 v64, v[64:65]
	v_min3_f32 v154, v66, v64, v212
	v_add_f64 v[64:65], v[10:11], v[62:63]
	v_add_f64 v[66:67], v[8:9], v[60:61]
	;; [unrolled: 17-line block ×9, first 2 shown]
	v_add_f64 v[30:31], v[6:7], v[30:31]
	v_add_f64 v[28:29], v[4:5], v[28:29]
	v_cvt_f32_f64_e32 v28, v[28:29]
	v_cvt_f32_f64_e32 v29, v[30:31]
	v_min3_f32 v124, v28, v29, v182
	v_add_f64 v[28:29], v[58:59], v[26:27]
	v_add_f64 v[30:31], v[56:57], v[24:25]
	v_cvt_f32_f64_e32 v30, v[30:31]
	v_cvt_f32_f64_e32 v28, v[28:29]
	;; [unrolled: 1-line block ×3, first 2 shown]
	v_min3_f32 v123, v30, v28, v183
	v_add_f64 v[28:29], v[14:15], v[26:27]
	v_add_f64 v[30:31], v[12:13], v[24:25]
	v_cvt_f32_f64_e32 v116, v[116:117]
	v_cvt_f32_f64_e32 v30, v[30:31]
	v_cvt_f32_f64_e32 v28, v[28:29]
	v_min3_f32 v174, v122, v116, v234
	v_min3_f32 v122, v30, v28, v180
	v_add_f64 v[28:29], v[10:11], v[26:27]
	v_add_f64 v[30:31], v[8:9], v[24:25]
	;; [unrolled: 1-line block ×4, first 2 shown]
	v_cvt_f32_f64_e32 v24, v[24:25]
	v_cvt_f32_f64_e32 v25, v[26:27]
	v_min3_f32 v116, v24, v25, v178
	v_add_f64 v[24:25], v[58:59], v[22:23]
	v_add_f64 v[26:27], v[56:57], v[20:21]
	;; [unrolled: 1-line block ×6, first 2 shown]
	v_cvt_f32_f64_e32 v26, v[26:27]
	v_cvt_f32_f64_e32 v24, v[24:25]
	;; [unrolled: 1-line block ×6, first 2 shown]
	v_min3_f32 v109, v26, v24, v179
	v_min3_f32 v108, v12, v13, v176
	;; [unrolled: 1-line block ×3, first 2 shown]
	v_add_f64 v[6:7], v[6:7], v[22:23]
	v_add_f64 v[4:5], v[4:5], v[20:21]
	s_waitcnt lgkmcnt(0)
	v_add_f64 v[176:177], v[2:3], v[18:19]
	v_add_f64 v[178:179], v[0:1], v[16:17]
	v_cvt_f32_f64_e32 v74, v[74:75]
	v_cvt_f32_f64_e32 v72, v[72:73]
	;; [unrolled: 1-line block ×26, first 2 shown]
	v_min3_f32 v161, v74, v72, v222
	v_min3_f32 v157, v70, v68, v217
	;; [unrolled: 1-line block ×12, first 2 shown]
	ds_read_b128 v[12:15], v114 offset:1040
	ds_read_b128 v[8:11], v114 offset:2064
	;; [unrolled: 1-line block ×18, first 2 shown]
	v_min3_f32 v176, v178, v176, v240
	s_waitcnt lgkmcnt(14)
	v_add_f64 v[178:179], v[14:15], v[18:19]
	v_add_f64 v[180:181], v[12:13], v[16:17]
	v_cvt_f32_f64_e32 v177, v[180:181]
	v_cvt_f32_f64_e32 v178, v[178:179]
	v_min3_f32 v177, v177, v178, v239
	v_add_f64 v[178:179], v[10:11], v[18:19]
	v_add_f64 v[180:181], v[8:9], v[16:17]
	;; [unrolled: 1-line block ×4, first 2 shown]
	v_cvt_f32_f64_e32 v16, v[16:17]
	v_cvt_f32_f64_e32 v17, v[18:19]
	v_cvt_f32_f64_e32 v178, v[178:179]
	v_min3_f32 v179, v16, v17, v237
	v_add_f64 v[16:17], v[2:3], v[78:79]
	v_add_f64 v[18:19], v[0:1], v[76:77]
	v_cvt_f32_f64_e32 v180, v[180:181]
	v_cvt_f32_f64_e32 v18, v[18:19]
	;; [unrolled: 1-line block ×3, first 2 shown]
	v_min3_f32 v178, v180, v178, v238
	v_min3_f32 v180, v18, v16, v235
	v_add_f64 v[16:17], v[14:15], v[78:79]
	v_add_f64 v[18:19], v[12:13], v[76:77]
	v_cvt_f32_f64_e32 v18, v[18:19]
	v_cvt_f32_f64_e32 v16, v[16:17]
	v_min3_f32 v175, v18, v16, v175
	v_add_f64 v[16:17], v[10:11], v[78:79]
	v_add_f64 v[18:19], v[8:9], v[76:77]
	v_cvt_f32_f64_e32 v18, v[18:19]
	v_cvt_f32_f64_e32 v16, v[16:17]
	v_min3_f32 v174, v18, v16, v174
	v_add_f64 v[16:17], v[6:7], v[78:79]
	v_add_f64 v[18:19], v[4:5], v[76:77]
	v_cvt_f32_f64_e32 v18, v[18:19]
	v_cvt_f32_f64_e32 v16, v[16:17]
	v_min3_f32 v76, v18, v16, v173
	s_waitcnt lgkmcnt(13)
	v_add_f64 v[16:17], v[2:3], v[74:75]
	v_add_f64 v[18:19], v[0:1], v[72:73]
	v_cvt_f32_f64_e32 v18, v[18:19]
	v_cvt_f32_f64_e32 v16, v[16:17]
	v_min3_f32 v77, v18, v16, v172
	v_add_f64 v[16:17], v[14:15], v[74:75]
	v_add_f64 v[18:19], v[12:13], v[72:73]
	v_cvt_f32_f64_e32 v18, v[18:19]
	v_cvt_f32_f64_e32 v16, v[16:17]
	v_min3_f32 v78, v18, v16, v171
	v_add_f64 v[16:17], v[10:11], v[74:75]
	v_add_f64 v[18:19], v[8:9], v[72:73]
	v_cvt_f32_f64_e32 v18, v[18:19]
	v_cvt_f32_f64_e32 v16, v[16:17]
	v_min3_f32 v79, v18, v16, v170
	v_add_f64 v[16:17], v[6:7], v[74:75]
	v_add_f64 v[18:19], v[4:5], v[72:73]
	v_cvt_f32_f64_e32 v18, v[18:19]
	v_cvt_f32_f64_e32 v16, v[16:17]
	v_min3_f32 v72, v18, v16, v169
	s_waitcnt lgkmcnt(12)
	v_add_f64 v[16:17], v[2:3], v[70:71]
	v_add_f64 v[18:19], v[0:1], v[68:69]
	v_cvt_f32_f64_e32 v18, v[18:19]
	v_cvt_f32_f64_e32 v16, v[16:17]
	v_min3_f32 v73, v18, v16, v168
	v_add_f64 v[16:17], v[14:15], v[70:71]
	v_add_f64 v[18:19], v[12:13], v[68:69]
	v_cvt_f32_f64_e32 v18, v[18:19]
	v_cvt_f32_f64_e32 v16, v[16:17]
	v_min3_f32 v74, v18, v16, v167
	v_add_f64 v[16:17], v[10:11], v[70:71]
	v_add_f64 v[18:19], v[8:9], v[68:69]
	v_cvt_f32_f64_e32 v18, v[18:19]
	v_cvt_f32_f64_e32 v16, v[16:17]
	v_min3_f32 v75, v18, v16, v166
	v_add_f64 v[16:17], v[6:7], v[70:71]
	v_add_f64 v[18:19], v[4:5], v[68:69]
	v_cvt_f32_f64_e32 v18, v[18:19]
	v_cvt_f32_f64_e32 v16, v[16:17]
	v_min3_f32 v68, v18, v16, v165
	s_waitcnt lgkmcnt(11)
	v_add_f64 v[16:17], v[2:3], v[66:67]
	v_add_f64 v[18:19], v[0:1], v[64:65]
	v_cvt_f32_f64_e32 v18, v[18:19]
	v_cvt_f32_f64_e32 v16, v[16:17]
	v_min3_f32 v69, v18, v16, v163
	v_add_f64 v[16:17], v[14:15], v[66:67]
	v_add_f64 v[18:19], v[12:13], v[64:65]
	v_cvt_f32_f64_e32 v18, v[18:19]
	v_cvt_f32_f64_e32 v16, v[16:17]
	v_min3_f32 v70, v18, v16, v162
	v_add_f64 v[16:17], v[10:11], v[66:67]
	v_add_f64 v[18:19], v[8:9], v[64:65]
	v_cvt_f32_f64_e32 v18, v[18:19]
	v_cvt_f32_f64_e32 v16, v[16:17]
	v_min3_f32 v71, v18, v16, v161
	v_add_f64 v[16:17], v[6:7], v[66:67]
	v_add_f64 v[18:19], v[4:5], v[64:65]
	v_cvt_f32_f64_e32 v18, v[18:19]
	v_cvt_f32_f64_e32 v16, v[16:17]
	v_min3_f32 v64, v18, v16, v160
	s_waitcnt lgkmcnt(10)
	v_add_f64 v[16:17], v[2:3], v[62:63]
	v_add_f64 v[18:19], v[0:1], v[60:61]
	v_cvt_f32_f64_e32 v18, v[18:19]
	v_cvt_f32_f64_e32 v16, v[16:17]
	v_min3_f32 v65, v18, v16, v159
	v_add_f64 v[16:17], v[14:15], v[62:63]
	v_add_f64 v[18:19], v[12:13], v[60:61]
	v_cvt_f32_f64_e32 v18, v[18:19]
	v_cvt_f32_f64_e32 v16, v[16:17]
	v_min3_f32 v66, v18, v16, v158
	v_add_f64 v[16:17], v[10:11], v[62:63]
	v_add_f64 v[18:19], v[8:9], v[60:61]
	v_cvt_f32_f64_e32 v18, v[18:19]
	v_cvt_f32_f64_e32 v16, v[16:17]
	v_min3_f32 v67, v18, v16, v157
	v_add_f64 v[16:17], v[6:7], v[62:63]
	v_add_f64 v[18:19], v[4:5], v[60:61]
	v_cvt_f32_f64_e32 v18, v[18:19]
	v_cvt_f32_f64_e32 v16, v[16:17]
	v_min3_f32 v60, v18, v16, v156
	s_waitcnt lgkmcnt(9)
	v_add_f64 v[16:17], v[2:3], v[58:59]
	v_add_f64 v[18:19], v[0:1], v[56:57]
	v_cvt_f32_f64_e32 v18, v[18:19]
	v_cvt_f32_f64_e32 v16, v[16:17]
	v_min3_f32 v61, v18, v16, v155
	v_add_f64 v[16:17], v[14:15], v[58:59]
	v_add_f64 v[18:19], v[12:13], v[56:57]
	v_cvt_f32_f64_e32 v18, v[18:19]
	v_cvt_f32_f64_e32 v16, v[16:17]
	v_min3_f32 v62, v18, v16, v154
	v_add_f64 v[16:17], v[10:11], v[58:59]
	v_add_f64 v[18:19], v[8:9], v[56:57]
	v_cvt_f32_f64_e32 v18, v[18:19]
	v_cvt_f32_f64_e32 v16, v[16:17]
	v_min3_f32 v63, v18, v16, v153
	v_add_f64 v[16:17], v[6:7], v[58:59]
	v_add_f64 v[18:19], v[4:5], v[56:57]
	v_cvt_f32_f64_e32 v18, v[18:19]
	v_cvt_f32_f64_e32 v16, v[16:17]
	v_min3_f32 v56, v18, v16, v152
	s_waitcnt lgkmcnt(8)
	v_add_f64 v[16:17], v[2:3], v[54:55]
	v_add_f64 v[18:19], v[0:1], v[52:53]
	v_cvt_f32_f64_e32 v18, v[18:19]
	v_cvt_f32_f64_e32 v16, v[16:17]
	v_min3_f32 v57, v18, v16, v151
	v_add_f64 v[16:17], v[14:15], v[54:55]
	v_add_f64 v[18:19], v[12:13], v[52:53]
	v_cvt_f32_f64_e32 v18, v[18:19]
	v_cvt_f32_f64_e32 v16, v[16:17]
	v_min3_f32 v58, v18, v16, v150
	v_add_f64 v[16:17], v[10:11], v[54:55]
	v_add_f64 v[18:19], v[8:9], v[52:53]
	v_cvt_f32_f64_e32 v18, v[18:19]
	v_cvt_f32_f64_e32 v16, v[16:17]
	v_min3_f32 v59, v18, v16, v149
	v_add_f64 v[16:17], v[6:7], v[54:55]
	v_add_f64 v[18:19], v[4:5], v[52:53]
	v_cvt_f32_f64_e32 v18, v[18:19]
	v_cvt_f32_f64_e32 v16, v[16:17]
	v_min3_f32 v173, v18, v16, v148
	s_waitcnt lgkmcnt(7)
	v_add_f64 v[16:17], v[2:3], v[50:51]
	v_add_f64 v[18:19], v[0:1], v[48:49]
	v_cvt_f32_f64_e32 v18, v[18:19]
	v_cvt_f32_f64_e32 v16, v[16:17]
	v_min3_f32 v181, v18, v16, v147
	v_add_f64 v[16:17], v[14:15], v[50:51]
	v_add_f64 v[18:19], v[12:13], v[48:49]
	v_cvt_f32_f64_e32 v18, v[18:19]
	v_cvt_f32_f64_e32 v16, v[16:17]
	v_min3_f32 v182, v18, v16, v146
	v_add_f64 v[16:17], v[10:11], v[50:51]
	v_add_f64 v[18:19], v[8:9], v[48:49]
	v_cvt_f32_f64_e32 v18, v[18:19]
	v_cvt_f32_f64_e32 v16, v[16:17]
	v_min3_f32 v183, v18, v16, v145
	v_add_f64 v[16:17], v[6:7], v[50:51]
	v_add_f64 v[18:19], v[4:5], v[48:49]
	v_cvt_f32_f64_e32 v18, v[18:19]
	v_cvt_f32_f64_e32 v16, v[16:17]
	v_min3_f32 v184, v18, v16, v144
	s_waitcnt lgkmcnt(6)
	v_add_f64 v[16:17], v[2:3], v[46:47]
	v_add_f64 v[18:19], v[0:1], v[44:45]
	v_cvt_f32_f64_e32 v18, v[18:19]
	v_cvt_f32_f64_e32 v16, v[16:17]
	v_min3_f32 v185, v18, v16, v143
	v_add_f64 v[16:17], v[14:15], v[46:47]
	v_add_f64 v[18:19], v[12:13], v[44:45]
	v_cvt_f32_f64_e32 v18, v[18:19]
	v_cvt_f32_f64_e32 v16, v[16:17]
	v_min3_f32 v186, v18, v16, v142
	v_add_f64 v[16:17], v[10:11], v[46:47]
	v_add_f64 v[18:19], v[8:9], v[44:45]
	v_cvt_f32_f64_e32 v18, v[18:19]
	v_cvt_f32_f64_e32 v16, v[16:17]
	v_min3_f32 v187, v18, v16, v141
	v_add_f64 v[16:17], v[6:7], v[46:47]
	v_add_f64 v[18:19], v[4:5], v[44:45]
	v_cvt_f32_f64_e32 v18, v[18:19]
	v_cvt_f32_f64_e32 v16, v[16:17]
	v_min3_f32 v188, v18, v16, v140
	s_waitcnt lgkmcnt(5)
	v_add_f64 v[16:17], v[2:3], v[42:43]
	v_add_f64 v[18:19], v[0:1], v[40:41]
	v_cvt_f32_f64_e32 v18, v[18:19]
	v_cvt_f32_f64_e32 v16, v[16:17]
	v_min3_f32 v189, v18, v16, v139
	v_add_f64 v[16:17], v[14:15], v[42:43]
	v_add_f64 v[18:19], v[12:13], v[40:41]
	v_cvt_f32_f64_e32 v18, v[18:19]
	v_cvt_f32_f64_e32 v16, v[16:17]
	v_min3_f32 v190, v18, v16, v138
	v_add_f64 v[16:17], v[10:11], v[42:43]
	v_add_f64 v[18:19], v[8:9], v[40:41]
	v_cvt_f32_f64_e32 v18, v[18:19]
	v_cvt_f32_f64_e32 v16, v[16:17]
	v_min3_f32 v191, v18, v16, v137
	v_add_f64 v[16:17], v[6:7], v[42:43]
	v_add_f64 v[18:19], v[4:5], v[40:41]
	v_cvt_f32_f64_e32 v18, v[18:19]
	v_cvt_f32_f64_e32 v16, v[16:17]
	v_min3_f32 v192, v18, v16, v136
	s_waitcnt lgkmcnt(4)
	v_add_f64 v[16:17], v[2:3], v[38:39]
	v_add_f64 v[18:19], v[0:1], v[36:37]
	v_cvt_f32_f64_e32 v18, v[18:19]
	v_cvt_f32_f64_e32 v16, v[16:17]
	v_min3_f32 v193, v18, v16, v135
	v_add_f64 v[16:17], v[14:15], v[38:39]
	v_add_f64 v[18:19], v[12:13], v[36:37]
	v_cvt_f32_f64_e32 v18, v[18:19]
	v_cvt_f32_f64_e32 v16, v[16:17]
	v_min3_f32 v194, v18, v16, v134
	v_add_f64 v[16:17], v[10:11], v[38:39]
	v_add_f64 v[18:19], v[8:9], v[36:37]
	v_cvt_f32_f64_e32 v18, v[18:19]
	v_cvt_f32_f64_e32 v16, v[16:17]
	v_min3_f32 v195, v18, v16, v133
	v_add_f64 v[16:17], v[6:7], v[38:39]
	v_add_f64 v[18:19], v[4:5], v[36:37]
	v_cvt_f32_f64_e32 v18, v[18:19]
	v_cvt_f32_f64_e32 v16, v[16:17]
	v_min3_f32 v196, v18, v16, v132
	s_waitcnt lgkmcnt(3)
	v_add_f64 v[16:17], v[2:3], v[34:35]
	v_add_f64 v[18:19], v[0:1], v[32:33]
	v_cvt_f32_f64_e32 v18, v[18:19]
	v_cvt_f32_f64_e32 v16, v[16:17]
	v_min3_f32 v197, v18, v16, v131
	v_add_f64 v[16:17], v[14:15], v[34:35]
	v_add_f64 v[18:19], v[12:13], v[32:33]
	v_cvt_f32_f64_e32 v18, v[18:19]
	v_cvt_f32_f64_e32 v16, v[16:17]
	v_min3_f32 v198, v18, v16, v130
	v_add_f64 v[16:17], v[10:11], v[34:35]
	v_add_f64 v[18:19], v[8:9], v[32:33]
	v_cvt_f32_f64_e32 v18, v[18:19]
	v_cvt_f32_f64_e32 v16, v[16:17]
	v_min3_f32 v199, v18, v16, v129
	v_add_f64 v[16:17], v[6:7], v[34:35]
	v_add_f64 v[18:19], v[4:5], v[32:33]
	v_cvt_f32_f64_e32 v18, v[18:19]
	v_cvt_f32_f64_e32 v16, v[16:17]
	v_min3_f32 v200, v18, v16, v128
	s_waitcnt lgkmcnt(2)
	v_add_f64 v[16:17], v[2:3], v[30:31]
	v_add_f64 v[18:19], v[0:1], v[28:29]
	v_cvt_f32_f64_e32 v18, v[18:19]
	v_cvt_f32_f64_e32 v16, v[16:17]
	v_min3_f32 v201, v18, v16, v127
	v_add_f64 v[16:17], v[14:15], v[30:31]
	v_add_f64 v[18:19], v[12:13], v[28:29]
	v_cvt_f32_f64_e32 v18, v[18:19]
	v_cvt_f32_f64_e32 v16, v[16:17]
	v_min3_f32 v202, v18, v16, v126
	v_add_f64 v[16:17], v[10:11], v[30:31]
	v_add_f64 v[18:19], v[8:9], v[28:29]
	v_cvt_f32_f64_e32 v18, v[18:19]
	v_cvt_f32_f64_e32 v16, v[16:17]
	;; [unrolled: 5-line block ×3, first 2 shown]
	v_min3_f32 v204, v18, v16, v124
	s_waitcnt lgkmcnt(1)
	v_add_f64 v[16:17], v[2:3], v[26:27]
	v_add_f64 v[18:19], v[0:1], v[24:25]
	s_waitcnt lgkmcnt(0)
	v_add_f64 v[2:3], v[2:3], v[22:23]
	v_add_f64 v[0:1], v[0:1], v[20:21]
	v_cvt_f32_f64_e32 v18, v[18:19]
	v_cvt_f32_f64_e32 v16, v[16:17]
	v_cvt_f32_f64_e32 v0, v[0:1]
	v_cvt_f32_f64_e32 v1, v[2:3]
	v_min3_f32 v205, v18, v16, v123
	v_add_f64 v[16:17], v[14:15], v[26:27]
	v_add_f64 v[18:19], v[12:13], v[24:25]
	v_min3_f32 v209, v0, v1, v109
	v_add_f64 v[0:1], v[14:15], v[22:23]
	v_add_f64 v[2:3], v[12:13], v[20:21]
	v_cvt_f32_f64_e32 v18, v[18:19]
	v_cvt_f32_f64_e32 v16, v[16:17]
	v_cvt_f32_f64_e32 v2, v[2:3]
	v_cvt_f32_f64_e32 v0, v[0:1]
	v_min3_f32 v206, v18, v16, v122
	v_add_f64 v[16:17], v[10:11], v[26:27]
	v_add_f64 v[18:19], v[8:9], v[24:25]
	v_min3_f32 v210, v2, v0, v108
	;; [unrolled: 10-line block ×3, first 2 shown]
	v_add_f64 v[0:1], v[6:7], v[22:23]
	v_add_f64 v[2:3], v[4:5], v[20:21]
	v_cvt_f32_f64_e32 v18, v[18:19]
	v_cvt_f32_f64_e32 v16, v[16:17]
	;; [unrolled: 1-line block ×4, first 2 shown]
	v_min3_f32 v208, v18, v16, v116
	v_min3_f32 v212, v2, v0, v106
	s_waitcnt vmcnt(2)
	ds_write2st64_b64 v121, v[94:95], v[104:105] offset1:4
	s_waitcnt vmcnt(0)
	ds_write2st64_b64 v110, v[90:91], v[92:93] offset1:4
	s_waitcnt lgkmcnt(0)
	s_barrier
	global_load_dwordx2 v[88:89], v[88:89], off offset:96
	s_nop 0
	global_load_dwordx2 v[90:91], v[96:97], off offset:96
	global_load_dwordx2 v[92:93], v[98:99], off offset:96
	;; [unrolled: 1-line block ×3, first 2 shown]
	ds_read_b128 v[12:15], v120 offset:1024
	ds_read_b128 v[8:11], v120 offset:2048
	ds_read_b128 v[4:7], v120 offset:3072
	ds_read_b128 v[96:99], v111 offset:256
	ds_read_b128 v[102:105], v111 offset:512
	ds_read_b128 v[106:109], v111 offset:768
	ds_read_b128 v[124:127], v111 offset:1024
	ds_read_b128 v[128:131], v111 offset:1280
	ds_read_b128 v[132:135], v111 offset:1536
	ds_read_b128 v[136:139], v111 offset:1792
	ds_read_b128 v[52:55], v111 offset:2048
	ds_read_b128 v[48:51], v111 offset:2304
	ds_read_b128 v[44:47], v111 offset:2560
	ds_read_b128 v[40:43], v111 offset:2816
	ds_read_b128 v[36:39], v111 offset:3072
	ds_read_b128 v[32:35], v111 offset:3328
	ds_read_b128 v[28:31], v111 offset:3584
	ds_read_b128 v[16:19], v111 offset:3840
	ds_read_b128 v[20:23], v120
	ds_read_b128 v[0:3], v120 offset:16
	ds_read_b128 v[140:143], v111
	ds_read_b128 v[24:27], v111 offset:16
	v_lshl_add_u64 v[84:85], v[84:85], 0, 64
	v_lshl_add_u64 v[86:87], v[86:87], 0, 64
	s_cmp_ge_i32 s14, s9
	s_waitcnt lgkmcnt(1)
	v_add_f64 v[116:117], v[22:23], v[142:143]
	v_add_f64 v[122:123], v[20:21], v[140:141]
	v_cvt_f32_f64_e32 v122, v[122:123]
	v_cvt_f32_f64_e32 v116, v[116:117]
	v_min3_f32 v122, v122, v116, v176
	v_add_f64 v[116:117], v[14:15], v[142:143]
	v_add_f64 v[144:145], v[12:13], v[140:141]
	v_cvt_f32_f64_e32 v123, v[144:145]
	v_cvt_f32_f64_e32 v116, v[116:117]
	v_min3_f32 v165, v123, v116, v177
	;; [unrolled: 5-line block ×6, first 2 shown]
	v_add_f64 v[116:117], v[10:11], v[98:99]
	v_add_f64 v[140:141], v[8:9], v[96:97]
	;; [unrolled: 1-line block ×4, first 2 shown]
	v_cvt_f32_f64_e32 v96, v[96:97]
	v_cvt_f32_f64_e32 v97, v[98:99]
	v_min3_f32 v167, v96, v97, v76
	v_add_f64 v[96:97], v[22:23], v[104:105]
	v_add_f64 v[98:99], v[20:21], v[102:103]
	v_cvt_f32_f64_e32 v76, v[98:99]
	v_cvt_f32_f64_e32 v96, v[96:97]
	v_min3_f32 v166, v76, v96, v77
	v_add_f64 v[76:77], v[14:15], v[104:105]
	v_add_f64 v[96:97], v[12:13], v[102:103]
	v_cvt_f32_f64_e32 v96, v[96:97]
	v_cvt_f32_f64_e32 v76, v[76:77]
	v_min3_f32 v163, v96, v76, v78
	v_add_f64 v[76:77], v[10:11], v[104:105]
	v_add_f64 v[96:97], v[8:9], v[102:103]
	v_cvt_f32_f64_e32 v78, v[96:97]
	v_cvt_f32_f64_e32 v76, v[76:77]
	v_min3_f32 v162, v78, v76, v79
	v_add_f64 v[76:77], v[6:7], v[104:105]
	v_add_f64 v[78:79], v[4:5], v[102:103]
	v_cvt_f32_f64_e32 v78, v[78:79]
	v_cvt_f32_f64_e32 v76, v[76:77]
	v_min3_f32 v161, v78, v76, v72
	v_add_f64 v[76:77], v[22:23], v[108:109]
	v_add_f64 v[78:79], v[20:21], v[106:107]
	v_cvt_f32_f64_e32 v72, v[78:79]
	v_cvt_f32_f64_e32 v76, v[76:77]
	v_min3_f32 v160, v72, v76, v73
	v_add_f64 v[72:73], v[14:15], v[108:109]
	v_add_f64 v[76:77], v[12:13], v[106:107]
	v_cvt_f32_f64_e32 v76, v[76:77]
	v_cvt_f32_f64_e32 v72, v[72:73]
	v_min3_f32 v159, v76, v72, v74
	v_add_f64 v[72:73], v[10:11], v[108:109]
	v_add_f64 v[76:77], v[8:9], v[106:107]
	v_cvt_f32_f64_e32 v74, v[76:77]
	v_cvt_f32_f64_e32 v72, v[72:73]
	v_min3_f32 v158, v74, v72, v75
	v_add_f64 v[72:73], v[6:7], v[108:109]
	v_add_f64 v[74:75], v[4:5], v[106:107]
	v_cvt_f32_f64_e32 v74, v[74:75]
	v_cvt_f32_f64_e32 v72, v[72:73]
	v_min3_f32 v157, v74, v72, v68
	v_add_f64 v[72:73], v[22:23], v[126:127]
	v_add_f64 v[74:75], v[20:21], v[124:125]
	v_cvt_f32_f64_e32 v68, v[74:75]
	v_cvt_f32_f64_e32 v72, v[72:73]
	v_min3_f32 v156, v68, v72, v69
	v_add_f64 v[68:69], v[14:15], v[126:127]
	v_add_f64 v[72:73], v[12:13], v[124:125]
	v_cvt_f32_f64_e32 v72, v[72:73]
	v_cvt_f32_f64_e32 v68, v[68:69]
	v_min3_f32 v155, v72, v68, v70
	v_add_f64 v[68:69], v[10:11], v[126:127]
	v_add_f64 v[72:73], v[8:9], v[124:125]
	v_cvt_f32_f64_e32 v70, v[72:73]
	v_cvt_f32_f64_e32 v68, v[68:69]
	v_min3_f32 v154, v70, v68, v71
	v_add_f64 v[68:69], v[6:7], v[126:127]
	v_add_f64 v[70:71], v[4:5], v[124:125]
	v_cvt_f32_f64_e32 v70, v[70:71]
	v_cvt_f32_f64_e32 v68, v[68:69]
	v_min3_f32 v153, v70, v68, v64
	v_add_f64 v[68:69], v[22:23], v[130:131]
	v_add_f64 v[70:71], v[20:21], v[128:129]
	v_cvt_f32_f64_e32 v64, v[70:71]
	v_cvt_f32_f64_e32 v68, v[68:69]
	v_min3_f32 v152, v64, v68, v65
	v_add_f64 v[64:65], v[14:15], v[130:131]
	v_add_f64 v[68:69], v[12:13], v[128:129]
	v_cvt_f32_f64_e32 v68, v[68:69]
	v_cvt_f32_f64_e32 v64, v[64:65]
	v_min3_f32 v151, v68, v64, v66
	v_add_f64 v[64:65], v[10:11], v[130:131]
	v_add_f64 v[68:69], v[8:9], v[128:129]
	v_cvt_f32_f64_e32 v66, v[68:69]
	v_cvt_f32_f64_e32 v64, v[64:65]
	v_min3_f32 v150, v66, v64, v67
	v_add_f64 v[64:65], v[6:7], v[130:131]
	v_add_f64 v[66:67], v[4:5], v[128:129]
	v_cvt_f32_f64_e32 v66, v[66:67]
	v_cvt_f32_f64_e32 v64, v[64:65]
	v_min3_f32 v149, v66, v64, v60
	v_add_f64 v[64:65], v[22:23], v[134:135]
	v_add_f64 v[66:67], v[20:21], v[132:133]
	v_cvt_f32_f64_e32 v60, v[66:67]
	v_cvt_f32_f64_e32 v64, v[64:65]
	v_min3_f32 v148, v60, v64, v61
	v_add_f64 v[60:61], v[14:15], v[134:135]
	v_add_f64 v[64:65], v[12:13], v[132:133]
	v_cvt_f32_f64_e32 v64, v[64:65]
	v_cvt_f32_f64_e32 v60, v[60:61]
	v_min3_f32 v147, v64, v60, v62
	v_add_f64 v[60:61], v[10:11], v[134:135]
	v_add_f64 v[64:65], v[8:9], v[132:133]
	v_cvt_f32_f64_e32 v62, v[64:65]
	v_cvt_f32_f64_e32 v60, v[60:61]
	v_min3_f32 v146, v62, v60, v63
	v_add_f64 v[60:61], v[6:7], v[134:135]
	v_add_f64 v[62:63], v[4:5], v[132:133]
	v_cvt_f32_f64_e32 v62, v[62:63]
	v_cvt_f32_f64_e32 v60, v[60:61]
	v_min3_f32 v145, v62, v60, v56
	v_add_f64 v[60:61], v[22:23], v[138:139]
	v_add_f64 v[62:63], v[20:21], v[136:137]
	v_cvt_f32_f64_e32 v56, v[62:63]
	v_cvt_f32_f64_e32 v60, v[60:61]
	v_min3_f32 v144, v56, v60, v57
	v_add_f64 v[56:57], v[14:15], v[138:139]
	v_add_f64 v[60:61], v[12:13], v[136:137]
	v_cvt_f32_f64_e32 v60, v[60:61]
	v_cvt_f32_f64_e32 v56, v[56:57]
	v_min3_f32 v143, v60, v56, v58
	v_add_f64 v[56:57], v[10:11], v[138:139]
	v_add_f64 v[60:61], v[8:9], v[136:137]
	v_cvt_f32_f64_e32 v58, v[60:61]
	v_cvt_f32_f64_e32 v56, v[56:57]
	v_min3_f32 v142, v58, v56, v59
	v_add_f64 v[56:57], v[6:7], v[138:139]
	v_add_f64 v[58:59], v[4:5], v[136:137]
	v_cvt_f32_f64_e32 v58, v[58:59]
	v_cvt_f32_f64_e32 v56, v[56:57]
	v_cvt_f32_f64_e32 v123, v[140:141]
	v_min3_f32 v141, v58, v56, v173
	v_add_f64 v[56:57], v[22:23], v[54:55]
	v_add_f64 v[58:59], v[20:21], v[52:53]
	v_cvt_f32_f64_e32 v58, v[58:59]
	v_cvt_f32_f64_e32 v56, v[56:57]
	v_min3_f32 v140, v58, v56, v181
	v_add_f64 v[56:57], v[14:15], v[54:55]
	v_add_f64 v[58:59], v[12:13], v[52:53]
	v_cvt_f32_f64_e32 v58, v[58:59]
	v_cvt_f32_f64_e32 v56, v[56:57]
	v_min3_f32 v139, v58, v56, v182
	v_add_f64 v[56:57], v[10:11], v[54:55]
	v_add_f64 v[58:59], v[8:9], v[52:53]
	v_add_f64 v[54:55], v[6:7], v[54:55]
	v_add_f64 v[52:53], v[4:5], v[52:53]
	v_cvt_f32_f64_e32 v52, v[52:53]
	v_cvt_f32_f64_e32 v53, v[54:55]
	v_min3_f32 v137, v52, v53, v184
	v_add_f64 v[52:53], v[22:23], v[50:51]
	v_add_f64 v[54:55], v[20:21], v[48:49]
	v_cvt_f32_f64_e32 v54, v[54:55]
	v_cvt_f32_f64_e32 v52, v[52:53]
	v_min3_f32 v136, v54, v52, v185
	v_add_f64 v[52:53], v[14:15], v[50:51]
	v_add_f64 v[54:55], v[12:13], v[48:49]
	v_cvt_f32_f64_e32 v54, v[54:55]
	v_cvt_f32_f64_e32 v52, v[52:53]
	v_min3_f32 v135, v54, v52, v186
	v_add_f64 v[52:53], v[10:11], v[50:51]
	v_add_f64 v[54:55], v[8:9], v[48:49]
	v_add_f64 v[50:51], v[6:7], v[50:51]
	v_add_f64 v[48:49], v[4:5], v[48:49]
	v_cvt_f32_f64_e32 v48, v[48:49]
	v_cvt_f32_f64_e32 v49, v[50:51]
	;; [unrolled: 17-line block ×4, first 2 shown]
	v_min3_f32 v125, v40, v41, v196
	v_add_f64 v[40:41], v[22:23], v[38:39]
	v_add_f64 v[42:43], v[20:21], v[36:37]
	v_cvt_f32_f64_e32 v42, v[42:43]
	v_cvt_f32_f64_e32 v40, v[40:41]
	v_min3_f32 v124, v42, v40, v197
	v_add_f64 v[40:41], v[14:15], v[38:39]
	v_add_f64 v[42:43], v[12:13], v[36:37]
	v_cvt_f32_f64_e32 v116, v[116:117]
	v_cvt_f32_f64_e32 v42, v[42:43]
	;; [unrolled: 1-line block ×3, first 2 shown]
	v_min3_f32 v169, v123, v116, v174
	v_min3_f32 v123, v42, v40, v198
	v_add_f64 v[40:41], v[10:11], v[38:39]
	v_add_f64 v[42:43], v[8:9], v[36:37]
	;; [unrolled: 1-line block ×4, first 2 shown]
	v_cvt_f32_f64_e32 v36, v[36:37]
	v_cvt_f32_f64_e32 v37, v[38:39]
	v_min3_f32 v116, v36, v37, v200
	v_add_f64 v[36:37], v[22:23], v[34:35]
	v_add_f64 v[38:39], v[20:21], v[32:33]
	v_cvt_f32_f64_e32 v38, v[38:39]
	v_cvt_f32_f64_e32 v36, v[36:37]
	v_min3_f32 v109, v38, v36, v201
	v_add_f64 v[36:37], v[14:15], v[34:35]
	v_add_f64 v[38:39], v[12:13], v[32:33]
	;; [unrolled: 5-line block ×3, first 2 shown]
	v_add_f64 v[34:35], v[6:7], v[34:35]
	v_add_f64 v[32:33], v[4:5], v[32:33]
	v_cvt_f32_f64_e32 v32, v[32:33]
	v_cvt_f32_f64_e32 v33, v[34:35]
	v_min3_f32 v106, v32, v33, v204
	v_add_f64 v[32:33], v[22:23], v[30:31]
	v_add_f64 v[34:35], v[20:21], v[28:29]
	v_cvt_f32_f64_e32 v34, v[34:35]
	v_cvt_f32_f64_e32 v32, v[32:33]
	v_min3_f32 v105, v34, v32, v205
	v_add_f64 v[32:33], v[14:15], v[30:31]
	v_add_f64 v[34:35], v[12:13], v[28:29]
	v_cvt_f32_f64_e32 v34, v[34:35]
	v_cvt_f32_f64_e32 v32, v[32:33]
	v_min3_f32 v104, v34, v32, v206
	v_add_f64 v[32:33], v[10:11], v[30:31]
	v_add_f64 v[34:35], v[8:9], v[28:29]
	v_add_f64 v[30:31], v[6:7], v[30:31]
	v_add_f64 v[28:29], v[4:5], v[28:29]
	v_add_f64 v[22:23], v[22:23], v[18:19]
	v_add_f64 v[20:21], v[20:21], v[16:17]
	v_add_f64 v[14:15], v[14:15], v[18:19]
	v_add_f64 v[12:13], v[12:13], v[16:17]
	v_add_f64 v[10:11], v[10:11], v[18:19]
	v_add_f64 v[8:9], v[8:9], v[16:17]
	v_add_f64 v[6:7], v[6:7], v[18:19]
	v_add_f64 v[4:5], v[4:5], v[16:17]
	s_waitcnt lgkmcnt(0)
	v_add_f64 v[174:175], v[2:3], v[26:27]
	v_add_f64 v[176:177], v[0:1], v[24:25]
	v_cvt_f32_f64_e32 v58, v[58:59]
	v_cvt_f32_f64_e32 v56, v[56:57]
	;; [unrolled: 1-line block ×26, first 2 shown]
	v_min3_f32 v138, v58, v56, v183
	v_min3_f32 v134, v54, v52, v187
	v_min3_f32 v130, v50, v48, v191
	v_min3_f32 v126, v46, v44, v195
	v_min3_f32 v117, v42, v40, v199
	v_min3_f32 v107, v38, v36, v203
	v_min3_f32 v103, v34, v32, v207
	v_min3_f32 v102, v28, v29, v208
	v_min3_f32 v99, v20, v21, v209
	v_min3_f32 v98, v12, v13, v210
	v_min3_f32 v97, v8, v9, v211
	v_min3_f32 v96, v4, v5, v212
	ds_read_b128 v[12:15], v120 offset:1040
	ds_read_b128 v[8:11], v120 offset:2064
	;; [unrolled: 1-line block ×18, first 2 shown]
	v_min3_f32 v122, v173, v174, v122
	s_waitcnt lgkmcnt(14)
	v_add_f64 v[174:175], v[14:15], v[26:27]
	v_add_f64 v[176:177], v[12:13], v[24:25]
	v_cvt_f32_f64_e32 v173, v[176:177]
	v_cvt_f32_f64_e32 v174, v[174:175]
	v_min3_f32 v165, v173, v174, v165
	v_add_f64 v[174:175], v[10:11], v[26:27]
	v_add_f64 v[176:177], v[8:9], v[24:25]
	;; [unrolled: 1-line block ×4, first 2 shown]
	v_cvt_f32_f64_e32 v24, v[24:25]
	v_cvt_f32_f64_e32 v25, v[26:27]
	v_min3_f32 v235, v24, v25, v172
	v_add_f64 v[24:25], v[2:3], v[78:79]
	v_add_f64 v[26:27], v[0:1], v[76:77]
	v_cvt_f32_f64_e32 v26, v[26:27]
	v_cvt_f32_f64_e32 v24, v[24:25]
	v_min3_f32 v236, v26, v24, v171
	v_add_f64 v[24:25], v[14:15], v[78:79]
	v_add_f64 v[26:27], v[12:13], v[76:77]
	;; [unrolled: 5-line block ×4, first 2 shown]
	v_cvt_f32_f64_e32 v26, v[26:27]
	v_cvt_f32_f64_e32 v24, v[24:25]
	v_min3_f32 v231, v26, v24, v167
	s_waitcnt lgkmcnt(13)
	v_add_f64 v[24:25], v[2:3], v[74:75]
	v_add_f64 v[26:27], v[0:1], v[72:73]
	v_cvt_f32_f64_e32 v26, v[26:27]
	v_cvt_f32_f64_e32 v24, v[24:25]
	v_min3_f32 v232, v26, v24, v166
	v_add_f64 v[24:25], v[14:15], v[74:75]
	v_add_f64 v[26:27], v[12:13], v[72:73]
	v_cvt_f32_f64_e32 v26, v[26:27]
	v_cvt_f32_f64_e32 v24, v[24:25]
	v_min3_f32 v229, v26, v24, v163
	v_add_f64 v[24:25], v[10:11], v[74:75]
	v_add_f64 v[26:27], v[8:9], v[72:73]
	v_cvt_f32_f64_e32 v26, v[26:27]
	v_cvt_f32_f64_e32 v24, v[24:25]
	v_min3_f32 v230, v26, v24, v162
	v_add_f64 v[24:25], v[6:7], v[74:75]
	v_add_f64 v[26:27], v[4:5], v[72:73]
	v_cvt_f32_f64_e32 v26, v[26:27]
	v_cvt_f32_f64_e32 v24, v[24:25]
	v_min3_f32 v227, v26, v24, v161
	s_waitcnt lgkmcnt(12)
	v_add_f64 v[24:25], v[2:3], v[70:71]
	v_add_f64 v[26:27], v[0:1], v[68:69]
	v_cvt_f32_f64_e32 v26, v[26:27]
	v_cvt_f32_f64_e32 v24, v[24:25]
	v_min3_f32 v228, v26, v24, v160
	v_add_f64 v[24:25], v[14:15], v[70:71]
	v_add_f64 v[26:27], v[12:13], v[68:69]
	v_cvt_f32_f64_e32 v26, v[26:27]
	v_cvt_f32_f64_e32 v24, v[24:25]
	v_min3_f32 v225, v26, v24, v159
	v_add_f64 v[24:25], v[10:11], v[70:71]
	v_add_f64 v[26:27], v[8:9], v[68:69]
	v_cvt_f32_f64_e32 v26, v[26:27]
	v_cvt_f32_f64_e32 v24, v[24:25]
	v_min3_f32 v226, v26, v24, v158
	v_add_f64 v[24:25], v[6:7], v[70:71]
	v_add_f64 v[26:27], v[4:5], v[68:69]
	;; [unrolled: 21-line block ×12, first 2 shown]
	v_cvt_f32_f64_e32 v26, v[26:27]
	v_cvt_f32_f64_e32 v24, v[24:25]
	v_min3_f32 v182, v26, v24, v106
	s_waitcnt lgkmcnt(1)
	v_add_f64 v[24:25], v[2:3], v[22:23]
	v_add_f64 v[26:27], v[0:1], v[20:21]
	s_waitcnt lgkmcnt(0)
	v_add_f64 v[2:3], v[2:3], v[18:19]
	v_add_f64 v[0:1], v[0:1], v[16:17]
	v_cvt_f32_f64_e32 v0, v[0:1]
	v_cvt_f32_f64_e32 v1, v[2:3]
	v_min3_f32 v179, v0, v1, v99
	v_add_f64 v[0:1], v[14:15], v[18:19]
	v_add_f64 v[2:3], v[12:13], v[16:17]
	v_cvt_f32_f64_e32 v26, v[26:27]
	v_cvt_f32_f64_e32 v24, v[24:25]
	;; [unrolled: 1-line block ×5, first 2 shown]
	v_min3_f32 v183, v26, v24, v105
	v_add_f64 v[24:25], v[14:15], v[22:23]
	v_add_f64 v[26:27], v[12:13], v[20:21]
	v_min3_f32 v176, v2, v0, v98
	v_add_f64 v[0:1], v[10:11], v[18:19]
	v_add_f64 v[2:3], v[8:9], v[16:17]
	v_cvt_f32_f64_e32 v26, v[26:27]
	v_cvt_f32_f64_e32 v24, v[24:25]
	;; [unrolled: 1-line block ×4, first 2 shown]
	v_min3_f32 v180, v26, v24, v104
	v_add_f64 v[24:25], v[10:11], v[22:23]
	v_add_f64 v[26:27], v[8:9], v[20:21]
	;; [unrolled: 1-line block ×4, first 2 shown]
	v_min3_f32 v177, v2, v0, v97
	v_add_f64 v[0:1], v[6:7], v[18:19]
	v_add_f64 v[2:3], v[4:5], v[16:17]
	v_cvt_f32_f64_e32 v174, v[174:175]
	v_cvt_f32_f64_e32 v26, v[26:27]
	;; [unrolled: 1-line block ×7, first 2 shown]
	v_min3_f32 v168, v173, v174, v168
	v_min3_f32 v181, v26, v24, v103
	;; [unrolled: 1-line block ×4, first 2 shown]
	s_waitcnt vmcnt(2)
	ds_write2st64_b64 v112, v[88:89], v[90:91] offset1:4
	s_waitcnt vmcnt(0)
	ds_write2st64_b64 v113, v[92:93], v[94:95] offset1:4
	s_waitcnt lgkmcnt(0)
	s_barrier
	s_cbranch_scc0 .LBB163_10
.LBB163_11:
	s_load_dwordx2 s[16:17], s[0:1], 0x78
	s_load_dword s9, s[0:1], 0x58
	s_load_dword s14, s[0:1], 0x70
	ds_read_b128 v[36:39], v120 offset:4096
	ds_read_b128 v[156:159], v164 offset:12288
	;; [unrolled: 1-line block ×4, first 2 shown]
	s_waitcnt lgkmcnt(0)
	s_mul_i32 s1, s17, s3
	s_mul_hi_u32 s15, s16, s3
	s_mul_i32 s0, s16, s3
	v_add_f64 v[0:1], v[38:39], v[158:159]
	v_add_f64 v[2:3], v[36:37], v[156:157]
	s_add_i32 s1, s15, s1
	v_cvt_f32_f64_e32 v2, v[2:3]
	v_cvt_f32_f64_e32 v0, v[0:1]
	s_lshl_b64 s[0:1], s[0:1], 3
	v_min3_f32 v4, v2, v0, v122
	v_add_f64 v[0:1], v[34:35], v[154:155]
	v_add_f64 v[2:3], v[32:33], v[152:153]
	s_add_u32 s0, s10, s0
	v_cvt_f32_f64_e32 v2, v[2:3]
	v_cvt_f32_f64_e32 v0, v[0:1]
	v_add_u32_e32 v237, s8, v119
	s_addc_u32 s1, s11, s1
	v_min3_f32 v2, v2, v0, v4
	v_add_u32_e32 v162, s2, v118
	v_mad_i64_i32 v[0:1], s[2:3], v237, s14, 0
	v_add_u32_e32 v160, 32, v162
	v_lshl_add_u64 v[172:173], v[0:1], 3, s[0:1]
	v_mad_i64_i32 v[0:1], s[2:3], v237, s9, 0
	v_ashrrev_i32_e32 v163, 31, v162
	v_ashrrev_i32_e32 v161, 31, v160
	s_mov_b64 s[2:3], -1
	v_max_f32_e32 v2, v2, v2
	s_mov_b64 vcc, s[4:5]
	s_cbranch_vccz .LBB163_13
; %bb.12:
	v_min_f32_e32 v3, 0, v2
	v_cvt_f64_f32_e32 v[4:5], v3
	v_lshl_add_u64 v[6:7], v[162:163], 3, v[172:173]
	global_store_dwordx2 v[6:7], v[4:5], off
	s_mov_b64 s[2:3], 0
.LBB163_13:
	ds_read_b128 v[28:31], v120 offset:5120
	ds_read_b128 v[16:19], v120 offset:5136
	;; [unrolled: 1-line block ×4, first 2 shown]
	v_lshl_add_u64 v[174:175], v[0:1], 3, s[12:13]
	v_mov_b32_e32 v170, 0
	s_andn2_b64 vcc, exec, s[2:3]
	v_lshlrev_b64 v[166:167], 3, v[162:163]
	s_cbranch_vccnz .LBB163_15
; %bb.14:
	v_lshl_add_u64 v[0:1], v[174:175], 0, v[166:167]
	global_load_dwordx2 v[0:1], v[0:1], off
	v_lshl_add_u64 v[4:5], v[172:173], 0, v[166:167]
	s_waitcnt vmcnt(0)
	v_mul_f64 v[0:1], s[6:7], v[0:1]
	v_cvt_f32_f64_e32 v0, v[0:1]
	v_min_f32_e32 v0, v0, v2
	v_cvt_f64_f32_e32 v[0:1], v0
	global_store_dwordx2 v[4:5], v[0:1], off
	v_lshl_add_u64 v[0:1], v[160:161], 3, v[174:175]
	global_load_dwordx2 v[0:1], v[0:1], off
	s_waitcnt vmcnt(0)
	v_mul_f64 v[0:1], s[6:7], v[0:1]
	v_cvt_f32_f64_e32 v170, v[0:1]
.LBB163_15:
	ds_read_b128 v[0:3], v120 offset:7168
	ds_read_b128 v[4:7], v120 offset:7184
	;; [unrolled: 1-line block ×32, first 2 shown]
	s_waitcnt lgkmcnt(14)
	v_add_f64 v[238:239], v[30:31], v[158:159]
	v_add_f64 v[240:241], v[28:29], v[156:157]
	v_cvt_f32_f64_e32 v164, v[240:241]
	v_cvt_f32_f64_e32 v169, v[238:239]
	v_min3_f32 v171, v164, v169, v165
	v_add_f64 v[164:165], v[26:27], v[158:159]
	v_add_f64 v[238:239], v[24:25], v[156:157]
	v_cvt_f32_f64_e32 v169, v[238:239]
	v_cvt_f32_f64_e32 v164, v[164:165]
	v_min3_f32 v238, v169, v164, v168
	v_add_f64 v[164:165], v[18:19], v[154:155]
	v_add_f64 v[168:169], v[16:17], v[152:153]
	v_cvt_f32_f64_e32 v168, v[168:169]
	v_cvt_f32_f64_e32 v164, v[164:165]
	v_min_f32_e32 v239, v168, v164
	v_add_f64 v[164:165], v[10:11], v[154:155]
	v_add_f64 v[168:169], v[8:9], v[152:153]
	v_cvt_f32_f64_e32 v168, v[168:169]
	v_cvt_f32_f64_e32 v164, v[164:165]
	v_min3_f32 v170, v170, v239, v171
	v_min3_f32 v240, v168, v164, v238
	v_add_u32_e32 v168, 64, v162
	v_add_u32_e32 v164, 0x60, v162
	v_cvt_f64_f32_e32 v[170:171], v170
	v_lshl_add_u64 v[238:239], v[160:161], 3, v[172:173]
	v_ashrrev_i32_e32 v169, 31, v168
	v_ashrrev_i32_e32 v165, 31, v164
	global_store_dwordx2 v[238:239], v[170:171], off
	s_mov_b64 s[2:3], -1
	v_max_f32_e32 v239, v240, v240
	s_mov_b64 vcc, s[4:5]
	s_cbranch_vccz .LBB163_17
; %bb.16:
	v_min_f32_e32 v170, 0, v239
	v_cvt_f64_f32_e32 v[170:171], v170
	v_lshl_add_u64 v[240:241], v[168:169], 3, v[172:173]
	global_store_dwordx2 v[240:241], v[170:171], off
	s_mov_b64 s[2:3], 0
.LBB163_17:
	v_mov_b32_e32 v238, 0
	s_andn2_b64 vcc, exec, s[2:3]
	v_lshlrev_b64 v[170:171], 3, v[168:169]
	s_cbranch_vccnz .LBB163_19
; %bb.18:
	v_lshl_add_u64 v[240:241], v[174:175], 0, v[170:171]
	global_load_dwordx2 v[240:241], v[240:241], off
	v_lshl_add_u64 v[242:243], v[172:173], 0, v[170:171]
	v_lshl_add_u64 v[174:175], v[164:165], 3, v[174:175]
	s_waitcnt vmcnt(0)
	v_mul_f64 v[240:241], s[6:7], v[240:241]
	v_cvt_f32_f64_e32 v238, v[240:241]
	v_min_f32_e32 v238, v238, v239
	v_cvt_f64_f32_e32 v[238:239], v238
	global_store_dwordx2 v[242:243], v[238:239], off
	global_load_dwordx2 v[174:175], v[174:175], off
	s_waitcnt vmcnt(0)
	v_mul_f64 v[174:175], s[6:7], v[174:175]
	v_cvt_f32_f64_e32 v238, v[174:175]
.LBB163_19:
	v_add_f64 v[158:159], v[2:3], v[158:159]
	v_add_f64 v[156:157], v[0:1], v[156:157]
	v_cvt_f32_f64_e32 v156, v[156:157]
	v_cvt_f32_f64_e32 v157, v[158:159]
	v_add_f64 v[154:155], v[6:7], v[154:155]
	v_add_f64 v[152:153], v[4:5], v[152:153]
	v_min3_f32 v174, v156, v157, v235
	v_add_f64 v[156:157], v[38:39], v[150:151]
	v_add_f64 v[158:159], v[36:37], v[148:149]
	v_cvt_f32_f64_e32 v152, v[152:153]
	v_cvt_f32_f64_e32 v153, v[154:155]
	;; [unrolled: 1-line block ×4, first 2 shown]
	v_min_f32_e32 v157, v152, v153
	v_add_f64 v[152:153], v[34:35], v[146:147]
	v_add_f64 v[154:155], v[32:33], v[144:145]
	v_min3_f32 v156, v158, v156, v236
	v_cvt_f32_f64_e32 v154, v[154:155]
	v_cvt_f32_f64_e32 v152, v[152:153]
	v_min3_f32 v156, v154, v152, v156
	v_min3_f32 v152, v238, v157, v174
	v_cvt_f64_f32_e32 v[152:153], v152
	v_lshl_add_u64 v[154:155], v[164:165], 3, v[172:173]
	global_store_dwordx2 v[154:155], v[152:153], off
	v_add_u32_e32 v154, 8, v237
	v_mad_i64_i32 v[152:153], s[2:3], v154, s14, 0
	v_mad_i64_i32 v[154:155], s[2:3], v154, s9, 0
	v_lshl_add_u64 v[152:153], v[152:153], 3, s[0:1]
	s_mov_b64 s[2:3], -1
	v_max_f32_e32 v157, v156, v156
	s_mov_b64 vcc, s[4:5]
	s_cbranch_vccz .LBB163_21
; %bb.20:
	v_min_f32_e32 v156, 0, v157
	v_cvt_f64_f32_e32 v[158:159], v156
	v_lshl_add_u64 v[172:173], v[162:163], 3, v[152:153]
	global_store_dwordx2 v[172:173], v[158:159], off
	s_mov_b64 s[2:3], 0
.LBB163_21:
	v_lshl_add_u64 v[154:155], v[154:155], 3, s[12:13]
	s_andn2_b64 vcc, exec, s[2:3]
	v_mov_b32_e32 v156, 0
	s_cbranch_vccnz .LBB163_23
; %bb.22:
	v_lshl_add_u64 v[158:159], v[154:155], 0, v[166:167]
	global_load_dwordx2 v[158:159], v[158:159], off
	v_lshl_add_u64 v[172:173], v[152:153], 0, v[166:167]
	s_waitcnt vmcnt(0)
	v_mul_f64 v[158:159], s[6:7], v[158:159]
	v_cvt_f32_f64_e32 v156, v[158:159]
	v_min_f32_e32 v156, v156, v157
	v_cvt_f64_f32_e32 v[156:157], v156
	global_store_dwordx2 v[172:173], v[156:157], off
	v_lshl_add_u64 v[156:157], v[160:161], 3, v[154:155]
	global_load_dwordx2 v[156:157], v[156:157], off
	s_waitcnt vmcnt(0)
	v_mul_f64 v[156:157], s[6:7], v[156:157]
	v_cvt_f32_f64_e32 v156, v[156:157]
.LBB163_23:
	v_add_f64 v[158:159], v[30:31], v[150:151]
	v_add_f64 v[172:173], v[28:29], v[148:149]
	v_cvt_f32_f64_e32 v157, v[172:173]
	v_cvt_f32_f64_e32 v158, v[158:159]
	v_min3_f32 v157, v157, v158, v233
	v_add_f64 v[158:159], v[26:27], v[150:151]
	v_add_f64 v[172:173], v[24:25], v[148:149]
	v_cvt_f32_f64_e32 v172, v[172:173]
	v_cvt_f32_f64_e32 v158, v[158:159]
	v_min3_f32 v174, v172, v158, v234
	v_add_f64 v[158:159], v[18:19], v[146:147]
	v_add_f64 v[172:173], v[16:17], v[144:145]
	v_cvt_f32_f64_e32 v172, v[172:173]
	v_cvt_f32_f64_e32 v158, v[158:159]
	v_min_f32_e32 v175, v172, v158
	v_add_f64 v[158:159], v[10:11], v[146:147]
	v_add_f64 v[172:173], v[8:9], v[144:145]
	v_cvt_f32_f64_e32 v172, v[172:173]
	v_cvt_f32_f64_e32 v158, v[158:159]
	v_min3_f32 v156, v156, v175, v157
	v_min3_f32 v172, v172, v158, v174
	v_cvt_f64_f32_e32 v[156:157], v156
	v_lshl_add_u64 v[158:159], v[160:161], 3, v[152:153]
	global_store_dwordx2 v[158:159], v[156:157], off
	s_mov_b64 s[2:3], -1
	v_max_f32_e32 v157, v172, v172
	s_mov_b64 vcc, s[4:5]
	s_cbranch_vccz .LBB163_25
; %bb.24:
	v_min_f32_e32 v156, 0, v157
	v_cvt_f64_f32_e32 v[158:159], v156
	v_lshl_add_u64 v[172:173], v[168:169], 3, v[152:153]
	global_store_dwordx2 v[172:173], v[158:159], off
	s_mov_b64 s[2:3], 0
.LBB163_25:
	s_andn2_b64 vcc, exec, s[2:3]
	v_mov_b32_e32 v156, 0
	s_cbranch_vccnz .LBB163_27
; %bb.26:
	v_lshl_add_u64 v[158:159], v[154:155], 0, v[170:171]
	global_load_dwordx2 v[158:159], v[158:159], off
	v_lshl_add_u64 v[172:173], v[152:153], 0, v[170:171]
	v_lshl_add_u64 v[154:155], v[164:165], 3, v[154:155]
	s_waitcnt vmcnt(0)
	v_mul_f64 v[158:159], s[6:7], v[158:159]
	v_cvt_f32_f64_e32 v156, v[158:159]
	v_min_f32_e32 v156, v156, v157
	v_cvt_f64_f32_e32 v[156:157], v156
	global_store_dwordx2 v[172:173], v[156:157], off
	global_load_dwordx2 v[154:155], v[154:155], off
	s_waitcnt vmcnt(0)
	v_mul_f64 v[154:155], s[6:7], v[154:155]
	v_cvt_f32_f64_e32 v156, v[154:155]
.LBB163_27:
	v_add_f64 v[150:151], v[2:3], v[150:151]
	v_add_f64 v[148:149], v[0:1], v[148:149]
	v_cvt_f32_f64_e32 v148, v[148:149]
	v_cvt_f32_f64_e32 v149, v[150:151]
	v_add_f64 v[146:147], v[6:7], v[146:147]
	v_add_f64 v[144:145], v[4:5], v[144:145]
	v_min3_f32 v154, v148, v149, v231
	v_add_f64 v[148:149], v[38:39], v[142:143]
	v_add_f64 v[150:151], v[36:37], v[140:141]
	v_cvt_f32_f64_e32 v144, v[144:145]
	v_cvt_f32_f64_e32 v145, v[146:147]
	;; [unrolled: 1-line block ×4, first 2 shown]
	v_min_f32_e32 v149, v144, v145
	v_add_f64 v[144:145], v[34:35], v[138:139]
	v_add_f64 v[146:147], v[32:33], v[136:137]
	v_min3_f32 v148, v150, v148, v232
	v_cvt_f32_f64_e32 v146, v[146:147]
	v_cvt_f32_f64_e32 v144, v[144:145]
	v_min3_f32 v148, v146, v144, v148
	v_min3_f32 v144, v156, v149, v154
	v_cvt_f64_f32_e32 v[144:145], v144
	v_lshl_add_u64 v[146:147], v[164:165], 3, v[152:153]
	global_store_dwordx2 v[146:147], v[144:145], off
	v_add_u32_e32 v146, 16, v237
	v_mad_i64_i32 v[144:145], s[2:3], v146, s14, 0
	v_mad_i64_i32 v[146:147], s[2:3], v146, s9, 0
	v_lshl_add_u64 v[144:145], v[144:145], 3, s[0:1]
	s_mov_b64 s[2:3], -1
	v_max_f32_e32 v149, v148, v148
	s_mov_b64 vcc, s[4:5]
	s_cbranch_vccz .LBB163_29
; %bb.28:
	v_min_f32_e32 v148, 0, v149
	v_cvt_f64_f32_e32 v[150:151], v148
	v_lshl_add_u64 v[152:153], v[162:163], 3, v[144:145]
	global_store_dwordx2 v[152:153], v[150:151], off
	s_mov_b64 s[2:3], 0
.LBB163_29:
	v_lshl_add_u64 v[146:147], v[146:147], 3, s[12:13]
	s_andn2_b64 vcc, exec, s[2:3]
	v_mov_b32_e32 v148, 0
	s_cbranch_vccnz .LBB163_31
; %bb.30:
	v_lshl_add_u64 v[150:151], v[146:147], 0, v[166:167]
	global_load_dwordx2 v[150:151], v[150:151], off
	v_lshl_add_u64 v[152:153], v[144:145], 0, v[166:167]
	s_waitcnt vmcnt(0)
	v_mul_f64 v[150:151], s[6:7], v[150:151]
	v_cvt_f32_f64_e32 v148, v[150:151]
	v_min_f32_e32 v148, v148, v149
	v_cvt_f64_f32_e32 v[148:149], v148
	global_store_dwordx2 v[152:153], v[148:149], off
	v_lshl_add_u64 v[148:149], v[160:161], 3, v[146:147]
	global_load_dwordx2 v[148:149], v[148:149], off
	s_waitcnt vmcnt(0)
	v_mul_f64 v[148:149], s[6:7], v[148:149]
	v_cvt_f32_f64_e32 v148, v[148:149]
.LBB163_31:
	v_add_f64 v[150:151], v[30:31], v[142:143]
	v_add_f64 v[152:153], v[28:29], v[140:141]
	v_cvt_f32_f64_e32 v149, v[152:153]
	v_cvt_f32_f64_e32 v150, v[150:151]
	v_min3_f32 v149, v149, v150, v229
	v_add_f64 v[150:151], v[26:27], v[142:143]
	v_add_f64 v[152:153], v[24:25], v[140:141]
	v_cvt_f32_f64_e32 v152, v[152:153]
	v_cvt_f32_f64_e32 v150, v[150:151]
	v_min3_f32 v154, v152, v150, v230
	v_add_f64 v[150:151], v[18:19], v[138:139]
	v_add_f64 v[152:153], v[16:17], v[136:137]
	v_cvt_f32_f64_e32 v152, v[152:153]
	v_cvt_f32_f64_e32 v150, v[150:151]
	v_min_f32_e32 v155, v152, v150
	v_add_f64 v[150:151], v[10:11], v[138:139]
	v_add_f64 v[152:153], v[8:9], v[136:137]
	v_cvt_f32_f64_e32 v152, v[152:153]
	v_cvt_f32_f64_e32 v150, v[150:151]
	v_min3_f32 v148, v148, v155, v149
	v_min3_f32 v152, v152, v150, v154
	v_cvt_f64_f32_e32 v[148:149], v148
	v_lshl_add_u64 v[150:151], v[160:161], 3, v[144:145]
	global_store_dwordx2 v[150:151], v[148:149], off
	s_mov_b64 s[2:3], -1
	v_max_f32_e32 v149, v152, v152
	s_mov_b64 vcc, s[4:5]
	s_cbranch_vccz .LBB163_33
; %bb.32:
	v_min_f32_e32 v148, 0, v149
	v_cvt_f64_f32_e32 v[150:151], v148
	v_lshl_add_u64 v[152:153], v[168:169], 3, v[144:145]
	global_store_dwordx2 v[152:153], v[150:151], off
	s_mov_b64 s[2:3], 0
.LBB163_33:
	s_andn2_b64 vcc, exec, s[2:3]
	v_mov_b32_e32 v148, 0
	s_cbranch_vccnz .LBB163_35
; %bb.34:
	v_lshl_add_u64 v[150:151], v[146:147], 0, v[170:171]
	global_load_dwordx2 v[150:151], v[150:151], off
	v_lshl_add_u64 v[152:153], v[144:145], 0, v[170:171]
	v_lshl_add_u64 v[146:147], v[164:165], 3, v[146:147]
	s_waitcnt vmcnt(0)
	v_mul_f64 v[150:151], s[6:7], v[150:151]
	v_cvt_f32_f64_e32 v148, v[150:151]
	v_min_f32_e32 v148, v148, v149
	v_cvt_f64_f32_e32 v[148:149], v148
	global_store_dwordx2 v[152:153], v[148:149], off
	global_load_dwordx2 v[146:147], v[146:147], off
	s_waitcnt vmcnt(0)
	v_mul_f64 v[146:147], s[6:7], v[146:147]
	v_cvt_f32_f64_e32 v148, v[146:147]
.LBB163_35:
	v_add_f64 v[142:143], v[2:3], v[142:143]
	v_add_f64 v[140:141], v[0:1], v[140:141]
	v_cvt_f32_f64_e32 v140, v[140:141]
	v_cvt_f32_f64_e32 v141, v[142:143]
	v_add_f64 v[138:139], v[6:7], v[138:139]
	v_add_f64 v[136:137], v[4:5], v[136:137]
	v_min3_f32 v146, v140, v141, v227
	v_add_f64 v[140:141], v[38:39], v[134:135]
	v_add_f64 v[142:143], v[36:37], v[132:133]
	v_cvt_f32_f64_e32 v136, v[136:137]
	v_cvt_f32_f64_e32 v137, v[138:139]
	;; [unrolled: 1-line block ×4, first 2 shown]
	v_min_f32_e32 v141, v136, v137
	v_add_f64 v[136:137], v[34:35], v[130:131]
	v_add_f64 v[138:139], v[32:33], v[128:129]
	v_min3_f32 v140, v142, v140, v228
	v_cvt_f32_f64_e32 v138, v[138:139]
	v_cvt_f32_f64_e32 v136, v[136:137]
	v_min3_f32 v140, v138, v136, v140
	v_min3_f32 v136, v148, v141, v146
	v_cvt_f64_f32_e32 v[136:137], v136
	v_lshl_add_u64 v[138:139], v[164:165], 3, v[144:145]
	global_store_dwordx2 v[138:139], v[136:137], off
	v_add_u32_e32 v138, 24, v237
	v_mad_i64_i32 v[136:137], s[2:3], v138, s14, 0
	v_mad_i64_i32 v[138:139], s[2:3], v138, s9, 0
	v_lshl_add_u64 v[136:137], v[136:137], 3, s[0:1]
	s_mov_b64 s[2:3], -1
	v_max_f32_e32 v141, v140, v140
	s_mov_b64 vcc, s[4:5]
	s_cbranch_vccz .LBB163_37
; %bb.36:
	v_min_f32_e32 v140, 0, v141
	v_cvt_f64_f32_e32 v[142:143], v140
	v_lshl_add_u64 v[144:145], v[162:163], 3, v[136:137]
	global_store_dwordx2 v[144:145], v[142:143], off
	s_mov_b64 s[2:3], 0
.LBB163_37:
	v_lshl_add_u64 v[138:139], v[138:139], 3, s[12:13]
	s_andn2_b64 vcc, exec, s[2:3]
	v_mov_b32_e32 v140, 0
	s_cbranch_vccnz .LBB163_39
; %bb.38:
	v_lshl_add_u64 v[142:143], v[138:139], 0, v[166:167]
	global_load_dwordx2 v[142:143], v[142:143], off
	v_lshl_add_u64 v[144:145], v[136:137], 0, v[166:167]
	s_waitcnt vmcnt(0)
	v_mul_f64 v[142:143], s[6:7], v[142:143]
	v_cvt_f32_f64_e32 v140, v[142:143]
	v_min_f32_e32 v140, v140, v141
	v_cvt_f64_f32_e32 v[140:141], v140
	global_store_dwordx2 v[144:145], v[140:141], off
	v_lshl_add_u64 v[140:141], v[160:161], 3, v[138:139]
	global_load_dwordx2 v[140:141], v[140:141], off
	s_waitcnt vmcnt(0)
	v_mul_f64 v[140:141], s[6:7], v[140:141]
	v_cvt_f32_f64_e32 v140, v[140:141]
.LBB163_39:
	v_add_f64 v[142:143], v[30:31], v[134:135]
	v_add_f64 v[144:145], v[28:29], v[132:133]
	v_cvt_f32_f64_e32 v141, v[144:145]
	v_cvt_f32_f64_e32 v142, v[142:143]
	v_min3_f32 v141, v141, v142, v225
	v_add_f64 v[142:143], v[26:27], v[134:135]
	v_add_f64 v[144:145], v[24:25], v[132:133]
	v_cvt_f32_f64_e32 v144, v[144:145]
	v_cvt_f32_f64_e32 v142, v[142:143]
	v_min3_f32 v146, v144, v142, v226
	v_add_f64 v[142:143], v[18:19], v[130:131]
	v_add_f64 v[144:145], v[16:17], v[128:129]
	v_cvt_f32_f64_e32 v144, v[144:145]
	v_cvt_f32_f64_e32 v142, v[142:143]
	v_min_f32_e32 v147, v144, v142
	v_add_f64 v[142:143], v[10:11], v[130:131]
	v_add_f64 v[144:145], v[8:9], v[128:129]
	v_cvt_f32_f64_e32 v144, v[144:145]
	v_cvt_f32_f64_e32 v142, v[142:143]
	v_min3_f32 v140, v140, v147, v141
	v_min3_f32 v144, v144, v142, v146
	v_cvt_f64_f32_e32 v[140:141], v140
	v_lshl_add_u64 v[142:143], v[160:161], 3, v[136:137]
	global_store_dwordx2 v[142:143], v[140:141], off
	s_mov_b64 s[2:3], -1
	v_max_f32_e32 v141, v144, v144
	s_mov_b64 vcc, s[4:5]
	s_cbranch_vccz .LBB163_41
; %bb.40:
	v_min_f32_e32 v140, 0, v141
	v_cvt_f64_f32_e32 v[142:143], v140
	v_lshl_add_u64 v[144:145], v[168:169], 3, v[136:137]
	global_store_dwordx2 v[144:145], v[142:143], off
	s_mov_b64 s[2:3], 0
.LBB163_41:
	s_andn2_b64 vcc, exec, s[2:3]
	v_mov_b32_e32 v140, 0
	s_cbranch_vccnz .LBB163_43
; %bb.42:
	v_lshl_add_u64 v[142:143], v[138:139], 0, v[170:171]
	global_load_dwordx2 v[142:143], v[142:143], off
	v_lshl_add_u64 v[144:145], v[136:137], 0, v[170:171]
	v_lshl_add_u64 v[138:139], v[164:165], 3, v[138:139]
	s_waitcnt vmcnt(0)
	v_mul_f64 v[142:143], s[6:7], v[142:143]
	v_cvt_f32_f64_e32 v140, v[142:143]
	v_min_f32_e32 v140, v140, v141
	v_cvt_f64_f32_e32 v[140:141], v140
	global_store_dwordx2 v[144:145], v[140:141], off
	global_load_dwordx2 v[138:139], v[138:139], off
	s_waitcnt vmcnt(0)
	v_mul_f64 v[138:139], s[6:7], v[138:139]
	v_cvt_f32_f64_e32 v140, v[138:139]
.LBB163_43:
	v_add_f64 v[134:135], v[2:3], v[134:135]
	v_add_f64 v[132:133], v[0:1], v[132:133]
	v_cvt_f32_f64_e32 v132, v[132:133]
	v_cvt_f32_f64_e32 v133, v[134:135]
	v_add_f64 v[130:131], v[6:7], v[130:131]
	v_add_f64 v[128:129], v[4:5], v[128:129]
	v_min3_f32 v138, v132, v133, v223
	v_add_f64 v[132:133], v[38:39], v[126:127]
	v_add_f64 v[134:135], v[36:37], v[124:125]
	v_cvt_f32_f64_e32 v128, v[128:129]
	v_cvt_f32_f64_e32 v129, v[130:131]
	;; [unrolled: 1-line block ×4, first 2 shown]
	v_min_f32_e32 v133, v128, v129
	v_add_f64 v[128:129], v[34:35], v[122:123]
	v_add_f64 v[130:131], v[32:33], v[120:121]
	v_min3_f32 v132, v134, v132, v224
	v_cvt_f32_f64_e32 v130, v[130:131]
	v_cvt_f32_f64_e32 v128, v[128:129]
	v_min3_f32 v132, v130, v128, v132
	v_min3_f32 v128, v140, v133, v138
	v_cvt_f64_f32_e32 v[128:129], v128
	v_lshl_add_u64 v[130:131], v[164:165], 3, v[136:137]
	global_store_dwordx2 v[130:131], v[128:129], off
	v_add_u32_e32 v130, 32, v237
	v_mad_i64_i32 v[128:129], s[2:3], v130, s14, 0
	v_mad_i64_i32 v[130:131], s[2:3], v130, s9, 0
	v_lshl_add_u64 v[128:129], v[128:129], 3, s[0:1]
	s_mov_b64 s[2:3], -1
	v_max_f32_e32 v133, v132, v132
	s_mov_b64 vcc, s[4:5]
	s_cbranch_vccz .LBB163_45
; %bb.44:
	v_min_f32_e32 v132, 0, v133
	v_cvt_f64_f32_e32 v[134:135], v132
	v_lshl_add_u64 v[136:137], v[162:163], 3, v[128:129]
	global_store_dwordx2 v[136:137], v[134:135], off
	s_mov_b64 s[2:3], 0
.LBB163_45:
	v_lshl_add_u64 v[130:131], v[130:131], 3, s[12:13]
	s_andn2_b64 vcc, exec, s[2:3]
	v_mov_b32_e32 v132, 0
	s_cbranch_vccnz .LBB163_47
; %bb.46:
	v_lshl_add_u64 v[134:135], v[130:131], 0, v[166:167]
	global_load_dwordx2 v[134:135], v[134:135], off
	v_lshl_add_u64 v[136:137], v[128:129], 0, v[166:167]
	s_waitcnt vmcnt(0)
	v_mul_f64 v[134:135], s[6:7], v[134:135]
	v_cvt_f32_f64_e32 v132, v[134:135]
	v_min_f32_e32 v132, v132, v133
	v_cvt_f64_f32_e32 v[132:133], v132
	global_store_dwordx2 v[136:137], v[132:133], off
	v_lshl_add_u64 v[132:133], v[160:161], 3, v[130:131]
	global_load_dwordx2 v[132:133], v[132:133], off
	s_waitcnt vmcnt(0)
	v_mul_f64 v[132:133], s[6:7], v[132:133]
	v_cvt_f32_f64_e32 v132, v[132:133]
.LBB163_47:
	v_add_f64 v[134:135], v[30:31], v[126:127]
	v_add_f64 v[136:137], v[28:29], v[124:125]
	v_cvt_f32_f64_e32 v133, v[136:137]
	v_cvt_f32_f64_e32 v134, v[134:135]
	v_min3_f32 v133, v133, v134, v221
	v_add_f64 v[134:135], v[26:27], v[126:127]
	v_add_f64 v[136:137], v[24:25], v[124:125]
	v_cvt_f32_f64_e32 v136, v[136:137]
	v_cvt_f32_f64_e32 v134, v[134:135]
	v_min3_f32 v138, v136, v134, v222
	v_add_f64 v[134:135], v[18:19], v[122:123]
	v_add_f64 v[136:137], v[16:17], v[120:121]
	v_cvt_f32_f64_e32 v136, v[136:137]
	v_cvt_f32_f64_e32 v134, v[134:135]
	v_min_f32_e32 v139, v136, v134
	v_add_f64 v[134:135], v[10:11], v[122:123]
	v_add_f64 v[136:137], v[8:9], v[120:121]
	v_cvt_f32_f64_e32 v136, v[136:137]
	v_cvt_f32_f64_e32 v134, v[134:135]
	v_min3_f32 v132, v132, v139, v133
	v_min3_f32 v136, v136, v134, v138
	v_cvt_f64_f32_e32 v[132:133], v132
	v_lshl_add_u64 v[134:135], v[160:161], 3, v[128:129]
	global_store_dwordx2 v[134:135], v[132:133], off
	s_mov_b64 s[2:3], -1
	v_max_f32_e32 v133, v136, v136
	s_mov_b64 vcc, s[4:5]
	s_cbranch_vccz .LBB163_49
; %bb.48:
	v_min_f32_e32 v132, 0, v133
	v_cvt_f64_f32_e32 v[134:135], v132
	v_lshl_add_u64 v[136:137], v[168:169], 3, v[128:129]
	global_store_dwordx2 v[136:137], v[134:135], off
	s_mov_b64 s[2:3], 0
.LBB163_49:
	s_andn2_b64 vcc, exec, s[2:3]
	v_mov_b32_e32 v132, 0
	s_cbranch_vccnz .LBB163_51
; %bb.50:
	v_lshl_add_u64 v[134:135], v[130:131], 0, v[170:171]
	global_load_dwordx2 v[134:135], v[134:135], off
	v_lshl_add_u64 v[136:137], v[128:129], 0, v[170:171]
	v_lshl_add_u64 v[130:131], v[164:165], 3, v[130:131]
	s_waitcnt vmcnt(0)
	v_mul_f64 v[134:135], s[6:7], v[134:135]
	v_cvt_f32_f64_e32 v132, v[134:135]
	v_min_f32_e32 v132, v132, v133
	v_cvt_f64_f32_e32 v[132:133], v132
	global_store_dwordx2 v[136:137], v[132:133], off
	global_load_dwordx2 v[130:131], v[130:131], off
	s_waitcnt vmcnt(0)
	v_mul_f64 v[130:131], s[6:7], v[130:131]
	v_cvt_f32_f64_e32 v132, v[130:131]
.LBB163_51:
	v_add_f64 v[126:127], v[2:3], v[126:127]
	v_add_f64 v[124:125], v[0:1], v[124:125]
	v_cvt_f32_f64_e32 v124, v[124:125]
	v_cvt_f32_f64_e32 v125, v[126:127]
	v_add_f64 v[122:123], v[6:7], v[122:123]
	v_add_f64 v[120:121], v[4:5], v[120:121]
	v_min3_f32 v130, v124, v125, v219
	v_add_f64 v[124:125], v[38:39], v[118:119]
	v_add_f64 v[126:127], v[36:37], v[116:117]
	v_cvt_f32_f64_e32 v120, v[120:121]
	v_cvt_f32_f64_e32 v121, v[122:123]
	;; [unrolled: 1-line block ×4, first 2 shown]
	v_min_f32_e32 v125, v120, v121
	v_add_f64 v[120:121], v[34:35], v[114:115]
	v_add_f64 v[122:123], v[32:33], v[112:113]
	v_min3_f32 v124, v126, v124, v220
	v_cvt_f32_f64_e32 v122, v[122:123]
	v_cvt_f32_f64_e32 v120, v[120:121]
	v_min3_f32 v124, v122, v120, v124
	v_min3_f32 v120, v132, v125, v130
	v_cvt_f64_f32_e32 v[120:121], v120
	v_lshl_add_u64 v[122:123], v[164:165], 3, v[128:129]
	global_store_dwordx2 v[122:123], v[120:121], off
	v_add_u32_e32 v122, 40, v237
	v_mad_i64_i32 v[120:121], s[2:3], v122, s14, 0
	v_mad_i64_i32 v[122:123], s[2:3], v122, s9, 0
	v_lshl_add_u64 v[120:121], v[120:121], 3, s[0:1]
	s_mov_b64 s[2:3], -1
	v_max_f32_e32 v125, v124, v124
	s_mov_b64 vcc, s[4:5]
	s_cbranch_vccz .LBB163_53
; %bb.52:
	v_min_f32_e32 v124, 0, v125
	v_cvt_f64_f32_e32 v[126:127], v124
	v_lshl_add_u64 v[128:129], v[162:163], 3, v[120:121]
	global_store_dwordx2 v[128:129], v[126:127], off
	s_mov_b64 s[2:3], 0
.LBB163_53:
	v_lshl_add_u64 v[122:123], v[122:123], 3, s[12:13]
	s_andn2_b64 vcc, exec, s[2:3]
	v_mov_b32_e32 v124, 0
	s_cbranch_vccnz .LBB163_55
; %bb.54:
	v_lshl_add_u64 v[126:127], v[122:123], 0, v[166:167]
	global_load_dwordx2 v[126:127], v[126:127], off
	v_lshl_add_u64 v[128:129], v[120:121], 0, v[166:167]
	s_waitcnt vmcnt(0)
	v_mul_f64 v[126:127], s[6:7], v[126:127]
	v_cvt_f32_f64_e32 v124, v[126:127]
	v_min_f32_e32 v124, v124, v125
	v_cvt_f64_f32_e32 v[124:125], v124
	global_store_dwordx2 v[128:129], v[124:125], off
	v_lshl_add_u64 v[124:125], v[160:161], 3, v[122:123]
	global_load_dwordx2 v[124:125], v[124:125], off
	s_waitcnt vmcnt(0)
	v_mul_f64 v[124:125], s[6:7], v[124:125]
	v_cvt_f32_f64_e32 v124, v[124:125]
.LBB163_55:
	v_add_f64 v[126:127], v[30:31], v[118:119]
	v_add_f64 v[128:129], v[28:29], v[116:117]
	v_cvt_f32_f64_e32 v125, v[128:129]
	v_cvt_f32_f64_e32 v126, v[126:127]
	v_min3_f32 v125, v125, v126, v216
	v_add_f64 v[126:127], v[26:27], v[118:119]
	v_add_f64 v[128:129], v[24:25], v[116:117]
	v_cvt_f32_f64_e32 v128, v[128:129]
	v_cvt_f32_f64_e32 v126, v[126:127]
	v_min3_f32 v130, v128, v126, v217
	v_add_f64 v[126:127], v[18:19], v[114:115]
	v_add_f64 v[128:129], v[16:17], v[112:113]
	v_cvt_f32_f64_e32 v128, v[128:129]
	v_cvt_f32_f64_e32 v126, v[126:127]
	v_min_f32_e32 v131, v128, v126
	v_add_f64 v[126:127], v[10:11], v[114:115]
	v_add_f64 v[128:129], v[8:9], v[112:113]
	v_cvt_f32_f64_e32 v128, v[128:129]
	v_cvt_f32_f64_e32 v126, v[126:127]
	v_min3_f32 v124, v124, v131, v125
	v_min3_f32 v128, v128, v126, v130
	v_cvt_f64_f32_e32 v[124:125], v124
	v_lshl_add_u64 v[126:127], v[160:161], 3, v[120:121]
	global_store_dwordx2 v[126:127], v[124:125], off
	s_mov_b64 s[2:3], -1
	v_max_f32_e32 v125, v128, v128
	s_mov_b64 vcc, s[4:5]
	s_cbranch_vccz .LBB163_57
; %bb.56:
	v_min_f32_e32 v124, 0, v125
	v_cvt_f64_f32_e32 v[126:127], v124
	v_lshl_add_u64 v[128:129], v[168:169], 3, v[120:121]
	global_store_dwordx2 v[128:129], v[126:127], off
	s_mov_b64 s[2:3], 0
.LBB163_57:
	s_andn2_b64 vcc, exec, s[2:3]
	v_mov_b32_e32 v124, 0
	s_cbranch_vccnz .LBB163_59
; %bb.58:
	v_lshl_add_u64 v[126:127], v[122:123], 0, v[170:171]
	global_load_dwordx2 v[126:127], v[126:127], off
	v_lshl_add_u64 v[128:129], v[120:121], 0, v[170:171]
	v_lshl_add_u64 v[122:123], v[164:165], 3, v[122:123]
	s_waitcnt vmcnt(0)
	v_mul_f64 v[126:127], s[6:7], v[126:127]
	v_cvt_f32_f64_e32 v124, v[126:127]
	v_min_f32_e32 v124, v124, v125
	v_cvt_f64_f32_e32 v[124:125], v124
	global_store_dwordx2 v[128:129], v[124:125], off
	global_load_dwordx2 v[122:123], v[122:123], off
	s_waitcnt vmcnt(0)
	v_mul_f64 v[122:123], s[6:7], v[122:123]
	v_cvt_f32_f64_e32 v124, v[122:123]
.LBB163_59:
	v_add_f64 v[118:119], v[2:3], v[118:119]
	v_add_f64 v[116:117], v[0:1], v[116:117]
	v_cvt_f32_f64_e32 v116, v[116:117]
	v_cvt_f32_f64_e32 v117, v[118:119]
	v_add_f64 v[114:115], v[6:7], v[114:115]
	v_add_f64 v[112:113], v[4:5], v[112:113]
	v_min3_f32 v122, v116, v117, v214
	v_add_f64 v[116:117], v[38:39], v[110:111]
	v_add_f64 v[118:119], v[36:37], v[108:109]
	v_cvt_f32_f64_e32 v112, v[112:113]
	v_cvt_f32_f64_e32 v113, v[114:115]
	v_cvt_f32_f64_e32 v118, v[118:119]
	v_cvt_f32_f64_e32 v116, v[116:117]
	v_min_f32_e32 v117, v112, v113
	v_add_f64 v[112:113], v[34:35], v[106:107]
	v_add_f64 v[114:115], v[32:33], v[104:105]
	v_min3_f32 v116, v118, v116, v215
	v_cvt_f32_f64_e32 v114, v[114:115]
	v_cvt_f32_f64_e32 v112, v[112:113]
	v_min3_f32 v116, v114, v112, v116
	v_min3_f32 v112, v124, v117, v122
	v_cvt_f64_f32_e32 v[112:113], v112
	v_lshl_add_u64 v[114:115], v[164:165], 3, v[120:121]
	global_store_dwordx2 v[114:115], v[112:113], off
	v_add_u32_e32 v114, 48, v237
	v_mad_i64_i32 v[112:113], s[2:3], v114, s14, 0
	v_mad_i64_i32 v[114:115], s[2:3], v114, s9, 0
	v_lshl_add_u64 v[112:113], v[112:113], 3, s[0:1]
	s_mov_b64 s[2:3], -1
	v_max_f32_e32 v117, v116, v116
	s_mov_b64 vcc, s[4:5]
	s_cbranch_vccz .LBB163_61
; %bb.60:
	v_min_f32_e32 v116, 0, v117
	v_cvt_f64_f32_e32 v[118:119], v116
	v_lshl_add_u64 v[120:121], v[162:163], 3, v[112:113]
	global_store_dwordx2 v[120:121], v[118:119], off
	s_mov_b64 s[2:3], 0
.LBB163_61:
	v_lshl_add_u64 v[114:115], v[114:115], 3, s[12:13]
	s_andn2_b64 vcc, exec, s[2:3]
	v_mov_b32_e32 v116, 0
	s_cbranch_vccnz .LBB163_63
; %bb.62:
	v_lshl_add_u64 v[118:119], v[114:115], 0, v[166:167]
	global_load_dwordx2 v[118:119], v[118:119], off
	v_lshl_add_u64 v[120:121], v[112:113], 0, v[166:167]
	s_waitcnt vmcnt(0)
	v_mul_f64 v[118:119], s[6:7], v[118:119]
	v_cvt_f32_f64_e32 v116, v[118:119]
	v_min_f32_e32 v116, v116, v117
	v_cvt_f64_f32_e32 v[116:117], v116
	global_store_dwordx2 v[120:121], v[116:117], off
	v_lshl_add_u64 v[116:117], v[160:161], 3, v[114:115]
	global_load_dwordx2 v[116:117], v[116:117], off
	s_waitcnt vmcnt(0)
	v_mul_f64 v[116:117], s[6:7], v[116:117]
	v_cvt_f32_f64_e32 v116, v[116:117]
.LBB163_63:
	v_add_f64 v[118:119], v[30:31], v[110:111]
	v_add_f64 v[120:121], v[28:29], v[108:109]
	v_cvt_f32_f64_e32 v117, v[120:121]
	v_cvt_f32_f64_e32 v118, v[118:119]
	v_min3_f32 v117, v117, v118, v212
	v_add_f64 v[118:119], v[26:27], v[110:111]
	v_add_f64 v[120:121], v[24:25], v[108:109]
	v_cvt_f32_f64_e32 v120, v[120:121]
	v_cvt_f32_f64_e32 v118, v[118:119]
	v_min3_f32 v122, v120, v118, v213
	v_add_f64 v[118:119], v[18:19], v[106:107]
	v_add_f64 v[120:121], v[16:17], v[104:105]
	v_cvt_f32_f64_e32 v120, v[120:121]
	v_cvt_f32_f64_e32 v118, v[118:119]
	v_min_f32_e32 v123, v120, v118
	v_add_f64 v[118:119], v[10:11], v[106:107]
	v_add_f64 v[120:121], v[8:9], v[104:105]
	v_cvt_f32_f64_e32 v120, v[120:121]
	v_cvt_f32_f64_e32 v118, v[118:119]
	v_min3_f32 v116, v116, v123, v117
	v_min3_f32 v120, v120, v118, v122
	v_cvt_f64_f32_e32 v[116:117], v116
	v_lshl_add_u64 v[118:119], v[160:161], 3, v[112:113]
	global_store_dwordx2 v[118:119], v[116:117], off
	s_mov_b64 s[2:3], -1
	v_max_f32_e32 v117, v120, v120
	s_mov_b64 vcc, s[4:5]
	s_cbranch_vccz .LBB163_65
; %bb.64:
	v_min_f32_e32 v116, 0, v117
	v_cvt_f64_f32_e32 v[118:119], v116
	v_lshl_add_u64 v[120:121], v[168:169], 3, v[112:113]
	global_store_dwordx2 v[120:121], v[118:119], off
	s_mov_b64 s[2:3], 0
.LBB163_65:
	s_andn2_b64 vcc, exec, s[2:3]
	v_mov_b32_e32 v116, 0
	s_cbranch_vccnz .LBB163_67
; %bb.66:
	v_lshl_add_u64 v[118:119], v[114:115], 0, v[170:171]
	global_load_dwordx2 v[118:119], v[118:119], off
	v_lshl_add_u64 v[120:121], v[112:113], 0, v[170:171]
	v_lshl_add_u64 v[114:115], v[164:165], 3, v[114:115]
	s_waitcnt vmcnt(0)
	v_mul_f64 v[118:119], s[6:7], v[118:119]
	v_cvt_f32_f64_e32 v116, v[118:119]
	v_min_f32_e32 v116, v116, v117
	v_cvt_f64_f32_e32 v[116:117], v116
	global_store_dwordx2 v[120:121], v[116:117], off
	global_load_dwordx2 v[114:115], v[114:115], off
	s_waitcnt vmcnt(0)
	v_mul_f64 v[114:115], s[6:7], v[114:115]
	v_cvt_f32_f64_e32 v116, v[114:115]
.LBB163_67:
	v_add_f64 v[110:111], v[2:3], v[110:111]
	v_add_f64 v[108:109], v[0:1], v[108:109]
	v_cvt_f32_f64_e32 v108, v[108:109]
	v_cvt_f32_f64_e32 v109, v[110:111]
	v_add_f64 v[106:107], v[6:7], v[106:107]
	v_add_f64 v[104:105], v[4:5], v[104:105]
	v_min3_f32 v114, v108, v109, v210
	v_add_f64 v[108:109], v[38:39], v[102:103]
	v_add_f64 v[110:111], v[36:37], v[100:101]
	v_cvt_f32_f64_e32 v104, v[104:105]
	v_cvt_f32_f64_e32 v105, v[106:107]
	;; [unrolled: 1-line block ×4, first 2 shown]
	v_min_f32_e32 v109, v104, v105
	v_add_f64 v[104:105], v[34:35], v[98:99]
	v_add_f64 v[106:107], v[32:33], v[96:97]
	v_min3_f32 v108, v110, v108, v211
	v_cvt_f32_f64_e32 v106, v[106:107]
	v_cvt_f32_f64_e32 v104, v[104:105]
	v_min3_f32 v108, v106, v104, v108
	v_min3_f32 v104, v116, v109, v114
	v_cvt_f64_f32_e32 v[104:105], v104
	v_lshl_add_u64 v[106:107], v[164:165], 3, v[112:113]
	global_store_dwordx2 v[106:107], v[104:105], off
	v_add_u32_e32 v106, 56, v237
	v_mad_i64_i32 v[104:105], s[2:3], v106, s14, 0
	v_mad_i64_i32 v[106:107], s[2:3], v106, s9, 0
	v_lshl_add_u64 v[104:105], v[104:105], 3, s[0:1]
	s_mov_b64 s[2:3], -1
	v_max_f32_e32 v109, v108, v108
	s_mov_b64 vcc, s[4:5]
	s_cbranch_vccz .LBB163_69
; %bb.68:
	v_min_f32_e32 v108, 0, v109
	v_cvt_f64_f32_e32 v[110:111], v108
	v_lshl_add_u64 v[112:113], v[162:163], 3, v[104:105]
	global_store_dwordx2 v[112:113], v[110:111], off
	s_mov_b64 s[2:3], 0
.LBB163_69:
	v_lshl_add_u64 v[106:107], v[106:107], 3, s[12:13]
	s_andn2_b64 vcc, exec, s[2:3]
	v_mov_b32_e32 v108, 0
	s_cbranch_vccnz .LBB163_71
; %bb.70:
	v_lshl_add_u64 v[110:111], v[106:107], 0, v[166:167]
	global_load_dwordx2 v[110:111], v[110:111], off
	v_lshl_add_u64 v[112:113], v[104:105], 0, v[166:167]
	s_waitcnt vmcnt(0)
	v_mul_f64 v[110:111], s[6:7], v[110:111]
	v_cvt_f32_f64_e32 v108, v[110:111]
	v_min_f32_e32 v108, v108, v109
	v_cvt_f64_f32_e32 v[108:109], v108
	global_store_dwordx2 v[112:113], v[108:109], off
	v_lshl_add_u64 v[108:109], v[160:161], 3, v[106:107]
	global_load_dwordx2 v[108:109], v[108:109], off
	s_waitcnt vmcnt(0)
	v_mul_f64 v[108:109], s[6:7], v[108:109]
	v_cvt_f32_f64_e32 v108, v[108:109]
.LBB163_71:
	v_add_f64 v[110:111], v[30:31], v[102:103]
	v_add_f64 v[112:113], v[28:29], v[100:101]
	v_cvt_f32_f64_e32 v109, v[112:113]
	v_cvt_f32_f64_e32 v110, v[110:111]
	v_min3_f32 v109, v109, v110, v208
	v_add_f64 v[110:111], v[26:27], v[102:103]
	v_add_f64 v[112:113], v[24:25], v[100:101]
	v_cvt_f32_f64_e32 v112, v[112:113]
	v_cvt_f32_f64_e32 v110, v[110:111]
	v_min3_f32 v114, v112, v110, v209
	v_add_f64 v[110:111], v[18:19], v[98:99]
	v_add_f64 v[112:113], v[16:17], v[96:97]
	v_cvt_f32_f64_e32 v112, v[112:113]
	v_cvt_f32_f64_e32 v110, v[110:111]
	v_min_f32_e32 v115, v112, v110
	v_add_f64 v[110:111], v[10:11], v[98:99]
	v_add_f64 v[112:113], v[8:9], v[96:97]
	v_cvt_f32_f64_e32 v112, v[112:113]
	v_cvt_f32_f64_e32 v110, v[110:111]
	v_min3_f32 v108, v108, v115, v109
	v_min3_f32 v112, v112, v110, v114
	v_cvt_f64_f32_e32 v[108:109], v108
	v_lshl_add_u64 v[110:111], v[160:161], 3, v[104:105]
	global_store_dwordx2 v[110:111], v[108:109], off
	s_mov_b64 s[2:3], -1
	v_max_f32_e32 v109, v112, v112
	s_mov_b64 vcc, s[4:5]
	s_cbranch_vccz .LBB163_73
; %bb.72:
	v_min_f32_e32 v108, 0, v109
	v_cvt_f64_f32_e32 v[110:111], v108
	v_lshl_add_u64 v[112:113], v[168:169], 3, v[104:105]
	global_store_dwordx2 v[112:113], v[110:111], off
	s_mov_b64 s[2:3], 0
.LBB163_73:
	s_andn2_b64 vcc, exec, s[2:3]
	v_mov_b32_e32 v108, 0
	s_cbranch_vccnz .LBB163_75
; %bb.74:
	v_lshl_add_u64 v[110:111], v[106:107], 0, v[170:171]
	global_load_dwordx2 v[110:111], v[110:111], off
	v_lshl_add_u64 v[112:113], v[104:105], 0, v[170:171]
	v_lshl_add_u64 v[106:107], v[164:165], 3, v[106:107]
	s_waitcnt vmcnt(0)
	v_mul_f64 v[110:111], s[6:7], v[110:111]
	v_cvt_f32_f64_e32 v108, v[110:111]
	v_min_f32_e32 v108, v108, v109
	v_cvt_f64_f32_e32 v[108:109], v108
	global_store_dwordx2 v[112:113], v[108:109], off
	global_load_dwordx2 v[106:107], v[106:107], off
	s_waitcnt vmcnt(0)
	v_mul_f64 v[106:107], s[6:7], v[106:107]
	v_cvt_f32_f64_e32 v108, v[106:107]
.LBB163_75:
	v_add_f64 v[102:103], v[2:3], v[102:103]
	v_add_f64 v[100:101], v[0:1], v[100:101]
	v_cvt_f32_f64_e32 v100, v[100:101]
	v_cvt_f32_f64_e32 v101, v[102:103]
	v_add_f64 v[98:99], v[6:7], v[98:99]
	v_add_f64 v[96:97], v[4:5], v[96:97]
	v_min3_f32 v106, v100, v101, v206
	v_add_f64 v[100:101], v[38:39], v[94:95]
	v_add_f64 v[102:103], v[36:37], v[92:93]
	v_cvt_f32_f64_e32 v96, v[96:97]
	v_cvt_f32_f64_e32 v97, v[98:99]
	;; [unrolled: 1-line block ×4, first 2 shown]
	v_min_f32_e32 v101, v96, v97
	v_add_f64 v[96:97], v[34:35], v[90:91]
	v_add_f64 v[98:99], v[32:33], v[88:89]
	v_min3_f32 v100, v102, v100, v207
	v_cvt_f32_f64_e32 v98, v[98:99]
	v_cvt_f32_f64_e32 v96, v[96:97]
	v_min3_f32 v100, v98, v96, v100
	v_min3_f32 v96, v108, v101, v106
	v_cvt_f64_f32_e32 v[96:97], v96
	v_lshl_add_u64 v[98:99], v[164:165], 3, v[104:105]
	global_store_dwordx2 v[98:99], v[96:97], off
	v_add_u32_e32 v98, 64, v237
	v_mad_i64_i32 v[96:97], s[2:3], v98, s14, 0
	v_mad_i64_i32 v[98:99], s[2:3], v98, s9, 0
	v_lshl_add_u64 v[96:97], v[96:97], 3, s[0:1]
	s_mov_b64 s[2:3], -1
	v_max_f32_e32 v101, v100, v100
	s_mov_b64 vcc, s[4:5]
	s_cbranch_vccz .LBB163_77
; %bb.76:
	v_min_f32_e32 v100, 0, v101
	v_cvt_f64_f32_e32 v[102:103], v100
	v_lshl_add_u64 v[104:105], v[162:163], 3, v[96:97]
	global_store_dwordx2 v[104:105], v[102:103], off
	s_mov_b64 s[2:3], 0
.LBB163_77:
	v_lshl_add_u64 v[98:99], v[98:99], 3, s[12:13]
	s_andn2_b64 vcc, exec, s[2:3]
	v_mov_b32_e32 v100, 0
	s_cbranch_vccnz .LBB163_79
; %bb.78:
	v_lshl_add_u64 v[102:103], v[98:99], 0, v[166:167]
	global_load_dwordx2 v[102:103], v[102:103], off
	v_lshl_add_u64 v[104:105], v[96:97], 0, v[166:167]
	s_waitcnt vmcnt(0)
	v_mul_f64 v[102:103], s[6:7], v[102:103]
	v_cvt_f32_f64_e32 v100, v[102:103]
	v_min_f32_e32 v100, v100, v101
	v_cvt_f64_f32_e32 v[100:101], v100
	global_store_dwordx2 v[104:105], v[100:101], off
	v_lshl_add_u64 v[100:101], v[160:161], 3, v[98:99]
	global_load_dwordx2 v[100:101], v[100:101], off
	s_waitcnt vmcnt(0)
	v_mul_f64 v[100:101], s[6:7], v[100:101]
	v_cvt_f32_f64_e32 v100, v[100:101]
.LBB163_79:
	v_add_f64 v[102:103], v[30:31], v[94:95]
	v_add_f64 v[104:105], v[28:29], v[92:93]
	v_cvt_f32_f64_e32 v101, v[104:105]
	v_cvt_f32_f64_e32 v102, v[102:103]
	v_min3_f32 v101, v101, v102, v204
	v_add_f64 v[102:103], v[26:27], v[94:95]
	v_add_f64 v[104:105], v[24:25], v[92:93]
	v_cvt_f32_f64_e32 v104, v[104:105]
	v_cvt_f32_f64_e32 v102, v[102:103]
	v_min3_f32 v106, v104, v102, v205
	v_add_f64 v[102:103], v[18:19], v[90:91]
	v_add_f64 v[104:105], v[16:17], v[88:89]
	v_cvt_f32_f64_e32 v104, v[104:105]
	v_cvt_f32_f64_e32 v102, v[102:103]
	v_min_f32_e32 v107, v104, v102
	v_add_f64 v[102:103], v[10:11], v[90:91]
	v_add_f64 v[104:105], v[8:9], v[88:89]
	v_cvt_f32_f64_e32 v104, v[104:105]
	v_cvt_f32_f64_e32 v102, v[102:103]
	v_min3_f32 v100, v100, v107, v101
	v_min3_f32 v104, v104, v102, v106
	v_cvt_f64_f32_e32 v[100:101], v100
	v_lshl_add_u64 v[102:103], v[160:161], 3, v[96:97]
	global_store_dwordx2 v[102:103], v[100:101], off
	s_mov_b64 s[2:3], -1
	v_max_f32_e32 v101, v104, v104
	s_mov_b64 vcc, s[4:5]
	s_cbranch_vccz .LBB163_81
; %bb.80:
	v_min_f32_e32 v100, 0, v101
	v_cvt_f64_f32_e32 v[102:103], v100
	v_lshl_add_u64 v[104:105], v[168:169], 3, v[96:97]
	global_store_dwordx2 v[104:105], v[102:103], off
	s_mov_b64 s[2:3], 0
.LBB163_81:
	s_andn2_b64 vcc, exec, s[2:3]
	v_mov_b32_e32 v100, 0
	s_cbranch_vccnz .LBB163_83
; %bb.82:
	v_lshl_add_u64 v[102:103], v[98:99], 0, v[170:171]
	global_load_dwordx2 v[102:103], v[102:103], off
	v_lshl_add_u64 v[104:105], v[96:97], 0, v[170:171]
	v_lshl_add_u64 v[98:99], v[164:165], 3, v[98:99]
	s_waitcnt vmcnt(0)
	v_mul_f64 v[102:103], s[6:7], v[102:103]
	v_cvt_f32_f64_e32 v100, v[102:103]
	v_min_f32_e32 v100, v100, v101
	v_cvt_f64_f32_e32 v[100:101], v100
	global_store_dwordx2 v[104:105], v[100:101], off
	global_load_dwordx2 v[98:99], v[98:99], off
	s_waitcnt vmcnt(0)
	v_mul_f64 v[98:99], s[6:7], v[98:99]
	v_cvt_f32_f64_e32 v100, v[98:99]
.LBB163_83:
	v_add_f64 v[94:95], v[2:3], v[94:95]
	v_add_f64 v[92:93], v[0:1], v[92:93]
	v_cvt_f32_f64_e32 v92, v[92:93]
	v_cvt_f32_f64_e32 v93, v[94:95]
	v_add_f64 v[90:91], v[6:7], v[90:91]
	v_add_f64 v[88:89], v[4:5], v[88:89]
	v_min3_f32 v98, v92, v93, v202
	s_waitcnt lgkmcnt(13)
	v_add_f64 v[92:93], v[38:39], v[86:87]
	v_add_f64 v[94:95], v[36:37], v[84:85]
	v_cvt_f32_f64_e32 v88, v[88:89]
	v_cvt_f32_f64_e32 v89, v[90:91]
	v_cvt_f32_f64_e32 v94, v[94:95]
	v_cvt_f32_f64_e32 v92, v[92:93]
	v_min_f32_e32 v93, v88, v89
	s_waitcnt lgkmcnt(12)
	v_add_f64 v[88:89], v[34:35], v[82:83]
	v_add_f64 v[90:91], v[32:33], v[80:81]
	v_min3_f32 v92, v94, v92, v203
	v_cvt_f32_f64_e32 v90, v[90:91]
	v_cvt_f32_f64_e32 v88, v[88:89]
	v_min3_f32 v92, v90, v88, v92
	v_min3_f32 v88, v100, v93, v98
	v_cvt_f64_f32_e32 v[88:89], v88
	v_lshl_add_u64 v[90:91], v[164:165], 3, v[96:97]
	global_store_dwordx2 v[90:91], v[88:89], off
	v_add_u32_e32 v90, 0x48, v237
	v_mad_i64_i32 v[88:89], s[2:3], v90, s14, 0
	v_mad_i64_i32 v[90:91], s[2:3], v90, s9, 0
	v_lshl_add_u64 v[88:89], v[88:89], 3, s[0:1]
	s_mov_b64 s[2:3], -1
	v_max_f32_e32 v93, v92, v92
	s_mov_b64 vcc, s[4:5]
	s_cbranch_vccz .LBB163_85
; %bb.84:
	v_min_f32_e32 v92, 0, v93
	v_cvt_f64_f32_e32 v[94:95], v92
	v_lshl_add_u64 v[96:97], v[162:163], 3, v[88:89]
	global_store_dwordx2 v[96:97], v[94:95], off
	s_mov_b64 s[2:3], 0
.LBB163_85:
	v_lshl_add_u64 v[90:91], v[90:91], 3, s[12:13]
	s_andn2_b64 vcc, exec, s[2:3]
	v_mov_b32_e32 v92, 0
	s_cbranch_vccnz .LBB163_87
; %bb.86:
	v_lshl_add_u64 v[94:95], v[90:91], 0, v[166:167]
	global_load_dwordx2 v[94:95], v[94:95], off
	v_lshl_add_u64 v[96:97], v[88:89], 0, v[166:167]
	s_waitcnt vmcnt(0)
	v_mul_f64 v[94:95], s[6:7], v[94:95]
	v_cvt_f32_f64_e32 v92, v[94:95]
	v_min_f32_e32 v92, v92, v93
	v_cvt_f64_f32_e32 v[92:93], v92
	global_store_dwordx2 v[96:97], v[92:93], off
	v_lshl_add_u64 v[92:93], v[160:161], 3, v[90:91]
	global_load_dwordx2 v[92:93], v[92:93], off
	s_waitcnt vmcnt(0)
	v_mul_f64 v[92:93], s[6:7], v[92:93]
	v_cvt_f32_f64_e32 v92, v[92:93]
.LBB163_87:
	v_add_f64 v[94:95], v[30:31], v[86:87]
	v_add_f64 v[96:97], v[28:29], v[84:85]
	v_cvt_f32_f64_e32 v93, v[96:97]
	v_cvt_f32_f64_e32 v94, v[94:95]
	v_min3_f32 v93, v93, v94, v200
	v_add_f64 v[94:95], v[26:27], v[86:87]
	v_add_f64 v[96:97], v[24:25], v[84:85]
	v_cvt_f32_f64_e32 v96, v[96:97]
	v_cvt_f32_f64_e32 v94, v[94:95]
	v_min3_f32 v98, v96, v94, v201
	v_add_f64 v[94:95], v[18:19], v[82:83]
	v_add_f64 v[96:97], v[16:17], v[80:81]
	v_cvt_f32_f64_e32 v96, v[96:97]
	v_cvt_f32_f64_e32 v94, v[94:95]
	v_min_f32_e32 v99, v96, v94
	v_add_f64 v[94:95], v[10:11], v[82:83]
	v_add_f64 v[96:97], v[8:9], v[80:81]
	v_cvt_f32_f64_e32 v96, v[96:97]
	v_cvt_f32_f64_e32 v94, v[94:95]
	v_min3_f32 v92, v92, v99, v93
	v_min3_f32 v96, v96, v94, v98
	v_cvt_f64_f32_e32 v[92:93], v92
	v_lshl_add_u64 v[94:95], v[160:161], 3, v[88:89]
	global_store_dwordx2 v[94:95], v[92:93], off
	s_mov_b64 s[2:3], -1
	v_max_f32_e32 v93, v96, v96
	s_mov_b64 vcc, s[4:5]
	s_cbranch_vccz .LBB163_89
; %bb.88:
	v_min_f32_e32 v92, 0, v93
	v_cvt_f64_f32_e32 v[94:95], v92
	v_lshl_add_u64 v[96:97], v[168:169], 3, v[88:89]
	global_store_dwordx2 v[96:97], v[94:95], off
	s_mov_b64 s[2:3], 0
.LBB163_89:
	s_andn2_b64 vcc, exec, s[2:3]
	v_mov_b32_e32 v92, 0
	s_cbranch_vccnz .LBB163_91
; %bb.90:
	v_lshl_add_u64 v[94:95], v[90:91], 0, v[170:171]
	global_load_dwordx2 v[94:95], v[94:95], off
	v_lshl_add_u64 v[96:97], v[88:89], 0, v[170:171]
	v_lshl_add_u64 v[90:91], v[164:165], 3, v[90:91]
	s_waitcnt vmcnt(0)
	v_mul_f64 v[94:95], s[6:7], v[94:95]
	v_cvt_f32_f64_e32 v92, v[94:95]
	v_min_f32_e32 v92, v92, v93
	v_cvt_f64_f32_e32 v[92:93], v92
	global_store_dwordx2 v[96:97], v[92:93], off
	global_load_dwordx2 v[90:91], v[90:91], off
	s_waitcnt vmcnt(0)
	v_mul_f64 v[90:91], s[6:7], v[90:91]
	v_cvt_f32_f64_e32 v92, v[90:91]
.LBB163_91:
	v_add_f64 v[86:87], v[2:3], v[86:87]
	v_add_f64 v[84:85], v[0:1], v[84:85]
	v_cvt_f32_f64_e32 v84, v[84:85]
	v_cvt_f32_f64_e32 v85, v[86:87]
	v_add_f64 v[82:83], v[6:7], v[82:83]
	v_add_f64 v[80:81], v[4:5], v[80:81]
	v_min3_f32 v90, v84, v85, v198
	s_waitcnt lgkmcnt(11)
	v_add_f64 v[84:85], v[38:39], v[78:79]
	v_add_f64 v[86:87], v[36:37], v[76:77]
	v_cvt_f32_f64_e32 v80, v[80:81]
	v_cvt_f32_f64_e32 v81, v[82:83]
	;; [unrolled: 1-line block ×4, first 2 shown]
	v_min_f32_e32 v85, v80, v81
	s_waitcnt lgkmcnt(10)
	v_add_f64 v[80:81], v[34:35], v[74:75]
	v_add_f64 v[82:83], v[32:33], v[72:73]
	v_min3_f32 v84, v86, v84, v199
	v_cvt_f32_f64_e32 v82, v[82:83]
	v_cvt_f32_f64_e32 v80, v[80:81]
	v_min3_f32 v84, v82, v80, v84
	v_min3_f32 v80, v92, v85, v90
	v_cvt_f64_f32_e32 v[80:81], v80
	v_lshl_add_u64 v[82:83], v[164:165], 3, v[88:89]
	global_store_dwordx2 v[82:83], v[80:81], off
	v_add_u32_e32 v82, 0x50, v237
	v_mad_i64_i32 v[80:81], s[2:3], v82, s14, 0
	v_mad_i64_i32 v[82:83], s[2:3], v82, s9, 0
	v_lshl_add_u64 v[80:81], v[80:81], 3, s[0:1]
	s_mov_b64 s[2:3], -1
	v_max_f32_e32 v85, v84, v84
	s_mov_b64 vcc, s[4:5]
	s_cbranch_vccz .LBB163_93
; %bb.92:
	v_min_f32_e32 v84, 0, v85
	v_cvt_f64_f32_e32 v[86:87], v84
	v_lshl_add_u64 v[88:89], v[162:163], 3, v[80:81]
	global_store_dwordx2 v[88:89], v[86:87], off
	s_mov_b64 s[2:3], 0
.LBB163_93:
	v_lshl_add_u64 v[82:83], v[82:83], 3, s[12:13]
	s_andn2_b64 vcc, exec, s[2:3]
	v_mov_b32_e32 v84, 0
	s_cbranch_vccnz .LBB163_95
; %bb.94:
	v_lshl_add_u64 v[86:87], v[82:83], 0, v[166:167]
	global_load_dwordx2 v[86:87], v[86:87], off
	v_lshl_add_u64 v[88:89], v[80:81], 0, v[166:167]
	s_waitcnt vmcnt(0)
	v_mul_f64 v[86:87], s[6:7], v[86:87]
	v_cvt_f32_f64_e32 v84, v[86:87]
	v_min_f32_e32 v84, v84, v85
	v_cvt_f64_f32_e32 v[84:85], v84
	global_store_dwordx2 v[88:89], v[84:85], off
	v_lshl_add_u64 v[84:85], v[160:161], 3, v[82:83]
	global_load_dwordx2 v[84:85], v[84:85], off
	s_waitcnt vmcnt(0)
	v_mul_f64 v[84:85], s[6:7], v[84:85]
	v_cvt_f32_f64_e32 v84, v[84:85]
.LBB163_95:
	v_add_f64 v[86:87], v[30:31], v[78:79]
	v_add_f64 v[88:89], v[28:29], v[76:77]
	v_cvt_f32_f64_e32 v85, v[88:89]
	v_cvt_f32_f64_e32 v86, v[86:87]
	v_min3_f32 v85, v85, v86, v196
	v_add_f64 v[86:87], v[26:27], v[78:79]
	v_add_f64 v[88:89], v[24:25], v[76:77]
	v_cvt_f32_f64_e32 v88, v[88:89]
	v_cvt_f32_f64_e32 v86, v[86:87]
	v_min3_f32 v90, v88, v86, v197
	v_add_f64 v[86:87], v[18:19], v[74:75]
	v_add_f64 v[88:89], v[16:17], v[72:73]
	v_cvt_f32_f64_e32 v88, v[88:89]
	v_cvt_f32_f64_e32 v86, v[86:87]
	v_min_f32_e32 v91, v88, v86
	v_add_f64 v[86:87], v[10:11], v[74:75]
	v_add_f64 v[88:89], v[8:9], v[72:73]
	v_cvt_f32_f64_e32 v88, v[88:89]
	v_cvt_f32_f64_e32 v86, v[86:87]
	v_min3_f32 v84, v84, v91, v85
	v_min3_f32 v88, v88, v86, v90
	v_cvt_f64_f32_e32 v[84:85], v84
	v_lshl_add_u64 v[86:87], v[160:161], 3, v[80:81]
	global_store_dwordx2 v[86:87], v[84:85], off
	s_mov_b64 s[2:3], -1
	v_max_f32_e32 v85, v88, v88
	s_mov_b64 vcc, s[4:5]
	s_cbranch_vccz .LBB163_97
; %bb.96:
	v_min_f32_e32 v84, 0, v85
	v_cvt_f64_f32_e32 v[86:87], v84
	v_lshl_add_u64 v[88:89], v[168:169], 3, v[80:81]
	global_store_dwordx2 v[88:89], v[86:87], off
	s_mov_b64 s[2:3], 0
.LBB163_97:
	s_andn2_b64 vcc, exec, s[2:3]
	v_mov_b32_e32 v84, 0
	s_cbranch_vccnz .LBB163_99
; %bb.98:
	v_lshl_add_u64 v[86:87], v[82:83], 0, v[170:171]
	global_load_dwordx2 v[86:87], v[86:87], off
	v_lshl_add_u64 v[88:89], v[80:81], 0, v[170:171]
	v_lshl_add_u64 v[82:83], v[164:165], 3, v[82:83]
	s_waitcnt vmcnt(0)
	v_mul_f64 v[86:87], s[6:7], v[86:87]
	v_cvt_f32_f64_e32 v84, v[86:87]
	v_min_f32_e32 v84, v84, v85
	v_cvt_f64_f32_e32 v[84:85], v84
	global_store_dwordx2 v[88:89], v[84:85], off
	global_load_dwordx2 v[82:83], v[82:83], off
	s_waitcnt vmcnt(0)
	v_mul_f64 v[82:83], s[6:7], v[82:83]
	v_cvt_f32_f64_e32 v84, v[82:83]
.LBB163_99:
	v_add_f64 v[78:79], v[2:3], v[78:79]
	v_add_f64 v[76:77], v[0:1], v[76:77]
	v_cvt_f32_f64_e32 v76, v[76:77]
	v_cvt_f32_f64_e32 v77, v[78:79]
	v_add_f64 v[74:75], v[6:7], v[74:75]
	v_add_f64 v[72:73], v[4:5], v[72:73]
	v_min3_f32 v82, v76, v77, v194
	s_waitcnt lgkmcnt(9)
	v_add_f64 v[76:77], v[38:39], v[70:71]
	v_add_f64 v[78:79], v[36:37], v[68:69]
	v_cvt_f32_f64_e32 v72, v[72:73]
	v_cvt_f32_f64_e32 v73, v[74:75]
	;; [unrolled: 1-line block ×4, first 2 shown]
	v_min_f32_e32 v77, v72, v73
	s_waitcnt lgkmcnt(8)
	v_add_f64 v[72:73], v[34:35], v[66:67]
	v_add_f64 v[74:75], v[32:33], v[64:65]
	v_min3_f32 v76, v78, v76, v195
	v_cvt_f32_f64_e32 v74, v[74:75]
	v_cvt_f32_f64_e32 v72, v[72:73]
	v_min3_f32 v76, v74, v72, v76
	v_min3_f32 v72, v84, v77, v82
	v_cvt_f64_f32_e32 v[72:73], v72
	v_lshl_add_u64 v[74:75], v[164:165], 3, v[80:81]
	global_store_dwordx2 v[74:75], v[72:73], off
	v_add_u32_e32 v74, 0x58, v237
	v_mad_i64_i32 v[72:73], s[2:3], v74, s14, 0
	v_mad_i64_i32 v[74:75], s[2:3], v74, s9, 0
	v_lshl_add_u64 v[72:73], v[72:73], 3, s[0:1]
	s_mov_b64 s[2:3], -1
	v_max_f32_e32 v77, v76, v76
	s_mov_b64 vcc, s[4:5]
	s_cbranch_vccz .LBB163_101
; %bb.100:
	v_min_f32_e32 v76, 0, v77
	v_cvt_f64_f32_e32 v[78:79], v76
	v_lshl_add_u64 v[80:81], v[162:163], 3, v[72:73]
	global_store_dwordx2 v[80:81], v[78:79], off
	s_mov_b64 s[2:3], 0
.LBB163_101:
	v_lshl_add_u64 v[74:75], v[74:75], 3, s[12:13]
	s_andn2_b64 vcc, exec, s[2:3]
	v_mov_b32_e32 v76, 0
	s_cbranch_vccnz .LBB163_103
; %bb.102:
	v_lshl_add_u64 v[78:79], v[74:75], 0, v[166:167]
	global_load_dwordx2 v[78:79], v[78:79], off
	v_lshl_add_u64 v[80:81], v[72:73], 0, v[166:167]
	s_waitcnt vmcnt(0)
	v_mul_f64 v[78:79], s[6:7], v[78:79]
	v_cvt_f32_f64_e32 v76, v[78:79]
	v_min_f32_e32 v76, v76, v77
	v_cvt_f64_f32_e32 v[76:77], v76
	global_store_dwordx2 v[80:81], v[76:77], off
	v_lshl_add_u64 v[76:77], v[160:161], 3, v[74:75]
	global_load_dwordx2 v[76:77], v[76:77], off
	s_waitcnt vmcnt(0)
	v_mul_f64 v[76:77], s[6:7], v[76:77]
	v_cvt_f32_f64_e32 v76, v[76:77]
.LBB163_103:
	v_add_f64 v[78:79], v[30:31], v[70:71]
	v_add_f64 v[80:81], v[28:29], v[68:69]
	v_cvt_f32_f64_e32 v77, v[80:81]
	v_cvt_f32_f64_e32 v78, v[78:79]
	v_min3_f32 v77, v77, v78, v192
	v_add_f64 v[78:79], v[26:27], v[70:71]
	v_add_f64 v[80:81], v[24:25], v[68:69]
	v_cvt_f32_f64_e32 v80, v[80:81]
	v_cvt_f32_f64_e32 v78, v[78:79]
	v_min3_f32 v82, v80, v78, v193
	v_add_f64 v[78:79], v[18:19], v[66:67]
	v_add_f64 v[80:81], v[16:17], v[64:65]
	v_cvt_f32_f64_e32 v80, v[80:81]
	v_cvt_f32_f64_e32 v78, v[78:79]
	v_min_f32_e32 v83, v80, v78
	v_add_f64 v[78:79], v[10:11], v[66:67]
	v_add_f64 v[80:81], v[8:9], v[64:65]
	v_cvt_f32_f64_e32 v80, v[80:81]
	v_cvt_f32_f64_e32 v78, v[78:79]
	v_min3_f32 v76, v76, v83, v77
	v_min3_f32 v80, v80, v78, v82
	v_cvt_f64_f32_e32 v[76:77], v76
	v_lshl_add_u64 v[78:79], v[160:161], 3, v[72:73]
	global_store_dwordx2 v[78:79], v[76:77], off
	s_mov_b64 s[2:3], -1
	v_max_f32_e32 v77, v80, v80
	s_mov_b64 vcc, s[4:5]
	s_cbranch_vccz .LBB163_105
; %bb.104:
	v_min_f32_e32 v76, 0, v77
	v_cvt_f64_f32_e32 v[78:79], v76
	v_lshl_add_u64 v[80:81], v[168:169], 3, v[72:73]
	global_store_dwordx2 v[80:81], v[78:79], off
	s_mov_b64 s[2:3], 0
.LBB163_105:
	s_andn2_b64 vcc, exec, s[2:3]
	v_mov_b32_e32 v76, 0
	s_cbranch_vccnz .LBB163_107
; %bb.106:
	v_lshl_add_u64 v[78:79], v[74:75], 0, v[170:171]
	global_load_dwordx2 v[78:79], v[78:79], off
	v_lshl_add_u64 v[80:81], v[72:73], 0, v[170:171]
	v_lshl_add_u64 v[74:75], v[164:165], 3, v[74:75]
	s_waitcnt vmcnt(0)
	v_mul_f64 v[78:79], s[6:7], v[78:79]
	v_cvt_f32_f64_e32 v76, v[78:79]
	v_min_f32_e32 v76, v76, v77
	v_cvt_f64_f32_e32 v[76:77], v76
	global_store_dwordx2 v[80:81], v[76:77], off
	global_load_dwordx2 v[74:75], v[74:75], off
	s_waitcnt vmcnt(0)
	v_mul_f64 v[74:75], s[6:7], v[74:75]
	v_cvt_f32_f64_e32 v76, v[74:75]
.LBB163_107:
	v_add_f64 v[70:71], v[2:3], v[70:71]
	v_add_f64 v[68:69], v[0:1], v[68:69]
	v_cvt_f32_f64_e32 v68, v[68:69]
	v_cvt_f32_f64_e32 v69, v[70:71]
	v_add_f64 v[66:67], v[6:7], v[66:67]
	v_add_f64 v[64:65], v[4:5], v[64:65]
	v_min3_f32 v74, v68, v69, v190
	s_waitcnt lgkmcnt(7)
	v_add_f64 v[68:69], v[38:39], v[62:63]
	v_add_f64 v[70:71], v[36:37], v[60:61]
	v_cvt_f32_f64_e32 v64, v[64:65]
	v_cvt_f32_f64_e32 v65, v[66:67]
	;; [unrolled: 1-line block ×4, first 2 shown]
	v_min_f32_e32 v69, v64, v65
	s_waitcnt lgkmcnt(6)
	v_add_f64 v[64:65], v[34:35], v[58:59]
	v_add_f64 v[66:67], v[32:33], v[56:57]
	v_min3_f32 v68, v70, v68, v191
	v_cvt_f32_f64_e32 v66, v[66:67]
	v_cvt_f32_f64_e32 v64, v[64:65]
	v_min3_f32 v68, v66, v64, v68
	v_min3_f32 v64, v76, v69, v74
	v_cvt_f64_f32_e32 v[64:65], v64
	v_lshl_add_u64 v[66:67], v[164:165], 3, v[72:73]
	global_store_dwordx2 v[66:67], v[64:65], off
	v_add_u32_e32 v66, 0x60, v237
	v_mad_i64_i32 v[64:65], s[2:3], v66, s14, 0
	v_mad_i64_i32 v[66:67], s[2:3], v66, s9, 0
	v_lshl_add_u64 v[64:65], v[64:65], 3, s[0:1]
	s_mov_b64 s[2:3], -1
	v_max_f32_e32 v69, v68, v68
	s_mov_b64 vcc, s[4:5]
	s_cbranch_vccz .LBB163_109
; %bb.108:
	v_min_f32_e32 v68, 0, v69
	v_cvt_f64_f32_e32 v[70:71], v68
	v_lshl_add_u64 v[72:73], v[162:163], 3, v[64:65]
	global_store_dwordx2 v[72:73], v[70:71], off
	s_mov_b64 s[2:3], 0
.LBB163_109:
	v_lshl_add_u64 v[66:67], v[66:67], 3, s[12:13]
	s_andn2_b64 vcc, exec, s[2:3]
	v_mov_b32_e32 v68, 0
	s_cbranch_vccnz .LBB163_111
; %bb.110:
	v_lshl_add_u64 v[70:71], v[66:67], 0, v[166:167]
	global_load_dwordx2 v[70:71], v[70:71], off
	v_lshl_add_u64 v[72:73], v[64:65], 0, v[166:167]
	s_waitcnt vmcnt(0)
	v_mul_f64 v[70:71], s[6:7], v[70:71]
	v_cvt_f32_f64_e32 v68, v[70:71]
	v_min_f32_e32 v68, v68, v69
	v_cvt_f64_f32_e32 v[68:69], v68
	global_store_dwordx2 v[72:73], v[68:69], off
	v_lshl_add_u64 v[68:69], v[160:161], 3, v[66:67]
	global_load_dwordx2 v[68:69], v[68:69], off
	s_waitcnt vmcnt(0)
	v_mul_f64 v[68:69], s[6:7], v[68:69]
	v_cvt_f32_f64_e32 v68, v[68:69]
.LBB163_111:
	v_add_f64 v[70:71], v[30:31], v[62:63]
	v_add_f64 v[72:73], v[28:29], v[60:61]
	v_cvt_f32_f64_e32 v69, v[72:73]
	v_cvt_f32_f64_e32 v70, v[70:71]
	v_min3_f32 v69, v69, v70, v188
	v_add_f64 v[70:71], v[26:27], v[62:63]
	v_add_f64 v[72:73], v[24:25], v[60:61]
	v_cvt_f32_f64_e32 v72, v[72:73]
	v_cvt_f32_f64_e32 v70, v[70:71]
	v_min3_f32 v74, v72, v70, v189
	v_add_f64 v[70:71], v[18:19], v[58:59]
	v_add_f64 v[72:73], v[16:17], v[56:57]
	v_cvt_f32_f64_e32 v72, v[72:73]
	v_cvt_f32_f64_e32 v70, v[70:71]
	v_min_f32_e32 v75, v72, v70
	v_add_f64 v[70:71], v[10:11], v[58:59]
	v_add_f64 v[72:73], v[8:9], v[56:57]
	v_cvt_f32_f64_e32 v72, v[72:73]
	v_cvt_f32_f64_e32 v70, v[70:71]
	v_min3_f32 v68, v68, v75, v69
	v_min3_f32 v72, v72, v70, v74
	v_cvt_f64_f32_e32 v[68:69], v68
	v_lshl_add_u64 v[70:71], v[160:161], 3, v[64:65]
	global_store_dwordx2 v[70:71], v[68:69], off
	s_mov_b64 s[2:3], -1
	v_max_f32_e32 v69, v72, v72
	s_mov_b64 vcc, s[4:5]
	s_cbranch_vccz .LBB163_113
; %bb.112:
	v_min_f32_e32 v68, 0, v69
	v_cvt_f64_f32_e32 v[70:71], v68
	v_lshl_add_u64 v[72:73], v[168:169], 3, v[64:65]
	global_store_dwordx2 v[72:73], v[70:71], off
	s_mov_b64 s[2:3], 0
.LBB163_113:
	s_andn2_b64 vcc, exec, s[2:3]
	v_mov_b32_e32 v68, 0
	s_cbranch_vccnz .LBB163_115
; %bb.114:
	v_lshl_add_u64 v[70:71], v[66:67], 0, v[170:171]
	global_load_dwordx2 v[70:71], v[70:71], off
	v_lshl_add_u64 v[72:73], v[64:65], 0, v[170:171]
	v_lshl_add_u64 v[66:67], v[164:165], 3, v[66:67]
	s_waitcnt vmcnt(0)
	v_mul_f64 v[70:71], s[6:7], v[70:71]
	v_cvt_f32_f64_e32 v68, v[70:71]
	v_min_f32_e32 v68, v68, v69
	v_cvt_f64_f32_e32 v[68:69], v68
	global_store_dwordx2 v[72:73], v[68:69], off
	global_load_dwordx2 v[66:67], v[66:67], off
	s_waitcnt vmcnt(0)
	v_mul_f64 v[66:67], s[6:7], v[66:67]
	v_cvt_f32_f64_e32 v68, v[66:67]
.LBB163_115:
	v_add_f64 v[62:63], v[2:3], v[62:63]
	v_add_f64 v[60:61], v[0:1], v[60:61]
	v_cvt_f32_f64_e32 v60, v[60:61]
	v_cvt_f32_f64_e32 v61, v[62:63]
	v_add_f64 v[58:59], v[6:7], v[58:59]
	v_add_f64 v[56:57], v[4:5], v[56:57]
	v_min3_f32 v66, v60, v61, v186
	s_waitcnt lgkmcnt(5)
	v_add_f64 v[60:61], v[38:39], v[54:55]
	v_add_f64 v[62:63], v[36:37], v[52:53]
	v_cvt_f32_f64_e32 v56, v[56:57]
	v_cvt_f32_f64_e32 v57, v[58:59]
	v_cvt_f32_f64_e32 v62, v[62:63]
	v_cvt_f32_f64_e32 v60, v[60:61]
	v_min_f32_e32 v61, v56, v57
	s_waitcnt lgkmcnt(4)
	v_add_f64 v[56:57], v[34:35], v[50:51]
	v_add_f64 v[58:59], v[32:33], v[48:49]
	v_min3_f32 v60, v62, v60, v187
	v_cvt_f32_f64_e32 v58, v[58:59]
	v_cvt_f32_f64_e32 v56, v[56:57]
	v_min3_f32 v60, v58, v56, v60
	v_min3_f32 v56, v68, v61, v66
	v_cvt_f64_f32_e32 v[56:57], v56
	v_lshl_add_u64 v[58:59], v[164:165], 3, v[64:65]
	global_store_dwordx2 v[58:59], v[56:57], off
	v_add_u32_e32 v58, 0x68, v237
	v_mad_i64_i32 v[56:57], s[2:3], v58, s14, 0
	v_mad_i64_i32 v[58:59], s[2:3], v58, s9, 0
	v_lshl_add_u64 v[56:57], v[56:57], 3, s[0:1]
	s_mov_b64 s[2:3], -1
	v_max_f32_e32 v61, v60, v60
	s_mov_b64 vcc, s[4:5]
	s_cbranch_vccz .LBB163_117
; %bb.116:
	v_min_f32_e32 v60, 0, v61
	v_cvt_f64_f32_e32 v[62:63], v60
	v_lshl_add_u64 v[64:65], v[162:163], 3, v[56:57]
	global_store_dwordx2 v[64:65], v[62:63], off
	s_mov_b64 s[2:3], 0
.LBB163_117:
	v_lshl_add_u64 v[58:59], v[58:59], 3, s[12:13]
	s_andn2_b64 vcc, exec, s[2:3]
	v_mov_b32_e32 v60, 0
	s_cbranch_vccnz .LBB163_119
; %bb.118:
	v_lshl_add_u64 v[62:63], v[58:59], 0, v[166:167]
	global_load_dwordx2 v[62:63], v[62:63], off
	v_lshl_add_u64 v[64:65], v[56:57], 0, v[166:167]
	s_waitcnt vmcnt(0)
	v_mul_f64 v[62:63], s[6:7], v[62:63]
	v_cvt_f32_f64_e32 v60, v[62:63]
	v_min_f32_e32 v60, v60, v61
	v_cvt_f64_f32_e32 v[60:61], v60
	global_store_dwordx2 v[64:65], v[60:61], off
	v_lshl_add_u64 v[60:61], v[160:161], 3, v[58:59]
	global_load_dwordx2 v[60:61], v[60:61], off
	s_waitcnt vmcnt(0)
	v_mul_f64 v[60:61], s[6:7], v[60:61]
	v_cvt_f32_f64_e32 v60, v[60:61]
.LBB163_119:
	v_add_f64 v[62:63], v[30:31], v[54:55]
	v_add_f64 v[64:65], v[28:29], v[52:53]
	v_cvt_f32_f64_e32 v61, v[64:65]
	v_cvt_f32_f64_e32 v62, v[62:63]
	v_min3_f32 v61, v61, v62, v184
	v_add_f64 v[62:63], v[26:27], v[54:55]
	v_add_f64 v[64:65], v[24:25], v[52:53]
	v_cvt_f32_f64_e32 v64, v[64:65]
	v_cvt_f32_f64_e32 v62, v[62:63]
	v_min3_f32 v66, v64, v62, v185
	v_add_f64 v[62:63], v[18:19], v[50:51]
	v_add_f64 v[64:65], v[16:17], v[48:49]
	v_cvt_f32_f64_e32 v64, v[64:65]
	v_cvt_f32_f64_e32 v62, v[62:63]
	v_min_f32_e32 v67, v64, v62
	v_add_f64 v[62:63], v[10:11], v[50:51]
	v_add_f64 v[64:65], v[8:9], v[48:49]
	v_cvt_f32_f64_e32 v64, v[64:65]
	v_cvt_f32_f64_e32 v62, v[62:63]
	v_min3_f32 v60, v60, v67, v61
	v_min3_f32 v64, v64, v62, v66
	v_cvt_f64_f32_e32 v[60:61], v60
	v_lshl_add_u64 v[62:63], v[160:161], 3, v[56:57]
	global_store_dwordx2 v[62:63], v[60:61], off
	s_mov_b64 s[2:3], -1
	v_max_f32_e32 v61, v64, v64
	s_mov_b64 vcc, s[4:5]
	s_cbranch_vccz .LBB163_121
; %bb.120:
	v_min_f32_e32 v60, 0, v61
	v_cvt_f64_f32_e32 v[62:63], v60
	v_lshl_add_u64 v[64:65], v[168:169], 3, v[56:57]
	global_store_dwordx2 v[64:65], v[62:63], off
	s_mov_b64 s[2:3], 0
.LBB163_121:
	s_andn2_b64 vcc, exec, s[2:3]
	v_mov_b32_e32 v60, 0
	s_cbranch_vccnz .LBB163_123
; %bb.122:
	v_lshl_add_u64 v[62:63], v[58:59], 0, v[170:171]
	global_load_dwordx2 v[62:63], v[62:63], off
	v_lshl_add_u64 v[64:65], v[56:57], 0, v[170:171]
	v_lshl_add_u64 v[58:59], v[164:165], 3, v[58:59]
	s_waitcnt vmcnt(0)
	v_mul_f64 v[62:63], s[6:7], v[62:63]
	v_cvt_f32_f64_e32 v60, v[62:63]
	v_min_f32_e32 v60, v60, v61
	v_cvt_f64_f32_e32 v[60:61], v60
	global_store_dwordx2 v[64:65], v[60:61], off
	global_load_dwordx2 v[58:59], v[58:59], off
	s_waitcnt vmcnt(0)
	v_mul_f64 v[58:59], s[6:7], v[58:59]
	v_cvt_f32_f64_e32 v60, v[58:59]
.LBB163_123:
	v_add_f64 v[54:55], v[2:3], v[54:55]
	v_add_f64 v[52:53], v[0:1], v[52:53]
	v_cvt_f32_f64_e32 v52, v[52:53]
	v_cvt_f32_f64_e32 v53, v[54:55]
	v_add_f64 v[50:51], v[6:7], v[50:51]
	v_add_f64 v[48:49], v[4:5], v[48:49]
	v_min3_f32 v58, v52, v53, v182
	s_waitcnt lgkmcnt(3)
	v_add_f64 v[52:53], v[38:39], v[46:47]
	v_add_f64 v[54:55], v[36:37], v[44:45]
	v_cvt_f32_f64_e32 v48, v[48:49]
	v_cvt_f32_f64_e32 v49, v[50:51]
	;; [unrolled: 1-line block ×4, first 2 shown]
	v_min_f32_e32 v53, v48, v49
	s_waitcnt lgkmcnt(2)
	v_add_f64 v[48:49], v[34:35], v[42:43]
	v_add_f64 v[50:51], v[32:33], v[40:41]
	v_min3_f32 v52, v54, v52, v183
	v_cvt_f32_f64_e32 v50, v[50:51]
	v_cvt_f32_f64_e32 v48, v[48:49]
	v_min3_f32 v52, v50, v48, v52
	v_min3_f32 v48, v60, v53, v58
	v_cvt_f64_f32_e32 v[48:49], v48
	v_lshl_add_u64 v[50:51], v[164:165], 3, v[56:57]
	global_store_dwordx2 v[50:51], v[48:49], off
	v_add_u32_e32 v50, 0x70, v237
	v_mad_i64_i32 v[48:49], s[2:3], v50, s14, 0
	v_mad_i64_i32 v[50:51], s[2:3], v50, s9, 0
	v_lshl_add_u64 v[48:49], v[48:49], 3, s[0:1]
	s_mov_b64 s[2:3], -1
	v_max_f32_e32 v53, v52, v52
	s_mov_b64 vcc, s[4:5]
	s_cbranch_vccz .LBB163_125
; %bb.124:
	v_min_f32_e32 v52, 0, v53
	v_cvt_f64_f32_e32 v[54:55], v52
	v_lshl_add_u64 v[56:57], v[162:163], 3, v[48:49]
	global_store_dwordx2 v[56:57], v[54:55], off
	s_mov_b64 s[2:3], 0
.LBB163_125:
	v_lshl_add_u64 v[50:51], v[50:51], 3, s[12:13]
	s_andn2_b64 vcc, exec, s[2:3]
	v_mov_b32_e32 v52, 0
	s_cbranch_vccnz .LBB163_127
; %bb.126:
	v_lshl_add_u64 v[54:55], v[50:51], 0, v[166:167]
	global_load_dwordx2 v[54:55], v[54:55], off
	v_lshl_add_u64 v[56:57], v[48:49], 0, v[166:167]
	s_waitcnt vmcnt(0)
	v_mul_f64 v[54:55], s[6:7], v[54:55]
	v_cvt_f32_f64_e32 v52, v[54:55]
	v_min_f32_e32 v52, v52, v53
	v_cvt_f64_f32_e32 v[52:53], v52
	global_store_dwordx2 v[56:57], v[52:53], off
	v_lshl_add_u64 v[52:53], v[160:161], 3, v[50:51]
	global_load_dwordx2 v[52:53], v[52:53], off
	s_waitcnt vmcnt(0)
	v_mul_f64 v[52:53], s[6:7], v[52:53]
	v_cvt_f32_f64_e32 v52, v[52:53]
.LBB163_127:
	v_add_f64 v[54:55], v[30:31], v[46:47]
	v_add_f64 v[56:57], v[28:29], v[44:45]
	v_cvt_f32_f64_e32 v53, v[56:57]
	v_cvt_f32_f64_e32 v54, v[54:55]
	v_min3_f32 v53, v53, v54, v180
	v_add_f64 v[54:55], v[26:27], v[46:47]
	v_add_f64 v[56:57], v[24:25], v[44:45]
	v_cvt_f32_f64_e32 v56, v[56:57]
	v_cvt_f32_f64_e32 v54, v[54:55]
	v_min3_f32 v58, v56, v54, v181
	v_add_f64 v[54:55], v[18:19], v[42:43]
	v_add_f64 v[56:57], v[16:17], v[40:41]
	v_cvt_f32_f64_e32 v56, v[56:57]
	v_cvt_f32_f64_e32 v54, v[54:55]
	v_min_f32_e32 v59, v56, v54
	v_add_f64 v[54:55], v[10:11], v[42:43]
	v_add_f64 v[56:57], v[8:9], v[40:41]
	v_cvt_f32_f64_e32 v56, v[56:57]
	v_cvt_f32_f64_e32 v54, v[54:55]
	v_min3_f32 v52, v52, v59, v53
	v_min3_f32 v56, v56, v54, v58
	v_cvt_f64_f32_e32 v[52:53], v52
	v_lshl_add_u64 v[54:55], v[160:161], 3, v[48:49]
	global_store_dwordx2 v[54:55], v[52:53], off
	s_mov_b64 s[2:3], -1
	v_max_f32_e32 v53, v56, v56
	s_mov_b64 vcc, s[4:5]
	s_cbranch_vccz .LBB163_129
; %bb.128:
	v_min_f32_e32 v52, 0, v53
	v_cvt_f64_f32_e32 v[54:55], v52
	v_lshl_add_u64 v[56:57], v[168:169], 3, v[48:49]
	global_store_dwordx2 v[56:57], v[54:55], off
	s_mov_b64 s[2:3], 0
.LBB163_129:
	s_andn2_b64 vcc, exec, s[2:3]
	v_mov_b32_e32 v52, 0
	s_cbranch_vccnz .LBB163_131
; %bb.130:
	v_lshl_add_u64 v[54:55], v[50:51], 0, v[170:171]
	global_load_dwordx2 v[54:55], v[54:55], off
	v_lshl_add_u64 v[56:57], v[48:49], 0, v[170:171]
	v_lshl_add_u64 v[50:51], v[164:165], 3, v[50:51]
	s_waitcnt vmcnt(0)
	v_mul_f64 v[54:55], s[6:7], v[54:55]
	v_cvt_f32_f64_e32 v52, v[54:55]
	v_min_f32_e32 v52, v52, v53
	v_cvt_f64_f32_e32 v[52:53], v52
	global_store_dwordx2 v[56:57], v[52:53], off
	global_load_dwordx2 v[50:51], v[50:51], off
	s_waitcnt vmcnt(0)
	v_mul_f64 v[50:51], s[6:7], v[50:51]
	v_cvt_f32_f64_e32 v52, v[50:51]
.LBB163_131:
	v_add_f64 v[46:47], v[2:3], v[46:47]
	v_add_f64 v[44:45], v[0:1], v[44:45]
	s_waitcnt lgkmcnt(1)
	v_add_f64 v[38:39], v[38:39], v[14:15]
	v_add_f64 v[36:37], v[36:37], v[12:13]
	v_cvt_f32_f64_e32 v44, v[44:45]
	v_cvt_f32_f64_e32 v45, v[46:47]
	;; [unrolled: 1-line block ×4, first 2 shown]
	v_min3_f32 v44, v44, v45, v178
	v_min3_f32 v45, v36, v37, v179
	v_add_f64 v[36:37], v[6:7], v[42:43]
	v_add_f64 v[38:39], v[4:5], v[40:41]
	v_cvt_f32_f64_e32 v38, v[38:39]
	v_cvt_f32_f64_e32 v36, v[36:37]
	s_waitcnt lgkmcnt(0)
	v_add_f64 v[34:35], v[34:35], v[22:23]
	v_add_f64 v[32:33], v[32:33], v[20:21]
	v_min_f32_e32 v36, v38, v36
	v_cvt_f32_f64_e32 v32, v[32:33]
	v_cvt_f32_f64_e32 v33, v[34:35]
	v_min3_f32 v37, v32, v33, v45
	v_min3_f32 v32, v52, v36, v44
	v_cvt_f64_f32_e32 v[32:33], v32
	v_lshl_add_u64 v[34:35], v[164:165], 3, v[48:49]
	global_store_dwordx2 v[34:35], v[32:33], off
	v_add_u32_e32 v34, 0x78, v237
	v_mad_i64_i32 v[32:33], s[2:3], v34, s14, 0
	v_lshl_add_u64 v[32:33], v[32:33], 3, s[0:1]
	v_mad_i64_i32 v[34:35], s[0:1], v34, s9, 0
	s_mov_b64 s[0:1], -1
	v_max_f32_e32 v37, v37, v37
	s_mov_b64 vcc, s[4:5]
	s_cbranch_vccz .LBB163_133
; %bb.132:
	v_min_f32_e32 v36, 0, v37
	v_cvt_f64_f32_e32 v[38:39], v36
	v_lshl_add_u64 v[40:41], v[162:163], 3, v[32:33]
	global_store_dwordx2 v[40:41], v[38:39], off
	s_mov_b64 s[0:1], 0
.LBB163_133:
	v_lshl_add_u64 v[34:35], v[34:35], 3, s[12:13]
	s_andn2_b64 vcc, exec, s[0:1]
	v_mov_b32_e32 v36, 0
	s_cbranch_vccnz .LBB163_135
; %bb.134:
	v_lshl_add_u64 v[38:39], v[34:35], 0, v[166:167]
	global_load_dwordx2 v[38:39], v[38:39], off
	v_lshl_add_u64 v[40:41], v[32:33], 0, v[166:167]
	s_waitcnt vmcnt(0)
	v_mul_f64 v[38:39], s[6:7], v[38:39]
	v_cvt_f32_f64_e32 v36, v[38:39]
	v_min_f32_e32 v36, v36, v37
	v_cvt_f64_f32_e32 v[36:37], v36
	global_store_dwordx2 v[40:41], v[36:37], off
	v_lshl_add_u64 v[36:37], v[160:161], 3, v[34:35]
	global_load_dwordx2 v[36:37], v[36:37], off
	s_waitcnt vmcnt(0)
	v_mul_f64 v[36:37], s[6:7], v[36:37]
	v_cvt_f32_f64_e32 v36, v[36:37]
.LBB163_135:
	v_add_f64 v[30:31], v[30:31], v[14:15]
	v_add_f64 v[28:29], v[28:29], v[12:13]
	;; [unrolled: 1-line block ×6, first 2 shown]
	v_cvt_f32_f64_e32 v28, v[28:29]
	v_cvt_f32_f64_e32 v29, v[30:31]
	;; [unrolled: 1-line block ×6, first 2 shown]
	v_add_f64 v[10:11], v[10:11], v[22:23]
	v_add_f64 v[8:9], v[8:9], v[20:21]
	v_min3_f32 v28, v28, v29, v176
	v_min3_f32 v24, v24, v25, v177
	v_min_f32_e32 v16, v16, v17
	v_cvt_f32_f64_e32 v8, v[8:9]
	v_cvt_f32_f64_e32 v9, v[10:11]
	v_min3_f32 v17, v8, v9, v24
	v_min3_f32 v8, v36, v16, v28
	v_cvt_f64_f32_e32 v[8:9], v8
	v_lshl_add_u64 v[10:11], v[160:161], 3, v[32:33]
	global_store_dwordx2 v[10:11], v[8:9], off
	s_mov_b64 s[0:1], -1
	v_max_f32_e32 v9, v17, v17
	s_mov_b64 vcc, s[4:5]
	s_cbranch_vccz .LBB163_137
; %bb.136:
	v_min_f32_e32 v8, 0, v9
	v_cvt_f64_f32_e32 v[10:11], v8
	v_lshl_add_u64 v[16:17], v[168:169], 3, v[32:33]
	global_store_dwordx2 v[16:17], v[10:11], off
	s_mov_b64 s[0:1], 0
.LBB163_137:
	s_andn2_b64 vcc, exec, s[0:1]
	v_mov_b32_e32 v8, 0
	s_cbranch_vccnz .LBB163_139
; %bb.138:
	v_lshl_add_u64 v[10:11], v[34:35], 0, v[170:171]
	global_load_dwordx2 v[10:11], v[10:11], off
	v_lshl_add_u64 v[16:17], v[32:33], 0, v[170:171]
	s_waitcnt vmcnt(0)
	v_mul_f64 v[10:11], s[6:7], v[10:11]
	v_cvt_f32_f64_e32 v8, v[10:11]
	v_min_f32_e32 v8, v8, v9
	v_cvt_f64_f32_e32 v[8:9], v8
	global_store_dwordx2 v[16:17], v[8:9], off
	v_lshl_add_u64 v[8:9], v[164:165], 3, v[34:35]
	global_load_dwordx2 v[8:9], v[8:9], off
	s_waitcnt vmcnt(0)
	v_mul_f64 v[8:9], s[6:7], v[8:9]
	v_cvt_f32_f64_e32 v8, v[8:9]
.LBB163_139:
	v_add_f64 v[6:7], v[6:7], v[22:23]
	v_add_f64 v[4:5], v[4:5], v[20:21]
	;; [unrolled: 1-line block ×4, first 2 shown]
	v_cvt_f32_f64_e32 v4, v[4:5]
	v_cvt_f32_f64_e32 v5, v[6:7]
	;; [unrolled: 1-line block ×4, first 2 shown]
	v_min_f32_e32 v4, v4, v5
	v_min3_f32 v0, v0, v1, v218
	v_min3_f32 v0, v8, v4, v0
	v_cvt_f64_f32_e32 v[0:1], v0
	v_lshl_add_u64 v[2:3], v[164:165], 3, v[32:33]
	global_store_dwordx2 v[2:3], v[0:1], off
	s_endpgm
	.section	.rodata,"a",@progbits
	.p2align	6, 0x0
	.amdhsa_kernel _ZN12_GLOBAL__N_120geam_min_plus_kernelId15HIP_vector_typeIdLj2EEdLi32ELi8ELi128ELi128ELi4ELi4ELi64ELi4ELi64ELc84ELc78ELb1ELb0ELb1EdKddEEviiiT16_PT17_ilS6_ilS4_S6_ilPT18_ili26rocblas_geam_ex_operation_
		.amdhsa_group_segment_fixed_size 16384
		.amdhsa_private_segment_fixed_size 0
		.amdhsa_kernarg_size 136
		.amdhsa_user_sgpr_count 2
		.amdhsa_user_sgpr_dispatch_ptr 0
		.amdhsa_user_sgpr_queue_ptr 0
		.amdhsa_user_sgpr_kernarg_segment_ptr 1
		.amdhsa_user_sgpr_dispatch_id 0
		.amdhsa_user_sgpr_kernarg_preload_length 0
		.amdhsa_user_sgpr_kernarg_preload_offset 0
		.amdhsa_user_sgpr_private_segment_size 0
		.amdhsa_uses_dynamic_stack 0
		.amdhsa_enable_private_segment 0
		.amdhsa_system_sgpr_workgroup_id_x 1
		.amdhsa_system_sgpr_workgroup_id_y 0
		.amdhsa_system_sgpr_workgroup_id_z 1
		.amdhsa_system_sgpr_workgroup_info 0
		.amdhsa_system_vgpr_workitem_id 1
		.amdhsa_next_free_vgpr 244
		.amdhsa_next_free_sgpr 24
		.amdhsa_accum_offset 244
		.amdhsa_reserve_vcc 1
		.amdhsa_float_round_mode_32 0
		.amdhsa_float_round_mode_16_64 0
		.amdhsa_float_denorm_mode_32 3
		.amdhsa_float_denorm_mode_16_64 3
		.amdhsa_dx10_clamp 1
		.amdhsa_ieee_mode 1
		.amdhsa_fp16_overflow 0
		.amdhsa_tg_split 0
		.amdhsa_exception_fp_ieee_invalid_op 0
		.amdhsa_exception_fp_denorm_src 0
		.amdhsa_exception_fp_ieee_div_zero 0
		.amdhsa_exception_fp_ieee_overflow 0
		.amdhsa_exception_fp_ieee_underflow 0
		.amdhsa_exception_fp_ieee_inexact 0
		.amdhsa_exception_int_div_zero 0
	.end_amdhsa_kernel
	.section	.text._ZN12_GLOBAL__N_120geam_min_plus_kernelId15HIP_vector_typeIdLj2EEdLi32ELi8ELi128ELi128ELi4ELi4ELi64ELi4ELi64ELc84ELc78ELb1ELb0ELb1EdKddEEviiiT16_PT17_ilS6_ilS4_S6_ilPT18_ili26rocblas_geam_ex_operation_,"axG",@progbits,_ZN12_GLOBAL__N_120geam_min_plus_kernelId15HIP_vector_typeIdLj2EEdLi32ELi8ELi128ELi128ELi4ELi4ELi64ELi4ELi64ELc84ELc78ELb1ELb0ELb1EdKddEEviiiT16_PT17_ilS6_ilS4_S6_ilPT18_ili26rocblas_geam_ex_operation_,comdat
.Lfunc_end163:
	.size	_ZN12_GLOBAL__N_120geam_min_plus_kernelId15HIP_vector_typeIdLj2EEdLi32ELi8ELi128ELi128ELi4ELi4ELi64ELi4ELi64ELc84ELc78ELb1ELb0ELb1EdKddEEviiiT16_PT17_ilS6_ilS4_S6_ilPT18_ili26rocblas_geam_ex_operation_, .Lfunc_end163-_ZN12_GLOBAL__N_120geam_min_plus_kernelId15HIP_vector_typeIdLj2EEdLi32ELi8ELi128ELi128ELi4ELi4ELi64ELi4ELi64ELc84ELc78ELb1ELb0ELb1EdKddEEviiiT16_PT17_ilS6_ilS4_S6_ilPT18_ili26rocblas_geam_ex_operation_
                                        ; -- End function
	.set _ZN12_GLOBAL__N_120geam_min_plus_kernelId15HIP_vector_typeIdLj2EEdLi32ELi8ELi128ELi128ELi4ELi4ELi64ELi4ELi64ELc84ELc78ELb1ELb0ELb1EdKddEEviiiT16_PT17_ilS6_ilS4_S6_ilPT18_ili26rocblas_geam_ex_operation_.num_vgpr, 244
	.set _ZN12_GLOBAL__N_120geam_min_plus_kernelId15HIP_vector_typeIdLj2EEdLi32ELi8ELi128ELi128ELi4ELi4ELi64ELi4ELi64ELc84ELc78ELb1ELb0ELb1EdKddEEviiiT16_PT17_ilS6_ilS4_S6_ilPT18_ili26rocblas_geam_ex_operation_.num_agpr, 0
	.set _ZN12_GLOBAL__N_120geam_min_plus_kernelId15HIP_vector_typeIdLj2EEdLi32ELi8ELi128ELi128ELi4ELi4ELi64ELi4ELi64ELc84ELc78ELb1ELb0ELb1EdKddEEviiiT16_PT17_ilS6_ilS4_S6_ilPT18_ili26rocblas_geam_ex_operation_.numbered_sgpr, 24
	.set _ZN12_GLOBAL__N_120geam_min_plus_kernelId15HIP_vector_typeIdLj2EEdLi32ELi8ELi128ELi128ELi4ELi4ELi64ELi4ELi64ELc84ELc78ELb1ELb0ELb1EdKddEEviiiT16_PT17_ilS6_ilS4_S6_ilPT18_ili26rocblas_geam_ex_operation_.num_named_barrier, 0
	.set _ZN12_GLOBAL__N_120geam_min_plus_kernelId15HIP_vector_typeIdLj2EEdLi32ELi8ELi128ELi128ELi4ELi4ELi64ELi4ELi64ELc84ELc78ELb1ELb0ELb1EdKddEEviiiT16_PT17_ilS6_ilS4_S6_ilPT18_ili26rocblas_geam_ex_operation_.private_seg_size, 0
	.set _ZN12_GLOBAL__N_120geam_min_plus_kernelId15HIP_vector_typeIdLj2EEdLi32ELi8ELi128ELi128ELi4ELi4ELi64ELi4ELi64ELc84ELc78ELb1ELb0ELb1EdKddEEviiiT16_PT17_ilS6_ilS4_S6_ilPT18_ili26rocblas_geam_ex_operation_.uses_vcc, 1
	.set _ZN12_GLOBAL__N_120geam_min_plus_kernelId15HIP_vector_typeIdLj2EEdLi32ELi8ELi128ELi128ELi4ELi4ELi64ELi4ELi64ELc84ELc78ELb1ELb0ELb1EdKddEEviiiT16_PT17_ilS6_ilS4_S6_ilPT18_ili26rocblas_geam_ex_operation_.uses_flat_scratch, 0
	.set _ZN12_GLOBAL__N_120geam_min_plus_kernelId15HIP_vector_typeIdLj2EEdLi32ELi8ELi128ELi128ELi4ELi4ELi64ELi4ELi64ELc84ELc78ELb1ELb0ELb1EdKddEEviiiT16_PT17_ilS6_ilS4_S6_ilPT18_ili26rocblas_geam_ex_operation_.has_dyn_sized_stack, 0
	.set _ZN12_GLOBAL__N_120geam_min_plus_kernelId15HIP_vector_typeIdLj2EEdLi32ELi8ELi128ELi128ELi4ELi4ELi64ELi4ELi64ELc84ELc78ELb1ELb0ELb1EdKddEEviiiT16_PT17_ilS6_ilS4_S6_ilPT18_ili26rocblas_geam_ex_operation_.has_recursion, 0
	.set _ZN12_GLOBAL__N_120geam_min_plus_kernelId15HIP_vector_typeIdLj2EEdLi32ELi8ELi128ELi128ELi4ELi4ELi64ELi4ELi64ELc84ELc78ELb1ELb0ELb1EdKddEEviiiT16_PT17_ilS6_ilS4_S6_ilPT18_ili26rocblas_geam_ex_operation_.has_indirect_call, 0
	.section	.AMDGPU.csdata,"",@progbits
; Kernel info:
; codeLenInByte = 25012
; TotalNumSgprs: 30
; NumVgprs: 244
; NumAgprs: 0
; TotalNumVgprs: 244
; ScratchSize: 0
; MemoryBound: 0
; FloatMode: 240
; IeeeMode: 1
; LDSByteSize: 16384 bytes/workgroup (compile time only)
; SGPRBlocks: 3
; VGPRBlocks: 30
; NumSGPRsForWavesPerEU: 30
; NumVGPRsForWavesPerEU: 244
; AccumOffset: 244
; Occupancy: 2
; WaveLimiterHint : 0
; COMPUTE_PGM_RSRC2:SCRATCH_EN: 0
; COMPUTE_PGM_RSRC2:USER_SGPR: 2
; COMPUTE_PGM_RSRC2:TRAP_HANDLER: 0
; COMPUTE_PGM_RSRC2:TGID_X_EN: 1
; COMPUTE_PGM_RSRC2:TGID_Y_EN: 0
; COMPUTE_PGM_RSRC2:TGID_Z_EN: 1
; COMPUTE_PGM_RSRC2:TIDIG_COMP_CNT: 1
; COMPUTE_PGM_RSRC3_GFX90A:ACCUM_OFFSET: 60
; COMPUTE_PGM_RSRC3_GFX90A:TG_SPLIT: 0
	.section	.text._ZN12_GLOBAL__N_120geam_min_plus_kernelId15HIP_vector_typeIdLj2EEdLi32ELi8ELi128ELi128ELi4ELi4ELi64ELi4ELi64ELc84ELc78ELb0ELb0ELb1EdKddEEviiiT16_PT17_ilS6_ilS4_S6_ilPT18_ili26rocblas_geam_ex_operation_,"axG",@progbits,_ZN12_GLOBAL__N_120geam_min_plus_kernelId15HIP_vector_typeIdLj2EEdLi32ELi8ELi128ELi128ELi4ELi4ELi64ELi4ELi64ELc84ELc78ELb0ELb0ELb1EdKddEEviiiT16_PT17_ilS6_ilS4_S6_ilPT18_ili26rocblas_geam_ex_operation_,comdat
	.globl	_ZN12_GLOBAL__N_120geam_min_plus_kernelId15HIP_vector_typeIdLj2EEdLi32ELi8ELi128ELi128ELi4ELi4ELi64ELi4ELi64ELc84ELc78ELb0ELb0ELb1EdKddEEviiiT16_PT17_ilS6_ilS4_S6_ilPT18_ili26rocblas_geam_ex_operation_ ; -- Begin function _ZN12_GLOBAL__N_120geam_min_plus_kernelId15HIP_vector_typeIdLj2EEdLi32ELi8ELi128ELi128ELi4ELi4ELi64ELi4ELi64ELc84ELc78ELb0ELb0ELb1EdKddEEviiiT16_PT17_ilS6_ilS4_S6_ilPT18_ili26rocblas_geam_ex_operation_
	.p2align	8
	.type	_ZN12_GLOBAL__N_120geam_min_plus_kernelId15HIP_vector_typeIdLj2EEdLi32ELi8ELi128ELi128ELi4ELi4ELi64ELi4ELi64ELc84ELc78ELb0ELb0ELb1EdKddEEviiiT16_PT17_ilS6_ilS4_S6_ilPT18_ili26rocblas_geam_ex_operation_,@function
_ZN12_GLOBAL__N_120geam_min_plus_kernelId15HIP_vector_typeIdLj2EEdLi32ELi8ELi128ELi128ELi4ELi4ELi64ELi4ELi64ELc84ELc78ELb0ELb0ELb1EdKddEEviiiT16_PT17_ilS6_ilS4_S6_ilPT18_ili26rocblas_geam_ex_operation_: ; @_ZN12_GLOBAL__N_120geam_min_plus_kernelId15HIP_vector_typeIdLj2EEdLi32ELi8ELi128ELi128ELi4ELi4ELi64ELi4ELi64ELc84ELc78ELb0ELb0ELb1EdKddEEviiiT16_PT17_ilS6_ilS4_S6_ilPT18_ili26rocblas_geam_ex_operation_
; %bb.0:
	s_load_dwordx4 s[16:19], s[0:1], 0x10
	s_load_dwordx4 s[12:15], s[0:1], 0x28
	s_mov_b64 s[20:21], 0
	s_waitcnt lgkmcnt(0)
	v_cmp_eq_f64_e64 s[22:23], s[16:17], 0
	s_and_b64 s[4:5], exec, s[22:23]
	s_mov_b64 vcc, s[4:5]
	s_cbranch_vccnz .LBB164_2
; %bb.1:
	s_mul_i32 s6, s13, s3
	s_mul_hi_u32 s7, s12, s3
	s_add_i32 s7, s7, s6
	s_mul_i32 s6, s12, s3
	s_lshl_b64 s[6:7], s[6:7], 3
	s_add_u32 s20, s18, s6
	s_addc_u32 s21, s19, s7
.LBB164_2:
	s_load_dwordx4 s[8:11], s[0:1], 0x40
	s_load_dwordx2 s[6:7], s[0:1], 0x50
	s_andn2_b64 vcc, exec, s[22:23]
	s_mov_b64 s[12:13], -1
	s_cbranch_vccnz .LBB164_4
; %bb.3:
	s_mov_b64 s[12:13], 0
.LBB164_4:
	s_mov_b64 s[18:19], 0
	s_andn2_b64 vcc, exec, s[12:13]
	s_mov_b64 s[22:23], 0
	s_cbranch_vccnz .LBB164_6
; %bb.5:
	s_waitcnt lgkmcnt(0)
	s_mul_i32 s9, s9, s3
	s_mul_hi_u32 s12, s8, s3
	s_add_i32 s9, s12, s9
	s_mul_i32 s8, s8, s3
	s_lshl_b64 s[8:9], s[8:9], 3
	s_add_u32 s22, s14, s8
	s_addc_u32 s23, s15, s9
.LBB164_6:
	s_load_dwordx4 s[12:15], s[0:1], 0x60
	s_waitcnt lgkmcnt(0)
	v_cmp_eq_f64_e64 s[8:9], s[10:11], 0
	s_and_b64 s[8:9], exec, s[8:9]
	v_cmp_neq_f64_e64 s[24:25], s[16:17], 0
	s_mov_b64 vcc, s[8:9]
	s_cbranch_vccnz .LBB164_8
; %bb.7:
	s_mul_i32 s13, s13, s3
	s_mul_hi_u32 s18, s12, s3
	s_add_i32 s13, s18, s13
	s_mul_i32 s12, s12, s3
	s_lshl_b64 s[12:13], s[12:13], 3
	s_add_u32 s18, s6, s12
	s_addc_u32 s19, s7, s13
.LBB164_8:
	s_load_dword s6, s[0:1], 0x0
	s_load_dword s26, s[0:1], 0x20
	v_and_b32_e32 v176, 0x3ff, v0
	v_bfe_u32 v177, v0, 10, 10
	v_and_b32_e32 v12, 3, v0
	s_waitcnt lgkmcnt(0)
	s_add_i32 s6, s6, -1
	s_ashr_i32 s7, s6, 31
	s_lshr_b32 s7, s7, 25
	s_add_i32 s6, s6, s7
	s_ashr_i32 s12, s6, 7
	s_add_i32 s13, s12, 1
	v_cvt_f32_u32_e32 v2, s13
	s_not_b32 s12, s12
	v_lshl_add_u32 v4, v177, 5, v176
	v_mov_b32_e32 v1, 0
	v_rcp_iflag_f32_e32 v2, v2
	v_cndmask_b32_e64 v3, 0, 1, s[24:25]
	v_lshlrev_b32_e32 v0, 3, v12
	v_lshrrev_b32_e32 v13, 2, v4
	v_mul_f32_e32 v2, 0x4f7ffffe, v2
	v_cvt_u32_f32_e32 v2, v2
	v_cmp_ne_u32_e64 s[6:7], 1, v3
	v_lshl_add_u64 v[4:5], s[20:21], 0, v[0:1]
	v_readfirstlane_b32 s27, v2
	s_mul_i32 s12, s12, s27
	s_mul_hi_u32 s12, s27, s12
	s_add_i32 s27, s27, s12
	s_mul_hi_u32 s12, s2, s27
	s_mul_i32 s27, s12, s13
	s_sub_i32 s27, s2, s27
	s_add_i32 s28, s12, 1
	s_sub_i32 s29, s27, s13
	s_cmp_ge_u32 s27, s13
	s_cselect_b32 s12, s28, s12
	s_cselect_b32 s27, s29, s27
	s_add_i32 s28, s12, 1
	s_cmp_ge_u32 s27, s13
	s_cselect_b32 s12, s28, s12
	s_mul_i32 s13, s12, s13
	s_sub_i32 s2, s2, s13
	s_lshl_b32 s2, s2, 7
	v_add_u32_e32 v108, s2, v13
	s_andn2_b64 vcc, exec, s[24:25]
	s_cbranch_vccnz .LBB164_11
; %bb.9:
	v_mad_i64_i32 v[2:3], s[24:25], v108, s26, 0
	v_lshl_add_u64 v[2:3], v[2:3], 3, v[4:5]
	global_load_dwordx2 v[2:3], v[2:3], off
	s_waitcnt vmcnt(0)
	v_mul_f64 v[2:3], s[16:17], v[2:3]
	s_load_dword s27, s[0:1], 0x38
	s_lshl_b32 s24, s12, 7
	s_mov_b64 vcc, s[4:5]
	s_cbranch_vccz .LBB164_12
.LBB164_10:
	s_mov_b32 s12, 0
	v_mov_b32_e32 v6, s12
	v_mov_b32_e32 v7, s12
	s_mov_b64 s[12:13], 0
	s_branch .LBB164_13
.LBB164_11:
	v_mov_b64_e32 v[2:3], 0
	s_load_dword s27, s[0:1], 0x38
	s_lshl_b32 s24, s12, 7
	s_mov_b64 vcc, s[4:5]
	s_cbranch_vccnz .LBB164_10
.LBB164_12:
	s_mov_b64 s[12:13], -1
                                        ; implicit-def: $vgpr6_vgpr7
.LBB164_13:
	v_add_u32_e32 v110, s24, v13
	v_mov_b64_e32 v[100:101], 0
	s_andn2_b64 vcc, exec, s[12:13]
	v_add_u32_e32 v109, 64, v108
	v_add_u32_e32 v111, 64, v110
	v_mov_b64_e32 v[8:9], 0
	v_mov_b64_e32 v[10:11], 0
	s_cbranch_vccnz .LBB164_15
; %bb.14:
	v_mov_b32_e32 v1, 0
	v_mad_i64_i32 v[6:7], s[12:13], v109, s26, 0
	v_lshl_add_u64 v[8:9], s[22:23], 0, v[0:1]
	s_waitcnt lgkmcnt(0)
	v_mad_i64_i32 v[10:11], s[12:13], v110, s27, 0
	v_lshl_add_u64 v[6:7], v[6:7], 3, v[4:5]
	v_lshl_add_u64 v[10:11], v[10:11], 3, v[8:9]
	v_mad_i64_i32 v[14:15], s[12:13], v111, s27, 0
	global_load_dwordx2 v[6:7], v[6:7], off
	v_lshl_add_u64 v[8:9], v[14:15], 3, v[8:9]
	global_load_dwordx2 v[14:15], v[10:11], off
	global_load_dwordx2 v[16:17], v[8:9], off
	s_waitcnt vmcnt(2)
	v_mul_f64 v[6:7], s[16:17], v[6:7]
	s_waitcnt vmcnt(1)
	v_mul_f64 v[10:11], s[16:17], v[14:15]
	;; [unrolled: 2-line block ×3, first 2 shown]
.LBB164_15:
	s_and_b64 vcc, exec, s[6:7]
	s_cbranch_vccnz .LBB164_17
; %bb.16:
	v_mad_i64_i32 v[14:15], s[12:13], v108, s26, 0
	v_lshl_add_u64 v[14:15], v[14:15], 3, v[4:5]
	global_load_dwordx2 v[14:15], v[14:15], off offset:32
	s_waitcnt vmcnt(0)
	v_mul_f64 v[100:101], s[16:17], v[14:15]
.LBB164_17:
	s_mov_b64 vcc, s[4:5]
	s_cbranch_vccz .LBB164_19
; %bb.18:
	s_mov_b32 s12, 0
	v_mov_b32_e32 v102, s12
	v_mov_b32_e32 v103, s12
	v_mov_b64_e32 v[104:105], 0
	v_mov_b64_e32 v[106:107], 0
	s_cbranch_execz .LBB164_20
	s_branch .LBB164_21
.LBB164_19:
                                        ; implicit-def: $vgpr102_vgpr103
	v_mov_b64_e32 v[104:105], 0
	v_mov_b64_e32 v[106:107], 0
.LBB164_20:
	v_mad_i64_i32 v[14:15], s[12:13], v109, s26, 0
	v_mov_b32_e32 v1, 0
	v_lshl_add_u64 v[4:5], v[14:15], 3, v[4:5]
	v_lshl_add_u64 v[0:1], s[22:23], 0, v[0:1]
	s_waitcnt lgkmcnt(0)
	v_mad_i64_i32 v[14:15], s[12:13], v110, s27, 0
	v_lshl_add_u64 v[14:15], v[14:15], 3, v[0:1]
	v_mad_i64_i32 v[16:17], s[12:13], v111, s27, 0
	global_load_dwordx2 v[4:5], v[4:5], off offset:32
	v_lshl_add_u64 v[0:1], v[16:17], 3, v[0:1]
	global_load_dwordx2 v[16:17], v[14:15], off offset:32
	global_load_dwordx2 v[18:19], v[0:1], off offset:32
	s_waitcnt vmcnt(2)
	v_mul_f64 v[102:103], s[16:17], v[4:5]
	s_waitcnt vmcnt(1)
	v_mul_f64 v[106:107], s[16:17], v[16:17]
	;; [unrolled: 2-line block ×3, first 2 shown]
.LBB164_21:
	v_lshlrev_b32_e32 v0, 5, v13
	v_lshl_or_b32 v193, v12, 3, v0
	v_lshlrev_b32_e32 v189, 5, v176
	ds_write2st64_b64 v193, v[2:3], v[6:7] offset1:4
	ds_write2st64_b64 v193, v[10:11], v[8:9] offset0:16 offset1:20
	s_waitcnt lgkmcnt(0)
	s_barrier
	v_lshlrev_b32_e32 v188, 5, v177
	ds_read_b128 v[16:19], v189 offset:1024
	ds_read_b128 v[12:15], v189 offset:2048
	ds_read_b128 v[8:11], v189 offset:3072
	ds_read_b128 v[92:95], v188 offset:8448
	ds_read_b128 v[88:91], v188 offset:8704
	ds_read_b128 v[84:87], v188 offset:8960
	ds_read_b128 v[80:83], v188 offset:9216
	ds_read_b128 v[76:79], v188 offset:9472
	ds_read_b128 v[72:75], v188 offset:9728
	ds_read_b128 v[68:71], v188 offset:9984
	ds_read_b128 v[64:67], v188 offset:10240
	ds_read_b128 v[60:63], v188 offset:10496
	ds_read_b128 v[44:47], v188 offset:10752
	ds_read_b128 v[40:43], v188 offset:11008
	ds_read_b128 v[36:39], v188 offset:11264
	ds_read_b128 v[32:35], v188 offset:11520
	ds_read_b128 v[24:27], v189
	ds_read_b128 v[96:99], v188 offset:8192
	ds_read_b128 v[28:31], v188 offset:11776
	;; [unrolled: 1-line block ×5, first 2 shown]
	s_waitcnt lgkmcnt(5)
	v_add_f64 v[114:115], v[26:27], v[94:95]
	v_add_f64 v[116:117], v[24:25], v[92:93]
	s_mov_b32 s12, 0x7f800000
	v_cvt_f32_f64_e32 v113, v[116:117]
	v_cvt_f32_f64_e32 v114, v[114:115]
	v_min3_f32 v172, v113, v114, s12
	v_add_f64 v[114:115], v[18:19], v[94:95]
	v_add_f64 v[116:117], v[16:17], v[92:93]
	v_cvt_f32_f64_e32 v113, v[116:117]
	v_cvt_f32_f64_e32 v114, v[114:115]
	v_min3_f32 v173, v113, v114, s12
	v_add_f64 v[114:115], v[14:15], v[94:95]
	v_add_f64 v[116:117], v[12:13], v[92:93]
	;; [unrolled: 5-line block ×36, first 2 shown]
	s_waitcnt lgkmcnt(4)
	v_add_f64 v[48:49], v[26:27], v[98:99]
	v_add_f64 v[50:51], v[24:25], v[96:97]
	v_cvt_f32_f64_e32 v113, v[116:117]
	v_cvt_f32_f64_e32 v114, v[114:115]
	;; [unrolled: 1-line block ×4, first 2 shown]
	v_min3_f32 v122, v113, v114, s12
	v_add_f64 v[114:115], v[18:19], v[34:35]
	v_add_f64 v[116:117], v[16:17], v[32:33]
	v_min3_f32 v112, v50, v48, s12
	v_add_f64 v[48:49], v[18:19], v[98:99]
	v_add_f64 v[50:51], v[16:17], v[96:97]
	v_cvt_f32_f64_e32 v113, v[116:117]
	v_cvt_f32_f64_e32 v114, v[114:115]
	;; [unrolled: 1-line block ×4, first 2 shown]
	v_min3_f32 v120, v113, v114, s12
	v_add_f64 v[114:115], v[14:15], v[34:35]
	v_add_f64 v[116:117], v[12:13], v[32:33]
	ds_read_b128 v[52:55], v189 offset:1040
	v_min3_f32 v165, v50, v48, s12
	v_add_f64 v[48:49], v[14:15], v[98:99]
	v_add_f64 v[50:51], v[12:13], v[96:97]
	v_cvt_f32_f64_e32 v113, v[116:117]
	v_cvt_f32_f64_e32 v114, v[114:115]
	s_waitcnt lgkmcnt(4)
	v_add_f64 v[166:167], v[26:27], v[30:31]
	v_add_f64 v[168:169], v[24:25], v[28:29]
	v_cvt_f32_f64_e32 v50, v[50:51]
	v_cvt_f32_f64_e32 v48, v[48:49]
	v_min3_f32 v117, v113, v114, s12
	v_cvt_f32_f64_e32 v113, v[168:169]
	v_cvt_f32_f64_e32 v114, v[166:167]
	v_add_f64 v[166:167], v[18:19], v[30:31]
	v_add_f64 v[168:169], v[16:17], v[28:29]
	ds_read_b128 v[56:59], v189 offset:2064
	v_min3_f32 v170, v50, v48, s12
	ds_read_b128 v[48:51], v189 offset:3088
	v_add_f64 v[98:99], v[10:11], v[98:99]
	v_add_f64 v[96:97], v[8:9], v[96:97]
	;; [unrolled: 1-line block ×28, first 2 shown]
	v_min3_f32 v118, v113, v114, s12
	v_cvt_f32_f64_e32 v113, v[168:169]
	v_cvt_f32_f64_e32 v114, v[166:167]
	v_add_f64 v[166:167], v[14:15], v[30:31]
	v_add_f64 v[168:169], v[12:13], v[28:29]
	;; [unrolled: 1-line block ×4, first 2 shown]
	s_waitcnt lgkmcnt(5)
	v_add_f64 v[14:15], v[14:15], v[22:23]
	v_add_f64 v[12:13], v[12:13], v[20:21]
	;; [unrolled: 1-line block ×4, first 2 shown]
	v_cvt_f32_f64_e32 v96, v[96:97]
	v_cvt_f32_f64_e32 v97, v[98:99]
	;; [unrolled: 1-line block ×6, first 2 shown]
	s_waitcnt lgkmcnt(3)
	v_add_f64 v[10:11], v[2:3], v[6:7]
	v_add_f64 v[14:15], v[0:1], v[4:5]
	v_min3_f32 v171, v96, v97, s12
	ds_read_b128 v[96:99], v188 offset:8464
	v_min3_f32 v116, v113, v114, s12
	v_cvt_f32_f64_e32 v113, v[168:169]
	v_cvt_f32_f64_e32 v114, v[166:167]
	;; [unrolled: 1-line block ×4, first 2 shown]
	v_min3_f32 v8, v8, v9, s12
	v_cvt_f32_f64_e32 v9, v[14:15]
	v_cvt_f32_f64_e32 v10, v[10:11]
	v_min3_f32 v114, v113, v114, s12
	v_min3_f32 v113, v28, v29, s12
	ds_read_b128 v[28:31], v188 offset:12048
	v_min3_f32 v186, v9, v10, v112
	s_waitcnt lgkmcnt(4)
	v_add_f64 v[10:11], v[54:55], v[6:7]
	v_add_f64 v[14:15], v[52:53], v[4:5]
	v_cvt_f32_f64_e32 v9, v[14:15]
	v_cvt_f32_f64_e32 v10, v[10:11]
	v_min3_f32 v255, v9, v10, v165
	s_waitcnt lgkmcnt(3)
	v_add_f64 v[10:11], v[58:59], v[6:7]
	v_add_f64 v[14:15], v[56:57], v[4:5]
	s_waitcnt lgkmcnt(2)
	v_add_f64 v[6:7], v[50:51], v[6:7]
	v_add_f64 v[4:5], v[48:49], v[4:5]
	v_cvt_f32_f64_e32 v92, v[92:93]
	v_cvt_f32_f64_e32 v93, v[94:95]
	v_cvt_f32_f64_e32 v4, v[4:5]
	v_cvt_f32_f64_e32 v5, v[6:7]
	v_min3_f32 v163, v92, v93, s12
	ds_read_b128 v[92:95], v188 offset:8720
	v_min3_f32 v254, v4, v5, v171
	s_waitcnt lgkmcnt(2)
	v_add_f64 v[4:5], v[2:3], v[98:99]
	v_add_f64 v[6:7], v[0:1], v[96:97]
	v_cvt_f32_f64_e32 v6, v[6:7]
	v_cvt_f32_f64_e32 v4, v[4:5]
	v_min3_f32 v253, v6, v4, v172
	v_add_f64 v[4:5], v[54:55], v[98:99]
	v_add_f64 v[6:7], v[52:53], v[96:97]
	v_cvt_f32_f64_e32 v6, v[6:7]
	v_cvt_f32_f64_e32 v4, v[4:5]
	v_min3_f32 v252, v6, v4, v173
	v_add_f64 v[4:5], v[58:59], v[98:99]
	v_add_f64 v[6:7], v[56:57], v[96:97]
	v_cvt_f32_f64_e32 v6, v[6:7]
	v_cvt_f32_f64_e32 v4, v[4:5]
	v_min3_f32 v251, v6, v4, v174
	v_add_f64 v[4:5], v[50:51], v[98:99]
	v_add_f64 v[6:7], v[48:49], v[96:97]
	v_cvt_f32_f64_e32 v6, v[6:7]
	v_cvt_f32_f64_e32 v4, v[4:5]
	v_min3_f32 v247, v6, v4, v163
	s_waitcnt lgkmcnt(0)
	v_add_f64 v[4:5], v[2:3], v[94:95]
	v_add_f64 v[6:7], v[0:1], v[92:93]
	v_cvt_f32_f64_e32 v6, v[6:7]
	v_cvt_f32_f64_e32 v4, v[4:5]
	v_cvt_f32_f64_e32 v88, v[88:89]
	v_cvt_f32_f64_e32 v89, v[90:91]
	v_min3_f32 v246, v6, v4, v175
	v_add_f64 v[4:5], v[54:55], v[94:95]
	v_add_f64 v[6:7], v[52:53], v[92:93]
	v_min3_f32 v159, v88, v89, s12
	ds_read_b128 v[88:91], v188 offset:8976
	v_cvt_f32_f64_e32 v6, v[6:7]
	v_cvt_f32_f64_e32 v4, v[4:5]
	v_min3_f32 v245, v6, v4, v164
	v_add_f64 v[4:5], v[58:59], v[94:95]
	v_add_f64 v[6:7], v[56:57], v[92:93]
	v_cvt_f32_f64_e32 v6, v[6:7]
	v_cvt_f32_f64_e32 v4, v[4:5]
	v_min3_f32 v244, v6, v4, v161
	v_add_f64 v[4:5], v[50:51], v[94:95]
	v_add_f64 v[6:7], v[48:49], v[92:93]
	v_cvt_f32_f64_e32 v84, v[84:85]
	v_cvt_f32_f64_e32 v85, v[86:87]
	v_cvt_f32_f64_e32 v6, v[6:7]
	v_cvt_f32_f64_e32 v4, v[4:5]
	v_min3_f32 v155, v84, v85, s12
	ds_read_b128 v[84:87], v188 offset:9232
	v_min3_f32 v243, v6, v4, v159
	s_waitcnt lgkmcnt(1)
	v_add_f64 v[4:5], v[2:3], v[90:91]
	v_add_f64 v[6:7], v[0:1], v[88:89]
	v_cvt_f32_f64_e32 v6, v[6:7]
	v_cvt_f32_f64_e32 v4, v[4:5]
	v_min3_f32 v242, v6, v4, v162
	v_add_f64 v[4:5], v[54:55], v[90:91]
	v_add_f64 v[6:7], v[52:53], v[88:89]
	v_cvt_f32_f64_e32 v6, v[6:7]
	v_cvt_f32_f64_e32 v4, v[4:5]
	v_min3_f32 v241, v6, v4, v160
	v_add_f64 v[4:5], v[58:59], v[90:91]
	v_add_f64 v[6:7], v[56:57], v[88:89]
	v_cvt_f32_f64_e32 v6, v[6:7]
	v_cvt_f32_f64_e32 v4, v[4:5]
	v_min3_f32 v240, v6, v4, v157
	v_add_f64 v[4:5], v[50:51], v[90:91]
	v_add_f64 v[6:7], v[48:49], v[88:89]
	v_cvt_f32_f64_e32 v6, v[6:7]
	v_cvt_f32_f64_e32 v4, v[4:5]
	v_min3_f32 v239, v6, v4, v155
	s_waitcnt lgkmcnt(0)
	v_add_f64 v[4:5], v[2:3], v[86:87]
	v_add_f64 v[6:7], v[0:1], v[84:85]
	v_cvt_f32_f64_e32 v6, v[6:7]
	v_cvt_f32_f64_e32 v4, v[4:5]
	v_cvt_f32_f64_e32 v80, v[80:81]
	v_cvt_f32_f64_e32 v81, v[82:83]
	v_min3_f32 v238, v6, v4, v158
	v_add_f64 v[4:5], v[54:55], v[86:87]
	v_add_f64 v[6:7], v[52:53], v[84:85]
	v_min3_f32 v151, v80, v81, s12
	ds_read_b128 v[80:83], v188 offset:9488
	v_cvt_f32_f64_e32 v6, v[6:7]
	v_cvt_f32_f64_e32 v4, v[4:5]
	v_min3_f32 v237, v6, v4, v156
	v_add_f64 v[4:5], v[58:59], v[86:87]
	v_add_f64 v[6:7], v[56:57], v[84:85]
	v_cvt_f32_f64_e32 v6, v[6:7]
	v_cvt_f32_f64_e32 v4, v[4:5]
	v_min3_f32 v236, v6, v4, v153
	;; [unrolled: 50-line block ×6, first 2 shown]
	v_add_f64 v[4:5], v[50:51], v[42:43]
	v_add_f64 v[6:7], v[48:49], v[40:41]
	v_cvt_f32_f64_e32 v32, v[32:33]
	v_cvt_f32_f64_e32 v33, v[34:35]
	;; [unrolled: 1-line block ×4, first 2 shown]
	v_min3_f32 v115, v32, v33, s12
	ds_read_b128 v[32:35], v188 offset:11792
	v_min3_f32 v203, v6, v4, v119
	s_waitcnt lgkmcnt(1)
	v_add_f64 v[4:5], v[2:3], v[38:39]
	v_add_f64 v[6:7], v[0:1], v[36:37]
	v_cvt_f32_f64_e32 v6, v[6:7]
	v_cvt_f32_f64_e32 v4, v[4:5]
	v_min3_f32 v202, v6, v4, v122
	v_add_f64 v[4:5], v[54:55], v[38:39]
	v_add_f64 v[6:7], v[52:53], v[36:37]
	v_cvt_f32_f64_e32 v6, v[6:7]
	v_cvt_f32_f64_e32 v4, v[4:5]
	v_min3_f32 v201, v6, v4, v120
	;; [unrolled: 5-line block ×3, first 2 shown]
	v_add_f64 v[4:5], v[50:51], v[38:39]
	v_add_f64 v[6:7], v[48:49], v[36:37]
	;; [unrolled: 1-line block ×4, first 2 shown]
	v_cvt_f32_f64_e32 v6, v[6:7]
	v_cvt_f32_f64_e32 v4, v[4:5]
	;; [unrolled: 1-line block ×4, first 2 shown]
	v_min3_f32 v199, v6, v4, v115
	s_waitcnt lgkmcnt(0)
	v_add_f64 v[4:5], v[2:3], v[34:35]
	v_add_f64 v[6:7], v[0:1], v[32:33]
	;; [unrolled: 1-line block ×4, first 2 shown]
	v_min3_f32 v24, v24, v25, s12
	v_add_f64 v[18:19], v[18:19], v[22:23]
	v_add_f64 v[16:17], v[16:17], v[20:21]
	v_cvt_f32_f64_e32 v6, v[6:7]
	v_cvt_f32_f64_e32 v4, v[4:5]
	;; [unrolled: 1-line block ×6, first 2 shown]
	v_min3_f32 v198, v6, v4, v118
	v_add_f64 v[4:5], v[54:55], v[34:35]
	v_add_f64 v[6:7], v[52:53], v[32:33]
	v_min3_f32 v194, v0, v1, v24
	v_add_f64 v[0:1], v[54:55], v[30:31]
	v_add_f64 v[2:3], v[52:53], v[28:29]
	s_load_dword s25, s[0:1], 0x8
	v_min3_f32 v16, v16, v17, s12
	v_cvt_f32_f64_e32 v6, v[6:7]
	v_cvt_f32_f64_e32 v4, v[4:5]
	;; [unrolled: 1-line block ×4, first 2 shown]
	v_min3_f32 v197, v6, v4, v116
	v_add_f64 v[4:5], v[58:59], v[34:35]
	v_add_f64 v[6:7], v[56:57], v[32:33]
	v_min3_f32 v192, v2, v0, v16
	v_add_f64 v[0:1], v[58:59], v[30:31]
	v_add_f64 v[2:3], v[56:57], v[28:29]
	v_min3_f32 v12, v12, v13, s12
	v_cvt_f32_f64_e32 v6, v[6:7]
	v_cvt_f32_f64_e32 v4, v[4:5]
	;; [unrolled: 1-line block ×4, first 2 shown]
	v_min3_f32 v196, v6, v4, v114
	v_add_f64 v[4:5], v[50:51], v[34:35]
	v_add_f64 v[6:7], v[48:49], v[32:33]
	v_min3_f32 v191, v2, v0, v12
	v_add_f64 v[0:1], v[50:51], v[30:31]
	v_add_f64 v[2:3], v[48:49], v[28:29]
	v_cvt_f32_f64_e32 v9, v[14:15]
	v_cvt_f32_f64_e32 v10, v[10:11]
	;; [unrolled: 1-line block ×6, first 2 shown]
	v_min3_f32 v187, v9, v10, v170
	v_min3_f32 v195, v6, v4, v113
	;; [unrolled: 1-line block ×3, first 2 shown]
	s_waitcnt lgkmcnt(0)
	s_cmp_lt_i32 s25, 9
	ds_write2st64_b64 v193, v[100:101], v[102:103] offset0:8 offset1:12
	ds_write2st64_b64 v193, v[106:107], v[104:105] offset0:24 offset1:28
	s_waitcnt lgkmcnt(0)
	s_barrier
	s_cbranch_scc1 .LBB164_37
; %bb.22:
	v_mov_b32_e32 v0, 0x1000
	v_lshl_add_u32 v249, v176, 5, v0
	v_mov_b32_e32 v0, 0x3000
	v_lshl_add_u32 v250, v177, 5, v0
	v_and_b32_e32 v0, 3, v176
	v_lshlrev_b32_e32 v164, 3, v0
	v_mad_i64_i32 v[0:1], s[12:13], s27, v111, 0
	v_lshl_add_u64 v[166:167], v[0:1], 3, s[22:23]
	v_mad_i64_i32 v[0:1], s[12:13], s27, v110, 0
	v_lshl_add_u64 v[168:169], v[0:1], 3, s[22:23]
	;; [unrolled: 2-line block ×3, first 2 shown]
	v_mad_i64_i32 v[0:1], s[12:13], s26, v108, 0
	v_add_u32_e32 v248, 0x2000, v188
	s_add_i32 s25, s25, -8
	v_accvgpr_write_b32 a1, v177
	v_accvgpr_write_b32 a0, v176
	v_mov_b32_e32 v165, 0
	v_lshl_add_u64 v[172:173], v[0:1], 3, s[20:21]
	s_mov_b32 s20, 0
	s_mov_b32 s21, 0
	s_branch .LBB164_24
.LBB164_23:                             ;   in Loop: Header=BB164_24 Depth=1
	v_add_f64 v[2:3], v[96:97], v[160:161]
	v_cvt_f32_f64_e32 v180, v[2:3]
	v_add_f64 v[2:3], v[98:99], v[162:163]
	v_cvt_f32_f64_e32 v2, v[2:3]
	v_min3_f32 v180, v180, v2, v186
	v_add_f64 v[2:3], v[92:93], v[160:161]
	v_cvt_f32_f64_e32 v181, v[2:3]
	v_add_f64 v[2:3], v[94:95], v[162:163]
	v_cvt_f32_f64_e32 v2, v[2:3]
	v_min3_f32 v181, v181, v2, v255
	;; [unrolled: 5-line block ×3, first 2 shown]
	v_add_f64 v[2:3], v[86:87], v[162:163]
	v_add_f64 v[160:161], v[84:85], v[160:161]
	v_cvt_f32_f64_e32 v160, v[160:161]
	v_cvt_f32_f64_e32 v2, v[2:3]
	v_min3_f32 v160, v160, v2, v254
	v_add_f64 v[2:3], v[96:97], v[156:157]
	v_cvt_f32_f64_e32 v161, v[2:3]
	v_add_f64 v[2:3], v[98:99], v[158:159]
	v_cvt_f32_f64_e32 v2, v[2:3]
	v_min3_f32 v161, v161, v2, v253
	v_add_f64 v[2:3], v[92:93], v[156:157]
	v_cvt_f32_f64_e32 v162, v[2:3]
	v_add_f64 v[2:3], v[94:95], v[158:159]
	;; [unrolled: 5-line block ×3, first 2 shown]
	v_cvt_f32_f64_e32 v2, v[2:3]
	v_min3_f32 v163, v163, v2, v251
	v_add_f64 v[2:3], v[86:87], v[158:159]
	v_add_f64 v[156:157], v[84:85], v[156:157]
	v_cvt_f32_f64_e32 v156, v[156:157]
	v_cvt_f32_f64_e32 v2, v[2:3]
	v_min3_f32 v158, v156, v2, v247
	v_add_f64 v[2:3], v[98:99], v[154:155]
	v_add_f64 v[156:157], v[96:97], v[152:153]
	v_cvt_f32_f64_e32 v156, v[156:157]
	v_cvt_f32_f64_e32 v2, v[2:3]
	v_min3_f32 v159, v156, v2, v246
	v_add_f64 v[2:3], v[94:95], v[154:155]
	v_add_f64 v[156:157], v[92:93], v[152:153]
	v_cvt_f32_f64_e32 v156, v[156:157]
	v_cvt_f32_f64_e32 v2, v[2:3]
	v_min3_f32 v183, v156, v2, v245
	v_add_f64 v[2:3], v[90:91], v[154:155]
	v_add_f64 v[156:157], v[88:89], v[152:153]
	v_cvt_f32_f64_e32 v156, v[156:157]
	v_cvt_f32_f64_e32 v2, v[2:3]
	v_min3_f32 v156, v156, v2, v244
	v_add_f64 v[2:3], v[86:87], v[154:155]
	v_add_f64 v[152:153], v[84:85], v[152:153]
	v_cvt_f32_f64_e32 v152, v[152:153]
	v_cvt_f32_f64_e32 v2, v[2:3]
	v_min3_f32 v154, v152, v2, v243
	v_add_f64 v[2:3], v[98:99], v[150:151]
	v_add_f64 v[152:153], v[96:97], v[148:149]
	v_cvt_f32_f64_e32 v152, v[152:153]
	v_cvt_f32_f64_e32 v2, v[2:3]
	v_min3_f32 v155, v152, v2, v242
	v_add_f64 v[2:3], v[94:95], v[150:151]
	v_add_f64 v[152:153], v[92:93], v[148:149]
	v_cvt_f32_f64_e32 v152, v[152:153]
	v_cvt_f32_f64_e32 v2, v[2:3]
	v_min3_f32 v157, v152, v2, v241
	v_add_f64 v[2:3], v[90:91], v[150:151]
	v_add_f64 v[152:153], v[88:89], v[148:149]
	v_cvt_f32_f64_e32 v152, v[152:153]
	v_cvt_f32_f64_e32 v2, v[2:3]
	v_min3_f32 v152, v152, v2, v240
	v_add_f64 v[2:3], v[86:87], v[150:151]
	v_add_f64 v[148:149], v[84:85], v[148:149]
	v_cvt_f32_f64_e32 v148, v[148:149]
	v_cvt_f32_f64_e32 v2, v[2:3]
	v_min3_f32 v150, v148, v2, v239
	v_add_f64 v[2:3], v[98:99], v[146:147]
	v_add_f64 v[148:149], v[96:97], v[144:145]
	v_cvt_f32_f64_e32 v148, v[148:149]
	v_cvt_f32_f64_e32 v2, v[2:3]
	v_min3_f32 v151, v148, v2, v238
	v_add_f64 v[2:3], v[94:95], v[146:147]
	v_add_f64 v[148:149], v[92:93], v[144:145]
	v_cvt_f32_f64_e32 v148, v[148:149]
	v_cvt_f32_f64_e32 v2, v[2:3]
	v_min3_f32 v153, v148, v2, v237
	v_add_f64 v[2:3], v[90:91], v[146:147]
	v_add_f64 v[148:149], v[88:89], v[144:145]
	v_cvt_f32_f64_e32 v148, v[148:149]
	v_cvt_f32_f64_e32 v2, v[2:3]
	v_min3_f32 v148, v148, v2, v236
	v_add_f64 v[2:3], v[86:87], v[146:147]
	v_add_f64 v[144:145], v[84:85], v[144:145]
	v_cvt_f32_f64_e32 v144, v[144:145]
	v_cvt_f32_f64_e32 v2, v[2:3]
	v_min3_f32 v146, v144, v2, v235
	v_add_f64 v[2:3], v[98:99], v[142:143]
	v_add_f64 v[144:145], v[96:97], v[140:141]
	v_cvt_f32_f64_e32 v144, v[144:145]
	v_cvt_f32_f64_e32 v2, v[2:3]
	v_min3_f32 v147, v144, v2, v234
	v_add_f64 v[2:3], v[94:95], v[142:143]
	v_add_f64 v[144:145], v[92:93], v[140:141]
	v_cvt_f32_f64_e32 v144, v[144:145]
	v_cvt_f32_f64_e32 v2, v[2:3]
	v_min3_f32 v149, v144, v2, v233
	v_add_f64 v[2:3], v[90:91], v[142:143]
	v_add_f64 v[144:145], v[88:89], v[140:141]
	v_cvt_f32_f64_e32 v144, v[144:145]
	v_cvt_f32_f64_e32 v2, v[2:3]
	v_min3_f32 v144, v144, v2, v232
	v_add_f64 v[2:3], v[86:87], v[142:143]
	v_add_f64 v[140:141], v[84:85], v[140:141]
	v_cvt_f32_f64_e32 v140, v[140:141]
	v_cvt_f32_f64_e32 v2, v[2:3]
	v_min3_f32 v142, v140, v2, v231
	v_add_f64 v[2:3], v[98:99], v[138:139]
	v_add_f64 v[140:141], v[96:97], v[136:137]
	v_cvt_f32_f64_e32 v140, v[140:141]
	v_cvt_f32_f64_e32 v2, v[2:3]
	v_min3_f32 v143, v140, v2, v230
	v_add_f64 v[2:3], v[94:95], v[138:139]
	v_add_f64 v[140:141], v[92:93], v[136:137]
	v_cvt_f32_f64_e32 v140, v[140:141]
	v_cvt_f32_f64_e32 v2, v[2:3]
	v_min3_f32 v145, v140, v2, v229
	v_add_f64 v[2:3], v[90:91], v[138:139]
	v_add_f64 v[140:141], v[88:89], v[136:137]
	v_cvt_f32_f64_e32 v140, v[140:141]
	v_cvt_f32_f64_e32 v2, v[2:3]
	v_min3_f32 v140, v140, v2, v228
	v_add_f64 v[2:3], v[86:87], v[138:139]
	v_add_f64 v[136:137], v[84:85], v[136:137]
	v_cvt_f32_f64_e32 v136, v[136:137]
	v_cvt_f32_f64_e32 v2, v[2:3]
	v_min3_f32 v138, v136, v2, v227
	v_add_f64 v[2:3], v[98:99], v[134:135]
	v_add_f64 v[136:137], v[96:97], v[132:133]
	v_cvt_f32_f64_e32 v136, v[136:137]
	v_cvt_f32_f64_e32 v2, v[2:3]
	v_min3_f32 v139, v136, v2, v226
	v_add_f64 v[2:3], v[94:95], v[134:135]
	v_add_f64 v[136:137], v[92:93], v[132:133]
	v_cvt_f32_f64_e32 v136, v[136:137]
	v_cvt_f32_f64_e32 v2, v[2:3]
	v_min3_f32 v141, v136, v2, v225
	v_add_f64 v[2:3], v[90:91], v[134:135]
	v_add_f64 v[136:137], v[88:89], v[132:133]
	v_cvt_f32_f64_e32 v136, v[136:137]
	v_cvt_f32_f64_e32 v2, v[2:3]
	v_min3_f32 v136, v136, v2, v224
	v_add_f64 v[2:3], v[86:87], v[134:135]
	v_add_f64 v[132:133], v[84:85], v[132:133]
	v_cvt_f32_f64_e32 v132, v[132:133]
	v_cvt_f32_f64_e32 v2, v[2:3]
	v_min3_f32 v134, v132, v2, v223
	v_add_f64 v[2:3], v[98:99], v[130:131]
	v_add_f64 v[132:133], v[96:97], v[128:129]
	v_cvt_f32_f64_e32 v132, v[132:133]
	v_cvt_f32_f64_e32 v2, v[2:3]
	v_min3_f32 v135, v132, v2, v222
	v_add_f64 v[2:3], v[94:95], v[130:131]
	v_add_f64 v[132:133], v[92:93], v[128:129]
	v_cvt_f32_f64_e32 v132, v[132:133]
	v_cvt_f32_f64_e32 v2, v[2:3]
	v_min3_f32 v137, v132, v2, v221
	v_add_f64 v[2:3], v[90:91], v[130:131]
	v_add_f64 v[132:133], v[88:89], v[128:129]
	v_cvt_f32_f64_e32 v132, v[132:133]
	v_cvt_f32_f64_e32 v2, v[2:3]
	v_min3_f32 v184, v132, v2, v220
	v_add_f64 v[2:3], v[86:87], v[130:131]
	v_add_f64 v[128:129], v[84:85], v[128:129]
	v_cvt_f32_f64_e32 v128, v[128:129]
	v_cvt_f32_f64_e32 v2, v[2:3]
	v_min3_f32 v185, v128, v2, v219
	v_add_f64 v[2:3], v[98:99], v[126:127]
	v_add_f64 v[128:129], v[96:97], v[124:125]
	v_cvt_f32_f64_e32 v128, v[128:129]
	v_cvt_f32_f64_e32 v2, v[2:3]
	v_min3_f32 v186, v128, v2, v218
	v_add_f64 v[2:3], v[94:95], v[126:127]
	v_add_f64 v[128:129], v[92:93], v[124:125]
	v_cvt_f32_f64_e32 v128, v[128:129]
	v_cvt_f32_f64_e32 v2, v[2:3]
	v_min3_f32 v187, v128, v2, v217
	v_add_f64 v[2:3], v[90:91], v[126:127]
	v_add_f64 v[128:129], v[88:89], v[124:125]
	v_cvt_f32_f64_e32 v128, v[128:129]
	v_cvt_f32_f64_e32 v2, v[2:3]
	v_min3_f32 v216, v128, v2, v216
	v_add_f64 v[2:3], v[86:87], v[126:127]
	v_add_f64 v[124:125], v[84:85], v[124:125]
	v_cvt_f32_f64_e32 v124, v[124:125]
	v_cvt_f32_f64_e32 v2, v[2:3]
	v_min3_f32 v215, v124, v2, v215
	v_add_f64 v[2:3], v[98:99], v[122:123]
	v_add_f64 v[124:125], v[96:97], v[120:121]
	v_cvt_f32_f64_e32 v124, v[124:125]
	v_cvt_f32_f64_e32 v2, v[2:3]
	v_min3_f32 v214, v124, v2, v214
	v_add_f64 v[2:3], v[94:95], v[122:123]
	v_add_f64 v[124:125], v[92:93], v[120:121]
	v_cvt_f32_f64_e32 v124, v[124:125]
	v_cvt_f32_f64_e32 v2, v[2:3]
	v_min3_f32 v213, v124, v2, v213
	v_add_f64 v[2:3], v[90:91], v[122:123]
	v_add_f64 v[124:125], v[88:89], v[120:121]
	v_cvt_f32_f64_e32 v124, v[124:125]
	v_cvt_f32_f64_e32 v2, v[2:3]
	v_min3_f32 v212, v124, v2, v212
	v_add_f64 v[2:3], v[86:87], v[122:123]
	v_add_f64 v[120:121], v[84:85], v[120:121]
	v_cvt_f32_f64_e32 v120, v[120:121]
	v_cvt_f32_f64_e32 v2, v[2:3]
	v_min3_f32 v211, v120, v2, v211
	v_add_f64 v[2:3], v[98:99], v[118:119]
	v_add_f64 v[120:121], v[96:97], v[116:117]
	v_cvt_f32_f64_e32 v120, v[120:121]
	v_cvt_f32_f64_e32 v2, v[2:3]
	v_min3_f32 v210, v120, v2, v210
	v_add_f64 v[2:3], v[94:95], v[118:119]
	v_add_f64 v[120:121], v[92:93], v[116:117]
	v_cvt_f32_f64_e32 v120, v[120:121]
	v_cvt_f32_f64_e32 v2, v[2:3]
	v_min3_f32 v209, v120, v2, v209
	v_add_f64 v[2:3], v[90:91], v[118:119]
	v_add_f64 v[120:121], v[88:89], v[116:117]
	v_cvt_f32_f64_e32 v120, v[120:121]
	v_cvt_f32_f64_e32 v2, v[2:3]
	v_min3_f32 v208, v120, v2, v208
	v_add_f64 v[2:3], v[86:87], v[118:119]
	v_add_f64 v[116:117], v[84:85], v[116:117]
	v_cvt_f32_f64_e32 v116, v[116:117]
	v_cvt_f32_f64_e32 v2, v[2:3]
	v_min3_f32 v207, v116, v2, v207
	v_add_f64 v[2:3], v[98:99], v[114:115]
	v_add_f64 v[116:117], v[96:97], v[112:113]
	v_cvt_f32_f64_e32 v116, v[116:117]
	v_cvt_f32_f64_e32 v2, v[2:3]
	v_min3_f32 v206, v116, v2, v206
	v_add_f64 v[2:3], v[94:95], v[114:115]
	v_add_f64 v[116:117], v[92:93], v[112:113]
	v_cvt_f32_f64_e32 v116, v[116:117]
	v_cvt_f32_f64_e32 v2, v[2:3]
	v_min3_f32 v205, v116, v2, v205
	v_add_f64 v[2:3], v[90:91], v[114:115]
	v_add_f64 v[116:117], v[88:89], v[112:113]
	v_cvt_f32_f64_e32 v116, v[116:117]
	v_cvt_f32_f64_e32 v2, v[2:3]
	v_min3_f32 v204, v116, v2, v204
	v_add_f64 v[2:3], v[86:87], v[114:115]
	v_add_f64 v[112:113], v[84:85], v[112:113]
	v_cvt_f32_f64_e32 v112, v[112:113]
	v_cvt_f32_f64_e32 v2, v[2:3]
	v_min3_f32 v203, v112, v2, v203
	v_add_f64 v[2:3], v[98:99], v[110:111]
	v_add_f64 v[112:113], v[96:97], v[108:109]
	v_cvt_f32_f64_e32 v112, v[112:113]
	v_cvt_f32_f64_e32 v2, v[2:3]
	v_min3_f32 v202, v112, v2, v202
	v_add_f64 v[2:3], v[94:95], v[110:111]
	v_add_f64 v[112:113], v[92:93], v[108:109]
	v_cvt_f32_f64_e32 v112, v[112:113]
	v_cvt_f32_f64_e32 v2, v[2:3]
	v_min3_f32 v201, v112, v2, v201
	v_add_f64 v[2:3], v[90:91], v[110:111]
	v_add_f64 v[112:113], v[88:89], v[108:109]
	v_cvt_f32_f64_e32 v112, v[112:113]
	v_cvt_f32_f64_e32 v2, v[2:3]
	v_min3_f32 v200, v112, v2, v200
	v_add_f64 v[2:3], v[86:87], v[110:111]
	v_add_f64 v[108:109], v[84:85], v[108:109]
	v_cvt_f32_f64_e32 v108, v[108:109]
	v_cvt_f32_f64_e32 v2, v[2:3]
	v_min3_f32 v199, v108, v2, v199
	v_add_f64 v[2:3], v[98:99], v[106:107]
	v_add_f64 v[108:109], v[96:97], v[104:105]
	v_cvt_f32_f64_e32 v108, v[108:109]
	v_cvt_f32_f64_e32 v2, v[2:3]
	v_min3_f32 v198, v108, v2, v198
	v_add_f64 v[2:3], v[94:95], v[106:107]
	v_add_f64 v[108:109], v[92:93], v[104:105]
	v_cvt_f32_f64_e32 v108, v[108:109]
	v_cvt_f32_f64_e32 v2, v[2:3]
	v_min3_f32 v197, v108, v2, v197
	v_add_f64 v[2:3], v[90:91], v[106:107]
	v_add_f64 v[108:109], v[88:89], v[104:105]
	v_cvt_f32_f64_e32 v108, v[108:109]
	v_cvt_f32_f64_e32 v2, v[2:3]
	v_min3_f32 v196, v108, v2, v196
	v_add_f64 v[2:3], v[86:87], v[106:107]
	v_add_f64 v[104:105], v[84:85], v[104:105]
	v_cvt_f32_f64_e32 v104, v[104:105]
	v_cvt_f32_f64_e32 v2, v[2:3]
	v_min3_f32 v195, v104, v2, v195
	v_add_f64 v[2:3], v[98:99], v[102:103]
	v_add_f64 v[96:97], v[96:97], v[100:101]
	v_cvt_f32_f64_e32 v96, v[96:97]
	v_cvt_f32_f64_e32 v2, v[2:3]
	v_min3_f32 v96, v96, v2, v194
	v_add_f64 v[2:3], v[94:95], v[102:103]
	v_add_f64 v[92:93], v[92:93], v[100:101]
	v_cvt_f32_f64_e32 v92, v[92:93]
	v_cvt_f32_f64_e32 v2, v[2:3]
	v_min3_f32 v92, v92, v2, v192
	v_add_f64 v[2:3], v[90:91], v[102:103]
	v_add_f64 v[88:89], v[88:89], v[100:101]
	v_cvt_f32_f64_e32 v88, v[88:89]
	v_cvt_f32_f64_e32 v2, v[2:3]
	v_min3_f32 v88, v88, v2, v191
	v_add_f64 v[2:3], v[86:87], v[102:103]
	v_add_f64 v[84:85], v[84:85], v[100:101]
	v_cvt_f32_f64_e32 v84, v[84:85]
	v_cvt_f32_f64_e32 v2, v[2:3]
	v_min3_f32 v86, v84, v2, v190
	v_add_f64 v[2:3], v[18:19], v[82:83]
	v_add_f64 v[84:85], v[16:17], v[80:81]
	v_cvt_f32_f64_e32 v84, v[84:85]
	v_cvt_f32_f64_e32 v2, v[2:3]
	v_min3_f32 v190, v84, v2, v180
	v_add_f64 v[2:3], v[14:15], v[82:83]
	v_add_f64 v[84:85], v[12:13], v[80:81]
	v_cvt_f32_f64_e32 v84, v[84:85]
	v_cvt_f32_f64_e32 v2, v[2:3]
	v_min3_f32 v102, v84, v2, v181
	v_add_f64 v[2:3], v[10:11], v[82:83]
	v_add_f64 v[84:85], v[8:9], v[80:81]
	v_cvt_f32_f64_e32 v84, v[84:85]
	v_cvt_f32_f64_e32 v2, v[2:3]
	v_min3_f32 v103, v84, v2, v182
	v_add_f64 v[2:3], v[6:7], v[82:83]
	v_add_f64 v[80:81], v[4:5], v[80:81]
	v_cvt_f32_f64_e32 v80, v[80:81]
	v_cvt_f32_f64_e32 v2, v[2:3]
	v_min3_f32 v104, v80, v2, v160
	v_add_f64 v[2:3], v[18:19], v[78:79]
	v_add_f64 v[80:81], v[16:17], v[76:77]
	v_cvt_f32_f64_e32 v80, v[80:81]
	v_cvt_f32_f64_e32 v2, v[2:3]
	v_min3_f32 v105, v80, v2, v161
	v_add_f64 v[2:3], v[14:15], v[78:79]
	v_add_f64 v[80:81], v[12:13], v[76:77]
	v_cvt_f32_f64_e32 v80, v[80:81]
	v_cvt_f32_f64_e32 v2, v[2:3]
	v_min3_f32 v106, v80, v2, v162
	v_add_f64 v[2:3], v[10:11], v[78:79]
	v_add_f64 v[80:81], v[8:9], v[76:77]
	v_cvt_f32_f64_e32 v80, v[80:81]
	v_cvt_f32_f64_e32 v2, v[2:3]
	v_min3_f32 v107, v80, v2, v163
	v_add_f64 v[2:3], v[6:7], v[78:79]
	v_add_f64 v[76:77], v[4:5], v[76:77]
	v_cvt_f32_f64_e32 v76, v[76:77]
	v_cvt_f32_f64_e32 v2, v[2:3]
	v_min3_f32 v108, v76, v2, v158
	v_add_f64 v[2:3], v[18:19], v[74:75]
	v_add_f64 v[76:77], v[16:17], v[72:73]
	v_cvt_f32_f64_e32 v76, v[76:77]
	v_cvt_f32_f64_e32 v2, v[2:3]
	v_min3_f32 v109, v76, v2, v159
	v_add_f64 v[2:3], v[14:15], v[74:75]
	v_add_f64 v[76:77], v[12:13], v[72:73]
	v_cvt_f32_f64_e32 v76, v[76:77]
	v_cvt_f32_f64_e32 v2, v[2:3]
	v_min3_f32 v110, v76, v2, v183
	v_add_f64 v[2:3], v[10:11], v[74:75]
	v_add_f64 v[76:77], v[8:9], v[72:73]
	v_cvt_f32_f64_e32 v76, v[76:77]
	v_cvt_f32_f64_e32 v2, v[2:3]
	v_min3_f32 v111, v76, v2, v156
	v_add_f64 v[2:3], v[6:7], v[74:75]
	v_add_f64 v[72:73], v[4:5], v[72:73]
	v_cvt_f32_f64_e32 v72, v[72:73]
	v_cvt_f32_f64_e32 v2, v[2:3]
	v_min3_f32 v112, v72, v2, v154
	v_add_f64 v[2:3], v[18:19], v[70:71]
	v_add_f64 v[72:73], v[16:17], v[68:69]
	v_cvt_f32_f64_e32 v72, v[72:73]
	v_cvt_f32_f64_e32 v2, v[2:3]
	v_min3_f32 v113, v72, v2, v155
	v_add_f64 v[2:3], v[14:15], v[70:71]
	v_add_f64 v[72:73], v[12:13], v[68:69]
	v_cvt_f32_f64_e32 v72, v[72:73]
	v_cvt_f32_f64_e32 v2, v[2:3]
	v_min3_f32 v114, v72, v2, v157
	v_add_f64 v[2:3], v[10:11], v[70:71]
	v_add_f64 v[72:73], v[8:9], v[68:69]
	v_cvt_f32_f64_e32 v72, v[72:73]
	v_cvt_f32_f64_e32 v2, v[2:3]
	v_min3_f32 v115, v72, v2, v152
	v_add_f64 v[2:3], v[6:7], v[70:71]
	v_add_f64 v[68:69], v[4:5], v[68:69]
	v_cvt_f32_f64_e32 v68, v[68:69]
	v_cvt_f32_f64_e32 v2, v[2:3]
	v_min3_f32 v116, v68, v2, v150
	v_add_f64 v[2:3], v[18:19], v[66:67]
	v_add_f64 v[68:69], v[16:17], v[64:65]
	v_cvt_f32_f64_e32 v68, v[68:69]
	v_cvt_f32_f64_e32 v2, v[2:3]
	v_min3_f32 v117, v68, v2, v151
	v_add_f64 v[2:3], v[14:15], v[66:67]
	v_add_f64 v[68:69], v[12:13], v[64:65]
	v_cvt_f32_f64_e32 v68, v[68:69]
	v_cvt_f32_f64_e32 v2, v[2:3]
	v_min3_f32 v118, v68, v2, v153
	v_add_f64 v[2:3], v[10:11], v[66:67]
	v_add_f64 v[68:69], v[8:9], v[64:65]
	v_cvt_f32_f64_e32 v68, v[68:69]
	v_cvt_f32_f64_e32 v2, v[2:3]
	v_min3_f32 v119, v68, v2, v148
	v_add_f64 v[2:3], v[6:7], v[66:67]
	v_add_f64 v[64:65], v[4:5], v[64:65]
	v_cvt_f32_f64_e32 v64, v[64:65]
	v_cvt_f32_f64_e32 v2, v[2:3]
	v_min3_f32 v120, v64, v2, v146
	v_add_f64 v[2:3], v[18:19], v[62:63]
	v_add_f64 v[64:65], v[16:17], v[60:61]
	v_cvt_f32_f64_e32 v64, v[64:65]
	v_cvt_f32_f64_e32 v2, v[2:3]
	v_min3_f32 v121, v64, v2, v147
	v_add_f64 v[2:3], v[14:15], v[62:63]
	v_add_f64 v[64:65], v[12:13], v[60:61]
	v_cvt_f32_f64_e32 v64, v[64:65]
	v_cvt_f32_f64_e32 v2, v[2:3]
	v_min3_f32 v122, v64, v2, v149
	v_add_f64 v[2:3], v[10:11], v[62:63]
	v_add_f64 v[64:65], v[8:9], v[60:61]
	v_cvt_f32_f64_e32 v64, v[64:65]
	v_cvt_f32_f64_e32 v2, v[2:3]
	v_min3_f32 v123, v64, v2, v144
	v_add_f64 v[2:3], v[6:7], v[62:63]
	v_add_f64 v[60:61], v[4:5], v[60:61]
	v_cvt_f32_f64_e32 v60, v[60:61]
	v_cvt_f32_f64_e32 v2, v[2:3]
	v_min3_f32 v124, v60, v2, v142
	v_add_f64 v[2:3], v[18:19], v[58:59]
	v_add_f64 v[60:61], v[16:17], v[56:57]
	v_cvt_f32_f64_e32 v60, v[60:61]
	v_cvt_f32_f64_e32 v2, v[2:3]
	v_min3_f32 v125, v60, v2, v143
	v_add_f64 v[2:3], v[14:15], v[58:59]
	v_add_f64 v[60:61], v[12:13], v[56:57]
	v_cvt_f32_f64_e32 v60, v[60:61]
	v_cvt_f32_f64_e32 v2, v[2:3]
	v_min3_f32 v126, v60, v2, v145
	v_add_f64 v[2:3], v[10:11], v[58:59]
	v_add_f64 v[60:61], v[8:9], v[56:57]
	v_cvt_f32_f64_e32 v60, v[60:61]
	v_cvt_f32_f64_e32 v2, v[2:3]
	v_min3_f32 v127, v60, v2, v140
	v_add_f64 v[2:3], v[6:7], v[58:59]
	v_add_f64 v[56:57], v[4:5], v[56:57]
	v_cvt_f32_f64_e32 v56, v[56:57]
	v_cvt_f32_f64_e32 v2, v[2:3]
	v_min3_f32 v128, v56, v2, v138
	v_add_f64 v[2:3], v[18:19], v[54:55]
	v_add_f64 v[56:57], v[16:17], v[52:53]
	v_cvt_f32_f64_e32 v56, v[56:57]
	v_cvt_f32_f64_e32 v2, v[2:3]
	v_min3_f32 v129, v56, v2, v139
	v_add_f64 v[2:3], v[14:15], v[54:55]
	v_add_f64 v[56:57], v[12:13], v[52:53]
	v_cvt_f32_f64_e32 v56, v[56:57]
	v_cvt_f32_f64_e32 v2, v[2:3]
	v_min3_f32 v130, v56, v2, v141
	v_add_f64 v[2:3], v[10:11], v[54:55]
	v_add_f64 v[56:57], v[8:9], v[52:53]
	v_cvt_f32_f64_e32 v56, v[56:57]
	v_cvt_f32_f64_e32 v2, v[2:3]
	v_min3_f32 v131, v56, v2, v136
	v_add_f64 v[2:3], v[6:7], v[54:55]
	v_add_f64 v[52:53], v[4:5], v[52:53]
	v_cvt_f32_f64_e32 v52, v[52:53]
	v_cvt_f32_f64_e32 v2, v[2:3]
	v_min3_f32 v132, v52, v2, v134
	v_add_f64 v[2:3], v[18:19], v[50:51]
	v_add_f64 v[52:53], v[16:17], v[48:49]
	v_cvt_f32_f64_e32 v52, v[52:53]
	v_cvt_f32_f64_e32 v2, v[2:3]
	v_min3_f32 v133, v52, v2, v135
	v_add_f64 v[2:3], v[14:15], v[50:51]
	v_add_f64 v[52:53], v[12:13], v[48:49]
	v_cvt_f32_f64_e32 v52, v[52:53]
	v_cvt_f32_f64_e32 v2, v[2:3]
	v_min3_f32 v134, v52, v2, v137
	v_add_f64 v[2:3], v[10:11], v[50:51]
	v_add_f64 v[52:53], v[8:9], v[48:49]
	v_cvt_f32_f64_e32 v52, v[52:53]
	v_cvt_f32_f64_e32 v2, v[2:3]
	v_min3_f32 v135, v52, v2, v184
	v_add_f64 v[2:3], v[6:7], v[50:51]
	v_add_f64 v[48:49], v[4:5], v[48:49]
	v_cvt_f32_f64_e32 v48, v[48:49]
	v_cvt_f32_f64_e32 v2, v[2:3]
	v_min3_f32 v136, v48, v2, v185
	v_add_f64 v[2:3], v[18:19], v[46:47]
	v_add_f64 v[48:49], v[16:17], v[44:45]
	v_cvt_f32_f64_e32 v48, v[48:49]
	v_cvt_f32_f64_e32 v2, v[2:3]
	v_min3_f32 v137, v48, v2, v186
	v_add_f64 v[2:3], v[14:15], v[46:47]
	v_add_f64 v[48:49], v[12:13], v[44:45]
	v_cvt_f32_f64_e32 v48, v[48:49]
	v_cvt_f32_f64_e32 v2, v[2:3]
	v_min3_f32 v138, v48, v2, v187
	v_add_f64 v[2:3], v[10:11], v[46:47]
	v_add_f64 v[48:49], v[8:9], v[44:45]
	v_cvt_f32_f64_e32 v48, v[48:49]
	v_cvt_f32_f64_e32 v2, v[2:3]
	v_min3_f32 v139, v48, v2, v216
	v_add_f64 v[2:3], v[6:7], v[46:47]
	v_add_f64 v[44:45], v[4:5], v[44:45]
	v_cvt_f32_f64_e32 v44, v[44:45]
	v_cvt_f32_f64_e32 v2, v[2:3]
	v_min3_f32 v140, v44, v2, v215
	v_add_f64 v[2:3], v[18:19], v[42:43]
	v_add_f64 v[44:45], v[16:17], v[40:41]
	v_cvt_f32_f64_e32 v44, v[44:45]
	v_cvt_f32_f64_e32 v2, v[2:3]
	v_min3_f32 v141, v44, v2, v214
	v_add_f64 v[2:3], v[14:15], v[42:43]
	v_add_f64 v[44:45], v[12:13], v[40:41]
	v_cvt_f32_f64_e32 v44, v[44:45]
	v_cvt_f32_f64_e32 v2, v[2:3]
	v_min3_f32 v142, v44, v2, v213
	v_add_f64 v[2:3], v[10:11], v[42:43]
	v_add_f64 v[44:45], v[8:9], v[40:41]
	v_cvt_f32_f64_e32 v44, v[44:45]
	v_cvt_f32_f64_e32 v2, v[2:3]
	v_min3_f32 v143, v44, v2, v212
	v_add_f64 v[2:3], v[6:7], v[42:43]
	v_add_f64 v[40:41], v[4:5], v[40:41]
	v_cvt_f32_f64_e32 v40, v[40:41]
	v_cvt_f32_f64_e32 v2, v[2:3]
	v_min3_f32 v144, v40, v2, v211
	v_add_f64 v[2:3], v[18:19], v[38:39]
	v_add_f64 v[40:41], v[16:17], v[36:37]
	v_cvt_f32_f64_e32 v40, v[40:41]
	v_cvt_f32_f64_e32 v2, v[2:3]
	v_min3_f32 v145, v40, v2, v210
	v_add_f64 v[2:3], v[14:15], v[38:39]
	v_add_f64 v[40:41], v[12:13], v[36:37]
	v_cvt_f32_f64_e32 v40, v[40:41]
	v_cvt_f32_f64_e32 v2, v[2:3]
	v_min3_f32 v146, v40, v2, v209
	v_add_f64 v[2:3], v[10:11], v[38:39]
	v_add_f64 v[40:41], v[8:9], v[36:37]
	v_cvt_f32_f64_e32 v40, v[40:41]
	v_cvt_f32_f64_e32 v2, v[2:3]
	v_min3_f32 v147, v40, v2, v208
	v_add_f64 v[2:3], v[6:7], v[38:39]
	v_add_f64 v[36:37], v[4:5], v[36:37]
	v_cvt_f32_f64_e32 v36, v[36:37]
	v_cvt_f32_f64_e32 v2, v[2:3]
	v_min3_f32 v148, v36, v2, v207
	v_add_f64 v[2:3], v[18:19], v[34:35]
	v_add_f64 v[36:37], v[16:17], v[32:33]
	v_cvt_f32_f64_e32 v36, v[36:37]
	v_cvt_f32_f64_e32 v2, v[2:3]
	v_min3_f32 v149, v36, v2, v206
	v_add_f64 v[2:3], v[14:15], v[34:35]
	v_add_f64 v[36:37], v[12:13], v[32:33]
	v_cvt_f32_f64_e32 v36, v[36:37]
	v_cvt_f32_f64_e32 v2, v[2:3]
	v_min3_f32 v150, v36, v2, v205
	v_add_f64 v[2:3], v[10:11], v[34:35]
	v_add_f64 v[36:37], v[8:9], v[32:33]
	v_cvt_f32_f64_e32 v36, v[36:37]
	v_cvt_f32_f64_e32 v2, v[2:3]
	v_min3_f32 v151, v36, v2, v204
	v_add_f64 v[2:3], v[6:7], v[34:35]
	v_add_f64 v[32:33], v[4:5], v[32:33]
	v_cvt_f32_f64_e32 v32, v[32:33]
	v_cvt_f32_f64_e32 v2, v[2:3]
	v_min3_f32 v152, v32, v2, v203
	v_add_f64 v[2:3], v[18:19], v[30:31]
	v_add_f64 v[32:33], v[16:17], v[28:29]
	v_cvt_f32_f64_e32 v32, v[32:33]
	v_cvt_f32_f64_e32 v2, v[2:3]
	v_min3_f32 v153, v32, v2, v202
	v_add_f64 v[2:3], v[14:15], v[30:31]
	v_add_f64 v[32:33], v[12:13], v[28:29]
	v_cvt_f32_f64_e32 v32, v[32:33]
	v_cvt_f32_f64_e32 v2, v[2:3]
	v_min3_f32 v154, v32, v2, v201
	v_add_f64 v[2:3], v[10:11], v[30:31]
	v_add_f64 v[32:33], v[8:9], v[28:29]
	v_cvt_f32_f64_e32 v32, v[32:33]
	v_cvt_f32_f64_e32 v2, v[2:3]
	v_min3_f32 v155, v32, v2, v200
	v_add_f64 v[2:3], v[6:7], v[30:31]
	v_add_f64 v[28:29], v[4:5], v[28:29]
	v_cvt_f32_f64_e32 v28, v[28:29]
	v_cvt_f32_f64_e32 v2, v[2:3]
	v_min3_f32 v156, v28, v2, v199
	v_add_f64 v[2:3], v[18:19], v[26:27]
	v_add_f64 v[28:29], v[16:17], v[24:25]
	v_cvt_f32_f64_e32 v28, v[28:29]
	v_cvt_f32_f64_e32 v2, v[2:3]
	v_min3_f32 v157, v28, v2, v198
	v_add_f64 v[2:3], v[14:15], v[26:27]
	v_add_f64 v[28:29], v[12:13], v[24:25]
	v_cvt_f32_f64_e32 v28, v[28:29]
	v_cvt_f32_f64_e32 v2, v[2:3]
	v_min3_f32 v158, v28, v2, v197
	v_add_f64 v[2:3], v[10:11], v[26:27]
	v_add_f64 v[28:29], v[8:9], v[24:25]
	v_cvt_f32_f64_e32 v28, v[28:29]
	v_cvt_f32_f64_e32 v2, v[2:3]
	v_min3_f32 v159, v28, v2, v196
	v_add_f64 v[2:3], v[6:7], v[26:27]
	v_add_f64 v[24:25], v[4:5], v[24:25]
	v_cvt_f32_f64_e32 v24, v[24:25]
	v_cvt_f32_f64_e32 v2, v[2:3]
	v_min3_f32 v160, v24, v2, v195
	v_add_f64 v[2:3], v[18:19], v[22:23]
	v_add_f64 v[16:17], v[16:17], v[20:21]
	v_cvt_f32_f64_e32 v16, v[16:17]
	v_cvt_f32_f64_e32 v2, v[2:3]
	v_min3_f32 v161, v16, v2, v96
	v_add_f64 v[2:3], v[14:15], v[22:23]
	v_add_f64 v[12:13], v[12:13], v[20:21]
	v_cvt_f32_f64_e32 v12, v[12:13]
	v_cvt_f32_f64_e32 v2, v[2:3]
	v_min3_f32 v162, v12, v2, v92
	v_add_f64 v[2:3], v[10:11], v[22:23]
	v_add_f64 v[8:9], v[8:9], v[20:21]
	v_cvt_f32_f64_e32 v8, v[8:9]
	v_cvt_f32_f64_e32 v2, v[2:3]
	v_min3_f32 v163, v8, v2, v88
	v_add_f64 v[2:3], v[6:7], v[22:23]
	v_add_f64 v[4:5], v[4:5], v[20:21]
	v_cvt_f32_f64_e32 v4, v[4:5]
	v_cvt_f32_f64_e32 v2, v[2:3]
	v_min3_f32 v180, v4, v2, v86
	ds_read_b128 v[18:21], v189 offset:1024
	ds_read_b128 v[14:17], v189 offset:2048
	;; [unrolled: 1-line block ×16, first 2 shown]
	ds_read_b128 v[98:101], v248
	ds_read_b128 v[34:37], v189
	ds_read_b128 v[42:45], v248 offset:3584
	ds_read_b128 v[22:25], v248 offset:3840
	;; [unrolled: 1-line block ×4, first 2 shown]
	s_waitcnt lgkmcnt(5)
	v_add_f64 v[30:31], v[20:21], v[100:101]
	v_add_f64 v[32:33], v[18:19], v[98:99]
	;; [unrolled: 1-line block ×4, first 2 shown]
	s_waitcnt lgkmcnt(4)
	v_add_f64 v[26:27], v[36:37], v[100:101]
	v_add_f64 v[28:29], v[34:35], v[98:99]
	v_cvt_f32_f64_e32 v32, v[32:33]
	v_cvt_f32_f64_e32 v30, v[30:31]
	;; [unrolled: 1-line block ×4, first 2 shown]
	v_add_f64 v[100:101], v[12:13], v[100:101]
	v_add_f64 v[98:99], v[10:11], v[98:99]
	v_cvt_f32_f64_e32 v28, v[28:29]
	v_cvt_f32_f64_e32 v26, v[26:27]
	v_min3_f32 v184, v32, v30, v102
	v_min3_f32 v185, v40, v38, v103
	v_cvt_f32_f64_e32 v98, v[98:99]
	v_cvt_f32_f64_e32 v99, v[100:101]
	v_add_f64 v[102:103], v[36:37], v[96:97]
	v_add_f64 v[182:183], v[34:35], v[94:95]
	v_min3_f32 v181, v28, v26, v190
	v_min3_f32 v190, v98, v99, v104
	v_cvt_f32_f64_e32 v104, v[182:183]
	v_cvt_f32_f64_e32 v102, v[102:103]
	v_min3_f32 v182, v104, v102, v105
	v_add_f64 v[102:103], v[20:21], v[96:97]
	v_add_f64 v[104:105], v[18:19], v[94:95]
	v_cvt_f32_f64_e32 v104, v[104:105]
	v_cvt_f32_f64_e32 v102, v[102:103]
	v_min3_f32 v106, v104, v102, v106
	v_add_f64 v[102:103], v[16:17], v[96:97]
	v_add_f64 v[104:105], v[14:15], v[94:95]
	;; [unrolled: 5-line block ×38, first 2 shown]
	v_cvt_f32_f64_e32 v104, v[104:105]
	v_cvt_f32_f64_e32 v102, v[102:103]
	v_min3_f32 v155, v104, v102, v155
	s_waitcnt lgkmcnt(3)
	v_add_f64 v[102:103], v[36:37], v[44:45]
	v_add_f64 v[104:105], v[34:35], v[42:43]
	v_cvt_f32_f64_e32 v104, v[104:105]
	v_cvt_f32_f64_e32 v102, v[102:103]
	v_min3_f32 v157, v104, v102, v157
	v_add_f64 v[102:103], v[20:21], v[44:45]
	v_add_f64 v[104:105], v[18:19], v[42:43]
	ds_read_b128 v[26:29], v189 offset:1040
	ds_read_b128 v[30:33], v189 offset:2064
	v_cvt_f32_f64_e32 v104, v[104:105]
	v_cvt_f32_f64_e32 v102, v[102:103]
	v_add_f64 v[96:97], v[12:13], v[96:97]
	v_add_f64 v[94:95], v[10:11], v[94:95]
	;; [unrolled: 1-line block ×26, first 2 shown]
	v_min3_f32 v158, v104, v102, v158
	v_add_f64 v[102:103], v[16:17], v[44:45]
	v_add_f64 v[104:105], v[14:15], v[42:43]
	;; [unrolled: 1-line block ×4, first 2 shown]
	s_waitcnt lgkmcnt(4)
	v_add_f64 v[16:17], v[16:17], v[24:25]
	v_add_f64 v[14:15], v[14:15], v[22:23]
	;; [unrolled: 1-line block ×4, first 2 shown]
	ds_read_b128 v[38:41], v189 offset:3088
	ds_read_b128 v[98:101], v248 offset:272
	v_cvt_f32_f64_e32 v14, v[14:15]
	v_cvt_f32_f64_e32 v15, v[16:17]
	;; [unrolled: 1-line block ×4, first 2 shown]
	v_min3_f32 v14, v14, v15, v163
	v_min3_f32 v15, v10, v11, v180
	s_waitcnt lgkmcnt(4)
	v_add_f64 v[10:11], v[4:5], v[8:9]
	v_add_f64 v[12:13], v[2:3], v[6:7]
	v_cvt_f32_f64_e32 v12, v[12:13]
	v_cvt_f32_f64_e32 v10, v[10:11]
	v_min3_f32 v186, v12, v10, v181
	s_waitcnt lgkmcnt(3)
	v_add_f64 v[10:11], v[28:29], v[8:9]
	v_add_f64 v[12:13], v[26:27], v[6:7]
	v_cvt_f32_f64_e32 v12, v[12:13]
	v_cvt_f32_f64_e32 v10, v[10:11]
	v_min3_f32 v255, v12, v10, v184
	s_waitcnt lgkmcnt(2)
	v_add_f64 v[10:11], v[32:33], v[8:9]
	v_add_f64 v[12:13], v[30:31], v[6:7]
	s_waitcnt lgkmcnt(1)
	v_add_f64 v[8:9], v[40:41], v[8:9]
	v_add_f64 v[6:7], v[38:39], v[6:7]
	v_cvt_f32_f64_e32 v6, v[6:7]
	v_cvt_f32_f64_e32 v7, v[8:9]
	v_min3_f32 v254, v6, v7, v190
	s_waitcnt lgkmcnt(0)
	v_add_f64 v[6:7], v[4:5], v[100:101]
	v_add_f64 v[8:9], v[2:3], v[98:99]
	v_cvt_f32_f64_e32 v8, v[8:9]
	v_cvt_f32_f64_e32 v6, v[6:7]
	v_cvt_f32_f64_e32 v94, v[94:95]
	v_cvt_f32_f64_e32 v95, v[96:97]
	v_min3_f32 v253, v8, v6, v182
	v_add_f64 v[6:7], v[28:29], v[100:101]
	v_add_f64 v[8:9], v[26:27], v[98:99]
	v_min3_f32 v108, v94, v95, v108
	ds_read_b128 v[94:97], v248 offset:528
	v_cvt_f32_f64_e32 v8, v[8:9]
	v_cvt_f32_f64_e32 v6, v[6:7]
	v_min3_f32 v252, v8, v6, v106
	v_add_f64 v[6:7], v[32:33], v[100:101]
	v_add_f64 v[8:9], v[30:31], v[98:99]
	v_cvt_f32_f64_e32 v8, v[8:9]
	v_cvt_f32_f64_e32 v6, v[6:7]
	v_min3_f32 v251, v8, v6, v107
	v_add_f64 v[6:7], v[40:41], v[100:101]
	v_add_f64 v[8:9], v[38:39], v[98:99]
	v_cvt_f32_f64_e32 v90, v[90:91]
	v_cvt_f32_f64_e32 v91, v[92:93]
	v_cvt_f32_f64_e32 v8, v[8:9]
	v_cvt_f32_f64_e32 v6, v[6:7]
	v_min3_f32 v112, v90, v91, v112
	ds_read_b128 v[90:93], v248 offset:784
	v_min3_f32 v247, v8, v6, v108
	s_waitcnt lgkmcnt(1)
	v_add_f64 v[6:7], v[4:5], v[96:97]
	v_add_f64 v[8:9], v[2:3], v[94:95]
	v_cvt_f32_f64_e32 v8, v[8:9]
	v_cvt_f32_f64_e32 v6, v[6:7]
	v_min3_f32 v246, v8, v6, v109
	v_add_f64 v[6:7], v[28:29], v[96:97]
	v_add_f64 v[8:9], v[26:27], v[94:95]
	v_cvt_f32_f64_e32 v8, v[8:9]
	v_cvt_f32_f64_e32 v6, v[6:7]
	v_min3_f32 v245, v8, v6, v110
	v_add_f64 v[6:7], v[32:33], v[96:97]
	v_add_f64 v[8:9], v[30:31], v[94:95]
	v_cvt_f32_f64_e32 v8, v[8:9]
	v_cvt_f32_f64_e32 v6, v[6:7]
	v_min3_f32 v244, v8, v6, v111
	v_add_f64 v[6:7], v[40:41], v[96:97]
	v_add_f64 v[8:9], v[38:39], v[94:95]
	v_cvt_f32_f64_e32 v8, v[8:9]
	v_cvt_f32_f64_e32 v6, v[6:7]
	v_min3_f32 v243, v8, v6, v112
	s_waitcnt lgkmcnt(0)
	v_add_f64 v[6:7], v[4:5], v[92:93]
	v_add_f64 v[8:9], v[2:3], v[90:91]
	v_cvt_f32_f64_e32 v8, v[8:9]
	v_cvt_f32_f64_e32 v6, v[6:7]
	v_cvt_f32_f64_e32 v86, v[86:87]
	v_cvt_f32_f64_e32 v87, v[88:89]
	v_min3_f32 v242, v8, v6, v113
	v_add_f64 v[6:7], v[28:29], v[92:93]
	v_add_f64 v[8:9], v[26:27], v[90:91]
	v_min3_f32 v116, v86, v87, v116
	ds_read_b128 v[86:89], v248 offset:1040
	v_cvt_f32_f64_e32 v8, v[8:9]
	v_cvt_f32_f64_e32 v6, v[6:7]
	v_min3_f32 v241, v8, v6, v114
	v_add_f64 v[6:7], v[32:33], v[92:93]
	v_add_f64 v[8:9], v[30:31], v[90:91]
	v_cvt_f32_f64_e32 v8, v[8:9]
	v_cvt_f32_f64_e32 v6, v[6:7]
	v_min3_f32 v240, v8, v6, v115
	v_add_f64 v[6:7], v[40:41], v[92:93]
	v_add_f64 v[8:9], v[38:39], v[90:91]
	v_cvt_f32_f64_e32 v82, v[82:83]
	v_cvt_f32_f64_e32 v83, v[84:85]
	v_cvt_f32_f64_e32 v8, v[8:9]
	v_cvt_f32_f64_e32 v6, v[6:7]
	v_min3_f32 v120, v82, v83, v120
	ds_read_b128 v[82:85], v248 offset:1296
	v_min3_f32 v239, v8, v6, v116
	s_waitcnt lgkmcnt(1)
	v_add_f64 v[6:7], v[4:5], v[88:89]
	v_add_f64 v[8:9], v[2:3], v[86:87]
	v_cvt_f32_f64_e32 v8, v[8:9]
	v_cvt_f32_f64_e32 v6, v[6:7]
	v_min3_f32 v238, v8, v6, v117
	v_add_f64 v[6:7], v[28:29], v[88:89]
	v_add_f64 v[8:9], v[26:27], v[86:87]
	v_cvt_f32_f64_e32 v8, v[8:9]
	v_cvt_f32_f64_e32 v6, v[6:7]
	v_min3_f32 v237, v8, v6, v118
	v_add_f64 v[6:7], v[32:33], v[88:89]
	v_add_f64 v[8:9], v[30:31], v[86:87]
	v_cvt_f32_f64_e32 v8, v[8:9]
	v_cvt_f32_f64_e32 v6, v[6:7]
	v_min3_f32 v236, v8, v6, v119
	;; [unrolled: 50-line block ×6, first 2 shown]
	v_add_f64 v[6:7], v[40:41], v[56:57]
	v_add_f64 v[8:9], v[38:39], v[54:55]
	v_cvt_f32_f64_e32 v8, v[8:9]
	v_cvt_f32_f64_e32 v6, v[6:7]
	v_min3_f32 v203, v8, v6, v152
	s_waitcnt lgkmcnt(0)
	v_add_f64 v[6:7], v[4:5], v[52:53]
	v_add_f64 v[8:9], v[2:3], v[50:51]
	v_cvt_f32_f64_e32 v8, v[8:9]
	v_cvt_f32_f64_e32 v6, v[6:7]
	;; [unrolled: 1-line block ×6, first 2 shown]
	v_min3_f32 v202, v8, v6, v153
	v_add_f64 v[6:7], v[28:29], v[52:53]
	v_add_f64 v[8:9], v[26:27], v[50:51]
	v_min3_f32 v156, v46, v47, v156
	ds_read_b128 v[46:49], v248 offset:3600
	v_cvt_f32_f64_e32 v102, v[102:103]
	v_min3_f32 v103, v42, v43, v160
	ds_read_b128 v[42:45], v248 offset:3856
	v_cvt_f32_f64_e32 v8, v[8:9]
	v_cvt_f32_f64_e32 v6, v[6:7]
	v_min3_f32 v201, v8, v6, v154
	v_add_f64 v[6:7], v[32:33], v[52:53]
	v_add_f64 v[8:9], v[30:31], v[50:51]
	v_cvt_f32_f64_e32 v8, v[8:9]
	v_cvt_f32_f64_e32 v6, v[6:7]
	v_min3_f32 v200, v8, v6, v155
	v_add_f64 v[6:7], v[40:41], v[52:53]
	v_add_f64 v[8:9], v[38:39], v[50:51]
	;; [unrolled: 1-line block ×4, first 2 shown]
	v_cvt_f32_f64_e32 v8, v[8:9]
	v_cvt_f32_f64_e32 v6, v[6:7]
	;; [unrolled: 1-line block ×4, first 2 shown]
	v_min3_f32 v199, v8, v6, v156
	s_waitcnt lgkmcnt(1)
	v_add_f64 v[6:7], v[4:5], v[48:49]
	v_add_f64 v[8:9], v[2:3], v[46:47]
	s_waitcnt lgkmcnt(0)
	v_add_f64 v[4:5], v[4:5], v[44:45]
	v_add_f64 v[2:3], v[2:3], v[42:43]
	v_min3_f32 v34, v34, v35, v161
	v_add_f64 v[20:21], v[20:21], v[24:25]
	v_add_f64 v[18:19], v[18:19], v[22:23]
	v_cvt_f32_f64_e32 v2, v[2:3]
	v_cvt_f32_f64_e32 v3, v[4:5]
	;; [unrolled: 1-line block ×6, first 2 shown]
	v_min3_f32 v194, v2, v3, v34
	v_add_f64 v[2:3], v[28:29], v[44:45]
	v_add_f64 v[4:5], v[26:27], v[42:43]
	v_min3_f32 v18, v18, v19, v162
	v_min3_f32 v198, v8, v6, v157
	v_add_f64 v[6:7], v[28:29], v[48:49]
	v_add_f64 v[8:9], v[26:27], v[46:47]
	v_cvt_f32_f64_e32 v4, v[4:5]
	v_cvt_f32_f64_e32 v2, v[2:3]
	;; [unrolled: 1-line block ×4, first 2 shown]
	v_min3_f32 v192, v4, v2, v18
	v_add_f64 v[2:3], v[32:33], v[44:45]
	v_add_f64 v[4:5], v[30:31], v[42:43]
	v_cvt_f32_f64_e32 v104, v[104:105]
	v_min3_f32 v197, v8, v6, v158
	v_add_f64 v[6:7], v[32:33], v[48:49]
	v_add_f64 v[8:9], v[30:31], v[46:47]
	v_cvt_f32_f64_e32 v4, v[4:5]
	v_cvt_f32_f64_e32 v2, v[2:3]
	v_min3_f32 v102, v104, v102, v159
	v_cvt_f32_f64_e32 v8, v[8:9]
	v_cvt_f32_f64_e32 v6, v[6:7]
	v_min3_f32 v191, v4, v2, v14
	v_add_f64 v[2:3], v[40:41], v[44:45]
	v_add_f64 v[4:5], v[38:39], v[42:43]
	v_min3_f32 v196, v8, v6, v102
	v_add_f64 v[6:7], v[40:41], v[48:49]
	v_add_f64 v[8:9], v[38:39], v[46:47]
	v_cvt_f32_f64_e32 v4, v[4:5]
	v_cvt_f32_f64_e32 v2, v[2:3]
	;; [unrolled: 1-line block ×6, first 2 shown]
	v_min3_f32 v190, v4, v2, v15
	v_add_u32_e32 v2, 0x1000, v193
	s_add_i32 s21, s21, 8
	v_min3_f32 v187, v12, v10, v185
	v_min3_f32 v195, v8, v6, v103
	ds_write2st64_b64 v2, v[174:175], v[176:177] offset1:4
	v_add_u32_e32 v2, 0x3000, v193
	v_lshl_add_u64 v[166:167], v[166:167], 0, 64
	v_lshl_add_u64 v[168:169], v[168:169], 0, 64
	;; [unrolled: 1-line block ×3, first 2 shown]
	s_cmp_ge_i32 s21, s25
	v_lshl_add_u64 v[172:173], v[172:173], 0, 64
	ds_write2st64_b64 v2, v[0:1], v[178:179] offset1:4
	s_waitcnt lgkmcnt(0)
	s_barrier
	s_cbranch_scc1 .LBB164_36
.LBB164_24:                             ; =>This Inner Loop Header: Depth=1
	s_and_b64 vcc, exec, s[6:7]
	v_lshl_add_u64 v[176:177], v[172:173], 0, v[164:165]
	s_cbranch_vccnz .LBB164_35
; %bb.25:                               ;   in Loop: Header=BB164_24 Depth=1
	global_load_dwordx2 v[0:1], v[176:177], off offset:64
	s_waitcnt vmcnt(0)
	v_mul_f64 v[20:21], s[16:17], v[0:1]
	s_mov_b64 s[12:13], -1
                                        ; implicit-def: $vgpr0_vgpr1_vgpr2_vgpr3
	s_mov_b64 vcc, s[4:5]
                                        ; implicit-def: $vgpr2_vgpr3
	s_cbranch_vccz .LBB164_27
.LBB164_26:                             ;   in Loop: Header=BB164_24 Depth=1
	v_mov_b32_e32 v2, s20
	v_mov_b32_e32 v3, s20
	;; [unrolled: 1-line block ×4, first 2 shown]
	s_mov_b64 s[12:13], 0
.LBB164_27:                             ;   in Loop: Header=BB164_24 Depth=1
	v_mov_b64_e32 v[174:175], 0
	s_andn2_b64 vcc, exec, s[12:13]
	v_lshl_add_u64 v[184:185], v[170:171], 0, v[164:165]
	v_lshl_add_u64 v[182:183], v[168:169], 0, v[164:165]
	;; [unrolled: 1-line block ×3, first 2 shown]
	v_mov_b64_e32 v[22:23], 0
	s_cbranch_vccnz .LBB164_29
; %bb.28:                               ;   in Loop: Header=BB164_24 Depth=1
	global_load_dwordx2 v[0:1], v[184:185], off offset:64
	global_load_dwordx2 v[4:5], v[182:183], off offset:64
	;; [unrolled: 1-line block ×3, first 2 shown]
	s_waitcnt vmcnt(2)
	v_mul_f64 v[2:3], s[16:17], v[0:1]
	s_waitcnt vmcnt(1)
	v_mul_f64 v[0:1], s[16:17], v[4:5]
	;; [unrolled: 2-line block ×3, first 2 shown]
.LBB164_29:                             ;   in Loop: Header=BB164_24 Depth=1
	ds_read_b128 v[160:163], v250
	ds_read_b128 v[80:83], v250 offset:16
	ds_read_b128 v[96:99], v249
	ds_read_b128 v[16:19], v249 offset:16
	ds_read_b128 v[92:95], v249 offset:1024
	;; [unrolled: 1-line block ×33, first 2 shown]
	ds_write2st64_b64 v193, v[20:21], v[2:3] offset1:4
	v_add_u32_e32 v2, 0x2000, v193
	ds_read_b128 v[104:107], v250 offset:3584
	ds_read_b128 v[24:27], v250 offset:3600
	ds_write2st64_b64 v2, v[0:1], v[22:23] offset1:4
	ds_read_b128 v[100:103], v250 offset:3840
	ds_read_b128 v[20:23], v250 offset:3856
	s_and_b64 vcc, exec, s[6:7]
	s_waitcnt lgkmcnt(0)
	s_barrier
	s_cbranch_vccnz .LBB164_31
; %bb.30:                               ;   in Loop: Header=BB164_24 Depth=1
	global_load_dwordx2 v[0:1], v[176:177], off offset:96
	s_waitcnt vmcnt(0)
	v_mul_f64 v[174:175], s[16:17], v[0:1]
.LBB164_31:                             ;   in Loop: Header=BB164_24 Depth=1
	s_mov_b64 s[12:13], -1
	s_mov_b64 vcc, s[4:5]
                                        ; implicit-def: $vgpr0_vgpr1_vgpr2_vgpr3
                                        ; implicit-def: $vgpr176_vgpr177
	s_cbranch_vccz .LBB164_33
; %bb.32:                               ;   in Loop: Header=BB164_24 Depth=1
	v_mov_b32_e32 v176, s20
	v_mov_b32_e32 v177, s20
	;; [unrolled: 1-line block ×4, first 2 shown]
	s_mov_b64 s[12:13], 0
.LBB164_33:                             ;   in Loop: Header=BB164_24 Depth=1
	s_andn2_b64 vcc, exec, s[12:13]
	v_mov_b64_e32 v[178:179], 0
	s_cbranch_vccnz .LBB164_23
; %bb.34:                               ;   in Loop: Header=BB164_24 Depth=1
	global_load_dwordx2 v[0:1], v[184:185], off offset:96
	global_load_dwordx2 v[2:3], v[182:183], off offset:96
	;; [unrolled: 1-line block ×3, first 2 shown]
	s_waitcnt vmcnt(2)
	v_mul_f64 v[176:177], s[16:17], v[0:1]
	s_waitcnt vmcnt(1)
	v_mul_f64 v[0:1], s[16:17], v[2:3]
	;; [unrolled: 2-line block ×3, first 2 shown]
	s_branch .LBB164_23
.LBB164_35:                             ;   in Loop: Header=BB164_24 Depth=1
	v_mov_b64_e32 v[20:21], 0
	s_mov_b64 s[12:13], -1
                                        ; implicit-def: $vgpr0_vgpr1_vgpr2_vgpr3
	s_mov_b64 vcc, s[4:5]
                                        ; implicit-def: $vgpr2_vgpr3
	s_cbranch_vccz .LBB164_27
	s_branch .LBB164_26
.LBB164_36:
	v_accvgpr_read_b32 v176, a0
	v_accvgpr_read_b32 v177, a1
.LBB164_37:
	s_load_dwordx2 s[6:7], s[0:1], 0x78
	s_load_dword s4, s[0:1], 0x58
	s_load_dword s5, s[0:1], 0x70
	ds_read_b128 v[36:39], v189 offset:4096
	ds_read_b128 v[156:159], v188 offset:12288
	;; [unrolled: 1-line block ×4, first 2 shown]
	s_waitcnt lgkmcnt(0)
	s_mul_i32 s1, s7, s3
	s_mul_hi_u32 s7, s6, s3
	s_mul_i32 s0, s6, s3
	v_add_f64 v[0:1], v[38:39], v[158:159]
	v_add_f64 v[2:3], v[36:37], v[156:157]
	s_add_i32 s1, s7, s1
	v_cvt_f32_f64_e32 v2, v[2:3]
	v_cvt_f32_f64_e32 v0, v[0:1]
	s_lshl_b64 s[0:1], s[0:1], 3
	v_min3_f32 v4, v2, v0, v186
	v_add_f64 v[0:1], v[34:35], v[154:155]
	v_add_f64 v[2:3], v[32:33], v[152:153]
	s_add_u32 s0, s14, s0
	v_cvt_f32_f64_e32 v2, v[2:3]
	v_cvt_f32_f64_e32 v0, v[0:1]
	v_add_u32_e32 v162, s2, v176
	v_add_u32_e32 v176, s24, v177
	s_addc_u32 s1, s15, s1
	v_min3_f32 v2, v2, v0, v4
	v_mad_i64_i32 v[0:1], s[2:3], v176, s5, 0
	v_add_u32_e32 v160, 32, v162
	v_lshl_add_u64 v[172:173], v[0:1], 3, s[0:1]
	v_mad_i64_i32 v[0:1], s[2:3], v176, s4, 0
	v_ashrrev_i32_e32 v163, 31, v162
	v_ashrrev_i32_e32 v161, 31, v160
	s_mov_b64 s[2:3], -1
	v_max_f32_e32 v2, v2, v2
	s_mov_b64 vcc, s[8:9]
	s_cbranch_vccz .LBB164_39
; %bb.38:
	v_min_f32_e32 v3, 0, v2
	v_cvt_f64_f32_e32 v[4:5], v3
	v_lshl_add_u64 v[6:7], v[162:163], 3, v[172:173]
	global_store_dwordx2 v[6:7], v[4:5], off
	s_mov_b64 s[2:3], 0
.LBB164_39:
	ds_read_b128 v[28:31], v189 offset:5120
	ds_read_b128 v[16:19], v189 offset:5136
	;; [unrolled: 1-line block ×4, first 2 shown]
	v_lshl_add_u64 v[174:175], v[0:1], 3, s[18:19]
	v_mov_b32_e32 v170, 0
	s_andn2_b64 vcc, exec, s[2:3]
	v_lshlrev_b64 v[166:167], 3, v[162:163]
	s_cbranch_vccnz .LBB164_41
; %bb.40:
	v_lshl_add_u64 v[0:1], v[174:175], 0, v[166:167]
	global_load_dwordx2 v[0:1], v[0:1], off
	v_lshl_add_u64 v[4:5], v[172:173], 0, v[166:167]
	s_waitcnt vmcnt(0)
	v_mul_f64 v[0:1], s[10:11], v[0:1]
	v_cvt_f32_f64_e32 v0, v[0:1]
	v_min_f32_e32 v0, v0, v2
	v_cvt_f64_f32_e32 v[0:1], v0
	global_store_dwordx2 v[4:5], v[0:1], off
	v_lshl_add_u64 v[0:1], v[160:161], 3, v[174:175]
	global_load_dwordx2 v[0:1], v[0:1], off
	s_waitcnt vmcnt(0)
	v_mul_f64 v[0:1], s[10:11], v[0:1]
	v_cvt_f32_f64_e32 v170, v[0:1]
.LBB164_41:
	ds_read_b128 v[0:3], v189 offset:7168
	ds_read_b128 v[4:7], v189 offset:7184
	;; [unrolled: 1-line block ×32, first 2 shown]
	s_waitcnt lgkmcnt(14)
	v_add_f64 v[164:165], v[30:31], v[158:159]
	v_add_f64 v[168:169], v[28:29], v[156:157]
	v_cvt_f32_f64_e32 v168, v[168:169]
	v_cvt_f32_f64_e32 v164, v[164:165]
	v_min3_f32 v171, v168, v164, v255
	v_add_f64 v[164:165], v[26:27], v[158:159]
	v_add_f64 v[168:169], v[24:25], v[156:157]
	v_cvt_f32_f64_e32 v168, v[168:169]
	v_cvt_f32_f64_e32 v164, v[164:165]
	v_min3_f32 v177, v168, v164, v187
	v_add_f64 v[164:165], v[18:19], v[154:155]
	v_add_f64 v[168:169], v[16:17], v[152:153]
	v_cvt_f32_f64_e32 v168, v[168:169]
	v_cvt_f32_f64_e32 v164, v[164:165]
	v_min_f32_e32 v178, v168, v164
	v_add_f64 v[164:165], v[10:11], v[154:155]
	v_add_f64 v[168:169], v[8:9], v[152:153]
	v_cvt_f32_f64_e32 v168, v[168:169]
	v_cvt_f32_f64_e32 v164, v[164:165]
	v_min3_f32 v170, v170, v178, v171
	v_min3_f32 v177, v168, v164, v177
	v_add_u32_e32 v168, 64, v162
	v_add_u32_e32 v164, 0x60, v162
	v_cvt_f64_f32_e32 v[170:171], v170
	v_lshl_add_u64 v[178:179], v[160:161], 3, v[172:173]
	v_ashrrev_i32_e32 v169, 31, v168
	v_ashrrev_i32_e32 v165, 31, v164
	global_store_dwordx2 v[178:179], v[170:171], off
	s_mov_b64 s[2:3], -1
	v_max_f32_e32 v178, v177, v177
	s_mov_b64 vcc, s[8:9]
	s_cbranch_vccz .LBB164_43
; %bb.42:
	v_min_f32_e32 v170, 0, v178
	v_cvt_f64_f32_e32 v[170:171], v170
	v_lshl_add_u64 v[180:181], v[168:169], 3, v[172:173]
	global_store_dwordx2 v[180:181], v[170:171], off
	s_mov_b64 s[2:3], 0
.LBB164_43:
	v_mov_b32_e32 v177, 0
	s_andn2_b64 vcc, exec, s[2:3]
	v_lshlrev_b64 v[170:171], 3, v[168:169]
	s_cbranch_vccnz .LBB164_45
; %bb.44:
	v_lshl_add_u64 v[180:181], v[174:175], 0, v[170:171]
	global_load_dwordx2 v[180:181], v[180:181], off
	v_lshl_add_u64 v[182:183], v[172:173], 0, v[170:171]
	v_lshl_add_u64 v[174:175], v[164:165], 3, v[174:175]
	s_waitcnt vmcnt(0)
	v_mul_f64 v[180:181], s[10:11], v[180:181]
	v_cvt_f32_f64_e32 v177, v[180:181]
	v_min_f32_e32 v177, v177, v178
	v_cvt_f64_f32_e32 v[178:179], v177
	global_store_dwordx2 v[182:183], v[178:179], off
	global_load_dwordx2 v[174:175], v[174:175], off
	s_waitcnt vmcnt(0)
	v_mul_f64 v[174:175], s[10:11], v[174:175]
	v_cvt_f32_f64_e32 v177, v[174:175]
.LBB164_45:
	v_add_f64 v[158:159], v[2:3], v[158:159]
	v_add_f64 v[156:157], v[0:1], v[156:157]
	v_cvt_f32_f64_e32 v156, v[156:157]
	v_cvt_f32_f64_e32 v157, v[158:159]
	v_add_f64 v[154:155], v[6:7], v[154:155]
	v_add_f64 v[152:153], v[4:5], v[152:153]
	v_min3_f32 v174, v156, v157, v254
	v_add_f64 v[156:157], v[38:39], v[150:151]
	v_add_f64 v[158:159], v[36:37], v[148:149]
	v_cvt_f32_f64_e32 v152, v[152:153]
	v_cvt_f32_f64_e32 v153, v[154:155]
	;; [unrolled: 1-line block ×4, first 2 shown]
	v_min_f32_e32 v157, v152, v153
	v_add_f64 v[152:153], v[34:35], v[146:147]
	v_add_f64 v[154:155], v[32:33], v[144:145]
	v_min3_f32 v156, v158, v156, v253
	v_cvt_f32_f64_e32 v154, v[154:155]
	v_cvt_f32_f64_e32 v152, v[152:153]
	v_min3_f32 v156, v154, v152, v156
	v_min3_f32 v152, v177, v157, v174
	v_cvt_f64_f32_e32 v[152:153], v152
	v_lshl_add_u64 v[154:155], v[164:165], 3, v[172:173]
	global_store_dwordx2 v[154:155], v[152:153], off
	v_add_u32_e32 v154, 8, v176
	v_mad_i64_i32 v[152:153], s[2:3], v154, s5, 0
	v_mad_i64_i32 v[154:155], s[2:3], v154, s4, 0
	v_lshl_add_u64 v[152:153], v[152:153], 3, s[0:1]
	s_mov_b64 s[2:3], -1
	v_max_f32_e32 v157, v156, v156
	s_mov_b64 vcc, s[8:9]
	s_cbranch_vccz .LBB164_47
; %bb.46:
	v_min_f32_e32 v156, 0, v157
	v_cvt_f64_f32_e32 v[158:159], v156
	v_lshl_add_u64 v[172:173], v[162:163], 3, v[152:153]
	global_store_dwordx2 v[172:173], v[158:159], off
	s_mov_b64 s[2:3], 0
.LBB164_47:
	v_lshl_add_u64 v[154:155], v[154:155], 3, s[18:19]
	s_andn2_b64 vcc, exec, s[2:3]
	v_mov_b32_e32 v156, 0
	s_cbranch_vccnz .LBB164_49
; %bb.48:
	v_lshl_add_u64 v[158:159], v[154:155], 0, v[166:167]
	global_load_dwordx2 v[158:159], v[158:159], off
	v_lshl_add_u64 v[172:173], v[152:153], 0, v[166:167]
	s_waitcnt vmcnt(0)
	v_mul_f64 v[158:159], s[10:11], v[158:159]
	v_cvt_f32_f64_e32 v156, v[158:159]
	v_min_f32_e32 v156, v156, v157
	v_cvt_f64_f32_e32 v[156:157], v156
	global_store_dwordx2 v[172:173], v[156:157], off
	v_lshl_add_u64 v[156:157], v[160:161], 3, v[154:155]
	global_load_dwordx2 v[156:157], v[156:157], off
	s_waitcnt vmcnt(0)
	v_mul_f64 v[156:157], s[10:11], v[156:157]
	v_cvt_f32_f64_e32 v156, v[156:157]
.LBB164_49:
	v_add_f64 v[158:159], v[30:31], v[150:151]
	v_add_f64 v[172:173], v[28:29], v[148:149]
	v_cvt_f32_f64_e32 v157, v[172:173]
	v_cvt_f32_f64_e32 v158, v[158:159]
	v_min3_f32 v157, v157, v158, v252
	v_add_f64 v[158:159], v[26:27], v[150:151]
	v_add_f64 v[172:173], v[24:25], v[148:149]
	v_cvt_f32_f64_e32 v172, v[172:173]
	v_cvt_f32_f64_e32 v158, v[158:159]
	v_min3_f32 v174, v172, v158, v251
	v_add_f64 v[158:159], v[18:19], v[146:147]
	v_add_f64 v[172:173], v[16:17], v[144:145]
	v_cvt_f32_f64_e32 v172, v[172:173]
	v_cvt_f32_f64_e32 v158, v[158:159]
	v_min_f32_e32 v175, v172, v158
	v_add_f64 v[158:159], v[10:11], v[146:147]
	v_add_f64 v[172:173], v[8:9], v[144:145]
	v_cvt_f32_f64_e32 v172, v[172:173]
	v_cvt_f32_f64_e32 v158, v[158:159]
	v_min3_f32 v156, v156, v175, v157
	v_min3_f32 v172, v172, v158, v174
	v_cvt_f64_f32_e32 v[156:157], v156
	v_lshl_add_u64 v[158:159], v[160:161], 3, v[152:153]
	global_store_dwordx2 v[158:159], v[156:157], off
	s_mov_b64 s[2:3], -1
	v_max_f32_e32 v157, v172, v172
	s_mov_b64 vcc, s[8:9]
	s_cbranch_vccz .LBB164_51
; %bb.50:
	v_min_f32_e32 v156, 0, v157
	v_cvt_f64_f32_e32 v[158:159], v156
	v_lshl_add_u64 v[172:173], v[168:169], 3, v[152:153]
	global_store_dwordx2 v[172:173], v[158:159], off
	s_mov_b64 s[2:3], 0
.LBB164_51:
	s_andn2_b64 vcc, exec, s[2:3]
	v_mov_b32_e32 v156, 0
	s_cbranch_vccnz .LBB164_53
; %bb.52:
	v_lshl_add_u64 v[158:159], v[154:155], 0, v[170:171]
	global_load_dwordx2 v[158:159], v[158:159], off
	v_lshl_add_u64 v[172:173], v[152:153], 0, v[170:171]
	v_lshl_add_u64 v[154:155], v[164:165], 3, v[154:155]
	s_waitcnt vmcnt(0)
	v_mul_f64 v[158:159], s[10:11], v[158:159]
	v_cvt_f32_f64_e32 v156, v[158:159]
	v_min_f32_e32 v156, v156, v157
	v_cvt_f64_f32_e32 v[156:157], v156
	global_store_dwordx2 v[172:173], v[156:157], off
	global_load_dwordx2 v[154:155], v[154:155], off
	s_waitcnt vmcnt(0)
	v_mul_f64 v[154:155], s[10:11], v[154:155]
	v_cvt_f32_f64_e32 v156, v[154:155]
.LBB164_53:
	v_add_f64 v[150:151], v[2:3], v[150:151]
	v_add_f64 v[148:149], v[0:1], v[148:149]
	v_cvt_f32_f64_e32 v148, v[148:149]
	v_cvt_f32_f64_e32 v149, v[150:151]
	v_add_f64 v[146:147], v[6:7], v[146:147]
	v_add_f64 v[144:145], v[4:5], v[144:145]
	v_min3_f32 v154, v148, v149, v247
	v_add_f64 v[148:149], v[38:39], v[142:143]
	v_add_f64 v[150:151], v[36:37], v[140:141]
	v_cvt_f32_f64_e32 v144, v[144:145]
	v_cvt_f32_f64_e32 v145, v[146:147]
	v_cvt_f32_f64_e32 v150, v[150:151]
	v_cvt_f32_f64_e32 v148, v[148:149]
	v_min_f32_e32 v149, v144, v145
	v_add_f64 v[144:145], v[34:35], v[138:139]
	v_add_f64 v[146:147], v[32:33], v[136:137]
	v_min3_f32 v148, v150, v148, v246
	v_cvt_f32_f64_e32 v146, v[146:147]
	v_cvt_f32_f64_e32 v144, v[144:145]
	v_min3_f32 v148, v146, v144, v148
	v_min3_f32 v144, v156, v149, v154
	v_cvt_f64_f32_e32 v[144:145], v144
	v_lshl_add_u64 v[146:147], v[164:165], 3, v[152:153]
	global_store_dwordx2 v[146:147], v[144:145], off
	v_add_u32_e32 v146, 16, v176
	v_mad_i64_i32 v[144:145], s[2:3], v146, s5, 0
	v_mad_i64_i32 v[146:147], s[2:3], v146, s4, 0
	v_lshl_add_u64 v[144:145], v[144:145], 3, s[0:1]
	s_mov_b64 s[2:3], -1
	v_max_f32_e32 v149, v148, v148
	s_mov_b64 vcc, s[8:9]
	s_cbranch_vccz .LBB164_55
; %bb.54:
	v_min_f32_e32 v148, 0, v149
	v_cvt_f64_f32_e32 v[150:151], v148
	v_lshl_add_u64 v[152:153], v[162:163], 3, v[144:145]
	global_store_dwordx2 v[152:153], v[150:151], off
	s_mov_b64 s[2:3], 0
.LBB164_55:
	v_lshl_add_u64 v[146:147], v[146:147], 3, s[18:19]
	s_andn2_b64 vcc, exec, s[2:3]
	v_mov_b32_e32 v148, 0
	s_cbranch_vccnz .LBB164_57
; %bb.56:
	v_lshl_add_u64 v[150:151], v[146:147], 0, v[166:167]
	global_load_dwordx2 v[150:151], v[150:151], off
	v_lshl_add_u64 v[152:153], v[144:145], 0, v[166:167]
	s_waitcnt vmcnt(0)
	v_mul_f64 v[150:151], s[10:11], v[150:151]
	v_cvt_f32_f64_e32 v148, v[150:151]
	v_min_f32_e32 v148, v148, v149
	v_cvt_f64_f32_e32 v[148:149], v148
	global_store_dwordx2 v[152:153], v[148:149], off
	v_lshl_add_u64 v[148:149], v[160:161], 3, v[146:147]
	global_load_dwordx2 v[148:149], v[148:149], off
	s_waitcnt vmcnt(0)
	v_mul_f64 v[148:149], s[10:11], v[148:149]
	v_cvt_f32_f64_e32 v148, v[148:149]
.LBB164_57:
	v_add_f64 v[150:151], v[30:31], v[142:143]
	v_add_f64 v[152:153], v[28:29], v[140:141]
	v_cvt_f32_f64_e32 v149, v[152:153]
	v_cvt_f32_f64_e32 v150, v[150:151]
	v_min3_f32 v149, v149, v150, v245
	v_add_f64 v[150:151], v[26:27], v[142:143]
	v_add_f64 v[152:153], v[24:25], v[140:141]
	v_cvt_f32_f64_e32 v152, v[152:153]
	v_cvt_f32_f64_e32 v150, v[150:151]
	v_min3_f32 v154, v152, v150, v244
	v_add_f64 v[150:151], v[18:19], v[138:139]
	v_add_f64 v[152:153], v[16:17], v[136:137]
	v_cvt_f32_f64_e32 v152, v[152:153]
	v_cvt_f32_f64_e32 v150, v[150:151]
	v_min_f32_e32 v155, v152, v150
	v_add_f64 v[150:151], v[10:11], v[138:139]
	v_add_f64 v[152:153], v[8:9], v[136:137]
	v_cvt_f32_f64_e32 v152, v[152:153]
	v_cvt_f32_f64_e32 v150, v[150:151]
	v_min3_f32 v148, v148, v155, v149
	v_min3_f32 v152, v152, v150, v154
	v_cvt_f64_f32_e32 v[148:149], v148
	v_lshl_add_u64 v[150:151], v[160:161], 3, v[144:145]
	global_store_dwordx2 v[150:151], v[148:149], off
	s_mov_b64 s[2:3], -1
	v_max_f32_e32 v149, v152, v152
	s_mov_b64 vcc, s[8:9]
	s_cbranch_vccz .LBB164_59
; %bb.58:
	v_min_f32_e32 v148, 0, v149
	v_cvt_f64_f32_e32 v[150:151], v148
	v_lshl_add_u64 v[152:153], v[168:169], 3, v[144:145]
	global_store_dwordx2 v[152:153], v[150:151], off
	s_mov_b64 s[2:3], 0
.LBB164_59:
	s_andn2_b64 vcc, exec, s[2:3]
	v_mov_b32_e32 v148, 0
	s_cbranch_vccnz .LBB164_61
; %bb.60:
	v_lshl_add_u64 v[150:151], v[146:147], 0, v[170:171]
	global_load_dwordx2 v[150:151], v[150:151], off
	v_lshl_add_u64 v[152:153], v[144:145], 0, v[170:171]
	v_lshl_add_u64 v[146:147], v[164:165], 3, v[146:147]
	s_waitcnt vmcnt(0)
	v_mul_f64 v[150:151], s[10:11], v[150:151]
	v_cvt_f32_f64_e32 v148, v[150:151]
	v_min_f32_e32 v148, v148, v149
	v_cvt_f64_f32_e32 v[148:149], v148
	global_store_dwordx2 v[152:153], v[148:149], off
	global_load_dwordx2 v[146:147], v[146:147], off
	s_waitcnt vmcnt(0)
	v_mul_f64 v[146:147], s[10:11], v[146:147]
	v_cvt_f32_f64_e32 v148, v[146:147]
.LBB164_61:
	v_add_f64 v[142:143], v[2:3], v[142:143]
	v_add_f64 v[140:141], v[0:1], v[140:141]
	v_cvt_f32_f64_e32 v140, v[140:141]
	v_cvt_f32_f64_e32 v141, v[142:143]
	v_add_f64 v[138:139], v[6:7], v[138:139]
	v_add_f64 v[136:137], v[4:5], v[136:137]
	v_min3_f32 v146, v140, v141, v243
	v_add_f64 v[140:141], v[38:39], v[134:135]
	v_add_f64 v[142:143], v[36:37], v[132:133]
	v_cvt_f32_f64_e32 v136, v[136:137]
	v_cvt_f32_f64_e32 v137, v[138:139]
	;; [unrolled: 1-line block ×4, first 2 shown]
	v_min_f32_e32 v141, v136, v137
	v_add_f64 v[136:137], v[34:35], v[130:131]
	v_add_f64 v[138:139], v[32:33], v[128:129]
	v_min3_f32 v140, v142, v140, v242
	v_cvt_f32_f64_e32 v138, v[138:139]
	v_cvt_f32_f64_e32 v136, v[136:137]
	v_min3_f32 v140, v138, v136, v140
	v_min3_f32 v136, v148, v141, v146
	v_cvt_f64_f32_e32 v[136:137], v136
	v_lshl_add_u64 v[138:139], v[164:165], 3, v[144:145]
	global_store_dwordx2 v[138:139], v[136:137], off
	v_add_u32_e32 v138, 24, v176
	v_mad_i64_i32 v[136:137], s[2:3], v138, s5, 0
	v_mad_i64_i32 v[138:139], s[2:3], v138, s4, 0
	v_lshl_add_u64 v[136:137], v[136:137], 3, s[0:1]
	s_mov_b64 s[2:3], -1
	v_max_f32_e32 v141, v140, v140
	s_mov_b64 vcc, s[8:9]
	s_cbranch_vccz .LBB164_63
; %bb.62:
	v_min_f32_e32 v140, 0, v141
	v_cvt_f64_f32_e32 v[142:143], v140
	v_lshl_add_u64 v[144:145], v[162:163], 3, v[136:137]
	global_store_dwordx2 v[144:145], v[142:143], off
	s_mov_b64 s[2:3], 0
.LBB164_63:
	v_lshl_add_u64 v[138:139], v[138:139], 3, s[18:19]
	s_andn2_b64 vcc, exec, s[2:3]
	v_mov_b32_e32 v140, 0
	s_cbranch_vccnz .LBB164_65
; %bb.64:
	v_lshl_add_u64 v[142:143], v[138:139], 0, v[166:167]
	global_load_dwordx2 v[142:143], v[142:143], off
	v_lshl_add_u64 v[144:145], v[136:137], 0, v[166:167]
	s_waitcnt vmcnt(0)
	v_mul_f64 v[142:143], s[10:11], v[142:143]
	v_cvt_f32_f64_e32 v140, v[142:143]
	v_min_f32_e32 v140, v140, v141
	v_cvt_f64_f32_e32 v[140:141], v140
	global_store_dwordx2 v[144:145], v[140:141], off
	v_lshl_add_u64 v[140:141], v[160:161], 3, v[138:139]
	global_load_dwordx2 v[140:141], v[140:141], off
	s_waitcnt vmcnt(0)
	v_mul_f64 v[140:141], s[10:11], v[140:141]
	v_cvt_f32_f64_e32 v140, v[140:141]
.LBB164_65:
	v_add_f64 v[142:143], v[30:31], v[134:135]
	v_add_f64 v[144:145], v[28:29], v[132:133]
	v_cvt_f32_f64_e32 v141, v[144:145]
	v_cvt_f32_f64_e32 v142, v[142:143]
	v_min3_f32 v141, v141, v142, v241
	v_add_f64 v[142:143], v[26:27], v[134:135]
	v_add_f64 v[144:145], v[24:25], v[132:133]
	v_cvt_f32_f64_e32 v144, v[144:145]
	v_cvt_f32_f64_e32 v142, v[142:143]
	v_min3_f32 v146, v144, v142, v240
	v_add_f64 v[142:143], v[18:19], v[130:131]
	v_add_f64 v[144:145], v[16:17], v[128:129]
	v_cvt_f32_f64_e32 v144, v[144:145]
	v_cvt_f32_f64_e32 v142, v[142:143]
	v_min_f32_e32 v147, v144, v142
	v_add_f64 v[142:143], v[10:11], v[130:131]
	v_add_f64 v[144:145], v[8:9], v[128:129]
	v_cvt_f32_f64_e32 v144, v[144:145]
	v_cvt_f32_f64_e32 v142, v[142:143]
	v_min3_f32 v140, v140, v147, v141
	v_min3_f32 v144, v144, v142, v146
	v_cvt_f64_f32_e32 v[140:141], v140
	v_lshl_add_u64 v[142:143], v[160:161], 3, v[136:137]
	global_store_dwordx2 v[142:143], v[140:141], off
	s_mov_b64 s[2:3], -1
	v_max_f32_e32 v141, v144, v144
	s_mov_b64 vcc, s[8:9]
	s_cbranch_vccz .LBB164_67
; %bb.66:
	v_min_f32_e32 v140, 0, v141
	v_cvt_f64_f32_e32 v[142:143], v140
	v_lshl_add_u64 v[144:145], v[168:169], 3, v[136:137]
	global_store_dwordx2 v[144:145], v[142:143], off
	s_mov_b64 s[2:3], 0
.LBB164_67:
	s_andn2_b64 vcc, exec, s[2:3]
	v_mov_b32_e32 v140, 0
	s_cbranch_vccnz .LBB164_69
; %bb.68:
	v_lshl_add_u64 v[142:143], v[138:139], 0, v[170:171]
	global_load_dwordx2 v[142:143], v[142:143], off
	v_lshl_add_u64 v[144:145], v[136:137], 0, v[170:171]
	v_lshl_add_u64 v[138:139], v[164:165], 3, v[138:139]
	s_waitcnt vmcnt(0)
	v_mul_f64 v[142:143], s[10:11], v[142:143]
	v_cvt_f32_f64_e32 v140, v[142:143]
	v_min_f32_e32 v140, v140, v141
	v_cvt_f64_f32_e32 v[140:141], v140
	global_store_dwordx2 v[144:145], v[140:141], off
	global_load_dwordx2 v[138:139], v[138:139], off
	s_waitcnt vmcnt(0)
	v_mul_f64 v[138:139], s[10:11], v[138:139]
	v_cvt_f32_f64_e32 v140, v[138:139]
.LBB164_69:
	v_add_f64 v[134:135], v[2:3], v[134:135]
	v_add_f64 v[132:133], v[0:1], v[132:133]
	v_cvt_f32_f64_e32 v132, v[132:133]
	v_cvt_f32_f64_e32 v133, v[134:135]
	v_add_f64 v[130:131], v[6:7], v[130:131]
	v_add_f64 v[128:129], v[4:5], v[128:129]
	v_min3_f32 v138, v132, v133, v239
	v_add_f64 v[132:133], v[38:39], v[126:127]
	v_add_f64 v[134:135], v[36:37], v[124:125]
	v_cvt_f32_f64_e32 v128, v[128:129]
	v_cvt_f32_f64_e32 v129, v[130:131]
	;; [unrolled: 1-line block ×4, first 2 shown]
	v_min_f32_e32 v133, v128, v129
	v_add_f64 v[128:129], v[34:35], v[122:123]
	v_add_f64 v[130:131], v[32:33], v[120:121]
	v_min3_f32 v132, v134, v132, v238
	v_cvt_f32_f64_e32 v130, v[130:131]
	v_cvt_f32_f64_e32 v128, v[128:129]
	v_min3_f32 v132, v130, v128, v132
	v_min3_f32 v128, v140, v133, v138
	v_cvt_f64_f32_e32 v[128:129], v128
	v_lshl_add_u64 v[130:131], v[164:165], 3, v[136:137]
	global_store_dwordx2 v[130:131], v[128:129], off
	v_add_u32_e32 v130, 32, v176
	v_mad_i64_i32 v[128:129], s[2:3], v130, s5, 0
	v_mad_i64_i32 v[130:131], s[2:3], v130, s4, 0
	v_lshl_add_u64 v[128:129], v[128:129], 3, s[0:1]
	s_mov_b64 s[2:3], -1
	v_max_f32_e32 v133, v132, v132
	s_mov_b64 vcc, s[8:9]
	s_cbranch_vccz .LBB164_71
; %bb.70:
	v_min_f32_e32 v132, 0, v133
	v_cvt_f64_f32_e32 v[134:135], v132
	v_lshl_add_u64 v[136:137], v[162:163], 3, v[128:129]
	global_store_dwordx2 v[136:137], v[134:135], off
	s_mov_b64 s[2:3], 0
.LBB164_71:
	v_lshl_add_u64 v[130:131], v[130:131], 3, s[18:19]
	s_andn2_b64 vcc, exec, s[2:3]
	v_mov_b32_e32 v132, 0
	s_cbranch_vccnz .LBB164_73
; %bb.72:
	v_lshl_add_u64 v[134:135], v[130:131], 0, v[166:167]
	global_load_dwordx2 v[134:135], v[134:135], off
	v_lshl_add_u64 v[136:137], v[128:129], 0, v[166:167]
	s_waitcnt vmcnt(0)
	v_mul_f64 v[134:135], s[10:11], v[134:135]
	v_cvt_f32_f64_e32 v132, v[134:135]
	v_min_f32_e32 v132, v132, v133
	v_cvt_f64_f32_e32 v[132:133], v132
	global_store_dwordx2 v[136:137], v[132:133], off
	v_lshl_add_u64 v[132:133], v[160:161], 3, v[130:131]
	global_load_dwordx2 v[132:133], v[132:133], off
	s_waitcnt vmcnt(0)
	v_mul_f64 v[132:133], s[10:11], v[132:133]
	v_cvt_f32_f64_e32 v132, v[132:133]
.LBB164_73:
	v_add_f64 v[134:135], v[30:31], v[126:127]
	v_add_f64 v[136:137], v[28:29], v[124:125]
	v_cvt_f32_f64_e32 v133, v[136:137]
	v_cvt_f32_f64_e32 v134, v[134:135]
	v_min3_f32 v133, v133, v134, v237
	v_add_f64 v[134:135], v[26:27], v[126:127]
	v_add_f64 v[136:137], v[24:25], v[124:125]
	v_cvt_f32_f64_e32 v136, v[136:137]
	v_cvt_f32_f64_e32 v134, v[134:135]
	v_min3_f32 v138, v136, v134, v236
	v_add_f64 v[134:135], v[18:19], v[122:123]
	v_add_f64 v[136:137], v[16:17], v[120:121]
	v_cvt_f32_f64_e32 v136, v[136:137]
	v_cvt_f32_f64_e32 v134, v[134:135]
	v_min_f32_e32 v139, v136, v134
	v_add_f64 v[134:135], v[10:11], v[122:123]
	v_add_f64 v[136:137], v[8:9], v[120:121]
	v_cvt_f32_f64_e32 v136, v[136:137]
	v_cvt_f32_f64_e32 v134, v[134:135]
	v_min3_f32 v132, v132, v139, v133
	v_min3_f32 v136, v136, v134, v138
	v_cvt_f64_f32_e32 v[132:133], v132
	v_lshl_add_u64 v[134:135], v[160:161], 3, v[128:129]
	global_store_dwordx2 v[134:135], v[132:133], off
	s_mov_b64 s[2:3], -1
	v_max_f32_e32 v133, v136, v136
	s_mov_b64 vcc, s[8:9]
	s_cbranch_vccz .LBB164_75
; %bb.74:
	v_min_f32_e32 v132, 0, v133
	v_cvt_f64_f32_e32 v[134:135], v132
	v_lshl_add_u64 v[136:137], v[168:169], 3, v[128:129]
	global_store_dwordx2 v[136:137], v[134:135], off
	s_mov_b64 s[2:3], 0
.LBB164_75:
	s_andn2_b64 vcc, exec, s[2:3]
	v_mov_b32_e32 v132, 0
	s_cbranch_vccnz .LBB164_77
; %bb.76:
	v_lshl_add_u64 v[134:135], v[130:131], 0, v[170:171]
	global_load_dwordx2 v[134:135], v[134:135], off
	v_lshl_add_u64 v[136:137], v[128:129], 0, v[170:171]
	v_lshl_add_u64 v[130:131], v[164:165], 3, v[130:131]
	s_waitcnt vmcnt(0)
	v_mul_f64 v[134:135], s[10:11], v[134:135]
	v_cvt_f32_f64_e32 v132, v[134:135]
	v_min_f32_e32 v132, v132, v133
	v_cvt_f64_f32_e32 v[132:133], v132
	global_store_dwordx2 v[136:137], v[132:133], off
	global_load_dwordx2 v[130:131], v[130:131], off
	s_waitcnt vmcnt(0)
	v_mul_f64 v[130:131], s[10:11], v[130:131]
	v_cvt_f32_f64_e32 v132, v[130:131]
.LBB164_77:
	v_add_f64 v[126:127], v[2:3], v[126:127]
	v_add_f64 v[124:125], v[0:1], v[124:125]
	v_cvt_f32_f64_e32 v124, v[124:125]
	v_cvt_f32_f64_e32 v125, v[126:127]
	v_add_f64 v[122:123], v[6:7], v[122:123]
	v_add_f64 v[120:121], v[4:5], v[120:121]
	v_min3_f32 v130, v124, v125, v235
	v_add_f64 v[124:125], v[38:39], v[118:119]
	v_add_f64 v[126:127], v[36:37], v[116:117]
	v_cvt_f32_f64_e32 v120, v[120:121]
	v_cvt_f32_f64_e32 v121, v[122:123]
	;; [unrolled: 1-line block ×4, first 2 shown]
	v_min_f32_e32 v125, v120, v121
	v_add_f64 v[120:121], v[34:35], v[114:115]
	v_add_f64 v[122:123], v[32:33], v[112:113]
	v_min3_f32 v124, v126, v124, v234
	v_cvt_f32_f64_e32 v122, v[122:123]
	v_cvt_f32_f64_e32 v120, v[120:121]
	v_min3_f32 v124, v122, v120, v124
	v_min3_f32 v120, v132, v125, v130
	v_cvt_f64_f32_e32 v[120:121], v120
	v_lshl_add_u64 v[122:123], v[164:165], 3, v[128:129]
	global_store_dwordx2 v[122:123], v[120:121], off
	v_add_u32_e32 v122, 40, v176
	v_mad_i64_i32 v[120:121], s[2:3], v122, s5, 0
	v_mad_i64_i32 v[122:123], s[2:3], v122, s4, 0
	v_lshl_add_u64 v[120:121], v[120:121], 3, s[0:1]
	s_mov_b64 s[2:3], -1
	v_max_f32_e32 v125, v124, v124
	s_mov_b64 vcc, s[8:9]
	s_cbranch_vccz .LBB164_79
; %bb.78:
	v_min_f32_e32 v124, 0, v125
	v_cvt_f64_f32_e32 v[126:127], v124
	v_lshl_add_u64 v[128:129], v[162:163], 3, v[120:121]
	global_store_dwordx2 v[128:129], v[126:127], off
	s_mov_b64 s[2:3], 0
.LBB164_79:
	v_lshl_add_u64 v[122:123], v[122:123], 3, s[18:19]
	s_andn2_b64 vcc, exec, s[2:3]
	v_mov_b32_e32 v124, 0
	s_cbranch_vccnz .LBB164_81
; %bb.80:
	v_lshl_add_u64 v[126:127], v[122:123], 0, v[166:167]
	global_load_dwordx2 v[126:127], v[126:127], off
	v_lshl_add_u64 v[128:129], v[120:121], 0, v[166:167]
	s_waitcnt vmcnt(0)
	v_mul_f64 v[126:127], s[10:11], v[126:127]
	v_cvt_f32_f64_e32 v124, v[126:127]
	v_min_f32_e32 v124, v124, v125
	v_cvt_f64_f32_e32 v[124:125], v124
	global_store_dwordx2 v[128:129], v[124:125], off
	v_lshl_add_u64 v[124:125], v[160:161], 3, v[122:123]
	global_load_dwordx2 v[124:125], v[124:125], off
	s_waitcnt vmcnt(0)
	v_mul_f64 v[124:125], s[10:11], v[124:125]
	v_cvt_f32_f64_e32 v124, v[124:125]
.LBB164_81:
	v_add_f64 v[126:127], v[30:31], v[118:119]
	v_add_f64 v[128:129], v[28:29], v[116:117]
	v_cvt_f32_f64_e32 v125, v[128:129]
	v_cvt_f32_f64_e32 v126, v[126:127]
	v_min3_f32 v125, v125, v126, v233
	v_add_f64 v[126:127], v[26:27], v[118:119]
	v_add_f64 v[128:129], v[24:25], v[116:117]
	v_cvt_f32_f64_e32 v128, v[128:129]
	v_cvt_f32_f64_e32 v126, v[126:127]
	v_min3_f32 v130, v128, v126, v232
	v_add_f64 v[126:127], v[18:19], v[114:115]
	v_add_f64 v[128:129], v[16:17], v[112:113]
	v_cvt_f32_f64_e32 v128, v[128:129]
	v_cvt_f32_f64_e32 v126, v[126:127]
	v_min_f32_e32 v131, v128, v126
	v_add_f64 v[126:127], v[10:11], v[114:115]
	v_add_f64 v[128:129], v[8:9], v[112:113]
	v_cvt_f32_f64_e32 v128, v[128:129]
	v_cvt_f32_f64_e32 v126, v[126:127]
	v_min3_f32 v124, v124, v131, v125
	v_min3_f32 v128, v128, v126, v130
	v_cvt_f64_f32_e32 v[124:125], v124
	v_lshl_add_u64 v[126:127], v[160:161], 3, v[120:121]
	global_store_dwordx2 v[126:127], v[124:125], off
	s_mov_b64 s[2:3], -1
	v_max_f32_e32 v125, v128, v128
	s_mov_b64 vcc, s[8:9]
	s_cbranch_vccz .LBB164_83
; %bb.82:
	v_min_f32_e32 v124, 0, v125
	v_cvt_f64_f32_e32 v[126:127], v124
	v_lshl_add_u64 v[128:129], v[168:169], 3, v[120:121]
	global_store_dwordx2 v[128:129], v[126:127], off
	s_mov_b64 s[2:3], 0
.LBB164_83:
	s_andn2_b64 vcc, exec, s[2:3]
	v_mov_b32_e32 v124, 0
	s_cbranch_vccnz .LBB164_85
; %bb.84:
	v_lshl_add_u64 v[126:127], v[122:123], 0, v[170:171]
	global_load_dwordx2 v[126:127], v[126:127], off
	v_lshl_add_u64 v[128:129], v[120:121], 0, v[170:171]
	v_lshl_add_u64 v[122:123], v[164:165], 3, v[122:123]
	s_waitcnt vmcnt(0)
	v_mul_f64 v[126:127], s[10:11], v[126:127]
	v_cvt_f32_f64_e32 v124, v[126:127]
	v_min_f32_e32 v124, v124, v125
	v_cvt_f64_f32_e32 v[124:125], v124
	global_store_dwordx2 v[128:129], v[124:125], off
	global_load_dwordx2 v[122:123], v[122:123], off
	s_waitcnt vmcnt(0)
	v_mul_f64 v[122:123], s[10:11], v[122:123]
	v_cvt_f32_f64_e32 v124, v[122:123]
.LBB164_85:
	v_add_f64 v[118:119], v[2:3], v[118:119]
	v_add_f64 v[116:117], v[0:1], v[116:117]
	v_cvt_f32_f64_e32 v116, v[116:117]
	v_cvt_f32_f64_e32 v117, v[118:119]
	v_add_f64 v[114:115], v[6:7], v[114:115]
	v_add_f64 v[112:113], v[4:5], v[112:113]
	v_min3_f32 v122, v116, v117, v231
	v_add_f64 v[116:117], v[38:39], v[110:111]
	v_add_f64 v[118:119], v[36:37], v[108:109]
	v_cvt_f32_f64_e32 v112, v[112:113]
	v_cvt_f32_f64_e32 v113, v[114:115]
	;; [unrolled: 1-line block ×4, first 2 shown]
	v_min_f32_e32 v117, v112, v113
	v_add_f64 v[112:113], v[34:35], v[106:107]
	v_add_f64 v[114:115], v[32:33], v[104:105]
	v_min3_f32 v116, v118, v116, v230
	v_cvt_f32_f64_e32 v114, v[114:115]
	v_cvt_f32_f64_e32 v112, v[112:113]
	v_min3_f32 v116, v114, v112, v116
	v_min3_f32 v112, v124, v117, v122
	v_cvt_f64_f32_e32 v[112:113], v112
	v_lshl_add_u64 v[114:115], v[164:165], 3, v[120:121]
	global_store_dwordx2 v[114:115], v[112:113], off
	v_add_u32_e32 v114, 48, v176
	v_mad_i64_i32 v[112:113], s[2:3], v114, s5, 0
	v_mad_i64_i32 v[114:115], s[2:3], v114, s4, 0
	v_lshl_add_u64 v[112:113], v[112:113], 3, s[0:1]
	s_mov_b64 s[2:3], -1
	v_max_f32_e32 v117, v116, v116
	s_mov_b64 vcc, s[8:9]
	s_cbranch_vccz .LBB164_87
; %bb.86:
	v_min_f32_e32 v116, 0, v117
	v_cvt_f64_f32_e32 v[118:119], v116
	v_lshl_add_u64 v[120:121], v[162:163], 3, v[112:113]
	global_store_dwordx2 v[120:121], v[118:119], off
	s_mov_b64 s[2:3], 0
.LBB164_87:
	v_lshl_add_u64 v[114:115], v[114:115], 3, s[18:19]
	s_andn2_b64 vcc, exec, s[2:3]
	v_mov_b32_e32 v116, 0
	s_cbranch_vccnz .LBB164_89
; %bb.88:
	v_lshl_add_u64 v[118:119], v[114:115], 0, v[166:167]
	global_load_dwordx2 v[118:119], v[118:119], off
	v_lshl_add_u64 v[120:121], v[112:113], 0, v[166:167]
	s_waitcnt vmcnt(0)
	v_mul_f64 v[118:119], s[10:11], v[118:119]
	v_cvt_f32_f64_e32 v116, v[118:119]
	v_min_f32_e32 v116, v116, v117
	v_cvt_f64_f32_e32 v[116:117], v116
	global_store_dwordx2 v[120:121], v[116:117], off
	v_lshl_add_u64 v[116:117], v[160:161], 3, v[114:115]
	global_load_dwordx2 v[116:117], v[116:117], off
	s_waitcnt vmcnt(0)
	v_mul_f64 v[116:117], s[10:11], v[116:117]
	v_cvt_f32_f64_e32 v116, v[116:117]
.LBB164_89:
	v_add_f64 v[118:119], v[30:31], v[110:111]
	v_add_f64 v[120:121], v[28:29], v[108:109]
	v_cvt_f32_f64_e32 v117, v[120:121]
	v_cvt_f32_f64_e32 v118, v[118:119]
	v_min3_f32 v117, v117, v118, v229
	v_add_f64 v[118:119], v[26:27], v[110:111]
	v_add_f64 v[120:121], v[24:25], v[108:109]
	v_cvt_f32_f64_e32 v120, v[120:121]
	v_cvt_f32_f64_e32 v118, v[118:119]
	v_min3_f32 v122, v120, v118, v228
	v_add_f64 v[118:119], v[18:19], v[106:107]
	v_add_f64 v[120:121], v[16:17], v[104:105]
	v_cvt_f32_f64_e32 v120, v[120:121]
	v_cvt_f32_f64_e32 v118, v[118:119]
	v_min_f32_e32 v123, v120, v118
	v_add_f64 v[118:119], v[10:11], v[106:107]
	v_add_f64 v[120:121], v[8:9], v[104:105]
	v_cvt_f32_f64_e32 v120, v[120:121]
	v_cvt_f32_f64_e32 v118, v[118:119]
	v_min3_f32 v116, v116, v123, v117
	v_min3_f32 v120, v120, v118, v122
	v_cvt_f64_f32_e32 v[116:117], v116
	v_lshl_add_u64 v[118:119], v[160:161], 3, v[112:113]
	global_store_dwordx2 v[118:119], v[116:117], off
	s_mov_b64 s[2:3], -1
	v_max_f32_e32 v117, v120, v120
	s_mov_b64 vcc, s[8:9]
	s_cbranch_vccz .LBB164_91
; %bb.90:
	v_min_f32_e32 v116, 0, v117
	v_cvt_f64_f32_e32 v[118:119], v116
	v_lshl_add_u64 v[120:121], v[168:169], 3, v[112:113]
	global_store_dwordx2 v[120:121], v[118:119], off
	s_mov_b64 s[2:3], 0
.LBB164_91:
	s_andn2_b64 vcc, exec, s[2:3]
	v_mov_b32_e32 v116, 0
	s_cbranch_vccnz .LBB164_93
; %bb.92:
	v_lshl_add_u64 v[118:119], v[114:115], 0, v[170:171]
	global_load_dwordx2 v[118:119], v[118:119], off
	v_lshl_add_u64 v[120:121], v[112:113], 0, v[170:171]
	v_lshl_add_u64 v[114:115], v[164:165], 3, v[114:115]
	s_waitcnt vmcnt(0)
	v_mul_f64 v[118:119], s[10:11], v[118:119]
	v_cvt_f32_f64_e32 v116, v[118:119]
	v_min_f32_e32 v116, v116, v117
	v_cvt_f64_f32_e32 v[116:117], v116
	global_store_dwordx2 v[120:121], v[116:117], off
	global_load_dwordx2 v[114:115], v[114:115], off
	s_waitcnt vmcnt(0)
	v_mul_f64 v[114:115], s[10:11], v[114:115]
	v_cvt_f32_f64_e32 v116, v[114:115]
.LBB164_93:
	v_add_f64 v[110:111], v[2:3], v[110:111]
	v_add_f64 v[108:109], v[0:1], v[108:109]
	v_cvt_f32_f64_e32 v108, v[108:109]
	v_cvt_f32_f64_e32 v109, v[110:111]
	v_add_f64 v[106:107], v[6:7], v[106:107]
	v_add_f64 v[104:105], v[4:5], v[104:105]
	v_min3_f32 v114, v108, v109, v227
	v_add_f64 v[108:109], v[38:39], v[102:103]
	v_add_f64 v[110:111], v[36:37], v[100:101]
	v_cvt_f32_f64_e32 v104, v[104:105]
	v_cvt_f32_f64_e32 v105, v[106:107]
	;; [unrolled: 1-line block ×4, first 2 shown]
	v_min_f32_e32 v109, v104, v105
	v_add_f64 v[104:105], v[34:35], v[98:99]
	v_add_f64 v[106:107], v[32:33], v[96:97]
	v_min3_f32 v108, v110, v108, v226
	v_cvt_f32_f64_e32 v106, v[106:107]
	v_cvt_f32_f64_e32 v104, v[104:105]
	v_min3_f32 v108, v106, v104, v108
	v_min3_f32 v104, v116, v109, v114
	v_cvt_f64_f32_e32 v[104:105], v104
	v_lshl_add_u64 v[106:107], v[164:165], 3, v[112:113]
	global_store_dwordx2 v[106:107], v[104:105], off
	v_add_u32_e32 v106, 56, v176
	v_mad_i64_i32 v[104:105], s[2:3], v106, s5, 0
	v_mad_i64_i32 v[106:107], s[2:3], v106, s4, 0
	v_lshl_add_u64 v[104:105], v[104:105], 3, s[0:1]
	s_mov_b64 s[2:3], -1
	v_max_f32_e32 v109, v108, v108
	s_mov_b64 vcc, s[8:9]
	s_cbranch_vccz .LBB164_95
; %bb.94:
	v_min_f32_e32 v108, 0, v109
	v_cvt_f64_f32_e32 v[110:111], v108
	v_lshl_add_u64 v[112:113], v[162:163], 3, v[104:105]
	global_store_dwordx2 v[112:113], v[110:111], off
	s_mov_b64 s[2:3], 0
.LBB164_95:
	v_lshl_add_u64 v[106:107], v[106:107], 3, s[18:19]
	s_andn2_b64 vcc, exec, s[2:3]
	v_mov_b32_e32 v108, 0
	s_cbranch_vccnz .LBB164_97
; %bb.96:
	v_lshl_add_u64 v[110:111], v[106:107], 0, v[166:167]
	global_load_dwordx2 v[110:111], v[110:111], off
	v_lshl_add_u64 v[112:113], v[104:105], 0, v[166:167]
	s_waitcnt vmcnt(0)
	v_mul_f64 v[110:111], s[10:11], v[110:111]
	v_cvt_f32_f64_e32 v108, v[110:111]
	v_min_f32_e32 v108, v108, v109
	v_cvt_f64_f32_e32 v[108:109], v108
	global_store_dwordx2 v[112:113], v[108:109], off
	v_lshl_add_u64 v[108:109], v[160:161], 3, v[106:107]
	global_load_dwordx2 v[108:109], v[108:109], off
	s_waitcnt vmcnt(0)
	v_mul_f64 v[108:109], s[10:11], v[108:109]
	v_cvt_f32_f64_e32 v108, v[108:109]
.LBB164_97:
	v_add_f64 v[110:111], v[30:31], v[102:103]
	v_add_f64 v[112:113], v[28:29], v[100:101]
	v_cvt_f32_f64_e32 v109, v[112:113]
	v_cvt_f32_f64_e32 v110, v[110:111]
	v_min3_f32 v109, v109, v110, v225
	v_add_f64 v[110:111], v[26:27], v[102:103]
	v_add_f64 v[112:113], v[24:25], v[100:101]
	v_cvt_f32_f64_e32 v112, v[112:113]
	v_cvt_f32_f64_e32 v110, v[110:111]
	v_min3_f32 v114, v112, v110, v224
	v_add_f64 v[110:111], v[18:19], v[98:99]
	v_add_f64 v[112:113], v[16:17], v[96:97]
	v_cvt_f32_f64_e32 v112, v[112:113]
	v_cvt_f32_f64_e32 v110, v[110:111]
	v_min_f32_e32 v115, v112, v110
	v_add_f64 v[110:111], v[10:11], v[98:99]
	v_add_f64 v[112:113], v[8:9], v[96:97]
	v_cvt_f32_f64_e32 v112, v[112:113]
	v_cvt_f32_f64_e32 v110, v[110:111]
	v_min3_f32 v108, v108, v115, v109
	v_min3_f32 v112, v112, v110, v114
	v_cvt_f64_f32_e32 v[108:109], v108
	v_lshl_add_u64 v[110:111], v[160:161], 3, v[104:105]
	global_store_dwordx2 v[110:111], v[108:109], off
	s_mov_b64 s[2:3], -1
	v_max_f32_e32 v109, v112, v112
	s_mov_b64 vcc, s[8:9]
	s_cbranch_vccz .LBB164_99
; %bb.98:
	v_min_f32_e32 v108, 0, v109
	v_cvt_f64_f32_e32 v[110:111], v108
	v_lshl_add_u64 v[112:113], v[168:169], 3, v[104:105]
	global_store_dwordx2 v[112:113], v[110:111], off
	s_mov_b64 s[2:3], 0
.LBB164_99:
	s_andn2_b64 vcc, exec, s[2:3]
	v_mov_b32_e32 v108, 0
	s_cbranch_vccnz .LBB164_101
; %bb.100:
	v_lshl_add_u64 v[110:111], v[106:107], 0, v[170:171]
	global_load_dwordx2 v[110:111], v[110:111], off
	v_lshl_add_u64 v[112:113], v[104:105], 0, v[170:171]
	v_lshl_add_u64 v[106:107], v[164:165], 3, v[106:107]
	s_waitcnt vmcnt(0)
	v_mul_f64 v[110:111], s[10:11], v[110:111]
	v_cvt_f32_f64_e32 v108, v[110:111]
	v_min_f32_e32 v108, v108, v109
	v_cvt_f64_f32_e32 v[108:109], v108
	global_store_dwordx2 v[112:113], v[108:109], off
	global_load_dwordx2 v[106:107], v[106:107], off
	s_waitcnt vmcnt(0)
	v_mul_f64 v[106:107], s[10:11], v[106:107]
	v_cvt_f32_f64_e32 v108, v[106:107]
.LBB164_101:
	v_add_f64 v[102:103], v[2:3], v[102:103]
	v_add_f64 v[100:101], v[0:1], v[100:101]
	v_cvt_f32_f64_e32 v100, v[100:101]
	v_cvt_f32_f64_e32 v101, v[102:103]
	v_add_f64 v[98:99], v[6:7], v[98:99]
	v_add_f64 v[96:97], v[4:5], v[96:97]
	v_min3_f32 v106, v100, v101, v223
	v_add_f64 v[100:101], v[38:39], v[94:95]
	v_add_f64 v[102:103], v[36:37], v[92:93]
	v_cvt_f32_f64_e32 v96, v[96:97]
	v_cvt_f32_f64_e32 v97, v[98:99]
	;; [unrolled: 1-line block ×4, first 2 shown]
	v_min_f32_e32 v101, v96, v97
	v_add_f64 v[96:97], v[34:35], v[90:91]
	v_add_f64 v[98:99], v[32:33], v[88:89]
	v_min3_f32 v100, v102, v100, v222
	v_cvt_f32_f64_e32 v98, v[98:99]
	v_cvt_f32_f64_e32 v96, v[96:97]
	v_min3_f32 v100, v98, v96, v100
	v_min3_f32 v96, v108, v101, v106
	v_cvt_f64_f32_e32 v[96:97], v96
	v_lshl_add_u64 v[98:99], v[164:165], 3, v[104:105]
	global_store_dwordx2 v[98:99], v[96:97], off
	v_add_u32_e32 v98, 64, v176
	v_mad_i64_i32 v[96:97], s[2:3], v98, s5, 0
	v_mad_i64_i32 v[98:99], s[2:3], v98, s4, 0
	v_lshl_add_u64 v[96:97], v[96:97], 3, s[0:1]
	s_mov_b64 s[2:3], -1
	v_max_f32_e32 v101, v100, v100
	s_mov_b64 vcc, s[8:9]
	s_cbranch_vccz .LBB164_103
; %bb.102:
	v_min_f32_e32 v100, 0, v101
	v_cvt_f64_f32_e32 v[102:103], v100
	v_lshl_add_u64 v[104:105], v[162:163], 3, v[96:97]
	global_store_dwordx2 v[104:105], v[102:103], off
	s_mov_b64 s[2:3], 0
.LBB164_103:
	v_lshl_add_u64 v[98:99], v[98:99], 3, s[18:19]
	s_andn2_b64 vcc, exec, s[2:3]
	v_mov_b32_e32 v100, 0
	s_cbranch_vccnz .LBB164_105
; %bb.104:
	v_lshl_add_u64 v[102:103], v[98:99], 0, v[166:167]
	global_load_dwordx2 v[102:103], v[102:103], off
	v_lshl_add_u64 v[104:105], v[96:97], 0, v[166:167]
	s_waitcnt vmcnt(0)
	v_mul_f64 v[102:103], s[10:11], v[102:103]
	v_cvt_f32_f64_e32 v100, v[102:103]
	v_min_f32_e32 v100, v100, v101
	v_cvt_f64_f32_e32 v[100:101], v100
	global_store_dwordx2 v[104:105], v[100:101], off
	v_lshl_add_u64 v[100:101], v[160:161], 3, v[98:99]
	global_load_dwordx2 v[100:101], v[100:101], off
	s_waitcnt vmcnt(0)
	v_mul_f64 v[100:101], s[10:11], v[100:101]
	v_cvt_f32_f64_e32 v100, v[100:101]
.LBB164_105:
	v_add_f64 v[102:103], v[30:31], v[94:95]
	v_add_f64 v[104:105], v[28:29], v[92:93]
	v_cvt_f32_f64_e32 v101, v[104:105]
	v_cvt_f32_f64_e32 v102, v[102:103]
	v_min3_f32 v101, v101, v102, v221
	v_add_f64 v[102:103], v[26:27], v[94:95]
	v_add_f64 v[104:105], v[24:25], v[92:93]
	v_cvt_f32_f64_e32 v104, v[104:105]
	v_cvt_f32_f64_e32 v102, v[102:103]
	v_min3_f32 v106, v104, v102, v220
	v_add_f64 v[102:103], v[18:19], v[90:91]
	v_add_f64 v[104:105], v[16:17], v[88:89]
	v_cvt_f32_f64_e32 v104, v[104:105]
	v_cvt_f32_f64_e32 v102, v[102:103]
	v_min_f32_e32 v107, v104, v102
	v_add_f64 v[102:103], v[10:11], v[90:91]
	v_add_f64 v[104:105], v[8:9], v[88:89]
	v_cvt_f32_f64_e32 v104, v[104:105]
	v_cvt_f32_f64_e32 v102, v[102:103]
	v_min3_f32 v100, v100, v107, v101
	v_min3_f32 v104, v104, v102, v106
	v_cvt_f64_f32_e32 v[100:101], v100
	v_lshl_add_u64 v[102:103], v[160:161], 3, v[96:97]
	global_store_dwordx2 v[102:103], v[100:101], off
	s_mov_b64 s[2:3], -1
	v_max_f32_e32 v101, v104, v104
	s_mov_b64 vcc, s[8:9]
	s_cbranch_vccz .LBB164_107
; %bb.106:
	v_min_f32_e32 v100, 0, v101
	v_cvt_f64_f32_e32 v[102:103], v100
	v_lshl_add_u64 v[104:105], v[168:169], 3, v[96:97]
	global_store_dwordx2 v[104:105], v[102:103], off
	s_mov_b64 s[2:3], 0
.LBB164_107:
	s_andn2_b64 vcc, exec, s[2:3]
	v_mov_b32_e32 v100, 0
	s_cbranch_vccnz .LBB164_109
; %bb.108:
	v_lshl_add_u64 v[102:103], v[98:99], 0, v[170:171]
	global_load_dwordx2 v[102:103], v[102:103], off
	v_lshl_add_u64 v[104:105], v[96:97], 0, v[170:171]
	v_lshl_add_u64 v[98:99], v[164:165], 3, v[98:99]
	s_waitcnt vmcnt(0)
	v_mul_f64 v[102:103], s[10:11], v[102:103]
	v_cvt_f32_f64_e32 v100, v[102:103]
	v_min_f32_e32 v100, v100, v101
	v_cvt_f64_f32_e32 v[100:101], v100
	global_store_dwordx2 v[104:105], v[100:101], off
	global_load_dwordx2 v[98:99], v[98:99], off
	s_waitcnt vmcnt(0)
	v_mul_f64 v[98:99], s[10:11], v[98:99]
	v_cvt_f32_f64_e32 v100, v[98:99]
.LBB164_109:
	v_add_f64 v[94:95], v[2:3], v[94:95]
	v_add_f64 v[92:93], v[0:1], v[92:93]
	v_cvt_f32_f64_e32 v92, v[92:93]
	v_cvt_f32_f64_e32 v93, v[94:95]
	v_add_f64 v[90:91], v[6:7], v[90:91]
	v_add_f64 v[88:89], v[4:5], v[88:89]
	v_min3_f32 v98, v92, v93, v219
	s_waitcnt lgkmcnt(13)
	v_add_f64 v[92:93], v[38:39], v[86:87]
	v_add_f64 v[94:95], v[36:37], v[84:85]
	v_cvt_f32_f64_e32 v88, v[88:89]
	v_cvt_f32_f64_e32 v89, v[90:91]
	;; [unrolled: 1-line block ×4, first 2 shown]
	v_min_f32_e32 v93, v88, v89
	s_waitcnt lgkmcnt(12)
	v_add_f64 v[88:89], v[34:35], v[82:83]
	v_add_f64 v[90:91], v[32:33], v[80:81]
	v_min3_f32 v92, v94, v92, v218
	v_cvt_f32_f64_e32 v90, v[90:91]
	v_cvt_f32_f64_e32 v88, v[88:89]
	v_min3_f32 v92, v90, v88, v92
	v_min3_f32 v88, v100, v93, v98
	v_cvt_f64_f32_e32 v[88:89], v88
	v_lshl_add_u64 v[90:91], v[164:165], 3, v[96:97]
	global_store_dwordx2 v[90:91], v[88:89], off
	v_add_u32_e32 v90, 0x48, v176
	v_mad_i64_i32 v[88:89], s[2:3], v90, s5, 0
	v_mad_i64_i32 v[90:91], s[2:3], v90, s4, 0
	v_lshl_add_u64 v[88:89], v[88:89], 3, s[0:1]
	s_mov_b64 s[2:3], -1
	v_max_f32_e32 v93, v92, v92
	s_mov_b64 vcc, s[8:9]
	s_cbranch_vccz .LBB164_111
; %bb.110:
	v_min_f32_e32 v92, 0, v93
	v_cvt_f64_f32_e32 v[94:95], v92
	v_lshl_add_u64 v[96:97], v[162:163], 3, v[88:89]
	global_store_dwordx2 v[96:97], v[94:95], off
	s_mov_b64 s[2:3], 0
.LBB164_111:
	v_lshl_add_u64 v[90:91], v[90:91], 3, s[18:19]
	s_andn2_b64 vcc, exec, s[2:3]
	v_mov_b32_e32 v92, 0
	s_cbranch_vccnz .LBB164_113
; %bb.112:
	v_lshl_add_u64 v[94:95], v[90:91], 0, v[166:167]
	global_load_dwordx2 v[94:95], v[94:95], off
	v_lshl_add_u64 v[96:97], v[88:89], 0, v[166:167]
	s_waitcnt vmcnt(0)
	v_mul_f64 v[94:95], s[10:11], v[94:95]
	v_cvt_f32_f64_e32 v92, v[94:95]
	v_min_f32_e32 v92, v92, v93
	v_cvt_f64_f32_e32 v[92:93], v92
	global_store_dwordx2 v[96:97], v[92:93], off
	v_lshl_add_u64 v[92:93], v[160:161], 3, v[90:91]
	global_load_dwordx2 v[92:93], v[92:93], off
	s_waitcnt vmcnt(0)
	v_mul_f64 v[92:93], s[10:11], v[92:93]
	v_cvt_f32_f64_e32 v92, v[92:93]
.LBB164_113:
	v_add_f64 v[94:95], v[30:31], v[86:87]
	v_add_f64 v[96:97], v[28:29], v[84:85]
	v_cvt_f32_f64_e32 v93, v[96:97]
	v_cvt_f32_f64_e32 v94, v[94:95]
	v_min3_f32 v93, v93, v94, v217
	v_add_f64 v[94:95], v[26:27], v[86:87]
	v_add_f64 v[96:97], v[24:25], v[84:85]
	v_cvt_f32_f64_e32 v96, v[96:97]
	v_cvt_f32_f64_e32 v94, v[94:95]
	v_min3_f32 v98, v96, v94, v216
	v_add_f64 v[94:95], v[18:19], v[82:83]
	v_add_f64 v[96:97], v[16:17], v[80:81]
	v_cvt_f32_f64_e32 v96, v[96:97]
	v_cvt_f32_f64_e32 v94, v[94:95]
	v_min_f32_e32 v99, v96, v94
	v_add_f64 v[94:95], v[10:11], v[82:83]
	v_add_f64 v[96:97], v[8:9], v[80:81]
	v_cvt_f32_f64_e32 v96, v[96:97]
	v_cvt_f32_f64_e32 v94, v[94:95]
	v_min3_f32 v92, v92, v99, v93
	v_min3_f32 v96, v96, v94, v98
	v_cvt_f64_f32_e32 v[92:93], v92
	v_lshl_add_u64 v[94:95], v[160:161], 3, v[88:89]
	global_store_dwordx2 v[94:95], v[92:93], off
	s_mov_b64 s[2:3], -1
	v_max_f32_e32 v93, v96, v96
	s_mov_b64 vcc, s[8:9]
	s_cbranch_vccz .LBB164_115
; %bb.114:
	v_min_f32_e32 v92, 0, v93
	v_cvt_f64_f32_e32 v[94:95], v92
	v_lshl_add_u64 v[96:97], v[168:169], 3, v[88:89]
	global_store_dwordx2 v[96:97], v[94:95], off
	s_mov_b64 s[2:3], 0
.LBB164_115:
	s_andn2_b64 vcc, exec, s[2:3]
	v_mov_b32_e32 v92, 0
	s_cbranch_vccnz .LBB164_117
; %bb.116:
	v_lshl_add_u64 v[94:95], v[90:91], 0, v[170:171]
	global_load_dwordx2 v[94:95], v[94:95], off
	v_lshl_add_u64 v[96:97], v[88:89], 0, v[170:171]
	v_lshl_add_u64 v[90:91], v[164:165], 3, v[90:91]
	s_waitcnt vmcnt(0)
	v_mul_f64 v[94:95], s[10:11], v[94:95]
	v_cvt_f32_f64_e32 v92, v[94:95]
	v_min_f32_e32 v92, v92, v93
	v_cvt_f64_f32_e32 v[92:93], v92
	global_store_dwordx2 v[96:97], v[92:93], off
	global_load_dwordx2 v[90:91], v[90:91], off
	s_waitcnt vmcnt(0)
	v_mul_f64 v[90:91], s[10:11], v[90:91]
	v_cvt_f32_f64_e32 v92, v[90:91]
.LBB164_117:
	v_add_f64 v[86:87], v[2:3], v[86:87]
	v_add_f64 v[84:85], v[0:1], v[84:85]
	v_cvt_f32_f64_e32 v84, v[84:85]
	v_cvt_f32_f64_e32 v85, v[86:87]
	v_add_f64 v[82:83], v[6:7], v[82:83]
	v_add_f64 v[80:81], v[4:5], v[80:81]
	v_min3_f32 v90, v84, v85, v215
	s_waitcnt lgkmcnt(11)
	v_add_f64 v[84:85], v[38:39], v[78:79]
	v_add_f64 v[86:87], v[36:37], v[76:77]
	v_cvt_f32_f64_e32 v80, v[80:81]
	v_cvt_f32_f64_e32 v81, v[82:83]
	;; [unrolled: 1-line block ×4, first 2 shown]
	v_min_f32_e32 v85, v80, v81
	s_waitcnt lgkmcnt(10)
	v_add_f64 v[80:81], v[34:35], v[74:75]
	v_add_f64 v[82:83], v[32:33], v[72:73]
	v_min3_f32 v84, v86, v84, v214
	v_cvt_f32_f64_e32 v82, v[82:83]
	v_cvt_f32_f64_e32 v80, v[80:81]
	v_min3_f32 v84, v82, v80, v84
	v_min3_f32 v80, v92, v85, v90
	v_cvt_f64_f32_e32 v[80:81], v80
	v_lshl_add_u64 v[82:83], v[164:165], 3, v[88:89]
	global_store_dwordx2 v[82:83], v[80:81], off
	v_add_u32_e32 v82, 0x50, v176
	v_mad_i64_i32 v[80:81], s[2:3], v82, s5, 0
	v_mad_i64_i32 v[82:83], s[2:3], v82, s4, 0
	v_lshl_add_u64 v[80:81], v[80:81], 3, s[0:1]
	s_mov_b64 s[2:3], -1
	v_max_f32_e32 v85, v84, v84
	s_mov_b64 vcc, s[8:9]
	s_cbranch_vccz .LBB164_119
; %bb.118:
	v_min_f32_e32 v84, 0, v85
	v_cvt_f64_f32_e32 v[86:87], v84
	v_lshl_add_u64 v[88:89], v[162:163], 3, v[80:81]
	global_store_dwordx2 v[88:89], v[86:87], off
	s_mov_b64 s[2:3], 0
.LBB164_119:
	v_lshl_add_u64 v[82:83], v[82:83], 3, s[18:19]
	s_andn2_b64 vcc, exec, s[2:3]
	v_mov_b32_e32 v84, 0
	s_cbranch_vccnz .LBB164_121
; %bb.120:
	v_lshl_add_u64 v[86:87], v[82:83], 0, v[166:167]
	global_load_dwordx2 v[86:87], v[86:87], off
	v_lshl_add_u64 v[88:89], v[80:81], 0, v[166:167]
	s_waitcnt vmcnt(0)
	v_mul_f64 v[86:87], s[10:11], v[86:87]
	v_cvt_f32_f64_e32 v84, v[86:87]
	v_min_f32_e32 v84, v84, v85
	v_cvt_f64_f32_e32 v[84:85], v84
	global_store_dwordx2 v[88:89], v[84:85], off
	v_lshl_add_u64 v[84:85], v[160:161], 3, v[82:83]
	global_load_dwordx2 v[84:85], v[84:85], off
	s_waitcnt vmcnt(0)
	v_mul_f64 v[84:85], s[10:11], v[84:85]
	v_cvt_f32_f64_e32 v84, v[84:85]
.LBB164_121:
	v_add_f64 v[86:87], v[30:31], v[78:79]
	v_add_f64 v[88:89], v[28:29], v[76:77]
	v_cvt_f32_f64_e32 v85, v[88:89]
	v_cvt_f32_f64_e32 v86, v[86:87]
	v_min3_f32 v85, v85, v86, v213
	v_add_f64 v[86:87], v[26:27], v[78:79]
	v_add_f64 v[88:89], v[24:25], v[76:77]
	v_cvt_f32_f64_e32 v88, v[88:89]
	v_cvt_f32_f64_e32 v86, v[86:87]
	v_min3_f32 v90, v88, v86, v212
	v_add_f64 v[86:87], v[18:19], v[74:75]
	v_add_f64 v[88:89], v[16:17], v[72:73]
	v_cvt_f32_f64_e32 v88, v[88:89]
	v_cvt_f32_f64_e32 v86, v[86:87]
	v_min_f32_e32 v91, v88, v86
	v_add_f64 v[86:87], v[10:11], v[74:75]
	v_add_f64 v[88:89], v[8:9], v[72:73]
	v_cvt_f32_f64_e32 v88, v[88:89]
	v_cvt_f32_f64_e32 v86, v[86:87]
	v_min3_f32 v84, v84, v91, v85
	v_min3_f32 v88, v88, v86, v90
	v_cvt_f64_f32_e32 v[84:85], v84
	v_lshl_add_u64 v[86:87], v[160:161], 3, v[80:81]
	global_store_dwordx2 v[86:87], v[84:85], off
	s_mov_b64 s[2:3], -1
	v_max_f32_e32 v85, v88, v88
	s_mov_b64 vcc, s[8:9]
	s_cbranch_vccz .LBB164_123
; %bb.122:
	v_min_f32_e32 v84, 0, v85
	v_cvt_f64_f32_e32 v[86:87], v84
	v_lshl_add_u64 v[88:89], v[168:169], 3, v[80:81]
	global_store_dwordx2 v[88:89], v[86:87], off
	s_mov_b64 s[2:3], 0
.LBB164_123:
	s_andn2_b64 vcc, exec, s[2:3]
	v_mov_b32_e32 v84, 0
	s_cbranch_vccnz .LBB164_125
; %bb.124:
	v_lshl_add_u64 v[86:87], v[82:83], 0, v[170:171]
	global_load_dwordx2 v[86:87], v[86:87], off
	v_lshl_add_u64 v[88:89], v[80:81], 0, v[170:171]
	v_lshl_add_u64 v[82:83], v[164:165], 3, v[82:83]
	s_waitcnt vmcnt(0)
	v_mul_f64 v[86:87], s[10:11], v[86:87]
	v_cvt_f32_f64_e32 v84, v[86:87]
	v_min_f32_e32 v84, v84, v85
	v_cvt_f64_f32_e32 v[84:85], v84
	global_store_dwordx2 v[88:89], v[84:85], off
	global_load_dwordx2 v[82:83], v[82:83], off
	s_waitcnt vmcnt(0)
	v_mul_f64 v[82:83], s[10:11], v[82:83]
	v_cvt_f32_f64_e32 v84, v[82:83]
.LBB164_125:
	v_add_f64 v[78:79], v[2:3], v[78:79]
	v_add_f64 v[76:77], v[0:1], v[76:77]
	v_cvt_f32_f64_e32 v76, v[76:77]
	v_cvt_f32_f64_e32 v77, v[78:79]
	v_add_f64 v[74:75], v[6:7], v[74:75]
	v_add_f64 v[72:73], v[4:5], v[72:73]
	v_min3_f32 v82, v76, v77, v211
	s_waitcnt lgkmcnt(9)
	v_add_f64 v[76:77], v[38:39], v[70:71]
	v_add_f64 v[78:79], v[36:37], v[68:69]
	v_cvt_f32_f64_e32 v72, v[72:73]
	v_cvt_f32_f64_e32 v73, v[74:75]
	;; [unrolled: 1-line block ×4, first 2 shown]
	v_min_f32_e32 v77, v72, v73
	s_waitcnt lgkmcnt(8)
	v_add_f64 v[72:73], v[34:35], v[66:67]
	v_add_f64 v[74:75], v[32:33], v[64:65]
	v_min3_f32 v76, v78, v76, v210
	v_cvt_f32_f64_e32 v74, v[74:75]
	v_cvt_f32_f64_e32 v72, v[72:73]
	v_min3_f32 v76, v74, v72, v76
	v_min3_f32 v72, v84, v77, v82
	v_cvt_f64_f32_e32 v[72:73], v72
	v_lshl_add_u64 v[74:75], v[164:165], 3, v[80:81]
	global_store_dwordx2 v[74:75], v[72:73], off
	v_add_u32_e32 v74, 0x58, v176
	v_mad_i64_i32 v[72:73], s[2:3], v74, s5, 0
	v_mad_i64_i32 v[74:75], s[2:3], v74, s4, 0
	v_lshl_add_u64 v[72:73], v[72:73], 3, s[0:1]
	s_mov_b64 s[2:3], -1
	v_max_f32_e32 v77, v76, v76
	s_mov_b64 vcc, s[8:9]
	s_cbranch_vccz .LBB164_127
; %bb.126:
	v_min_f32_e32 v76, 0, v77
	v_cvt_f64_f32_e32 v[78:79], v76
	v_lshl_add_u64 v[80:81], v[162:163], 3, v[72:73]
	global_store_dwordx2 v[80:81], v[78:79], off
	s_mov_b64 s[2:3], 0
.LBB164_127:
	v_lshl_add_u64 v[74:75], v[74:75], 3, s[18:19]
	s_andn2_b64 vcc, exec, s[2:3]
	v_mov_b32_e32 v76, 0
	s_cbranch_vccnz .LBB164_129
; %bb.128:
	v_lshl_add_u64 v[78:79], v[74:75], 0, v[166:167]
	global_load_dwordx2 v[78:79], v[78:79], off
	v_lshl_add_u64 v[80:81], v[72:73], 0, v[166:167]
	s_waitcnt vmcnt(0)
	v_mul_f64 v[78:79], s[10:11], v[78:79]
	v_cvt_f32_f64_e32 v76, v[78:79]
	v_min_f32_e32 v76, v76, v77
	v_cvt_f64_f32_e32 v[76:77], v76
	global_store_dwordx2 v[80:81], v[76:77], off
	v_lshl_add_u64 v[76:77], v[160:161], 3, v[74:75]
	global_load_dwordx2 v[76:77], v[76:77], off
	s_waitcnt vmcnt(0)
	v_mul_f64 v[76:77], s[10:11], v[76:77]
	v_cvt_f32_f64_e32 v76, v[76:77]
.LBB164_129:
	v_add_f64 v[78:79], v[30:31], v[70:71]
	v_add_f64 v[80:81], v[28:29], v[68:69]
	v_cvt_f32_f64_e32 v77, v[80:81]
	v_cvt_f32_f64_e32 v78, v[78:79]
	v_min3_f32 v77, v77, v78, v209
	v_add_f64 v[78:79], v[26:27], v[70:71]
	v_add_f64 v[80:81], v[24:25], v[68:69]
	v_cvt_f32_f64_e32 v80, v[80:81]
	v_cvt_f32_f64_e32 v78, v[78:79]
	v_min3_f32 v82, v80, v78, v208
	v_add_f64 v[78:79], v[18:19], v[66:67]
	v_add_f64 v[80:81], v[16:17], v[64:65]
	v_cvt_f32_f64_e32 v80, v[80:81]
	v_cvt_f32_f64_e32 v78, v[78:79]
	v_min_f32_e32 v83, v80, v78
	v_add_f64 v[78:79], v[10:11], v[66:67]
	v_add_f64 v[80:81], v[8:9], v[64:65]
	v_cvt_f32_f64_e32 v80, v[80:81]
	v_cvt_f32_f64_e32 v78, v[78:79]
	v_min3_f32 v76, v76, v83, v77
	v_min3_f32 v80, v80, v78, v82
	v_cvt_f64_f32_e32 v[76:77], v76
	v_lshl_add_u64 v[78:79], v[160:161], 3, v[72:73]
	global_store_dwordx2 v[78:79], v[76:77], off
	s_mov_b64 s[2:3], -1
	v_max_f32_e32 v77, v80, v80
	s_mov_b64 vcc, s[8:9]
	s_cbranch_vccz .LBB164_131
; %bb.130:
	v_min_f32_e32 v76, 0, v77
	v_cvt_f64_f32_e32 v[78:79], v76
	v_lshl_add_u64 v[80:81], v[168:169], 3, v[72:73]
	global_store_dwordx2 v[80:81], v[78:79], off
	s_mov_b64 s[2:3], 0
.LBB164_131:
	s_andn2_b64 vcc, exec, s[2:3]
	v_mov_b32_e32 v76, 0
	s_cbranch_vccnz .LBB164_133
; %bb.132:
	v_lshl_add_u64 v[78:79], v[74:75], 0, v[170:171]
	global_load_dwordx2 v[78:79], v[78:79], off
	v_lshl_add_u64 v[80:81], v[72:73], 0, v[170:171]
	v_lshl_add_u64 v[74:75], v[164:165], 3, v[74:75]
	s_waitcnt vmcnt(0)
	v_mul_f64 v[78:79], s[10:11], v[78:79]
	v_cvt_f32_f64_e32 v76, v[78:79]
	v_min_f32_e32 v76, v76, v77
	v_cvt_f64_f32_e32 v[76:77], v76
	global_store_dwordx2 v[80:81], v[76:77], off
	global_load_dwordx2 v[74:75], v[74:75], off
	s_waitcnt vmcnt(0)
	v_mul_f64 v[74:75], s[10:11], v[74:75]
	v_cvt_f32_f64_e32 v76, v[74:75]
.LBB164_133:
	v_add_f64 v[70:71], v[2:3], v[70:71]
	v_add_f64 v[68:69], v[0:1], v[68:69]
	v_cvt_f32_f64_e32 v68, v[68:69]
	v_cvt_f32_f64_e32 v69, v[70:71]
	v_add_f64 v[66:67], v[6:7], v[66:67]
	v_add_f64 v[64:65], v[4:5], v[64:65]
	v_min3_f32 v74, v68, v69, v207
	s_waitcnt lgkmcnt(7)
	v_add_f64 v[68:69], v[38:39], v[62:63]
	v_add_f64 v[70:71], v[36:37], v[60:61]
	v_cvt_f32_f64_e32 v64, v[64:65]
	v_cvt_f32_f64_e32 v65, v[66:67]
	;; [unrolled: 1-line block ×4, first 2 shown]
	v_min_f32_e32 v69, v64, v65
	s_waitcnt lgkmcnt(6)
	v_add_f64 v[64:65], v[34:35], v[58:59]
	v_add_f64 v[66:67], v[32:33], v[56:57]
	v_min3_f32 v68, v70, v68, v206
	v_cvt_f32_f64_e32 v66, v[66:67]
	v_cvt_f32_f64_e32 v64, v[64:65]
	v_min3_f32 v68, v66, v64, v68
	v_min3_f32 v64, v76, v69, v74
	v_cvt_f64_f32_e32 v[64:65], v64
	v_lshl_add_u64 v[66:67], v[164:165], 3, v[72:73]
	global_store_dwordx2 v[66:67], v[64:65], off
	v_add_u32_e32 v66, 0x60, v176
	v_mad_i64_i32 v[64:65], s[2:3], v66, s5, 0
	v_mad_i64_i32 v[66:67], s[2:3], v66, s4, 0
	v_lshl_add_u64 v[64:65], v[64:65], 3, s[0:1]
	s_mov_b64 s[2:3], -1
	v_max_f32_e32 v69, v68, v68
	s_mov_b64 vcc, s[8:9]
	s_cbranch_vccz .LBB164_135
; %bb.134:
	v_min_f32_e32 v68, 0, v69
	v_cvt_f64_f32_e32 v[70:71], v68
	v_lshl_add_u64 v[72:73], v[162:163], 3, v[64:65]
	global_store_dwordx2 v[72:73], v[70:71], off
	s_mov_b64 s[2:3], 0
.LBB164_135:
	v_lshl_add_u64 v[66:67], v[66:67], 3, s[18:19]
	s_andn2_b64 vcc, exec, s[2:3]
	v_mov_b32_e32 v68, 0
	s_cbranch_vccnz .LBB164_137
; %bb.136:
	v_lshl_add_u64 v[70:71], v[66:67], 0, v[166:167]
	global_load_dwordx2 v[70:71], v[70:71], off
	v_lshl_add_u64 v[72:73], v[64:65], 0, v[166:167]
	s_waitcnt vmcnt(0)
	v_mul_f64 v[70:71], s[10:11], v[70:71]
	v_cvt_f32_f64_e32 v68, v[70:71]
	v_min_f32_e32 v68, v68, v69
	v_cvt_f64_f32_e32 v[68:69], v68
	global_store_dwordx2 v[72:73], v[68:69], off
	v_lshl_add_u64 v[68:69], v[160:161], 3, v[66:67]
	global_load_dwordx2 v[68:69], v[68:69], off
	s_waitcnt vmcnt(0)
	v_mul_f64 v[68:69], s[10:11], v[68:69]
	v_cvt_f32_f64_e32 v68, v[68:69]
.LBB164_137:
	v_add_f64 v[70:71], v[30:31], v[62:63]
	v_add_f64 v[72:73], v[28:29], v[60:61]
	v_cvt_f32_f64_e32 v69, v[72:73]
	v_cvt_f32_f64_e32 v70, v[70:71]
	v_min3_f32 v69, v69, v70, v205
	v_add_f64 v[70:71], v[26:27], v[62:63]
	v_add_f64 v[72:73], v[24:25], v[60:61]
	v_cvt_f32_f64_e32 v72, v[72:73]
	v_cvt_f32_f64_e32 v70, v[70:71]
	v_min3_f32 v74, v72, v70, v204
	v_add_f64 v[70:71], v[18:19], v[58:59]
	v_add_f64 v[72:73], v[16:17], v[56:57]
	v_cvt_f32_f64_e32 v72, v[72:73]
	v_cvt_f32_f64_e32 v70, v[70:71]
	v_min_f32_e32 v75, v72, v70
	v_add_f64 v[70:71], v[10:11], v[58:59]
	v_add_f64 v[72:73], v[8:9], v[56:57]
	v_cvt_f32_f64_e32 v72, v[72:73]
	v_cvt_f32_f64_e32 v70, v[70:71]
	v_min3_f32 v68, v68, v75, v69
	v_min3_f32 v72, v72, v70, v74
	v_cvt_f64_f32_e32 v[68:69], v68
	v_lshl_add_u64 v[70:71], v[160:161], 3, v[64:65]
	global_store_dwordx2 v[70:71], v[68:69], off
	s_mov_b64 s[2:3], -1
	v_max_f32_e32 v69, v72, v72
	s_mov_b64 vcc, s[8:9]
	s_cbranch_vccz .LBB164_139
; %bb.138:
	v_min_f32_e32 v68, 0, v69
	v_cvt_f64_f32_e32 v[70:71], v68
	v_lshl_add_u64 v[72:73], v[168:169], 3, v[64:65]
	global_store_dwordx2 v[72:73], v[70:71], off
	s_mov_b64 s[2:3], 0
.LBB164_139:
	s_andn2_b64 vcc, exec, s[2:3]
	v_mov_b32_e32 v68, 0
	s_cbranch_vccnz .LBB164_141
; %bb.140:
	v_lshl_add_u64 v[70:71], v[66:67], 0, v[170:171]
	global_load_dwordx2 v[70:71], v[70:71], off
	v_lshl_add_u64 v[72:73], v[64:65], 0, v[170:171]
	v_lshl_add_u64 v[66:67], v[164:165], 3, v[66:67]
	s_waitcnt vmcnt(0)
	v_mul_f64 v[70:71], s[10:11], v[70:71]
	v_cvt_f32_f64_e32 v68, v[70:71]
	v_min_f32_e32 v68, v68, v69
	v_cvt_f64_f32_e32 v[68:69], v68
	global_store_dwordx2 v[72:73], v[68:69], off
	global_load_dwordx2 v[66:67], v[66:67], off
	s_waitcnt vmcnt(0)
	v_mul_f64 v[66:67], s[10:11], v[66:67]
	v_cvt_f32_f64_e32 v68, v[66:67]
.LBB164_141:
	v_add_f64 v[62:63], v[2:3], v[62:63]
	v_add_f64 v[60:61], v[0:1], v[60:61]
	v_cvt_f32_f64_e32 v60, v[60:61]
	v_cvt_f32_f64_e32 v61, v[62:63]
	v_add_f64 v[58:59], v[6:7], v[58:59]
	v_add_f64 v[56:57], v[4:5], v[56:57]
	v_min3_f32 v66, v60, v61, v203
	s_waitcnt lgkmcnt(5)
	v_add_f64 v[60:61], v[38:39], v[54:55]
	v_add_f64 v[62:63], v[36:37], v[52:53]
	v_cvt_f32_f64_e32 v56, v[56:57]
	v_cvt_f32_f64_e32 v57, v[58:59]
	;; [unrolled: 1-line block ×4, first 2 shown]
	v_min_f32_e32 v61, v56, v57
	s_waitcnt lgkmcnt(4)
	v_add_f64 v[56:57], v[34:35], v[50:51]
	v_add_f64 v[58:59], v[32:33], v[48:49]
	v_min3_f32 v60, v62, v60, v202
	v_cvt_f32_f64_e32 v58, v[58:59]
	v_cvt_f32_f64_e32 v56, v[56:57]
	v_min3_f32 v60, v58, v56, v60
	v_min3_f32 v56, v68, v61, v66
	v_cvt_f64_f32_e32 v[56:57], v56
	v_lshl_add_u64 v[58:59], v[164:165], 3, v[64:65]
	global_store_dwordx2 v[58:59], v[56:57], off
	v_add_u32_e32 v58, 0x68, v176
	v_mad_i64_i32 v[56:57], s[2:3], v58, s5, 0
	v_mad_i64_i32 v[58:59], s[2:3], v58, s4, 0
	v_lshl_add_u64 v[56:57], v[56:57], 3, s[0:1]
	s_mov_b64 s[2:3], -1
	v_max_f32_e32 v61, v60, v60
	s_mov_b64 vcc, s[8:9]
	s_cbranch_vccz .LBB164_143
; %bb.142:
	v_min_f32_e32 v60, 0, v61
	v_cvt_f64_f32_e32 v[62:63], v60
	v_lshl_add_u64 v[64:65], v[162:163], 3, v[56:57]
	global_store_dwordx2 v[64:65], v[62:63], off
	s_mov_b64 s[2:3], 0
.LBB164_143:
	v_lshl_add_u64 v[58:59], v[58:59], 3, s[18:19]
	s_andn2_b64 vcc, exec, s[2:3]
	v_mov_b32_e32 v60, 0
	s_cbranch_vccnz .LBB164_145
; %bb.144:
	v_lshl_add_u64 v[62:63], v[58:59], 0, v[166:167]
	global_load_dwordx2 v[62:63], v[62:63], off
	v_lshl_add_u64 v[64:65], v[56:57], 0, v[166:167]
	s_waitcnt vmcnt(0)
	v_mul_f64 v[62:63], s[10:11], v[62:63]
	v_cvt_f32_f64_e32 v60, v[62:63]
	v_min_f32_e32 v60, v60, v61
	v_cvt_f64_f32_e32 v[60:61], v60
	global_store_dwordx2 v[64:65], v[60:61], off
	v_lshl_add_u64 v[60:61], v[160:161], 3, v[58:59]
	global_load_dwordx2 v[60:61], v[60:61], off
	s_waitcnt vmcnt(0)
	v_mul_f64 v[60:61], s[10:11], v[60:61]
	v_cvt_f32_f64_e32 v60, v[60:61]
.LBB164_145:
	v_add_f64 v[62:63], v[30:31], v[54:55]
	v_add_f64 v[64:65], v[28:29], v[52:53]
	v_cvt_f32_f64_e32 v61, v[64:65]
	v_cvt_f32_f64_e32 v62, v[62:63]
	v_min3_f32 v61, v61, v62, v201
	v_add_f64 v[62:63], v[26:27], v[54:55]
	v_add_f64 v[64:65], v[24:25], v[52:53]
	v_cvt_f32_f64_e32 v64, v[64:65]
	v_cvt_f32_f64_e32 v62, v[62:63]
	v_min3_f32 v66, v64, v62, v200
	v_add_f64 v[62:63], v[18:19], v[50:51]
	v_add_f64 v[64:65], v[16:17], v[48:49]
	v_cvt_f32_f64_e32 v64, v[64:65]
	v_cvt_f32_f64_e32 v62, v[62:63]
	v_min_f32_e32 v67, v64, v62
	v_add_f64 v[62:63], v[10:11], v[50:51]
	v_add_f64 v[64:65], v[8:9], v[48:49]
	v_cvt_f32_f64_e32 v64, v[64:65]
	v_cvt_f32_f64_e32 v62, v[62:63]
	v_min3_f32 v60, v60, v67, v61
	v_min3_f32 v64, v64, v62, v66
	v_cvt_f64_f32_e32 v[60:61], v60
	v_lshl_add_u64 v[62:63], v[160:161], 3, v[56:57]
	global_store_dwordx2 v[62:63], v[60:61], off
	s_mov_b64 s[2:3], -1
	v_max_f32_e32 v61, v64, v64
	s_mov_b64 vcc, s[8:9]
	s_cbranch_vccz .LBB164_147
; %bb.146:
	v_min_f32_e32 v60, 0, v61
	v_cvt_f64_f32_e32 v[62:63], v60
	v_lshl_add_u64 v[64:65], v[168:169], 3, v[56:57]
	global_store_dwordx2 v[64:65], v[62:63], off
	s_mov_b64 s[2:3], 0
.LBB164_147:
	s_andn2_b64 vcc, exec, s[2:3]
	v_mov_b32_e32 v60, 0
	s_cbranch_vccnz .LBB164_149
; %bb.148:
	v_lshl_add_u64 v[62:63], v[58:59], 0, v[170:171]
	global_load_dwordx2 v[62:63], v[62:63], off
	v_lshl_add_u64 v[64:65], v[56:57], 0, v[170:171]
	v_lshl_add_u64 v[58:59], v[164:165], 3, v[58:59]
	s_waitcnt vmcnt(0)
	v_mul_f64 v[62:63], s[10:11], v[62:63]
	v_cvt_f32_f64_e32 v60, v[62:63]
	v_min_f32_e32 v60, v60, v61
	v_cvt_f64_f32_e32 v[60:61], v60
	global_store_dwordx2 v[64:65], v[60:61], off
	global_load_dwordx2 v[58:59], v[58:59], off
	s_waitcnt vmcnt(0)
	v_mul_f64 v[58:59], s[10:11], v[58:59]
	v_cvt_f32_f64_e32 v60, v[58:59]
.LBB164_149:
	v_add_f64 v[54:55], v[2:3], v[54:55]
	v_add_f64 v[52:53], v[0:1], v[52:53]
	v_cvt_f32_f64_e32 v52, v[52:53]
	v_cvt_f32_f64_e32 v53, v[54:55]
	v_add_f64 v[50:51], v[6:7], v[50:51]
	v_add_f64 v[48:49], v[4:5], v[48:49]
	v_min3_f32 v58, v52, v53, v199
	s_waitcnt lgkmcnt(3)
	v_add_f64 v[52:53], v[38:39], v[46:47]
	v_add_f64 v[54:55], v[36:37], v[44:45]
	v_cvt_f32_f64_e32 v48, v[48:49]
	v_cvt_f32_f64_e32 v49, v[50:51]
	;; [unrolled: 1-line block ×4, first 2 shown]
	v_min_f32_e32 v53, v48, v49
	s_waitcnt lgkmcnt(2)
	v_add_f64 v[48:49], v[34:35], v[42:43]
	v_add_f64 v[50:51], v[32:33], v[40:41]
	v_min3_f32 v52, v54, v52, v198
	v_cvt_f32_f64_e32 v50, v[50:51]
	v_cvt_f32_f64_e32 v48, v[48:49]
	v_min3_f32 v52, v50, v48, v52
	v_min3_f32 v48, v60, v53, v58
	v_cvt_f64_f32_e32 v[48:49], v48
	v_lshl_add_u64 v[50:51], v[164:165], 3, v[56:57]
	global_store_dwordx2 v[50:51], v[48:49], off
	v_add_u32_e32 v50, 0x70, v176
	v_mad_i64_i32 v[48:49], s[2:3], v50, s5, 0
	v_mad_i64_i32 v[50:51], s[2:3], v50, s4, 0
	v_lshl_add_u64 v[48:49], v[48:49], 3, s[0:1]
	s_mov_b64 s[2:3], -1
	v_max_f32_e32 v53, v52, v52
	s_mov_b64 vcc, s[8:9]
	s_cbranch_vccz .LBB164_151
; %bb.150:
	v_min_f32_e32 v52, 0, v53
	v_cvt_f64_f32_e32 v[54:55], v52
	v_lshl_add_u64 v[56:57], v[162:163], 3, v[48:49]
	global_store_dwordx2 v[56:57], v[54:55], off
	s_mov_b64 s[2:3], 0
.LBB164_151:
	v_lshl_add_u64 v[50:51], v[50:51], 3, s[18:19]
	s_andn2_b64 vcc, exec, s[2:3]
	v_mov_b32_e32 v52, 0
	s_cbranch_vccnz .LBB164_153
; %bb.152:
	v_lshl_add_u64 v[54:55], v[50:51], 0, v[166:167]
	global_load_dwordx2 v[54:55], v[54:55], off
	v_lshl_add_u64 v[56:57], v[48:49], 0, v[166:167]
	s_waitcnt vmcnt(0)
	v_mul_f64 v[54:55], s[10:11], v[54:55]
	v_cvt_f32_f64_e32 v52, v[54:55]
	v_min_f32_e32 v52, v52, v53
	v_cvt_f64_f32_e32 v[52:53], v52
	global_store_dwordx2 v[56:57], v[52:53], off
	v_lshl_add_u64 v[52:53], v[160:161], 3, v[50:51]
	global_load_dwordx2 v[52:53], v[52:53], off
	s_waitcnt vmcnt(0)
	v_mul_f64 v[52:53], s[10:11], v[52:53]
	v_cvt_f32_f64_e32 v52, v[52:53]
.LBB164_153:
	v_add_f64 v[54:55], v[30:31], v[46:47]
	v_add_f64 v[56:57], v[28:29], v[44:45]
	v_cvt_f32_f64_e32 v53, v[56:57]
	v_cvt_f32_f64_e32 v54, v[54:55]
	v_min3_f32 v53, v53, v54, v197
	v_add_f64 v[54:55], v[26:27], v[46:47]
	v_add_f64 v[56:57], v[24:25], v[44:45]
	v_cvt_f32_f64_e32 v56, v[56:57]
	v_cvt_f32_f64_e32 v54, v[54:55]
	v_min3_f32 v58, v56, v54, v196
	v_add_f64 v[54:55], v[18:19], v[42:43]
	v_add_f64 v[56:57], v[16:17], v[40:41]
	v_cvt_f32_f64_e32 v56, v[56:57]
	v_cvt_f32_f64_e32 v54, v[54:55]
	v_min_f32_e32 v59, v56, v54
	v_add_f64 v[54:55], v[10:11], v[42:43]
	v_add_f64 v[56:57], v[8:9], v[40:41]
	v_cvt_f32_f64_e32 v56, v[56:57]
	v_cvt_f32_f64_e32 v54, v[54:55]
	v_min3_f32 v52, v52, v59, v53
	v_min3_f32 v56, v56, v54, v58
	v_cvt_f64_f32_e32 v[52:53], v52
	v_lshl_add_u64 v[54:55], v[160:161], 3, v[48:49]
	global_store_dwordx2 v[54:55], v[52:53], off
	s_mov_b64 s[2:3], -1
	v_max_f32_e32 v53, v56, v56
	s_mov_b64 vcc, s[8:9]
	s_cbranch_vccz .LBB164_155
; %bb.154:
	v_min_f32_e32 v52, 0, v53
	v_cvt_f64_f32_e32 v[54:55], v52
	v_lshl_add_u64 v[56:57], v[168:169], 3, v[48:49]
	global_store_dwordx2 v[56:57], v[54:55], off
	s_mov_b64 s[2:3], 0
.LBB164_155:
	s_andn2_b64 vcc, exec, s[2:3]
	v_mov_b32_e32 v52, 0
	s_cbranch_vccnz .LBB164_157
; %bb.156:
	v_lshl_add_u64 v[54:55], v[50:51], 0, v[170:171]
	global_load_dwordx2 v[54:55], v[54:55], off
	v_lshl_add_u64 v[56:57], v[48:49], 0, v[170:171]
	v_lshl_add_u64 v[50:51], v[164:165], 3, v[50:51]
	s_waitcnt vmcnt(0)
	v_mul_f64 v[54:55], s[10:11], v[54:55]
	v_cvt_f32_f64_e32 v52, v[54:55]
	v_min_f32_e32 v52, v52, v53
	v_cvt_f64_f32_e32 v[52:53], v52
	global_store_dwordx2 v[56:57], v[52:53], off
	global_load_dwordx2 v[50:51], v[50:51], off
	s_waitcnt vmcnt(0)
	v_mul_f64 v[50:51], s[10:11], v[50:51]
	v_cvt_f32_f64_e32 v52, v[50:51]
.LBB164_157:
	v_add_f64 v[46:47], v[2:3], v[46:47]
	v_add_f64 v[44:45], v[0:1], v[44:45]
	s_waitcnt lgkmcnt(1)
	v_add_f64 v[38:39], v[38:39], v[14:15]
	v_add_f64 v[36:37], v[36:37], v[12:13]
	v_cvt_f32_f64_e32 v44, v[44:45]
	v_cvt_f32_f64_e32 v45, v[46:47]
	;; [unrolled: 1-line block ×4, first 2 shown]
	v_min3_f32 v44, v44, v45, v195
	v_min3_f32 v45, v36, v37, v194
	v_add_f64 v[36:37], v[6:7], v[42:43]
	v_add_f64 v[38:39], v[4:5], v[40:41]
	v_cvt_f32_f64_e32 v38, v[38:39]
	v_cvt_f32_f64_e32 v36, v[36:37]
	s_waitcnt lgkmcnt(0)
	v_add_f64 v[34:35], v[34:35], v[22:23]
	v_add_f64 v[32:33], v[32:33], v[20:21]
	v_min_f32_e32 v36, v38, v36
	v_cvt_f32_f64_e32 v32, v[32:33]
	v_cvt_f32_f64_e32 v33, v[34:35]
	v_min3_f32 v37, v32, v33, v45
	v_min3_f32 v32, v52, v36, v44
	v_cvt_f64_f32_e32 v[32:33], v32
	v_lshl_add_u64 v[34:35], v[164:165], 3, v[48:49]
	global_store_dwordx2 v[34:35], v[32:33], off
	v_add_u32_e32 v34, 0x78, v176
	v_mad_i64_i32 v[32:33], s[2:3], v34, s5, 0
	v_lshl_add_u64 v[32:33], v[32:33], 3, s[0:1]
	v_mad_i64_i32 v[34:35], s[0:1], v34, s4, 0
	s_mov_b64 s[0:1], -1
	v_max_f32_e32 v37, v37, v37
	s_mov_b64 vcc, s[8:9]
	s_cbranch_vccz .LBB164_159
; %bb.158:
	v_min_f32_e32 v36, 0, v37
	v_cvt_f64_f32_e32 v[38:39], v36
	v_lshl_add_u64 v[40:41], v[162:163], 3, v[32:33]
	global_store_dwordx2 v[40:41], v[38:39], off
	s_mov_b64 s[0:1], 0
.LBB164_159:
	v_lshl_add_u64 v[34:35], v[34:35], 3, s[18:19]
	s_andn2_b64 vcc, exec, s[0:1]
	v_mov_b32_e32 v36, 0
	s_cbranch_vccnz .LBB164_161
; %bb.160:
	v_lshl_add_u64 v[38:39], v[34:35], 0, v[166:167]
	global_load_dwordx2 v[38:39], v[38:39], off
	v_lshl_add_u64 v[40:41], v[32:33], 0, v[166:167]
	s_waitcnt vmcnt(0)
	v_mul_f64 v[38:39], s[10:11], v[38:39]
	v_cvt_f32_f64_e32 v36, v[38:39]
	v_min_f32_e32 v36, v36, v37
	v_cvt_f64_f32_e32 v[36:37], v36
	global_store_dwordx2 v[40:41], v[36:37], off
	v_lshl_add_u64 v[36:37], v[160:161], 3, v[34:35]
	global_load_dwordx2 v[36:37], v[36:37], off
	s_waitcnt vmcnt(0)
	v_mul_f64 v[36:37], s[10:11], v[36:37]
	v_cvt_f32_f64_e32 v36, v[36:37]
.LBB164_161:
	v_add_f64 v[30:31], v[30:31], v[14:15]
	v_add_f64 v[28:29], v[28:29], v[12:13]
	;; [unrolled: 1-line block ×6, first 2 shown]
	v_cvt_f32_f64_e32 v28, v[28:29]
	v_cvt_f32_f64_e32 v29, v[30:31]
	;; [unrolled: 1-line block ×6, first 2 shown]
	v_add_f64 v[10:11], v[10:11], v[22:23]
	v_add_f64 v[8:9], v[8:9], v[20:21]
	v_min3_f32 v28, v28, v29, v192
	v_min3_f32 v24, v24, v25, v191
	v_min_f32_e32 v16, v16, v17
	v_cvt_f32_f64_e32 v8, v[8:9]
	v_cvt_f32_f64_e32 v9, v[10:11]
	v_min3_f32 v17, v8, v9, v24
	v_min3_f32 v8, v36, v16, v28
	v_cvt_f64_f32_e32 v[8:9], v8
	v_lshl_add_u64 v[10:11], v[160:161], 3, v[32:33]
	global_store_dwordx2 v[10:11], v[8:9], off
	s_mov_b64 s[0:1], -1
	v_max_f32_e32 v9, v17, v17
	s_mov_b64 vcc, s[8:9]
	s_cbranch_vccz .LBB164_163
; %bb.162:
	v_min_f32_e32 v8, 0, v9
	v_cvt_f64_f32_e32 v[10:11], v8
	v_lshl_add_u64 v[16:17], v[168:169], 3, v[32:33]
	global_store_dwordx2 v[16:17], v[10:11], off
	s_mov_b64 s[0:1], 0
.LBB164_163:
	s_andn2_b64 vcc, exec, s[0:1]
	v_mov_b32_e32 v8, 0
	s_cbranch_vccnz .LBB164_165
; %bb.164:
	v_lshl_add_u64 v[10:11], v[34:35], 0, v[170:171]
	global_load_dwordx2 v[10:11], v[10:11], off
	v_lshl_add_u64 v[16:17], v[32:33], 0, v[170:171]
	s_waitcnt vmcnt(0)
	v_mul_f64 v[10:11], s[10:11], v[10:11]
	v_cvt_f32_f64_e32 v8, v[10:11]
	v_min_f32_e32 v8, v8, v9
	v_cvt_f64_f32_e32 v[8:9], v8
	global_store_dwordx2 v[16:17], v[8:9], off
	v_lshl_add_u64 v[8:9], v[164:165], 3, v[34:35]
	global_load_dwordx2 v[8:9], v[8:9], off
	s_waitcnt vmcnt(0)
	v_mul_f64 v[8:9], s[10:11], v[8:9]
	v_cvt_f32_f64_e32 v8, v[8:9]
.LBB164_165:
	v_add_f64 v[6:7], v[6:7], v[22:23]
	v_add_f64 v[4:5], v[4:5], v[20:21]
	;; [unrolled: 1-line block ×4, first 2 shown]
	v_cvt_f32_f64_e32 v4, v[4:5]
	v_cvt_f32_f64_e32 v5, v[6:7]
	;; [unrolled: 1-line block ×4, first 2 shown]
	v_min_f32_e32 v4, v4, v5
	v_min3_f32 v0, v0, v1, v190
	v_min3_f32 v0, v8, v4, v0
	v_cvt_f64_f32_e32 v[0:1], v0
	v_lshl_add_u64 v[2:3], v[164:165], 3, v[32:33]
	global_store_dwordx2 v[2:3], v[0:1], off
	s_endpgm
	.section	.rodata,"a",@progbits
	.p2align	6, 0x0
	.amdhsa_kernel _ZN12_GLOBAL__N_120geam_min_plus_kernelId15HIP_vector_typeIdLj2EEdLi32ELi8ELi128ELi128ELi4ELi4ELi64ELi4ELi64ELc84ELc78ELb0ELb0ELb1EdKddEEviiiT16_PT17_ilS6_ilS4_S6_ilPT18_ili26rocblas_geam_ex_operation_
		.amdhsa_group_segment_fixed_size 16384
		.amdhsa_private_segment_fixed_size 0
		.amdhsa_kernarg_size 136
		.amdhsa_user_sgpr_count 2
		.amdhsa_user_sgpr_dispatch_ptr 0
		.amdhsa_user_sgpr_queue_ptr 0
		.amdhsa_user_sgpr_kernarg_segment_ptr 1
		.amdhsa_user_sgpr_dispatch_id 0
		.amdhsa_user_sgpr_kernarg_preload_length 0
		.amdhsa_user_sgpr_kernarg_preload_offset 0
		.amdhsa_user_sgpr_private_segment_size 0
		.amdhsa_uses_dynamic_stack 0
		.amdhsa_enable_private_segment 0
		.amdhsa_system_sgpr_workgroup_id_x 1
		.amdhsa_system_sgpr_workgroup_id_y 0
		.amdhsa_system_sgpr_workgroup_id_z 1
		.amdhsa_system_sgpr_workgroup_info 0
		.amdhsa_system_vgpr_workitem_id 1
		.amdhsa_next_free_vgpr 258
		.amdhsa_next_free_sgpr 30
		.amdhsa_accum_offset 256
		.amdhsa_reserve_vcc 1
		.amdhsa_float_round_mode_32 0
		.amdhsa_float_round_mode_16_64 0
		.amdhsa_float_denorm_mode_32 3
		.amdhsa_float_denorm_mode_16_64 3
		.amdhsa_dx10_clamp 1
		.amdhsa_ieee_mode 1
		.amdhsa_fp16_overflow 0
		.amdhsa_tg_split 0
		.amdhsa_exception_fp_ieee_invalid_op 0
		.amdhsa_exception_fp_denorm_src 0
		.amdhsa_exception_fp_ieee_div_zero 0
		.amdhsa_exception_fp_ieee_overflow 0
		.amdhsa_exception_fp_ieee_underflow 0
		.amdhsa_exception_fp_ieee_inexact 0
		.amdhsa_exception_int_div_zero 0
	.end_amdhsa_kernel
	.section	.text._ZN12_GLOBAL__N_120geam_min_plus_kernelId15HIP_vector_typeIdLj2EEdLi32ELi8ELi128ELi128ELi4ELi4ELi64ELi4ELi64ELc84ELc78ELb0ELb0ELb1EdKddEEviiiT16_PT17_ilS6_ilS4_S6_ilPT18_ili26rocblas_geam_ex_operation_,"axG",@progbits,_ZN12_GLOBAL__N_120geam_min_plus_kernelId15HIP_vector_typeIdLj2EEdLi32ELi8ELi128ELi128ELi4ELi4ELi64ELi4ELi64ELc84ELc78ELb0ELb0ELb1EdKddEEviiiT16_PT17_ilS6_ilS4_S6_ilPT18_ili26rocblas_geam_ex_operation_,comdat
.Lfunc_end164:
	.size	_ZN12_GLOBAL__N_120geam_min_plus_kernelId15HIP_vector_typeIdLj2EEdLi32ELi8ELi128ELi128ELi4ELi4ELi64ELi4ELi64ELc84ELc78ELb0ELb0ELb1EdKddEEviiiT16_PT17_ilS6_ilS4_S6_ilPT18_ili26rocblas_geam_ex_operation_, .Lfunc_end164-_ZN12_GLOBAL__N_120geam_min_plus_kernelId15HIP_vector_typeIdLj2EEdLi32ELi8ELi128ELi128ELi4ELi4ELi64ELi4ELi64ELc84ELc78ELb0ELb0ELb1EdKddEEviiiT16_PT17_ilS6_ilS4_S6_ilPT18_ili26rocblas_geam_ex_operation_
                                        ; -- End function
	.set _ZN12_GLOBAL__N_120geam_min_plus_kernelId15HIP_vector_typeIdLj2EEdLi32ELi8ELi128ELi128ELi4ELi4ELi64ELi4ELi64ELc84ELc78ELb0ELb0ELb1EdKddEEviiiT16_PT17_ilS6_ilS4_S6_ilPT18_ili26rocblas_geam_ex_operation_.num_vgpr, 256
	.set _ZN12_GLOBAL__N_120geam_min_plus_kernelId15HIP_vector_typeIdLj2EEdLi32ELi8ELi128ELi128ELi4ELi4ELi64ELi4ELi64ELc84ELc78ELb0ELb0ELb1EdKddEEviiiT16_PT17_ilS6_ilS4_S6_ilPT18_ili26rocblas_geam_ex_operation_.num_agpr, 2
	.set _ZN12_GLOBAL__N_120geam_min_plus_kernelId15HIP_vector_typeIdLj2EEdLi32ELi8ELi128ELi128ELi4ELi4ELi64ELi4ELi64ELc84ELc78ELb0ELb0ELb1EdKddEEviiiT16_PT17_ilS6_ilS4_S6_ilPT18_ili26rocblas_geam_ex_operation_.numbered_sgpr, 30
	.set _ZN12_GLOBAL__N_120geam_min_plus_kernelId15HIP_vector_typeIdLj2EEdLi32ELi8ELi128ELi128ELi4ELi4ELi64ELi4ELi64ELc84ELc78ELb0ELb0ELb1EdKddEEviiiT16_PT17_ilS6_ilS4_S6_ilPT18_ili26rocblas_geam_ex_operation_.num_named_barrier, 0
	.set _ZN12_GLOBAL__N_120geam_min_plus_kernelId15HIP_vector_typeIdLj2EEdLi32ELi8ELi128ELi128ELi4ELi4ELi64ELi4ELi64ELc84ELc78ELb0ELb0ELb1EdKddEEviiiT16_PT17_ilS6_ilS4_S6_ilPT18_ili26rocblas_geam_ex_operation_.private_seg_size, 0
	.set _ZN12_GLOBAL__N_120geam_min_plus_kernelId15HIP_vector_typeIdLj2EEdLi32ELi8ELi128ELi128ELi4ELi4ELi64ELi4ELi64ELc84ELc78ELb0ELb0ELb1EdKddEEviiiT16_PT17_ilS6_ilS4_S6_ilPT18_ili26rocblas_geam_ex_operation_.uses_vcc, 1
	.set _ZN12_GLOBAL__N_120geam_min_plus_kernelId15HIP_vector_typeIdLj2EEdLi32ELi8ELi128ELi128ELi4ELi4ELi64ELi4ELi64ELc84ELc78ELb0ELb0ELb1EdKddEEviiiT16_PT17_ilS6_ilS4_S6_ilPT18_ili26rocblas_geam_ex_operation_.uses_flat_scratch, 0
	.set _ZN12_GLOBAL__N_120geam_min_plus_kernelId15HIP_vector_typeIdLj2EEdLi32ELi8ELi128ELi128ELi4ELi4ELi64ELi4ELi64ELc84ELc78ELb0ELb0ELb1EdKddEEviiiT16_PT17_ilS6_ilS4_S6_ilPT18_ili26rocblas_geam_ex_operation_.has_dyn_sized_stack, 0
	.set _ZN12_GLOBAL__N_120geam_min_plus_kernelId15HIP_vector_typeIdLj2EEdLi32ELi8ELi128ELi128ELi4ELi4ELi64ELi4ELi64ELc84ELc78ELb0ELb0ELb1EdKddEEviiiT16_PT17_ilS6_ilS4_S6_ilPT18_ili26rocblas_geam_ex_operation_.has_recursion, 0
	.set _ZN12_GLOBAL__N_120geam_min_plus_kernelId15HIP_vector_typeIdLj2EEdLi32ELi8ELi128ELi128ELi4ELi4ELi64ELi4ELi64ELc84ELc78ELb0ELb0ELb1EdKddEEviiiT16_PT17_ilS6_ilS4_S6_ilPT18_ili26rocblas_geam_ex_operation_.has_indirect_call, 0
	.section	.AMDGPU.csdata,"",@progbits
; Kernel info:
; codeLenInByte = 25604
; TotalNumSgprs: 36
; NumVgprs: 256
; NumAgprs: 2
; TotalNumVgprs: 258
; ScratchSize: 0
; MemoryBound: 0
; FloatMode: 240
; IeeeMode: 1
; LDSByteSize: 16384 bytes/workgroup (compile time only)
; SGPRBlocks: 4
; VGPRBlocks: 32
; NumSGPRsForWavesPerEU: 36
; NumVGPRsForWavesPerEU: 258
; AccumOffset: 256
; Occupancy: 1
; WaveLimiterHint : 0
; COMPUTE_PGM_RSRC2:SCRATCH_EN: 0
; COMPUTE_PGM_RSRC2:USER_SGPR: 2
; COMPUTE_PGM_RSRC2:TRAP_HANDLER: 0
; COMPUTE_PGM_RSRC2:TGID_X_EN: 1
; COMPUTE_PGM_RSRC2:TGID_Y_EN: 0
; COMPUTE_PGM_RSRC2:TGID_Z_EN: 1
; COMPUTE_PGM_RSRC2:TIDIG_COMP_CNT: 1
; COMPUTE_PGM_RSRC3_GFX90A:ACCUM_OFFSET: 63
; COMPUTE_PGM_RSRC3_GFX90A:TG_SPLIT: 0
	.section	.text._ZN12_GLOBAL__N_120geam_min_plus_kernelId15HIP_vector_typeIdLj2EEdLi32ELi8ELi128ELi128ELi4ELi4ELi64ELi4ELi64ELc84ELc78ELb0ELb1ELb1EPKdS3_dEEviiiT16_PT17_ilS7_ilS5_S7_ilPT18_ili26rocblas_geam_ex_operation_,"axG",@progbits,_ZN12_GLOBAL__N_120geam_min_plus_kernelId15HIP_vector_typeIdLj2EEdLi32ELi8ELi128ELi128ELi4ELi4ELi64ELi4ELi64ELc84ELc78ELb0ELb1ELb1EPKdS3_dEEviiiT16_PT17_ilS7_ilS5_S7_ilPT18_ili26rocblas_geam_ex_operation_,comdat
	.globl	_ZN12_GLOBAL__N_120geam_min_plus_kernelId15HIP_vector_typeIdLj2EEdLi32ELi8ELi128ELi128ELi4ELi4ELi64ELi4ELi64ELc84ELc78ELb0ELb1ELb1EPKdS3_dEEviiiT16_PT17_ilS7_ilS5_S7_ilPT18_ili26rocblas_geam_ex_operation_ ; -- Begin function _ZN12_GLOBAL__N_120geam_min_plus_kernelId15HIP_vector_typeIdLj2EEdLi32ELi8ELi128ELi128ELi4ELi4ELi64ELi4ELi64ELc84ELc78ELb0ELb1ELb1EPKdS3_dEEviiiT16_PT17_ilS7_ilS5_S7_ilPT18_ili26rocblas_geam_ex_operation_
	.p2align	8
	.type	_ZN12_GLOBAL__N_120geam_min_plus_kernelId15HIP_vector_typeIdLj2EEdLi32ELi8ELi128ELi128ELi4ELi4ELi64ELi4ELi64ELc84ELc78ELb0ELb1ELb1EPKdS3_dEEviiiT16_PT17_ilS7_ilS5_S7_ilPT18_ili26rocblas_geam_ex_operation_,@function
_ZN12_GLOBAL__N_120geam_min_plus_kernelId15HIP_vector_typeIdLj2EEdLi32ELi8ELi128ELi128ELi4ELi4ELi64ELi4ELi64ELc84ELc78ELb0ELb1ELb1EPKdS3_dEEviiiT16_PT17_ilS7_ilS5_S7_ilPT18_ili26rocblas_geam_ex_operation_: ; @_ZN12_GLOBAL__N_120geam_min_plus_kernelId15HIP_vector_typeIdLj2EEdLi32ELi8ELi128ELi128ELi4ELi4ELi64ELi4ELi64ELc84ELc78ELb0ELb1ELb1EPKdS3_dEEviiiT16_PT17_ilS7_ilS5_S7_ilPT18_ili26rocblas_geam_ex_operation_
; %bb.0:
	s_load_dwordx4 s[12:15], s[0:1], 0x10
	s_load_dwordx4 s[4:7], s[0:1], 0x28
	;; [unrolled: 1-line block ×3, first 2 shown]
	s_mov_b32 s26, s3
	s_mov_b32 s27, 0
	s_lshl_b64 s[16:17], s[26:27], 3
	s_waitcnt lgkmcnt(0)
	s_add_u32 s18, s12, s16
	s_addc_u32 s19, s13, s17
	s_load_dwordx2 s[28:29], s[18:19], 0x0
	s_load_dwordx2 s[12:13], s[0:1], 0x50
	s_add_u32 s10, s10, s16
	s_addc_u32 s11, s11, s17
	s_mov_b64 s[30:31], 0
	s_waitcnt lgkmcnt(0)
	v_cmp_eq_f64_e64 s[18:19], s[28:29], 0
	v_cmp_neq_f64_e64 s[16:17], s[28:29], 0
	s_and_b64 vcc, exec, s[18:19]
	s_mov_b64 s[34:35], 0
	s_cbranch_vccnz .LBB165_2
; %bb.1:
	s_mul_i32 s3, s5, s26
	s_mul_hi_u32 s5, s4, s26
	s_add_i32 s5, s5, s3
	s_mul_i32 s4, s4, s26
	s_lshl_b64 s[4:5], s[4:5], 3
	s_add_u32 s34, s14, s4
	s_addc_u32 s35, s15, s5
.LBB165_2:
	s_load_dwordx2 s[20:21], s[10:11], 0x0
	s_andn2_b64 vcc, exec, s[16:17]
	s_cbranch_vccnz .LBB165_4
; %bb.3:
	s_mul_i32 s3, s9, s26
	s_mul_hi_u32 s4, s8, s26
	s_add_i32 s5, s4, s3
	s_mul_i32 s4, s8, s26
	s_lshl_b64 s[4:5], s[4:5], 3
	s_add_u32 s30, s6, s4
	s_addc_u32 s31, s7, s5
.LBB165_4:
	s_load_dwordx4 s[16:19], s[0:1], 0x60
	s_waitcnt lgkmcnt(0)
	v_cmp_eq_f64_e64 s[4:5], s[20:21], 0
	s_mov_b64 s[22:23], 0
	v_cmp_neq_f64_e64 s[24:25], s[20:21], 0
	s_and_b64 vcc, exec, s[4:5]
	s_cbranch_vccnz .LBB165_6
; %bb.5:
	s_mul_i32 s3, s17, s26
	s_mul_hi_u32 s4, s16, s26
	s_add_i32 s5, s4, s3
	s_mul_i32 s4, s16, s26
	s_lshl_b64 s[4:5], s[4:5], 3
	s_add_u32 s22, s12, s4
	s_addc_u32 s23, s13, s5
.LBB165_6:
	s_load_dwordx4 s[12:15], s[0:1], 0x0
	s_load_dword s36, s[0:1], 0x20
	v_and_b32_e32 v182, 0x3ff, v0
	v_bfe_u32 v183, v0, 10, 10
	v_and_b32_e32 v190, 3, v0
	s_waitcnt lgkmcnt(0)
	s_add_i32 s3, s12, -1
	s_ashr_i32 s4, s3, 31
	s_lshr_b32 s4, s4, 25
	s_add_i32 s3, s3, s4
	s_ashr_i32 s3, s3, 7
	s_add_i32 s4, s3, 1
	v_cvt_f32_u32_e32 v1, s4
	s_not_b32 s3, s3
	v_lshl_add_u32 v0, v183, 5, v182
	v_lshrrev_b32_e32 v12, 2, v0
	v_rcp_iflag_f32_e32 v1, v1
	v_cmp_le_i32_e64 s[8:9], s14, v190
	v_cmp_eq_f64_e64 s[16:17], s[28:29], 0
	v_mov_b32_e32 v2, 0x7fefffff
	v_mul_f32_e32 v1, 0x4f7ffffe, v1
	v_cvt_u32_f32_e32 v1, v1
	s_nop 0
	v_readfirstlane_b32 s5, v1
	s_mul_i32 s3, s3, s5
	s_mul_hi_u32 s3, s5, s3
	s_add_i32 s5, s5, s3
	s_mul_hi_u32 s3, s2, s5
	s_mul_i32 s5, s3, s4
	s_sub_i32 s5, s2, s5
	s_add_i32 s6, s3, 1
	s_sub_i32 s7, s5, s4
	s_cmp_ge_u32 s5, s4
	s_cselect_b32 s3, s6, s3
	s_cselect_b32 s5, s7, s5
	s_add_i32 s6, s3, 1
	s_cmp_ge_u32 s5, s4
	s_cselect_b32 s6, s6, s3
	s_mul_i32 s3, s6, s4
	s_sub_i32 s2, s2, s3
	s_lshl_b32 s27, s2, 7
	s_add_i32 s15, s14, -1
	v_add_u32_e32 v108, s27, v12
	v_min_i32_e32 v4, s15, v190
	v_cmp_le_i32_e32 vcc, s12, v108
	v_ashrrev_i32_e32 v5, 31, v4
	s_or_b64 s[2:3], s[8:9], vcc
	v_lshl_add_u64 v[6:7], v[4:5], 3, s[34:35]
	v_cndmask_b32_e64 v1, 0, v2, s[2:3]
	s_nor_b64 s[4:5], s[16:17], s[2:3]
	v_cndmask_b32_e64 v0, 0, -1, s[2:3]
	s_and_saveexec_b64 s[2:3], s[4:5]
	s_cbranch_execz .LBB165_8
; %bb.7:
	v_mad_i64_i32 v[0:1], s[4:5], v108, s36, 0
	v_lshl_add_u64 v[0:1], v[0:1], 3, v[6:7]
	global_load_dwordx2 v[0:1], v[0:1], off
	s_waitcnt vmcnt(0)
	v_mul_f64 v[0:1], s[28:29], v[0:1]
.LBB165_8:
	s_or_b64 exec, exec, s[2:3]
	v_add_u32_e32 v109, 64, v108
	v_cmp_le_i32_e64 s[2:3], s12, v109
	s_or_b64 s[4:5], s[8:9], s[2:3]
	v_cndmask_b32_e64 v3, 0, v2, s[4:5]
	s_nor_b64 s[10:11], s[16:17], s[4:5]
	v_cndmask_b32_e64 v2, 0, -1, s[4:5]
	s_and_saveexec_b64 s[4:5], s[10:11]
	s_cbranch_execz .LBB165_10
; %bb.9:
	v_mad_i64_i32 v[2:3], s[10:11], v109, s36, 0
	v_lshl_add_u64 v[2:3], v[2:3], 3, v[6:7]
	global_load_dwordx2 v[2:3], v[2:3], off
	s_waitcnt vmcnt(0)
	v_mul_f64 v[2:3], s[28:29], v[2:3]
.LBB165_10:
	s_or_b64 exec, exec, s[4:5]
	s_load_dword s38, s[0:1], 0x38
	s_lshl_b32 s33, s6, 7
	v_add_u32_e32 v110, s33, v12
	v_cmp_le_i32_e64 s[4:5], s13, v110
	v_mov_b32_e32 v6, 0x7fefffff
	s_or_b64 s[6:7], s[8:9], s[4:5]
	v_lshl_add_u64 v[8:9], v[4:5], 3, s[30:31]
	v_cndmask_b32_e64 v5, 0, v6, s[6:7]
	s_nor_b64 s[10:11], s[16:17], s[6:7]
	v_cndmask_b32_e64 v4, 0, -1, s[6:7]
	s_and_saveexec_b64 s[6:7], s[10:11]
	s_cbranch_execz .LBB165_12
; %bb.11:
	s_waitcnt lgkmcnt(0)
	v_mad_i64_i32 v[4:5], s[10:11], v110, s38, 0
	v_lshl_add_u64 v[4:5], v[4:5], 3, v[8:9]
	global_load_dwordx2 v[4:5], v[4:5], off
	s_waitcnt vmcnt(0)
	v_mul_f64 v[4:5], s[28:29], v[4:5]
.LBB165_12:
	s_or_b64 exec, exec, s[6:7]
	v_add_u32_e32 v111, 64, v110
	v_cmp_le_i32_e64 s[6:7], s13, v111
	s_or_b64 s[8:9], s[8:9], s[6:7]
	v_cndmask_b32_e64 v7, 0, v6, s[8:9]
	s_nor_b64 s[10:11], s[16:17], s[8:9]
	v_cndmask_b32_e64 v6, 0, -1, s[8:9]
	s_and_saveexec_b64 s[8:9], s[10:11]
	s_cbranch_execz .LBB165_14
; %bb.13:
	s_waitcnt lgkmcnt(0)
	v_mad_i64_i32 v[6:7], s[10:11], v111, s38, 0
	v_lshl_add_u64 v[6:7], v[6:7], 3, v[8:9]
	global_load_dwordx2 v[6:7], v[6:7], off
	s_waitcnt vmcnt(0)
	v_mul_f64 v[6:7], s[28:29], v[6:7]
.LBB165_14:
	s_or_b64 exec, exec, s[8:9]
	v_or_b32_e32 v8, 4, v190
	v_cmp_le_i32_e64 s[8:9], s14, v8
	v_min_i32_e32 v8, s15, v8
	v_ashrrev_i32_e32 v9, 31, v8
	v_mov_b32_e32 v13, 0x7fefffff
	s_or_b64 s[10:11], s[8:9], vcc
	v_lshl_add_u64 v[10:11], v[8:9], 3, s[34:35]
	v_cndmask_b32_e64 v101, 0, v13, s[10:11]
	s_nor_b64 s[40:41], s[16:17], s[10:11]
	v_cndmask_b32_e64 v100, 0, -1, s[10:11]
	s_and_saveexec_b64 s[10:11], s[40:41]
	s_cbranch_execz .LBB165_16
; %bb.15:
	v_mad_i64_i32 v[14:15], s[40:41], v108, s36, 0
	v_lshl_add_u64 v[14:15], v[14:15], 3, v[10:11]
	global_load_dwordx2 v[14:15], v[14:15], off
	s_waitcnt vmcnt(0)
	v_mul_f64 v[100:101], s[28:29], v[14:15]
.LBB165_16:
	s_or_b64 exec, exec, s[10:11]
	s_or_b64 s[10:11], s[8:9], s[2:3]
	v_cndmask_b32_e64 v103, 0, v13, s[10:11]
	s_nor_b64 s[40:41], s[16:17], s[10:11]
	v_cndmask_b32_e64 v102, 0, -1, s[10:11]
	s_and_saveexec_b64 s[10:11], s[40:41]
	s_cbranch_execz .LBB165_18
; %bb.17:
	v_mad_i64_i32 v[14:15], s[40:41], v109, s36, 0
	v_lshl_add_u64 v[10:11], v[14:15], 3, v[10:11]
	global_load_dwordx2 v[10:11], v[10:11], off
	s_waitcnt vmcnt(0)
	v_mul_f64 v[102:103], s[28:29], v[10:11]
.LBB165_18:
	s_or_b64 exec, exec, s[10:11]
	v_mov_b32_e32 v10, 0x7fefffff
	s_or_b64 s[10:11], s[8:9], s[4:5]
	v_lshl_add_u64 v[8:9], v[8:9], 3, s[30:31]
	v_cndmask_b32_e64 v105, 0, v10, s[10:11]
	s_nor_b64 s[40:41], s[16:17], s[10:11]
	v_cndmask_b32_e64 v104, 0, -1, s[10:11]
	s_and_saveexec_b64 s[10:11], s[40:41]
	s_cbranch_execz .LBB165_20
; %bb.19:
	s_waitcnt lgkmcnt(0)
	v_mad_i64_i32 v[14:15], s[40:41], v110, s38, 0
	v_lshl_add_u64 v[14:15], v[14:15], 3, v[8:9]
	global_load_dwordx2 v[14:15], v[14:15], off
	s_waitcnt vmcnt(0)
	v_mul_f64 v[104:105], s[28:29], v[14:15]
.LBB165_20:
	s_or_b64 exec, exec, s[10:11]
	s_or_b64 s[8:9], s[8:9], s[6:7]
	v_cndmask_b32_e64 v107, 0, v10, s[8:9]
	s_nor_b64 s[10:11], s[16:17], s[8:9]
	v_cndmask_b32_e64 v106, 0, -1, s[8:9]
	s_and_saveexec_b64 s[8:9], s[10:11]
	s_cbranch_execz .LBB165_22
; %bb.21:
	s_waitcnt lgkmcnt(0)
	v_mad_i64_i32 v[10:11], s[10:11], v111, s38, 0
	v_lshl_add_u64 v[8:9], v[10:11], 3, v[8:9]
	global_load_dwordx2 v[8:9], v[8:9], off
	s_waitcnt vmcnt(0)
	v_mul_f64 v[106:107], s[28:29], v[8:9]
.LBB165_22:
	s_or_b64 exec, exec, s[8:9]
	v_lshlrev_b32_e32 v8, 5, v12
	v_lshl_or_b32 v197, v190, 3, v8
	v_lshlrev_b32_e32 v192, 5, v182
	ds_write2st64_b64 v197, v[0:1], v[2:3] offset1:4
	ds_write2st64_b64 v197, v[4:5], v[6:7] offset0:16 offset1:20
	s_waitcnt lgkmcnt(0)
	s_barrier
	v_lshlrev_b32_e32 v189, 5, v183
	ds_read_b128 v[16:19], v192 offset:1024
	ds_read_b128 v[12:15], v192 offset:2048
	;; [unrolled: 1-line block ×16, first 2 shown]
	ds_read_b128 v[24:27], v192
	ds_read_b128 v[96:99], v189 offset:8192
	ds_read_b128 v[28:31], v189 offset:11776
	;; [unrolled: 1-line block ×5, first 2 shown]
	s_waitcnt lgkmcnt(5)
	v_add_f64 v[114:115], v[26:27], v[94:95]
	v_add_f64 v[116:117], v[24:25], v[92:93]
	s_mov_b32 s8, 0x7f800000
	v_cvt_f32_f64_e32 v113, v[116:117]
	v_cvt_f32_f64_e32 v114, v[114:115]
	v_min3_f32 v172, v113, v114, s8
	v_add_f64 v[114:115], v[18:19], v[94:95]
	v_add_f64 v[116:117], v[16:17], v[92:93]
	v_cvt_f32_f64_e32 v113, v[116:117]
	v_cvt_f32_f64_e32 v114, v[114:115]
	v_min3_f32 v173, v113, v114, s8
	v_add_f64 v[114:115], v[14:15], v[94:95]
	v_add_f64 v[116:117], v[12:13], v[92:93]
	;; [unrolled: 5-line block ×36, first 2 shown]
	s_waitcnt lgkmcnt(4)
	v_add_f64 v[48:49], v[26:27], v[98:99]
	v_add_f64 v[50:51], v[24:25], v[96:97]
	v_cvt_f32_f64_e32 v113, v[116:117]
	v_cvt_f32_f64_e32 v114, v[114:115]
	;; [unrolled: 1-line block ×4, first 2 shown]
	v_min3_f32 v122, v113, v114, s8
	v_add_f64 v[114:115], v[18:19], v[34:35]
	v_add_f64 v[116:117], v[16:17], v[32:33]
	v_min3_f32 v112, v50, v48, s8
	v_add_f64 v[48:49], v[18:19], v[98:99]
	v_add_f64 v[50:51], v[16:17], v[96:97]
	v_cvt_f32_f64_e32 v113, v[116:117]
	v_cvt_f32_f64_e32 v114, v[114:115]
	;; [unrolled: 1-line block ×4, first 2 shown]
	v_min3_f32 v120, v113, v114, s8
	v_add_f64 v[114:115], v[14:15], v[34:35]
	v_add_f64 v[116:117], v[12:13], v[32:33]
	ds_read_b128 v[52:55], v192 offset:1040
	v_min3_f32 v165, v50, v48, s8
	v_add_f64 v[48:49], v[14:15], v[98:99]
	v_add_f64 v[50:51], v[12:13], v[96:97]
	v_cvt_f32_f64_e32 v113, v[116:117]
	v_cvt_f32_f64_e32 v114, v[114:115]
	s_waitcnt lgkmcnt(4)
	v_add_f64 v[166:167], v[26:27], v[30:31]
	v_add_f64 v[168:169], v[24:25], v[28:29]
	v_cvt_f32_f64_e32 v50, v[50:51]
	v_cvt_f32_f64_e32 v48, v[48:49]
	v_min3_f32 v117, v113, v114, s8
	v_cvt_f32_f64_e32 v113, v[168:169]
	v_cvt_f32_f64_e32 v114, v[166:167]
	v_add_f64 v[166:167], v[18:19], v[30:31]
	v_add_f64 v[168:169], v[16:17], v[28:29]
	ds_read_b128 v[56:59], v192 offset:2064
	v_min3_f32 v170, v50, v48, s8
	ds_read_b128 v[48:51], v192 offset:3088
	v_add_f64 v[98:99], v[10:11], v[98:99]
	v_add_f64 v[96:97], v[8:9], v[96:97]
	;; [unrolled: 1-line block ×28, first 2 shown]
	v_min3_f32 v118, v113, v114, s8
	v_cvt_f32_f64_e32 v113, v[168:169]
	v_cvt_f32_f64_e32 v114, v[166:167]
	v_add_f64 v[166:167], v[14:15], v[30:31]
	v_add_f64 v[168:169], v[12:13], v[28:29]
	;; [unrolled: 1-line block ×4, first 2 shown]
	s_waitcnt lgkmcnt(5)
	v_add_f64 v[14:15], v[14:15], v[22:23]
	v_add_f64 v[12:13], v[12:13], v[20:21]
	;; [unrolled: 1-line block ×4, first 2 shown]
	v_cvt_f32_f64_e32 v96, v[96:97]
	v_cvt_f32_f64_e32 v97, v[98:99]
	;; [unrolled: 1-line block ×6, first 2 shown]
	s_waitcnt lgkmcnt(3)
	v_add_f64 v[10:11], v[2:3], v[6:7]
	v_add_f64 v[14:15], v[0:1], v[4:5]
	v_min3_f32 v171, v96, v97, s8
	ds_read_b128 v[96:99], v189 offset:8464
	v_min3_f32 v116, v113, v114, s8
	v_cvt_f32_f64_e32 v113, v[168:169]
	v_cvt_f32_f64_e32 v114, v[166:167]
	;; [unrolled: 1-line block ×4, first 2 shown]
	v_min3_f32 v8, v8, v9, s8
	v_cvt_f32_f64_e32 v9, v[14:15]
	v_cvt_f32_f64_e32 v10, v[10:11]
	v_min3_f32 v114, v113, v114, s8
	v_min3_f32 v113, v28, v29, s8
	ds_read_b128 v[28:31], v189 offset:12048
	v_min3_f32 v252, v9, v10, v112
	s_waitcnt lgkmcnt(4)
	v_add_f64 v[10:11], v[54:55], v[6:7]
	v_add_f64 v[14:15], v[52:53], v[4:5]
	v_cvt_f32_f64_e32 v9, v[14:15]
	v_cvt_f32_f64_e32 v10, v[10:11]
	v_min3_f32 v251, v9, v10, v165
	s_waitcnt lgkmcnt(3)
	v_add_f64 v[10:11], v[58:59], v[6:7]
	v_add_f64 v[14:15], v[56:57], v[4:5]
	s_waitcnt lgkmcnt(2)
	v_add_f64 v[6:7], v[50:51], v[6:7]
	v_add_f64 v[4:5], v[48:49], v[4:5]
	v_cvt_f32_f64_e32 v92, v[92:93]
	v_cvt_f32_f64_e32 v93, v[94:95]
	v_cvt_f32_f64_e32 v4, v[4:5]
	v_cvt_f32_f64_e32 v5, v[6:7]
	v_min3_f32 v163, v92, v93, s8
	ds_read_b128 v[92:95], v189 offset:8720
	v_min3_f32 v249, v4, v5, v171
	s_waitcnt lgkmcnt(2)
	v_add_f64 v[4:5], v[2:3], v[98:99]
	v_add_f64 v[6:7], v[0:1], v[96:97]
	v_cvt_f32_f64_e32 v6, v[6:7]
	v_cvt_f32_f64_e32 v4, v[4:5]
	v_min3_f32 v248, v6, v4, v172
	v_add_f64 v[4:5], v[54:55], v[98:99]
	v_add_f64 v[6:7], v[52:53], v[96:97]
	v_cvt_f32_f64_e32 v6, v[6:7]
	v_cvt_f32_f64_e32 v4, v[4:5]
	v_min3_f32 v242, v6, v4, v173
	v_add_f64 v[4:5], v[58:59], v[98:99]
	v_add_f64 v[6:7], v[56:57], v[96:97]
	v_cvt_f32_f64_e32 v6, v[6:7]
	v_cvt_f32_f64_e32 v4, v[4:5]
	v_min3_f32 v241, v6, v4, v174
	v_add_f64 v[4:5], v[50:51], v[98:99]
	v_add_f64 v[6:7], v[48:49], v[96:97]
	v_cvt_f32_f64_e32 v6, v[6:7]
	v_cvt_f32_f64_e32 v4, v[4:5]
	v_min3_f32 v240, v6, v4, v163
	s_waitcnt lgkmcnt(0)
	v_add_f64 v[4:5], v[2:3], v[94:95]
	v_add_f64 v[6:7], v[0:1], v[92:93]
	v_cvt_f32_f64_e32 v6, v[6:7]
	v_cvt_f32_f64_e32 v4, v[4:5]
	v_cvt_f32_f64_e32 v88, v[88:89]
	v_cvt_f32_f64_e32 v89, v[90:91]
	v_min3_f32 v239, v6, v4, v175
	v_add_f64 v[4:5], v[54:55], v[94:95]
	v_add_f64 v[6:7], v[52:53], v[92:93]
	v_min3_f32 v159, v88, v89, s8
	ds_read_b128 v[88:91], v189 offset:8976
	v_cvt_f32_f64_e32 v6, v[6:7]
	v_cvt_f32_f64_e32 v4, v[4:5]
	v_min3_f32 v238, v6, v4, v164
	v_add_f64 v[4:5], v[58:59], v[94:95]
	v_add_f64 v[6:7], v[56:57], v[92:93]
	v_cvt_f32_f64_e32 v6, v[6:7]
	v_cvt_f32_f64_e32 v4, v[4:5]
	v_min3_f32 v237, v6, v4, v161
	v_add_f64 v[4:5], v[50:51], v[94:95]
	v_add_f64 v[6:7], v[48:49], v[92:93]
	v_cvt_f32_f64_e32 v84, v[84:85]
	v_cvt_f32_f64_e32 v85, v[86:87]
	v_cvt_f32_f64_e32 v6, v[6:7]
	v_cvt_f32_f64_e32 v4, v[4:5]
	v_min3_f32 v155, v84, v85, s8
	ds_read_b128 v[84:87], v189 offset:9232
	v_min3_f32 v236, v6, v4, v159
	s_waitcnt lgkmcnt(1)
	v_add_f64 v[4:5], v[2:3], v[90:91]
	v_add_f64 v[6:7], v[0:1], v[88:89]
	v_cvt_f32_f64_e32 v6, v[6:7]
	v_cvt_f32_f64_e32 v4, v[4:5]
	v_min3_f32 v235, v6, v4, v162
	v_add_f64 v[4:5], v[54:55], v[90:91]
	v_add_f64 v[6:7], v[52:53], v[88:89]
	v_cvt_f32_f64_e32 v6, v[6:7]
	v_cvt_f32_f64_e32 v4, v[4:5]
	v_min3_f32 v234, v6, v4, v160
	v_add_f64 v[4:5], v[58:59], v[90:91]
	v_add_f64 v[6:7], v[56:57], v[88:89]
	v_cvt_f32_f64_e32 v6, v[6:7]
	v_cvt_f32_f64_e32 v4, v[4:5]
	v_min3_f32 v233, v6, v4, v157
	v_add_f64 v[4:5], v[50:51], v[90:91]
	v_add_f64 v[6:7], v[48:49], v[88:89]
	v_cvt_f32_f64_e32 v6, v[6:7]
	v_cvt_f32_f64_e32 v4, v[4:5]
	v_min3_f32 v232, v6, v4, v155
	s_waitcnt lgkmcnt(0)
	v_add_f64 v[4:5], v[2:3], v[86:87]
	v_add_f64 v[6:7], v[0:1], v[84:85]
	v_cvt_f32_f64_e32 v6, v[6:7]
	v_cvt_f32_f64_e32 v4, v[4:5]
	v_cvt_f32_f64_e32 v80, v[80:81]
	v_cvt_f32_f64_e32 v81, v[82:83]
	v_min3_f32 v231, v6, v4, v158
	v_add_f64 v[4:5], v[54:55], v[86:87]
	v_add_f64 v[6:7], v[52:53], v[84:85]
	v_min3_f32 v151, v80, v81, s8
	ds_read_b128 v[80:83], v189 offset:9488
	v_cvt_f32_f64_e32 v6, v[6:7]
	v_cvt_f32_f64_e32 v4, v[4:5]
	v_min3_f32 v230, v6, v4, v156
	v_add_f64 v[4:5], v[58:59], v[86:87]
	v_add_f64 v[6:7], v[56:57], v[84:85]
	v_cvt_f32_f64_e32 v6, v[6:7]
	v_cvt_f32_f64_e32 v4, v[4:5]
	v_min3_f32 v229, v6, v4, v153
	;; [unrolled: 50-line block ×6, first 2 shown]
	v_add_f64 v[4:5], v[50:51], v[42:43]
	v_add_f64 v[6:7], v[48:49], v[40:41]
	v_cvt_f32_f64_e32 v32, v[32:33]
	v_cvt_f32_f64_e32 v33, v[34:35]
	;; [unrolled: 1-line block ×4, first 2 shown]
	v_min3_f32 v115, v32, v33, s8
	ds_read_b128 v[32:35], v189 offset:11792
	v_min3_f32 v195, v6, v4, v119
	s_waitcnt lgkmcnt(1)
	v_add_f64 v[4:5], v[2:3], v[38:39]
	v_add_f64 v[6:7], v[0:1], v[36:37]
	v_cvt_f32_f64_e32 v6, v[6:7]
	v_cvt_f32_f64_e32 v4, v[4:5]
	v_min3_f32 v194, v6, v4, v122
	v_add_f64 v[4:5], v[54:55], v[38:39]
	v_add_f64 v[6:7], v[52:53], v[36:37]
	v_cvt_f32_f64_e32 v6, v[6:7]
	v_cvt_f32_f64_e32 v4, v[4:5]
	v_min3_f32 v193, v6, v4, v120
	;; [unrolled: 5-line block ×3, first 2 shown]
	v_add_f64 v[4:5], v[50:51], v[38:39]
	v_add_f64 v[6:7], v[48:49], v[36:37]
	;; [unrolled: 1-line block ×4, first 2 shown]
	v_cvt_f32_f64_e32 v6, v[6:7]
	v_cvt_f32_f64_e32 v4, v[4:5]
	;; [unrolled: 1-line block ×4, first 2 shown]
	v_min3_f32 v188, v6, v4, v115
	s_waitcnt lgkmcnt(0)
	v_add_f64 v[4:5], v[2:3], v[34:35]
	v_add_f64 v[6:7], v[0:1], v[32:33]
	;; [unrolled: 1-line block ×4, first 2 shown]
	v_min3_f32 v24, v24, v25, s8
	v_add_f64 v[18:19], v[18:19], v[22:23]
	v_add_f64 v[16:17], v[16:17], v[20:21]
	v_cvt_f32_f64_e32 v6, v[6:7]
	v_cvt_f32_f64_e32 v4, v[4:5]
	;; [unrolled: 1-line block ×6, first 2 shown]
	v_min3_f32 v187, v6, v4, v118
	v_add_f64 v[4:5], v[54:55], v[34:35]
	v_add_f64 v[6:7], v[52:53], v[32:33]
	v_min3_f32 v181, v0, v1, v24
	v_add_f64 v[0:1], v[54:55], v[30:31]
	v_add_f64 v[2:3], v[52:53], v[28:29]
	v_min3_f32 v16, v16, v17, s8
	v_cvt_f32_f64_e32 v6, v[6:7]
	v_cvt_f32_f64_e32 v4, v[4:5]
	;; [unrolled: 1-line block ×4, first 2 shown]
	v_min3_f32 v186, v6, v4, v116
	v_add_f64 v[4:5], v[58:59], v[34:35]
	v_add_f64 v[6:7], v[56:57], v[32:33]
	v_min3_f32 v180, v2, v0, v16
	v_add_f64 v[0:1], v[58:59], v[30:31]
	v_add_f64 v[2:3], v[56:57], v[28:29]
	v_min3_f32 v12, v12, v13, s8
	v_cvt_f32_f64_e32 v6, v[6:7]
	v_cvt_f32_f64_e32 v4, v[4:5]
	;; [unrolled: 1-line block ×4, first 2 shown]
	v_min3_f32 v185, v6, v4, v114
	v_add_f64 v[4:5], v[50:51], v[34:35]
	v_add_f64 v[6:7], v[48:49], v[32:33]
	v_min3_f32 v179, v2, v0, v12
	v_add_f64 v[0:1], v[50:51], v[30:31]
	v_add_f64 v[2:3], v[48:49], v[28:29]
	v_cvt_f32_f64_e32 v9, v[14:15]
	v_cvt_f32_f64_e32 v10, v[10:11]
	;; [unrolled: 1-line block ×6, first 2 shown]
	v_min3_f32 v250, v9, v10, v170
	v_min3_f32 v184, v6, v4, v113
	;; [unrolled: 1-line block ×3, first 2 shown]
	s_cmp_lt_i32 s14, 9
	ds_write2st64_b64 v197, v[100:101], v[102:103] offset0:8 offset1:12
	ds_write2st64_b64 v197, v[104:105], v[106:107] offset0:24 offset1:28
	s_waitcnt lgkmcnt(0)
	s_barrier
	s_cbranch_scc1 .LBB165_41
; %bb.23:
	v_mov_b32_e32 v0, 0x1000
	v_lshl_add_u32 v245, v182, 5, v0
	v_mov_b32_e32 v0, 0x3000
	v_add_u32_e32 v243, 0x2000, v189
	v_add_u32_e32 v244, 0x3000, v197
	s_add_i32 s37, s14, -8
	v_mad_i64_i32 v[160:161], s[8:9], v108, s36, 0
	v_mad_i64_i32 v[162:163], s[8:9], v109, s36, 0
	;; [unrolled: 1-line block ×4, first 2 shown]
	v_lshl_add_u32 v246, v183, 5, v0
	s_mov_b32 s36, 0
	v_mov_b32_e32 v247, 0x7fefffff
	s_branch .LBB165_25
.LBB165_24:                             ;   in Loop: Header=BB165_25 Depth=1
	s_or_b64 exec, exec, s[8:9]
	v_add_f64 v[176:177], v[94:95], v[158:159]
	v_add_f64 v[254:255], v[92:93], v[156:157]
	v_cvt_f32_f64_e32 v253, v[254:255]
	v_cvt_f32_f64_e32 v176, v[176:177]
	v_min3_f32 v254, v253, v176, v252
	v_add_f64 v[176:177], v[90:91], v[158:159]
	v_add_f64 v[252:253], v[88:89], v[156:157]
	v_cvt_f32_f64_e32 v252, v[252:253]
	v_cvt_f32_f64_e32 v176, v[176:177]
	v_min3_f32 v251, v252, v176, v251
	v_add_f64 v[176:177], v[86:87], v[158:159]
	v_add_f64 v[252:253], v[84:85], v[156:157]
	;; [unrolled: 1-line block ×4, first 2 shown]
	v_cvt_f32_f64_e32 v156, v[156:157]
	v_cvt_f32_f64_e32 v157, v[158:159]
	;; [unrolled: 1-line block ×3, first 2 shown]
	v_min3_f32 v177, v156, v157, v249
	v_add_f64 v[156:157], v[94:95], v[154:155]
	v_add_f64 v[158:159], v[92:93], v[152:153]
	v_cvt_f32_f64_e32 v158, v[158:159]
	v_cvt_f32_f64_e32 v156, v[156:157]
	v_min3_f32 v248, v158, v156, v248
	v_add_f64 v[156:157], v[90:91], v[154:155]
	v_add_f64 v[158:159], v[88:89], v[152:153]
	v_cvt_f32_f64_e32 v158, v[158:159]
	v_cvt_f32_f64_e32 v156, v[156:157]
	v_min3_f32 v242, v158, v156, v242
	v_add_f64 v[156:157], v[86:87], v[154:155]
	v_add_f64 v[158:159], v[84:85], v[152:153]
	v_add_f64 v[154:155], v[82:83], v[154:155]
	v_add_f64 v[152:153], v[80:81], v[152:153]
	v_cvt_f32_f64_e32 v152, v[152:153]
	v_cvt_f32_f64_e32 v153, v[154:155]
	v_cvt_f32_f64_e32 v156, v[156:157]
	v_min3_f32 v157, v152, v153, v240
	v_add_f64 v[152:153], v[94:95], v[150:151]
	v_add_f64 v[154:155], v[92:93], v[148:149]
	v_cvt_f32_f64_e32 v158, v[158:159]
	v_cvt_f32_f64_e32 v154, v[154:155]
	v_cvt_f32_f64_e32 v152, v[152:153]
	v_min3_f32 v156, v158, v156, v241
	v_min3_f32 v158, v154, v152, v239
	v_add_f64 v[152:153], v[90:91], v[150:151]
	v_add_f64 v[154:155], v[88:89], v[148:149]
	v_cvt_f32_f64_e32 v154, v[154:155]
	v_cvt_f32_f64_e32 v152, v[152:153]
	v_min3_f32 v159, v154, v152, v238
	v_add_f64 v[152:153], v[86:87], v[150:151]
	v_add_f64 v[154:155], v[84:85], v[148:149]
	v_add_f64 v[150:151], v[82:83], v[150:151]
	v_add_f64 v[148:149], v[80:81], v[148:149]
	v_cvt_f32_f64_e32 v148, v[148:149]
	v_cvt_f32_f64_e32 v149, v[150:151]
	v_cvt_f32_f64_e32 v152, v[152:153]
	v_min3_f32 v153, v148, v149, v236
	v_add_f64 v[148:149], v[94:95], v[146:147]
	v_add_f64 v[150:151], v[92:93], v[144:145]
	v_cvt_f32_f64_e32 v154, v[154:155]
	v_cvt_f32_f64_e32 v150, v[150:151]
	v_cvt_f32_f64_e32 v148, v[148:149]
	v_min3_f32 v152, v154, v152, v237
	v_min3_f32 v154, v150, v148, v235
	v_add_f64 v[148:149], v[90:91], v[146:147]
	v_add_f64 v[150:151], v[88:89], v[144:145]
	v_cvt_f32_f64_e32 v150, v[150:151]
	v_cvt_f32_f64_e32 v148, v[148:149]
	v_min3_f32 v155, v150, v148, v234
	v_add_f64 v[148:149], v[86:87], v[146:147]
	v_add_f64 v[150:151], v[84:85], v[144:145]
	v_add_f64 v[146:147], v[82:83], v[146:147]
	v_add_f64 v[144:145], v[80:81], v[144:145]
	v_cvt_f32_f64_e32 v144, v[144:145]
	v_cvt_f32_f64_e32 v145, v[146:147]
	v_cvt_f32_f64_e32 v148, v[148:149]
	v_min3_f32 v149, v144, v145, v232
	v_add_f64 v[144:145], v[94:95], v[142:143]
	v_add_f64 v[146:147], v[92:93], v[140:141]
	v_cvt_f32_f64_e32 v150, v[150:151]
	v_cvt_f32_f64_e32 v146, v[146:147]
	v_cvt_f32_f64_e32 v144, v[144:145]
	v_min3_f32 v148, v150, v148, v233
	v_min3_f32 v150, v146, v144, v231
	v_add_f64 v[144:145], v[90:91], v[142:143]
	v_add_f64 v[146:147], v[88:89], v[140:141]
	v_cvt_f32_f64_e32 v146, v[146:147]
	v_cvt_f32_f64_e32 v144, v[144:145]
	v_min3_f32 v151, v146, v144, v230
	v_add_f64 v[144:145], v[86:87], v[142:143]
	v_add_f64 v[146:147], v[84:85], v[140:141]
	v_add_f64 v[142:143], v[82:83], v[142:143]
	v_add_f64 v[140:141], v[80:81], v[140:141]
	v_cvt_f32_f64_e32 v140, v[140:141]
	v_cvt_f32_f64_e32 v141, v[142:143]
	v_cvt_f32_f64_e32 v144, v[144:145]
	v_min3_f32 v145, v140, v141, v228
	v_add_f64 v[140:141], v[94:95], v[138:139]
	v_add_f64 v[142:143], v[92:93], v[136:137]
	v_cvt_f32_f64_e32 v146, v[146:147]
	v_cvt_f32_f64_e32 v142, v[142:143]
	v_cvt_f32_f64_e32 v140, v[140:141]
	v_min3_f32 v144, v146, v144, v229
	v_min3_f32 v146, v142, v140, v227
	v_add_f64 v[140:141], v[90:91], v[138:139]
	v_add_f64 v[142:143], v[88:89], v[136:137]
	v_cvt_f32_f64_e32 v142, v[142:143]
	v_cvt_f32_f64_e32 v140, v[140:141]
	v_min3_f32 v147, v142, v140, v226
	v_add_f64 v[140:141], v[86:87], v[138:139]
	v_add_f64 v[142:143], v[84:85], v[136:137]
	v_add_f64 v[138:139], v[82:83], v[138:139]
	v_add_f64 v[136:137], v[80:81], v[136:137]
	v_cvt_f32_f64_e32 v136, v[136:137]
	v_cvt_f32_f64_e32 v137, v[138:139]
	v_cvt_f32_f64_e32 v140, v[140:141]
	v_min3_f32 v141, v136, v137, v224
	v_add_f64 v[136:137], v[94:95], v[134:135]
	v_add_f64 v[138:139], v[92:93], v[132:133]
	v_cvt_f32_f64_e32 v142, v[142:143]
	v_cvt_f32_f64_e32 v138, v[138:139]
	v_cvt_f32_f64_e32 v136, v[136:137]
	v_min3_f32 v140, v142, v140, v225
	v_min3_f32 v142, v138, v136, v223
	v_add_f64 v[136:137], v[90:91], v[134:135]
	v_add_f64 v[138:139], v[88:89], v[132:133]
	v_cvt_f32_f64_e32 v138, v[138:139]
	v_cvt_f32_f64_e32 v136, v[136:137]
	v_min3_f32 v143, v138, v136, v222
	v_add_f64 v[136:137], v[86:87], v[134:135]
	v_add_f64 v[138:139], v[84:85], v[132:133]
	v_add_f64 v[134:135], v[82:83], v[134:135]
	v_add_f64 v[132:133], v[80:81], v[132:133]
	v_cvt_f32_f64_e32 v132, v[132:133]
	v_cvt_f32_f64_e32 v133, v[134:135]
	v_cvt_f32_f64_e32 v136, v[136:137]
	v_min3_f32 v137, v132, v133, v220
	v_add_f64 v[132:133], v[94:95], v[130:131]
	v_add_f64 v[134:135], v[92:93], v[128:129]
	v_cvt_f32_f64_e32 v138, v[138:139]
	v_cvt_f32_f64_e32 v134, v[134:135]
	v_cvt_f32_f64_e32 v132, v[132:133]
	v_min3_f32 v136, v138, v136, v221
	v_min3_f32 v138, v134, v132, v219
	v_add_f64 v[132:133], v[90:91], v[130:131]
	v_add_f64 v[134:135], v[88:89], v[128:129]
	v_cvt_f32_f64_e32 v134, v[134:135]
	v_cvt_f32_f64_e32 v132, v[132:133]
	v_min3_f32 v139, v134, v132, v218
	v_add_f64 v[132:133], v[86:87], v[130:131]
	v_add_f64 v[134:135], v[84:85], v[128:129]
	v_add_f64 v[130:131], v[82:83], v[130:131]
	v_add_f64 v[128:129], v[80:81], v[128:129]
	v_cvt_f32_f64_e32 v128, v[128:129]
	v_cvt_f32_f64_e32 v129, v[130:131]
	v_cvt_f32_f64_e32 v132, v[132:133]
	v_min3_f32 v133, v128, v129, v216
	v_add_f64 v[128:129], v[94:95], v[126:127]
	v_add_f64 v[130:131], v[92:93], v[124:125]
	v_cvt_f32_f64_e32 v134, v[134:135]
	v_cvt_f32_f64_e32 v130, v[130:131]
	v_cvt_f32_f64_e32 v128, v[128:129]
	v_min3_f32 v132, v134, v132, v217
	v_min3_f32 v134, v130, v128, v215
	v_add_f64 v[128:129], v[90:91], v[126:127]
	v_add_f64 v[130:131], v[88:89], v[124:125]
	v_cvt_f32_f64_e32 v130, v[130:131]
	v_cvt_f32_f64_e32 v128, v[128:129]
	v_min3_f32 v135, v130, v128, v214
	v_add_f64 v[128:129], v[86:87], v[126:127]
	v_add_f64 v[130:131], v[84:85], v[124:125]
	v_add_f64 v[126:127], v[82:83], v[126:127]
	v_add_f64 v[124:125], v[80:81], v[124:125]
	v_cvt_f32_f64_e32 v124, v[124:125]
	v_cvt_f32_f64_e32 v125, v[126:127]
	v_min3_f32 v212, v124, v125, v212
	v_add_f64 v[124:125], v[94:95], v[122:123]
	v_add_f64 v[126:127], v[92:93], v[120:121]
	v_cvt_f32_f64_e32 v126, v[126:127]
	v_cvt_f32_f64_e32 v124, v[124:125]
	v_min3_f32 v211, v126, v124, v211
	v_add_f64 v[124:125], v[90:91], v[122:123]
	v_add_f64 v[126:127], v[88:89], v[120:121]
	v_cvt_f32_f64_e32 v126, v[126:127]
	v_cvt_f32_f64_e32 v124, v[124:125]
	v_min3_f32 v210, v126, v124, v210
	v_add_f64 v[124:125], v[86:87], v[122:123]
	v_add_f64 v[126:127], v[84:85], v[120:121]
	v_add_f64 v[122:123], v[82:83], v[122:123]
	v_add_f64 v[120:121], v[80:81], v[120:121]
	v_cvt_f32_f64_e32 v120, v[120:121]
	v_cvt_f32_f64_e32 v121, v[122:123]
	v_min3_f32 v208, v120, v121, v208
	v_add_f64 v[120:121], v[94:95], v[118:119]
	v_add_f64 v[122:123], v[92:93], v[116:117]
	v_cvt_f32_f64_e32 v122, v[122:123]
	v_cvt_f32_f64_e32 v120, v[120:121]
	;; [unrolled: 17-line block ×6, first 2 shown]
	v_min3_f32 v187, v106, v104, v187
	v_add_f64 v[104:105], v[90:91], v[102:103]
	v_add_f64 v[106:107], v[88:89], v[100:101]
	v_cvt_f32_f64_e32 v106, v[106:107]
	v_cvt_f32_f64_e32 v104, v[104:105]
	v_min3_f32 v186, v106, v104, v186
	v_add_f64 v[104:105], v[86:87], v[102:103]
	v_add_f64 v[106:107], v[84:85], v[100:101]
	;; [unrolled: 1-line block ×8, first 2 shown]
	v_cvt_f32_f64_e32 v84, v[84:85]
	v_cvt_f32_f64_e32 v85, v[86:87]
	;; [unrolled: 1-line block ×4, first 2 shown]
	v_min3_f32 v84, v84, v85, v179
	v_min3_f32 v85, v80, v81, v178
	v_add_f64 v[80:81], v[14:15], v[78:79]
	v_add_f64 v[82:83], v[12:13], v[76:77]
	v_cvt_f32_f64_e32 v82, v[82:83]
	v_cvt_f32_f64_e32 v80, v[80:81]
	v_min3_f32 v179, v82, v80, v254
	v_add_f64 v[80:81], v[10:11], v[78:79]
	v_add_f64 v[82:83], v[8:9], v[76:77]
	v_cvt_f32_f64_e32 v100, v[100:101]
	v_cvt_f32_f64_e32 v101, v[102:103]
	v_cvt_f32_f64_e32 v82, v[82:83]
	v_cvt_f32_f64_e32 v80, v[80:81]
	v_min3_f32 v184, v100, v101, v184
	v_min3_f32 v100, v82, v80, v251
	v_add_f64 v[80:81], v[6:7], v[78:79]
	v_add_f64 v[82:83], v[4:5], v[76:77]
	v_add_f64 v[78:79], v[2:3], v[78:79]
	v_add_f64 v[76:77], v[0:1], v[76:77]
	v_cvt_f32_f64_e32 v76, v[76:77]
	v_cvt_f32_f64_e32 v77, v[78:79]
	v_min3_f32 v102, v76, v77, v177
	v_add_f64 v[76:77], v[14:15], v[74:75]
	v_add_f64 v[78:79], v[12:13], v[72:73]
	v_cvt_f32_f64_e32 v78, v[78:79]
	v_cvt_f32_f64_e32 v76, v[76:77]
	v_min3_f32 v103, v78, v76, v248
	v_add_f64 v[76:77], v[10:11], v[74:75]
	v_add_f64 v[78:79], v[8:9], v[72:73]
	v_cvt_f32_f64_e32 v106, v[106:107]
	v_cvt_f32_f64_e32 v104, v[104:105]
	v_cvt_f32_f64_e32 v78, v[78:79]
	v_cvt_f32_f64_e32 v76, v[76:77]
	v_min3_f32 v185, v106, v104, v185
	v_min3_f32 v104, v78, v76, v242
	v_add_f64 v[76:77], v[6:7], v[74:75]
	v_add_f64 v[78:79], v[4:5], v[72:73]
	v_add_f64 v[74:75], v[2:3], v[74:75]
	v_add_f64 v[72:73], v[0:1], v[72:73]
	v_cvt_f32_f64_e32 v72, v[72:73]
	v_cvt_f32_f64_e32 v73, v[74:75]
	;; [unrolled: 20-line block ×14, first 2 shown]
	v_min3_f32 v154, v24, v25, v188
	v_add_f64 v[24:25], v[14:15], v[22:23]
	v_add_f64 v[26:27], v[12:13], v[20:21]
	v_cvt_f32_f64_e32 v26, v[26:27]
	v_cvt_f32_f64_e32 v24, v[24:25]
	v_min3_f32 v155, v26, v24, v187
	v_add_f64 v[24:25], v[10:11], v[22:23]
	v_add_f64 v[26:27], v[8:9], v[20:21]
	;; [unrolled: 1-line block ×6, first 2 shown]
	v_cvt_f32_f64_e32 v78, v[78:79]
	v_cvt_f32_f64_e32 v76, v[76:77]
	;; [unrolled: 1-line block ×9, first 2 shown]
	v_min3_f32 v105, v78, v76, v156
	v_min3_f32 v156, v26, v24, v186
	v_add_f64 v[24:25], v[6:7], v[22:23]
	v_add_f64 v[26:27], v[4:5], v[20:21]
	;; [unrolled: 1-line block ×12, first 2 shown]
	v_min3_f32 v176, v252, v176, v250
	v_min3_f32 v92, v92, v93, v181
	;; [unrolled: 1-line block ×3, first 2 shown]
	v_cvt_f32_f64_e32 v82, v[82:83]
	v_cvt_f32_f64_e32 v80, v[80:81]
	;; [unrolled: 1-line block ×24, first 2 shown]
	v_min3_f32 v101, v82, v80, v176
	v_min3_f32 v133, v50, v48, v213
	v_min3_f32 v137, v46, v44, v209
	v_min3_f32 v141, v42, v40, v205
	v_min3_f32 v145, v38, v36, v201
	v_min3_f32 v149, v34, v32, v196
	v_min3_f32 v153, v30, v28, v191
	v_cvt_f32_f64_e32 v26, v[26:27]
	v_cvt_f32_f64_e32 v24, v[24:25]
	v_min3_f32 v158, v20, v21, v184
	v_min3_f32 v159, v12, v13, v92
	;; [unrolled: 1-line block ×5, first 2 shown]
	ds_read_b128 v[16:19], v192 offset:1024
	ds_read_b128 v[12:15], v192 offset:2048
	;; [unrolled: 1-line block ×16, first 2 shown]
	ds_read_b128 v[96:99], v243
	ds_read_b128 v[32:35], v192
	ds_read_b128 v[40:43], v243 offset:3584
	ds_read_b128 v[20:23], v243 offset:3840
	;; [unrolled: 1-line block ×4, first 2 shown]
	s_waitcnt lgkmcnt(5)
	v_add_f64 v[28:29], v[18:19], v[98:99]
	v_add_f64 v[30:31], v[16:17], v[96:97]
	;; [unrolled: 1-line block ×4, first 2 shown]
	v_min3_f32 v157, v26, v24, v185
	s_waitcnt lgkmcnt(4)
	v_add_f64 v[24:25], v[34:35], v[98:99]
	v_add_f64 v[26:27], v[32:33], v[96:97]
	v_cvt_f32_f64_e32 v30, v[30:31]
	v_cvt_f32_f64_e32 v28, v[28:29]
	;; [unrolled: 1-line block ×4, first 2 shown]
	v_add_f64 v[98:99], v[10:11], v[98:99]
	v_add_f64 v[96:97], v[8:9], v[96:97]
	v_min3_f32 v184, v30, v28, v100
	v_min3_f32 v185, v38, v36, v101
	v_cvt_f32_f64_e32 v96, v[96:97]
	v_cvt_f32_f64_e32 v97, v[98:99]
	v_add_f64 v[100:101], v[34:35], v[94:95]
	v_add_f64 v[180:181], v[32:33], v[92:93]
	v_min3_f32 v186, v96, v97, v102
	v_cvt_f32_f64_e32 v102, v[180:181]
	v_cvt_f32_f64_e32 v100, v[100:101]
	v_min3_f32 v180, v102, v100, v103
	v_add_f64 v[100:101], v[18:19], v[94:95]
	v_add_f64 v[102:103], v[16:17], v[92:93]
	v_cvt_f32_f64_e32 v102, v[102:103]
	v_cvt_f32_f64_e32 v100, v[100:101]
	v_min3_f32 v104, v102, v100, v104
	v_add_f64 v[100:101], v[14:15], v[94:95]
	v_add_f64 v[102:103], v[12:13], v[92:93]
	;; [unrolled: 5-line block ×38, first 2 shown]
	v_cvt_f32_f64_e32 v102, v[102:103]
	v_cvt_f32_f64_e32 v100, v[100:101]
	v_min3_f32 v153, v102, v100, v153
	s_waitcnt lgkmcnt(3)
	v_add_f64 v[100:101], v[34:35], v[42:43]
	v_add_f64 v[102:103], v[32:33], v[40:41]
	v_cvt_f32_f64_e32 v102, v[102:103]
	v_cvt_f32_f64_e32 v100, v[100:101]
	;; [unrolled: 1-line block ×4, first 2 shown]
	v_min3_f32 v155, v102, v100, v155
	v_add_f64 v[100:101], v[18:19], v[42:43]
	v_add_f64 v[102:103], v[16:17], v[40:41]
	v_min3_f32 v179, v26, v24, v179
	ds_read_b128 v[24:27], v192 offset:1040
	ds_read_b128 v[28:31], v192 offset:2064
	v_cvt_f32_f64_e32 v102, v[102:103]
	v_cvt_f32_f64_e32 v100, v[100:101]
	v_add_f64 v[94:95], v[10:11], v[94:95]
	v_add_f64 v[92:93], v[8:9], v[92:93]
	;; [unrolled: 1-line block ×26, first 2 shown]
	v_min3_f32 v156, v102, v100, v156
	v_add_f64 v[100:101], v[14:15], v[42:43]
	v_add_f64 v[102:103], v[12:13], v[40:41]
	;; [unrolled: 1-line block ×4, first 2 shown]
	s_waitcnt lgkmcnt(4)
	v_add_f64 v[14:15], v[14:15], v[22:23]
	v_add_f64 v[12:13], v[12:13], v[20:21]
	;; [unrolled: 1-line block ×4, first 2 shown]
	ds_read_b128 v[36:39], v192 offset:3088
	ds_read_b128 v[96:99], v243 offset:272
	v_cvt_f32_f64_e32 v12, v[12:13]
	v_cvt_f32_f64_e32 v13, v[14:15]
	;; [unrolled: 1-line block ×4, first 2 shown]
	v_min3_f32 v12, v12, v13, v177
	v_min3_f32 v13, v8, v9, v178
	s_waitcnt lgkmcnt(4)
	v_add_f64 v[8:9], v[2:3], v[6:7]
	v_add_f64 v[10:11], v[0:1], v[4:5]
	v_cvt_f32_f64_e32 v10, v[10:11]
	v_cvt_f32_f64_e32 v8, v[8:9]
	v_min3_f32 v252, v10, v8, v179
	s_waitcnt lgkmcnt(3)
	v_add_f64 v[8:9], v[26:27], v[6:7]
	v_add_f64 v[10:11], v[24:25], v[4:5]
	v_cvt_f32_f64_e32 v10, v[10:11]
	v_cvt_f32_f64_e32 v8, v[8:9]
	v_min3_f32 v251, v10, v8, v184
	s_waitcnt lgkmcnt(2)
	v_add_f64 v[8:9], v[30:31], v[6:7]
	v_add_f64 v[10:11], v[28:29], v[4:5]
	s_waitcnt lgkmcnt(1)
	v_add_f64 v[6:7], v[38:39], v[6:7]
	v_add_f64 v[4:5], v[36:37], v[4:5]
	v_cvt_f32_f64_e32 v4, v[4:5]
	v_cvt_f32_f64_e32 v5, v[6:7]
	v_min3_f32 v249, v4, v5, v186
	s_waitcnt lgkmcnt(0)
	v_add_f64 v[4:5], v[2:3], v[98:99]
	v_add_f64 v[6:7], v[0:1], v[96:97]
	v_cvt_f32_f64_e32 v6, v[6:7]
	v_cvt_f32_f64_e32 v4, v[4:5]
	v_cvt_f32_f64_e32 v92, v[92:93]
	v_cvt_f32_f64_e32 v93, v[94:95]
	v_min3_f32 v248, v6, v4, v180
	v_add_f64 v[4:5], v[26:27], v[98:99]
	v_add_f64 v[6:7], v[24:25], v[96:97]
	v_min3_f32 v106, v92, v93, v106
	ds_read_b128 v[92:95], v243 offset:528
	v_cvt_f32_f64_e32 v6, v[6:7]
	v_cvt_f32_f64_e32 v4, v[4:5]
	v_min3_f32 v242, v6, v4, v104
	v_add_f64 v[4:5], v[30:31], v[98:99]
	v_add_f64 v[6:7], v[28:29], v[96:97]
	v_cvt_f32_f64_e32 v6, v[6:7]
	v_cvt_f32_f64_e32 v4, v[4:5]
	v_min3_f32 v241, v6, v4, v105
	v_add_f64 v[4:5], v[38:39], v[98:99]
	v_add_f64 v[6:7], v[36:37], v[96:97]
	v_cvt_f32_f64_e32 v88, v[88:89]
	v_cvt_f32_f64_e32 v89, v[90:91]
	v_cvt_f32_f64_e32 v6, v[6:7]
	v_cvt_f32_f64_e32 v4, v[4:5]
	v_min3_f32 v110, v88, v89, v110
	ds_read_b128 v[88:91], v243 offset:784
	v_min3_f32 v240, v6, v4, v106
	s_waitcnt lgkmcnt(1)
	v_add_f64 v[4:5], v[2:3], v[94:95]
	v_add_f64 v[6:7], v[0:1], v[92:93]
	v_cvt_f32_f64_e32 v6, v[6:7]
	v_cvt_f32_f64_e32 v4, v[4:5]
	v_min3_f32 v239, v6, v4, v107
	v_add_f64 v[4:5], v[26:27], v[94:95]
	v_add_f64 v[6:7], v[24:25], v[92:93]
	v_cvt_f32_f64_e32 v6, v[6:7]
	v_cvt_f32_f64_e32 v4, v[4:5]
	v_min3_f32 v238, v6, v4, v108
	v_add_f64 v[4:5], v[30:31], v[94:95]
	v_add_f64 v[6:7], v[28:29], v[92:93]
	v_cvt_f32_f64_e32 v6, v[6:7]
	v_cvt_f32_f64_e32 v4, v[4:5]
	v_min3_f32 v237, v6, v4, v109
	v_add_f64 v[4:5], v[38:39], v[94:95]
	v_add_f64 v[6:7], v[36:37], v[92:93]
	v_cvt_f32_f64_e32 v6, v[6:7]
	v_cvt_f32_f64_e32 v4, v[4:5]
	v_min3_f32 v236, v6, v4, v110
	s_waitcnt lgkmcnt(0)
	v_add_f64 v[4:5], v[2:3], v[90:91]
	v_add_f64 v[6:7], v[0:1], v[88:89]
	v_cvt_f32_f64_e32 v6, v[6:7]
	v_cvt_f32_f64_e32 v4, v[4:5]
	v_cvt_f32_f64_e32 v84, v[84:85]
	v_cvt_f32_f64_e32 v85, v[86:87]
	v_min3_f32 v235, v6, v4, v111
	v_add_f64 v[4:5], v[26:27], v[90:91]
	v_add_f64 v[6:7], v[24:25], v[88:89]
	v_min3_f32 v114, v84, v85, v114
	ds_read_b128 v[84:87], v243 offset:1040
	v_cvt_f32_f64_e32 v6, v[6:7]
	v_cvt_f32_f64_e32 v4, v[4:5]
	v_min3_f32 v234, v6, v4, v112
	v_add_f64 v[4:5], v[30:31], v[90:91]
	v_add_f64 v[6:7], v[28:29], v[88:89]
	v_cvt_f32_f64_e32 v6, v[6:7]
	v_cvt_f32_f64_e32 v4, v[4:5]
	v_min3_f32 v233, v6, v4, v113
	v_add_f64 v[4:5], v[38:39], v[90:91]
	v_add_f64 v[6:7], v[36:37], v[88:89]
	v_cvt_f32_f64_e32 v80, v[80:81]
	v_cvt_f32_f64_e32 v81, v[82:83]
	v_cvt_f32_f64_e32 v6, v[6:7]
	v_cvt_f32_f64_e32 v4, v[4:5]
	v_min3_f32 v118, v80, v81, v118
	ds_read_b128 v[80:83], v243 offset:1296
	v_min3_f32 v232, v6, v4, v114
	s_waitcnt lgkmcnt(1)
	v_add_f64 v[4:5], v[2:3], v[86:87]
	v_add_f64 v[6:7], v[0:1], v[84:85]
	v_cvt_f32_f64_e32 v6, v[6:7]
	v_cvt_f32_f64_e32 v4, v[4:5]
	v_min3_f32 v231, v6, v4, v115
	v_add_f64 v[4:5], v[26:27], v[86:87]
	v_add_f64 v[6:7], v[24:25], v[84:85]
	v_cvt_f32_f64_e32 v6, v[6:7]
	v_cvt_f32_f64_e32 v4, v[4:5]
	v_min3_f32 v230, v6, v4, v116
	v_add_f64 v[4:5], v[30:31], v[86:87]
	v_add_f64 v[6:7], v[28:29], v[84:85]
	v_cvt_f32_f64_e32 v6, v[6:7]
	v_cvt_f32_f64_e32 v4, v[4:5]
	v_min3_f32 v229, v6, v4, v117
	v_add_f64 v[4:5], v[38:39], v[86:87]
	v_add_f64 v[6:7], v[36:37], v[84:85]
	v_cvt_f32_f64_e32 v6, v[6:7]
	v_cvt_f32_f64_e32 v4, v[4:5]
	v_min3_f32 v228, v6, v4, v118
	s_waitcnt lgkmcnt(0)
	v_add_f64 v[4:5], v[2:3], v[82:83]
	v_add_f64 v[6:7], v[0:1], v[80:81]
	v_cvt_f32_f64_e32 v6, v[6:7]
	v_cvt_f32_f64_e32 v4, v[4:5]
	v_cvt_f32_f64_e32 v76, v[76:77]
	v_cvt_f32_f64_e32 v77, v[78:79]
	v_min3_f32 v227, v6, v4, v119
	v_add_f64 v[4:5], v[26:27], v[82:83]
	v_add_f64 v[6:7], v[24:25], v[80:81]
	v_min3_f32 v122, v76, v77, v122
	ds_read_b128 v[76:79], v243 offset:1552
	v_cvt_f32_f64_e32 v6, v[6:7]
	v_cvt_f32_f64_e32 v4, v[4:5]
	v_min3_f32 v226, v6, v4, v120
	v_add_f64 v[4:5], v[30:31], v[82:83]
	v_add_f64 v[6:7], v[28:29], v[80:81]
	v_cvt_f32_f64_e32 v6, v[6:7]
	v_cvt_f32_f64_e32 v4, v[4:5]
	v_min3_f32 v225, v6, v4, v121
	v_add_f64 v[4:5], v[38:39], v[82:83]
	v_add_f64 v[6:7], v[36:37], v[80:81]
	v_cvt_f32_f64_e32 v72, v[72:73]
	v_cvt_f32_f64_e32 v73, v[74:75]
	v_cvt_f32_f64_e32 v6, v[6:7]
	v_cvt_f32_f64_e32 v4, v[4:5]
	v_min3_f32 v126, v72, v73, v126
	ds_read_b128 v[72:75], v243 offset:1808
	v_min3_f32 v224, v6, v4, v122
	s_waitcnt lgkmcnt(1)
	v_add_f64 v[4:5], v[2:3], v[78:79]
	v_add_f64 v[6:7], v[0:1], v[76:77]
	v_cvt_f32_f64_e32 v6, v[6:7]
	v_cvt_f32_f64_e32 v4, v[4:5]
	v_min3_f32 v223, v6, v4, v123
	v_add_f64 v[4:5], v[26:27], v[78:79]
	v_add_f64 v[6:7], v[24:25], v[76:77]
	v_cvt_f32_f64_e32 v6, v[6:7]
	v_cvt_f32_f64_e32 v4, v[4:5]
	v_min3_f32 v222, v6, v4, v124
	v_add_f64 v[4:5], v[30:31], v[78:79]
	v_add_f64 v[6:7], v[28:29], v[76:77]
	v_cvt_f32_f64_e32 v6, v[6:7]
	v_cvt_f32_f64_e32 v4, v[4:5]
	v_min3_f32 v221, v6, v4, v125
	v_add_f64 v[4:5], v[38:39], v[78:79]
	v_add_f64 v[6:7], v[36:37], v[76:77]
	v_cvt_f32_f64_e32 v6, v[6:7]
	v_cvt_f32_f64_e32 v4, v[4:5]
	v_min3_f32 v220, v6, v4, v126
	s_waitcnt lgkmcnt(0)
	v_add_f64 v[4:5], v[2:3], v[74:75]
	v_add_f64 v[6:7], v[0:1], v[72:73]
	v_cvt_f32_f64_e32 v6, v[6:7]
	v_cvt_f32_f64_e32 v4, v[4:5]
	v_cvt_f32_f64_e32 v68, v[68:69]
	v_cvt_f32_f64_e32 v69, v[70:71]
	v_min3_f32 v219, v6, v4, v127
	v_add_f64 v[4:5], v[26:27], v[74:75]
	v_add_f64 v[6:7], v[24:25], v[72:73]
	v_min3_f32 v130, v68, v69, v130
	ds_read_b128 v[68:71], v243 offset:2064
	v_cvt_f32_f64_e32 v6, v[6:7]
	v_cvt_f32_f64_e32 v4, v[4:5]
	v_min3_f32 v218, v6, v4, v128
	v_add_f64 v[4:5], v[30:31], v[74:75]
	v_add_f64 v[6:7], v[28:29], v[72:73]
	v_cvt_f32_f64_e32 v6, v[6:7]
	v_cvt_f32_f64_e32 v4, v[4:5]
	v_min3_f32 v217, v6, v4, v129
	v_add_f64 v[4:5], v[38:39], v[74:75]
	v_add_f64 v[6:7], v[36:37], v[72:73]
	v_cvt_f32_f64_e32 v64, v[64:65]
	v_cvt_f32_f64_e32 v65, v[66:67]
	v_cvt_f32_f64_e32 v6, v[6:7]
	v_cvt_f32_f64_e32 v4, v[4:5]
	v_min3_f32 v134, v64, v65, v134
	ds_read_b128 v[64:67], v243 offset:2320
	v_min3_f32 v216, v6, v4, v130
	s_waitcnt lgkmcnt(1)
	v_add_f64 v[4:5], v[2:3], v[70:71]
	v_add_f64 v[6:7], v[0:1], v[68:69]
	v_cvt_f32_f64_e32 v6, v[6:7]
	v_cvt_f32_f64_e32 v4, v[4:5]
	v_min3_f32 v215, v6, v4, v131
	v_add_f64 v[4:5], v[26:27], v[70:71]
	v_add_f64 v[6:7], v[24:25], v[68:69]
	v_cvt_f32_f64_e32 v6, v[6:7]
	v_cvt_f32_f64_e32 v4, v[4:5]
	v_min3_f32 v214, v6, v4, v132
	v_add_f64 v[4:5], v[30:31], v[70:71]
	v_add_f64 v[6:7], v[28:29], v[68:69]
	v_cvt_f32_f64_e32 v6, v[6:7]
	v_cvt_f32_f64_e32 v4, v[4:5]
	v_min3_f32 v213, v6, v4, v133
	v_add_f64 v[4:5], v[38:39], v[70:71]
	v_add_f64 v[6:7], v[36:37], v[68:69]
	v_cvt_f32_f64_e32 v6, v[6:7]
	v_cvt_f32_f64_e32 v4, v[4:5]
	v_min3_f32 v212, v6, v4, v134
	s_waitcnt lgkmcnt(0)
	v_add_f64 v[4:5], v[2:3], v[66:67]
	v_add_f64 v[6:7], v[0:1], v[64:65]
	v_cvt_f32_f64_e32 v6, v[6:7]
	v_cvt_f32_f64_e32 v4, v[4:5]
	v_cvt_f32_f64_e32 v60, v[60:61]
	v_cvt_f32_f64_e32 v61, v[62:63]
	v_min3_f32 v211, v6, v4, v135
	v_add_f64 v[4:5], v[26:27], v[66:67]
	v_add_f64 v[6:7], v[24:25], v[64:65]
	v_min3_f32 v138, v60, v61, v138
	ds_read_b128 v[60:63], v243 offset:2576
	v_cvt_f32_f64_e32 v6, v[6:7]
	v_cvt_f32_f64_e32 v4, v[4:5]
	v_min3_f32 v210, v6, v4, v136
	v_add_f64 v[4:5], v[30:31], v[66:67]
	v_add_f64 v[6:7], v[28:29], v[64:65]
	v_cvt_f32_f64_e32 v6, v[6:7]
	v_cvt_f32_f64_e32 v4, v[4:5]
	v_min3_f32 v209, v6, v4, v137
	v_add_f64 v[4:5], v[38:39], v[66:67]
	v_add_f64 v[6:7], v[36:37], v[64:65]
	v_cvt_f32_f64_e32 v56, v[56:57]
	v_cvt_f32_f64_e32 v57, v[58:59]
	v_cvt_f32_f64_e32 v6, v[6:7]
	v_cvt_f32_f64_e32 v4, v[4:5]
	v_min3_f32 v142, v56, v57, v142
	ds_read_b128 v[56:59], v243 offset:2832
	v_min3_f32 v208, v6, v4, v138
	s_waitcnt lgkmcnt(1)
	v_add_f64 v[4:5], v[2:3], v[62:63]
	v_add_f64 v[6:7], v[0:1], v[60:61]
	v_cvt_f32_f64_e32 v6, v[6:7]
	v_cvt_f32_f64_e32 v4, v[4:5]
	v_min3_f32 v207, v6, v4, v139
	v_add_f64 v[4:5], v[26:27], v[62:63]
	v_add_f64 v[6:7], v[24:25], v[60:61]
	v_cvt_f32_f64_e32 v6, v[6:7]
	v_cvt_f32_f64_e32 v4, v[4:5]
	v_min3_f32 v206, v6, v4, v140
	v_add_f64 v[4:5], v[30:31], v[62:63]
	v_add_f64 v[6:7], v[28:29], v[60:61]
	v_cvt_f32_f64_e32 v6, v[6:7]
	v_cvt_f32_f64_e32 v4, v[4:5]
	v_min3_f32 v205, v6, v4, v141
	v_add_f64 v[4:5], v[38:39], v[62:63]
	v_add_f64 v[6:7], v[36:37], v[60:61]
	v_cvt_f32_f64_e32 v6, v[6:7]
	v_cvt_f32_f64_e32 v4, v[4:5]
	v_min3_f32 v204, v6, v4, v142
	s_waitcnt lgkmcnt(0)
	v_add_f64 v[4:5], v[2:3], v[58:59]
	v_add_f64 v[6:7], v[0:1], v[56:57]
	v_cvt_f32_f64_e32 v6, v[6:7]
	v_cvt_f32_f64_e32 v4, v[4:5]
	v_cvt_f32_f64_e32 v52, v[52:53]
	v_cvt_f32_f64_e32 v53, v[54:55]
	v_min3_f32 v203, v6, v4, v143
	v_add_f64 v[4:5], v[26:27], v[58:59]
	v_add_f64 v[6:7], v[24:25], v[56:57]
	v_min3_f32 v146, v52, v53, v146
	ds_read_b128 v[52:55], v243 offset:3088
	v_cvt_f32_f64_e32 v6, v[6:7]
	v_cvt_f32_f64_e32 v4, v[4:5]
	v_min3_f32 v202, v6, v4, v144
	v_add_f64 v[4:5], v[30:31], v[58:59]
	v_add_f64 v[6:7], v[28:29], v[56:57]
	v_cvt_f32_f64_e32 v6, v[6:7]
	v_cvt_f32_f64_e32 v4, v[4:5]
	v_min3_f32 v201, v6, v4, v145
	v_add_f64 v[4:5], v[38:39], v[58:59]
	v_add_f64 v[6:7], v[36:37], v[56:57]
	v_cvt_f32_f64_e32 v48, v[48:49]
	v_cvt_f32_f64_e32 v49, v[50:51]
	v_cvt_f32_f64_e32 v6, v[6:7]
	v_cvt_f32_f64_e32 v4, v[4:5]
	v_min3_f32 v150, v48, v49, v150
	ds_read_b128 v[48:51], v243 offset:3344
	v_min3_f32 v200, v6, v4, v146
	s_waitcnt lgkmcnt(1)
	v_add_f64 v[4:5], v[2:3], v[54:55]
	v_add_f64 v[6:7], v[0:1], v[52:53]
	v_cvt_f32_f64_e32 v6, v[6:7]
	v_cvt_f32_f64_e32 v4, v[4:5]
	v_min3_f32 v199, v6, v4, v147
	v_add_f64 v[4:5], v[26:27], v[54:55]
	v_add_f64 v[6:7], v[24:25], v[52:53]
	v_cvt_f32_f64_e32 v6, v[6:7]
	v_cvt_f32_f64_e32 v4, v[4:5]
	v_min3_f32 v198, v6, v4, v148
	v_add_f64 v[4:5], v[30:31], v[54:55]
	v_add_f64 v[6:7], v[28:29], v[52:53]
	v_cvt_f32_f64_e32 v6, v[6:7]
	v_cvt_f32_f64_e32 v4, v[4:5]
	v_min3_f32 v196, v6, v4, v149
	v_add_f64 v[4:5], v[38:39], v[54:55]
	v_add_f64 v[6:7], v[36:37], v[52:53]
	v_cvt_f32_f64_e32 v6, v[6:7]
	v_cvt_f32_f64_e32 v4, v[4:5]
	v_min3_f32 v195, v6, v4, v150
	s_waitcnt lgkmcnt(0)
	v_add_f64 v[4:5], v[2:3], v[50:51]
	v_add_f64 v[6:7], v[0:1], v[48:49]
	v_cvt_f32_f64_e32 v6, v[6:7]
	v_cvt_f32_f64_e32 v4, v[4:5]
	;; [unrolled: 1-line block ×6, first 2 shown]
	v_min3_f32 v194, v6, v4, v151
	v_add_f64 v[4:5], v[26:27], v[50:51]
	v_add_f64 v[6:7], v[24:25], v[48:49]
	v_min3_f32 v154, v44, v45, v154
	ds_read_b128 v[44:47], v243 offset:3600
	v_cvt_f32_f64_e32 v100, v[100:101]
	v_min3_f32 v101, v40, v41, v158
	ds_read_b128 v[40:43], v243 offset:3856
	v_cvt_f32_f64_e32 v6, v[6:7]
	v_cvt_f32_f64_e32 v4, v[4:5]
	v_min3_f32 v193, v6, v4, v152
	v_add_f64 v[4:5], v[30:31], v[50:51]
	v_add_f64 v[6:7], v[28:29], v[48:49]
	v_cvt_f32_f64_e32 v6, v[6:7]
	v_cvt_f32_f64_e32 v4, v[4:5]
	v_min3_f32 v191, v6, v4, v153
	v_add_f64 v[4:5], v[38:39], v[50:51]
	v_add_f64 v[6:7], v[36:37], v[48:49]
	;; [unrolled: 1-line block ×4, first 2 shown]
	v_cvt_f32_f64_e32 v6, v[6:7]
	v_cvt_f32_f64_e32 v4, v[4:5]
	;; [unrolled: 1-line block ×4, first 2 shown]
	v_min3_f32 v188, v6, v4, v154
	s_waitcnt lgkmcnt(1)
	v_add_f64 v[4:5], v[2:3], v[46:47]
	v_add_f64 v[6:7], v[0:1], v[44:45]
	s_waitcnt lgkmcnt(0)
	v_add_f64 v[2:3], v[2:3], v[42:43]
	v_add_f64 v[0:1], v[0:1], v[40:41]
	v_min3_f32 v32, v32, v33, v159
	v_add_f64 v[18:19], v[18:19], v[22:23]
	v_add_f64 v[16:17], v[16:17], v[20:21]
	v_cvt_f32_f64_e32 v6, v[6:7]
	v_cvt_f32_f64_e32 v4, v[4:5]
	;; [unrolled: 1-line block ×6, first 2 shown]
	v_min3_f32 v187, v6, v4, v155
	v_add_f64 v[4:5], v[26:27], v[46:47]
	v_add_f64 v[6:7], v[24:25], v[44:45]
	v_min3_f32 v181, v0, v1, v32
	v_add_f64 v[0:1], v[26:27], v[42:43]
	v_add_f64 v[2:3], v[24:25], v[40:41]
	v_min3_f32 v16, v16, v17, v176
	v_cvt_f32_f64_e32 v6, v[6:7]
	v_cvt_f32_f64_e32 v4, v[4:5]
	;; [unrolled: 1-line block ×5, first 2 shown]
	v_min3_f32 v186, v6, v4, v156
	v_add_f64 v[4:5], v[30:31], v[46:47]
	v_add_f64 v[6:7], v[28:29], v[44:45]
	v_min3_f32 v180, v2, v0, v16
	v_add_f64 v[0:1], v[30:31], v[42:43]
	v_add_f64 v[2:3], v[28:29], v[40:41]
	v_min3_f32 v100, v102, v100, v157
	v_cvt_f32_f64_e32 v10, v[10:11]
	v_cvt_f32_f64_e32 v8, v[8:9]
	;; [unrolled: 1-line block ×6, first 2 shown]
	v_min3_f32 v250, v10, v8, v185
	v_min3_f32 v185, v6, v4, v100
	v_add_f64 v[4:5], v[38:39], v[46:47]
	v_add_f64 v[6:7], v[36:37], v[44:45]
	v_min3_f32 v179, v2, v0, v12
	v_add_f64 v[0:1], v[38:39], v[42:43]
	v_add_f64 v[2:3], v[36:37], v[40:41]
	v_cvt_f32_f64_e32 v6, v[6:7]
	v_cvt_f32_f64_e32 v4, v[4:5]
	v_cvt_f32_f64_e32 v2, v[2:3]
	v_cvt_f32_f64_e32 v0, v[0:1]
	s_add_i32 s36, s36, 8
	v_min3_f32 v184, v6, v4, v101
	v_min3_f32 v178, v2, v0, v13
	v_add_u32_e32 v0, 0x1000, v197
	s_cmp_ge_i32 s36, s37
	ds_write2st64_b64 v0, v[168:169], v[170:171] offset1:4
	ds_write2st64_b64 v244, v[172:173], v[174:175] offset1:4
	s_waitcnt lgkmcnt(0)
	s_barrier
	s_cbranch_scc1 .LBB165_41
.LBB165_25:                             ; =>This Inner Loop Header: Depth=1
	v_add_u32_e32 v176, s36, v190
	v_add_u32_e32 v0, 8, v176
	v_cmp_le_i32_e64 s[8:9], s14, v0
	v_min_i32_e32 v0, s15, v0
	v_ashrrev_i32_e32 v1, 31, v0
	s_or_b64 s[10:11], vcc, s[8:9]
	v_lshl_add_u64 v[2:3], v[0:1], 3, s[34:35]
	v_cndmask_b32_e64 v169, 0, v247, s[10:11]
	s_nor_b64 s[38:39], s[16:17], s[10:11]
	v_cndmask_b32_e64 v168, 0, -1, s[10:11]
	s_and_saveexec_b64 s[10:11], s[38:39]
	s_cbranch_execz .LBB165_27
; %bb.26:                               ;   in Loop: Header=BB165_25 Depth=1
	v_lshl_add_u64 v[4:5], v[160:161], 3, v[2:3]
	global_load_dwordx2 v[4:5], v[4:5], off
	s_waitcnt vmcnt(0)
	v_mul_f64 v[168:169], s[28:29], v[4:5]
.LBB165_27:                             ;   in Loop: Header=BB165_25 Depth=1
	s_or_b64 exec, exec, s[10:11]
	s_or_b64 s[10:11], s[2:3], s[8:9]
	v_cndmask_b32_e64 v171, 0, v247, s[10:11]
	s_nor_b64 s[38:39], s[16:17], s[10:11]
	v_cndmask_b32_e64 v170, 0, -1, s[10:11]
	s_and_saveexec_b64 s[10:11], s[38:39]
	s_cbranch_execz .LBB165_29
; %bb.28:                               ;   in Loop: Header=BB165_25 Depth=1
	v_lshl_add_u64 v[2:3], v[162:163], 3, v[2:3]
	global_load_dwordx2 v[2:3], v[2:3], off
	s_waitcnt vmcnt(0)
	v_mul_f64 v[170:171], s[28:29], v[2:3]
.LBB165_29:                             ;   in Loop: Header=BB165_25 Depth=1
	s_or_b64 exec, exec, s[10:11]
	s_or_b64 s[10:11], s[4:5], s[8:9]
	v_lshl_add_u64 v[0:1], v[0:1], 3, s[30:31]
	v_cndmask_b32_e64 v173, 0, v247, s[10:11]
	s_nor_b64 s[38:39], s[16:17], s[10:11]
	v_cndmask_b32_e64 v172, 0, -1, s[10:11]
	s_and_saveexec_b64 s[10:11], s[38:39]
	s_cbranch_execz .LBB165_31
; %bb.30:                               ;   in Loop: Header=BB165_25 Depth=1
	v_lshl_add_u64 v[2:3], v[164:165], 3, v[0:1]
	global_load_dwordx2 v[2:3], v[2:3], off
	s_waitcnt vmcnt(0)
	v_mul_f64 v[172:173], s[28:29], v[2:3]
.LBB165_31:                             ;   in Loop: Header=BB165_25 Depth=1
	s_or_b64 exec, exec, s[10:11]
	s_or_b64 s[8:9], s[6:7], s[8:9]
	v_cndmask_b32_e64 v175, 0, v247, s[8:9]
	s_nor_b64 s[10:11], s[16:17], s[8:9]
	v_cndmask_b32_e64 v174, 0, -1, s[8:9]
	s_and_saveexec_b64 s[8:9], s[10:11]
	s_cbranch_execz .LBB165_33
; %bb.32:                               ;   in Loop: Header=BB165_25 Depth=1
	v_lshl_add_u64 v[0:1], v[166:167], 3, v[0:1]
	global_load_dwordx2 v[0:1], v[0:1], off
	s_waitcnt vmcnt(0)
	v_mul_f64 v[174:175], s[28:29], v[0:1]
.LBB165_33:                             ;   in Loop: Header=BB165_25 Depth=1
	s_or_b64 exec, exec, s[8:9]
	ds_read_b128 v[156:159], v246
	ds_read_b128 v[76:79], v246 offset:16
	ds_read_b128 v[92:95], v245
	ds_read_b128 v[12:15], v245 offset:16
	ds_read_b128 v[88:91], v245 offset:1024
	;; [unrolled: 1-line block ×37, first 2 shown]
	ds_write2st64_b64 v197, v[168:169], v[170:171] offset1:4
	v_add_u32_e32 v168, 0x2000, v197
	ds_write2st64_b64 v168, v[172:173], v[174:175] offset1:4
	v_add_u32_e32 v168, 12, v176
	v_cmp_le_i32_e64 s[8:9], s14, v168
	v_min_i32_e32 v172, s15, v168
	v_ashrrev_i32_e32 v173, 31, v172
	s_or_b64 s[10:11], vcc, s[8:9]
	v_lshl_add_u64 v[174:175], v[172:173], 3, s[34:35]
	v_cndmask_b32_e64 v169, 0, v247, s[10:11]
	s_nor_b64 s[38:39], s[16:17], s[10:11]
	v_cndmask_b32_e64 v168, 0, -1, s[10:11]
	s_waitcnt lgkmcnt(0)
	s_barrier
	s_and_saveexec_b64 s[10:11], s[38:39]
	s_cbranch_execz .LBB165_35
; %bb.34:                               ;   in Loop: Header=BB165_25 Depth=1
	v_lshl_add_u64 v[168:169], v[160:161], 3, v[174:175]
	global_load_dwordx2 v[168:169], v[168:169], off
	s_waitcnt vmcnt(0)
	v_mul_f64 v[168:169], s[28:29], v[168:169]
.LBB165_35:                             ;   in Loop: Header=BB165_25 Depth=1
	s_or_b64 exec, exec, s[10:11]
	s_or_b64 s[10:11], s[2:3], s[8:9]
	v_cndmask_b32_e64 v171, 0, v247, s[10:11]
	s_nor_b64 s[38:39], s[16:17], s[10:11]
	v_cndmask_b32_e64 v170, 0, -1, s[10:11]
	s_and_saveexec_b64 s[10:11], s[38:39]
	s_cbranch_execz .LBB165_37
; %bb.36:                               ;   in Loop: Header=BB165_25 Depth=1
	v_lshl_add_u64 v[170:171], v[162:163], 3, v[174:175]
	global_load_dwordx2 v[170:171], v[170:171], off
	s_waitcnt vmcnt(0)
	v_mul_f64 v[170:171], s[28:29], v[170:171]
.LBB165_37:                             ;   in Loop: Header=BB165_25 Depth=1
	s_or_b64 exec, exec, s[10:11]
	s_or_b64 s[10:11], s[4:5], s[8:9]
	v_lshl_add_u64 v[176:177], v[172:173], 3, s[30:31]
	v_cndmask_b32_e64 v173, 0, v247, s[10:11]
	s_nor_b64 s[38:39], s[16:17], s[10:11]
	v_cndmask_b32_e64 v172, 0, -1, s[10:11]
	s_and_saveexec_b64 s[10:11], s[38:39]
	s_cbranch_execz .LBB165_39
; %bb.38:                               ;   in Loop: Header=BB165_25 Depth=1
	v_lshl_add_u64 v[172:173], v[164:165], 3, v[176:177]
	global_load_dwordx2 v[172:173], v[172:173], off
	s_waitcnt vmcnt(0)
	v_mul_f64 v[172:173], s[28:29], v[172:173]
.LBB165_39:                             ;   in Loop: Header=BB165_25 Depth=1
	s_or_b64 exec, exec, s[10:11]
	s_or_b64 s[8:9], s[6:7], s[8:9]
	v_cndmask_b32_e64 v175, 0, v247, s[8:9]
	s_nor_b64 s[10:11], s[16:17], s[8:9]
	v_cndmask_b32_e64 v174, 0, -1, s[8:9]
	s_and_saveexec_b64 s[8:9], s[10:11]
	s_cbranch_execz .LBB165_24
; %bb.40:                               ;   in Loop: Header=BB165_25 Depth=1
	v_lshl_add_u64 v[174:175], v[166:167], 3, v[176:177]
	global_load_dwordx2 v[174:175], v[174:175], off
	s_waitcnt vmcnt(0)
	v_mul_f64 v[174:175], s[28:29], v[174:175]
	s_branch .LBB165_24
.LBB165_41:
	s_load_dwordx2 s[2:3], s[0:1], 0x78
	s_load_dword s29, s[0:1], 0x58
	s_load_dword s28, s[0:1], 0x70
	ds_read_b128 v[36:39], v192 offset:4096
	ds_read_b128 v[32:35], v192 offset:4112
	;; [unrolled: 1-line block ×38, first 2 shown]
	v_add_u32_e32 v172, s33, v183
	s_waitcnt lgkmcnt(0)
	s_mul_i32 s1, s3, s26
	s_mul_hi_u32 s3, s2, s26
	s_mul_i32 s0, s2, s26
	s_add_i32 s1, s3, s1
	s_lshl_b64 s[0:1], s[0:1], 3
	s_add_u32 s14, s18, s0
	s_addc_u32 s15, s19, s1
	v_mad_i64_i32 v[8:9], s[0:1], v172, s29, 0
	v_lshl_add_u64 v[170:171], v[8:9], 3, s[22:23]
	ds_read_b128 v[16:19], v189 offset:16128
	ds_read_b128 v[8:11], v189 offset:16144
	v_add_u32_e32 v160, s27, v182
	v_mad_i64_i32 v[162:163], s[0:1], v172, s28, 0
	v_cmp_gt_i32_e64 s[2:3], s12, v160
	v_cmp_gt_i32_e64 s[10:11], s13, v172
	v_lshl_add_u64 v[168:169], v[162:163], 3, s[14:15]
	v_cndmask_b32_e64 v162, 0, 1, s[24:25]
	v_ashrrev_i32_e32 v161, 31, v160
	s_and_b64 s[6:7], s[2:3], s[10:11]
	v_cmp_ne_u32_e64 s[0:1], 1, v162
	s_and_saveexec_b64 s[4:5], s[6:7]
	s_cbranch_execz .LBB165_46
; %bb.42:
	s_and_b64 vcc, exec, s[0:1]
	s_cbranch_vccnz .LBB165_44
; %bb.43:
	v_lshl_add_u64 v[162:163], v[160:161], 3, v[170:171]
	global_load_dwordx2 v[162:163], v[162:163], off
	s_waitcnt vmcnt(0)
	v_mul_f64 v[162:163], s[20:21], v[162:163]
	v_cvt_f32_f64_e32 v162, v[162:163]
	s_branch .LBB165_45
.LBB165_44:
	v_mov_b32_e32 v162, 0
.LBB165_45:
	v_add_f64 v[164:165], v[38:39], v[158:159]
	v_add_f64 v[166:167], v[36:37], v[156:157]
	v_cvt_f32_f64_e32 v163, v[166:167]
	v_cvt_f32_f64_e32 v164, v[164:165]
	v_min3_f32 v163, v163, v164, v252
	v_add_f64 v[164:165], v[34:35], v[154:155]
	v_add_f64 v[166:167], v[32:33], v[152:153]
	v_cvt_f32_f64_e32 v166, v[166:167]
	v_cvt_f32_f64_e32 v164, v[164:165]
	v_min_f32_e32 v164, v166, v164
	v_min3_f32 v162, v162, v164, v163
	v_cvt_f64_f32_e32 v[162:163], v162
	v_lshl_add_u64 v[164:165], v[160:161], 3, v[168:169]
	global_store_dwordx2 v[164:165], v[162:163], off
.LBB165_46:
	s_or_b64 exec, exec, s[4:5]
	v_add_u32_e32 v162, 32, v160
	v_cmp_gt_i32_e64 s[4:5], s12, v162
	v_ashrrev_i32_e32 v163, 31, v162
	s_and_b64 s[8:9], s[4:5], s[10:11]
	s_and_saveexec_b64 s[6:7], s[8:9]
	s_cbranch_execz .LBB165_51
; %bb.47:
	s_and_b64 vcc, exec, s[0:1]
	s_cbranch_vccnz .LBB165_49
; %bb.48:
	v_lshl_add_u64 v[164:165], v[162:163], 3, v[170:171]
	global_load_dwordx2 v[164:165], v[164:165], off
	s_waitcnt vmcnt(0)
	v_mul_f64 v[164:165], s[20:21], v[164:165]
	v_cvt_f32_f64_e32 v164, v[164:165]
	s_branch .LBB165_50
.LBB165_49:
	v_mov_b32_e32 v164, 0
.LBB165_50:
	v_add_f64 v[166:167], v[26:27], v[158:159]
	v_add_f64 v[174:175], v[24:25], v[156:157]
	v_cvt_f32_f64_e32 v165, v[174:175]
	v_cvt_f32_f64_e32 v166, v[166:167]
	v_min3_f32 v165, v165, v166, v251
	v_add_f64 v[166:167], v[30:31], v[154:155]
	v_add_f64 v[174:175], v[28:29], v[152:153]
	v_cvt_f32_f64_e32 v173, v[174:175]
	v_cvt_f32_f64_e32 v166, v[166:167]
	v_min_f32_e32 v166, v173, v166
	v_min3_f32 v164, v164, v166, v165
	v_cvt_f64_f32_e32 v[164:165], v164
	v_lshl_add_u64 v[166:167], v[162:163], 3, v[168:169]
	global_store_dwordx2 v[166:167], v[164:165], off
.LBB165_51:
	s_or_b64 exec, exec, s[6:7]
	v_add_u32_e32 v164, 64, v160
	v_cmp_gt_i32_e64 s[6:7], s12, v164
	v_ashrrev_i32_e32 v165, 31, v164
	s_and_b64 s[16:17], s[6:7], s[10:11]
	s_and_saveexec_b64 s[8:9], s[16:17]
	s_cbranch_execz .LBB165_56
; %bb.52:
	s_and_b64 vcc, exec, s[0:1]
	s_cbranch_vccnz .LBB165_54
; %bb.53:
	v_lshl_add_u64 v[166:167], v[164:165], 3, v[170:171]
	global_load_dwordx2 v[166:167], v[166:167], off
	s_waitcnt vmcnt(0)
	v_mul_f64 v[166:167], s[20:21], v[166:167]
	v_cvt_f32_f64_e32 v166, v[166:167]
	s_branch .LBB165_55
.LBB165_54:
	v_mov_b32_e32 v166, 0
.LBB165_55:
	v_add_f64 v[174:175], v[22:23], v[158:159]
	v_add_f64 v[176:177], v[20:21], v[156:157]
	v_cvt_f32_f64_e32 v167, v[176:177]
	v_cvt_f32_f64_e32 v173, v[174:175]
	v_add_f64 v[174:175], v[14:15], v[154:155]
	v_add_f64 v[176:177], v[12:13], v[152:153]
	v_min3_f32 v167, v167, v173, v250
	v_cvt_f32_f64_e32 v173, v[176:177]
	v_cvt_f32_f64_e32 v174, v[174:175]
	v_min_f32_e32 v173, v173, v174
	v_min3_f32 v166, v166, v173, v167
	v_cvt_f64_f32_e32 v[166:167], v166
	v_lshl_add_u64 v[174:175], v[164:165], 3, v[168:169]
	global_store_dwordx2 v[174:175], v[166:167], off
.LBB165_56:
	s_or_b64 exec, exec, s[8:9]
	v_add_u32_e32 v166, 0x60, v160
	v_cmp_gt_i32_e64 s[8:9], s12, v166
	v_ashrrev_i32_e32 v167, 31, v166
	s_and_b64 s[16:17], s[8:9], s[10:11]
	s_and_saveexec_b64 s[10:11], s[16:17]
	s_cbranch_execz .LBB165_61
; %bb.57:
	s_and_b64 vcc, exec, s[0:1]
	s_cbranch_vccnz .LBB165_59
; %bb.58:
	v_lshl_add_u64 v[170:171], v[166:167], 3, v[170:171]
	global_load_dwordx2 v[170:171], v[170:171], off
	s_waitcnt vmcnt(0)
	v_mul_f64 v[170:171], s[20:21], v[170:171]
	v_cvt_f32_f64_e32 v170, v[170:171]
	s_branch .LBB165_60
.LBB165_59:
	v_mov_b32_e32 v170, 0
.LBB165_60:
	v_add_f64 v[158:159], v[6:7], v[158:159]
	v_add_f64 v[156:157], v[4:5], v[156:157]
	;; [unrolled: 1-line block ×4, first 2 shown]
	v_cvt_f32_f64_e32 v156, v[156:157]
	v_cvt_f32_f64_e32 v157, v[158:159]
	;; [unrolled: 1-line block ×4, first 2 shown]
	v_min3_f32 v156, v156, v157, v249
	v_min_f32_e32 v152, v152, v153
	v_min3_f32 v152, v170, v152, v156
	v_cvt_f64_f32_e32 v[152:153], v152
	v_lshl_add_u64 v[154:155], v[166:167], 3, v[168:169]
	global_store_dwordx2 v[154:155], v[152:153], off
.LBB165_61:
	s_or_b64 exec, exec, s[10:11]
	v_add_u32_e32 v156, 8, v172
	v_mad_i64_i32 v[152:153], s[16:17], v156, s29, 0
	v_cmp_gt_i32_e64 s[10:11], s13, v156
	v_lshl_add_u64 v[154:155], v[152:153], 3, s[22:23]
	v_mad_i64_i32 v[152:153], s[16:17], v156, s28, 0
	v_lshl_add_u64 v[152:153], v[152:153], 3, s[14:15]
	s_and_b64 s[18:19], s[2:3], s[10:11]
	s_and_saveexec_b64 s[16:17], s[18:19]
	s_cbranch_execnz .LBB165_65
; %bb.62:
	s_or_b64 exec, exec, s[16:17]
	s_and_b64 s[18:19], s[4:5], s[10:11]
	s_and_saveexec_b64 s[16:17], s[18:19]
	s_cbranch_execnz .LBB165_69
.LBB165_63:
	s_or_b64 exec, exec, s[16:17]
	s_and_b64 s[18:19], s[6:7], s[10:11]
	s_and_saveexec_b64 s[16:17], s[18:19]
	s_cbranch_execnz .LBB165_73
.LBB165_64:
	s_or_b64 exec, exec, s[16:17]
	s_and_b64 s[16:17], s[8:9], s[10:11]
	s_and_saveexec_b64 s[10:11], s[16:17]
	s_cbranch_execnz .LBB165_77
	s_branch .LBB165_81
.LBB165_65:
	s_and_b64 vcc, exec, s[0:1]
	s_cbranch_vccnz .LBB165_67
; %bb.66:
	v_lshl_add_u64 v[156:157], v[160:161], 3, v[154:155]
	global_load_dwordx2 v[156:157], v[156:157], off
	s_waitcnt vmcnt(0)
	v_mul_f64 v[156:157], s[20:21], v[156:157]
	v_cvt_f32_f64_e32 v156, v[156:157]
	s_branch .LBB165_68
.LBB165_67:
	v_mov_b32_e32 v156, 0
.LBB165_68:
	v_add_f64 v[158:159], v[38:39], v[150:151]
	v_add_f64 v[168:169], v[36:37], v[148:149]
	v_cvt_f32_f64_e32 v157, v[168:169]
	v_cvt_f32_f64_e32 v158, v[158:159]
	v_min3_f32 v157, v157, v158, v248
	v_add_f64 v[158:159], v[34:35], v[146:147]
	v_add_f64 v[168:169], v[32:33], v[144:145]
	v_cvt_f32_f64_e32 v168, v[168:169]
	v_cvt_f32_f64_e32 v158, v[158:159]
	v_min_f32_e32 v158, v168, v158
	v_min3_f32 v156, v156, v158, v157
	v_cvt_f64_f32_e32 v[156:157], v156
	v_lshl_add_u64 v[158:159], v[160:161], 3, v[152:153]
	global_store_dwordx2 v[158:159], v[156:157], off
	s_or_b64 exec, exec, s[16:17]
	s_and_b64 s[18:19], s[4:5], s[10:11]
	s_and_saveexec_b64 s[16:17], s[18:19]
	s_cbranch_execz .LBB165_63
.LBB165_69:
	s_and_b64 vcc, exec, s[0:1]
	s_cbranch_vccnz .LBB165_71
; %bb.70:
	v_lshl_add_u64 v[156:157], v[162:163], 3, v[154:155]
	global_load_dwordx2 v[156:157], v[156:157], off
	s_waitcnt vmcnt(0)
	v_mul_f64 v[156:157], s[20:21], v[156:157]
	v_cvt_f32_f64_e32 v156, v[156:157]
	s_branch .LBB165_72
.LBB165_71:
	v_mov_b32_e32 v156, 0
.LBB165_72:
	v_add_f64 v[158:159], v[26:27], v[150:151]
	v_add_f64 v[168:169], v[24:25], v[148:149]
	v_cvt_f32_f64_e32 v157, v[168:169]
	v_cvt_f32_f64_e32 v158, v[158:159]
	v_min3_f32 v157, v157, v158, v242
	v_add_f64 v[158:159], v[30:31], v[146:147]
	v_add_f64 v[168:169], v[28:29], v[144:145]
	v_cvt_f32_f64_e32 v168, v[168:169]
	v_cvt_f32_f64_e32 v158, v[158:159]
	v_min_f32_e32 v158, v168, v158
	v_min3_f32 v156, v156, v158, v157
	v_cvt_f64_f32_e32 v[156:157], v156
	v_lshl_add_u64 v[158:159], v[162:163], 3, v[152:153]
	global_store_dwordx2 v[158:159], v[156:157], off
	s_or_b64 exec, exec, s[16:17]
	s_and_b64 s[18:19], s[6:7], s[10:11]
	s_and_saveexec_b64 s[16:17], s[18:19]
	s_cbranch_execz .LBB165_64
.LBB165_73:
	s_and_b64 vcc, exec, s[0:1]
	s_cbranch_vccnz .LBB165_75
; %bb.74:
	v_lshl_add_u64 v[156:157], v[164:165], 3, v[154:155]
	global_load_dwordx2 v[156:157], v[156:157], off
	s_waitcnt vmcnt(0)
	v_mul_f64 v[156:157], s[20:21], v[156:157]
	v_cvt_f32_f64_e32 v156, v[156:157]
	s_branch .LBB165_76
.LBB165_75:
	v_mov_b32_e32 v156, 0
.LBB165_76:
	v_add_f64 v[158:159], v[22:23], v[150:151]
	v_add_f64 v[168:169], v[20:21], v[148:149]
	v_cvt_f32_f64_e32 v157, v[168:169]
	v_cvt_f32_f64_e32 v158, v[158:159]
	v_min3_f32 v157, v157, v158, v241
	v_add_f64 v[158:159], v[14:15], v[146:147]
	v_add_f64 v[168:169], v[12:13], v[144:145]
	v_cvt_f32_f64_e32 v168, v[168:169]
	v_cvt_f32_f64_e32 v158, v[158:159]
	v_min_f32_e32 v158, v168, v158
	v_min3_f32 v156, v156, v158, v157
	v_cvt_f64_f32_e32 v[156:157], v156
	v_lshl_add_u64 v[158:159], v[164:165], 3, v[152:153]
	global_store_dwordx2 v[158:159], v[156:157], off
	s_or_b64 exec, exec, s[16:17]
	s_and_b64 s[16:17], s[8:9], s[10:11]
	s_and_saveexec_b64 s[10:11], s[16:17]
	s_cbranch_execz .LBB165_81
.LBB165_77:
	s_and_b64 vcc, exec, s[0:1]
	s_cbranch_vccnz .LBB165_79
; %bb.78:
	v_lshl_add_u64 v[154:155], v[166:167], 3, v[154:155]
	global_load_dwordx2 v[154:155], v[154:155], off
	s_waitcnt vmcnt(0)
	v_mul_f64 v[154:155], s[20:21], v[154:155]
	v_cvt_f32_f64_e32 v154, v[154:155]
	s_branch .LBB165_80
.LBB165_79:
	v_mov_b32_e32 v154, 0
.LBB165_80:
	v_add_f64 v[150:151], v[6:7], v[150:151]
	v_add_f64 v[148:149], v[4:5], v[148:149]
	v_add_f64 v[146:147], v[2:3], v[146:147]
	v_add_f64 v[144:145], v[0:1], v[144:145]
	v_cvt_f32_f64_e32 v148, v[148:149]
	v_cvt_f32_f64_e32 v149, v[150:151]
	;; [unrolled: 1-line block ×4, first 2 shown]
	v_min3_f32 v148, v148, v149, v240
	v_min_f32_e32 v144, v144, v145
	v_min3_f32 v144, v154, v144, v148
	v_cvt_f64_f32_e32 v[144:145], v144
	v_lshl_add_u64 v[146:147], v[166:167], 3, v[152:153]
	global_store_dwordx2 v[146:147], v[144:145], off
.LBB165_81:
	s_or_b64 exec, exec, s[10:11]
	v_add_u32_e32 v148, 16, v172
	v_mad_i64_i32 v[144:145], s[16:17], v148, s29, 0
	v_cmp_gt_i32_e64 s[10:11], s13, v148
	v_lshl_add_u64 v[146:147], v[144:145], 3, s[22:23]
	v_mad_i64_i32 v[144:145], s[16:17], v148, s28, 0
	v_lshl_add_u64 v[144:145], v[144:145], 3, s[14:15]
	s_and_b64 s[18:19], s[2:3], s[10:11]
	s_and_saveexec_b64 s[16:17], s[18:19]
	s_cbranch_execnz .LBB165_85
; %bb.82:
	s_or_b64 exec, exec, s[16:17]
	s_and_b64 s[18:19], s[4:5], s[10:11]
	s_and_saveexec_b64 s[16:17], s[18:19]
	s_cbranch_execnz .LBB165_89
.LBB165_83:
	s_or_b64 exec, exec, s[16:17]
	s_and_b64 s[18:19], s[6:7], s[10:11]
	s_and_saveexec_b64 s[16:17], s[18:19]
	s_cbranch_execnz .LBB165_93
.LBB165_84:
	s_or_b64 exec, exec, s[16:17]
	s_and_b64 s[16:17], s[8:9], s[10:11]
	s_and_saveexec_b64 s[10:11], s[16:17]
	s_cbranch_execnz .LBB165_97
	s_branch .LBB165_101
.LBB165_85:
	s_and_b64 vcc, exec, s[0:1]
	s_cbranch_vccnz .LBB165_87
; %bb.86:
	v_lshl_add_u64 v[148:149], v[160:161], 3, v[146:147]
	global_load_dwordx2 v[148:149], v[148:149], off
	s_waitcnt vmcnt(0)
	v_mul_f64 v[148:149], s[20:21], v[148:149]
	v_cvt_f32_f64_e32 v148, v[148:149]
	s_branch .LBB165_88
.LBB165_87:
	v_mov_b32_e32 v148, 0
.LBB165_88:
	v_add_f64 v[150:151], v[38:39], v[142:143]
	v_add_f64 v[152:153], v[36:37], v[140:141]
	v_cvt_f32_f64_e32 v149, v[152:153]
	v_cvt_f32_f64_e32 v150, v[150:151]
	v_min3_f32 v149, v149, v150, v239
	v_add_f64 v[150:151], v[34:35], v[138:139]
	v_add_f64 v[152:153], v[32:33], v[136:137]
	v_cvt_f32_f64_e32 v152, v[152:153]
	v_cvt_f32_f64_e32 v150, v[150:151]
	v_min_f32_e32 v150, v152, v150
	v_min3_f32 v148, v148, v150, v149
	v_cvt_f64_f32_e32 v[148:149], v148
	v_lshl_add_u64 v[150:151], v[160:161], 3, v[144:145]
	global_store_dwordx2 v[150:151], v[148:149], off
	s_or_b64 exec, exec, s[16:17]
	s_and_b64 s[18:19], s[4:5], s[10:11]
	s_and_saveexec_b64 s[16:17], s[18:19]
	s_cbranch_execz .LBB165_83
.LBB165_89:
	s_and_b64 vcc, exec, s[0:1]
	s_cbranch_vccnz .LBB165_91
; %bb.90:
	v_lshl_add_u64 v[148:149], v[162:163], 3, v[146:147]
	global_load_dwordx2 v[148:149], v[148:149], off
	s_waitcnt vmcnt(0)
	v_mul_f64 v[148:149], s[20:21], v[148:149]
	v_cvt_f32_f64_e32 v148, v[148:149]
	s_branch .LBB165_92
.LBB165_91:
	v_mov_b32_e32 v148, 0
.LBB165_92:
	v_add_f64 v[150:151], v[26:27], v[142:143]
	v_add_f64 v[152:153], v[24:25], v[140:141]
	v_cvt_f32_f64_e32 v149, v[152:153]
	v_cvt_f32_f64_e32 v150, v[150:151]
	v_min3_f32 v149, v149, v150, v238
	v_add_f64 v[150:151], v[30:31], v[138:139]
	v_add_f64 v[152:153], v[28:29], v[136:137]
	v_cvt_f32_f64_e32 v152, v[152:153]
	v_cvt_f32_f64_e32 v150, v[150:151]
	v_min_f32_e32 v150, v152, v150
	v_min3_f32 v148, v148, v150, v149
	v_cvt_f64_f32_e32 v[148:149], v148
	v_lshl_add_u64 v[150:151], v[162:163], 3, v[144:145]
	global_store_dwordx2 v[150:151], v[148:149], off
	s_or_b64 exec, exec, s[16:17]
	s_and_b64 s[18:19], s[6:7], s[10:11]
	s_and_saveexec_b64 s[16:17], s[18:19]
	s_cbranch_execz .LBB165_84
.LBB165_93:
	s_and_b64 vcc, exec, s[0:1]
	s_cbranch_vccnz .LBB165_95
; %bb.94:
	v_lshl_add_u64 v[148:149], v[164:165], 3, v[146:147]
	global_load_dwordx2 v[148:149], v[148:149], off
	s_waitcnt vmcnt(0)
	v_mul_f64 v[148:149], s[20:21], v[148:149]
	v_cvt_f32_f64_e32 v148, v[148:149]
	s_branch .LBB165_96
.LBB165_95:
	v_mov_b32_e32 v148, 0
.LBB165_96:
	v_add_f64 v[150:151], v[22:23], v[142:143]
	v_add_f64 v[152:153], v[20:21], v[140:141]
	v_cvt_f32_f64_e32 v149, v[152:153]
	v_cvt_f32_f64_e32 v150, v[150:151]
	v_min3_f32 v149, v149, v150, v237
	v_add_f64 v[150:151], v[14:15], v[138:139]
	v_add_f64 v[152:153], v[12:13], v[136:137]
	v_cvt_f32_f64_e32 v152, v[152:153]
	v_cvt_f32_f64_e32 v150, v[150:151]
	v_min_f32_e32 v150, v152, v150
	v_min3_f32 v148, v148, v150, v149
	v_cvt_f64_f32_e32 v[148:149], v148
	v_lshl_add_u64 v[150:151], v[164:165], 3, v[144:145]
	global_store_dwordx2 v[150:151], v[148:149], off
	s_or_b64 exec, exec, s[16:17]
	s_and_b64 s[16:17], s[8:9], s[10:11]
	s_and_saveexec_b64 s[10:11], s[16:17]
	s_cbranch_execz .LBB165_101
.LBB165_97:
	s_and_b64 vcc, exec, s[0:1]
	s_cbranch_vccnz .LBB165_99
; %bb.98:
	v_lshl_add_u64 v[146:147], v[166:167], 3, v[146:147]
	global_load_dwordx2 v[146:147], v[146:147], off
	s_waitcnt vmcnt(0)
	v_mul_f64 v[146:147], s[20:21], v[146:147]
	v_cvt_f32_f64_e32 v146, v[146:147]
	s_branch .LBB165_100
.LBB165_99:
	v_mov_b32_e32 v146, 0
.LBB165_100:
	v_add_f64 v[142:143], v[6:7], v[142:143]
	v_add_f64 v[140:141], v[4:5], v[140:141]
	;; [unrolled: 1-line block ×4, first 2 shown]
	v_cvt_f32_f64_e32 v140, v[140:141]
	v_cvt_f32_f64_e32 v141, v[142:143]
	;; [unrolled: 1-line block ×4, first 2 shown]
	v_min3_f32 v140, v140, v141, v236
	v_min_f32_e32 v136, v136, v137
	v_min3_f32 v136, v146, v136, v140
	v_cvt_f64_f32_e32 v[136:137], v136
	v_lshl_add_u64 v[138:139], v[166:167], 3, v[144:145]
	global_store_dwordx2 v[138:139], v[136:137], off
.LBB165_101:
	s_or_b64 exec, exec, s[10:11]
	v_add_u32_e32 v140, 24, v172
	v_mad_i64_i32 v[136:137], s[16:17], v140, s29, 0
	v_cmp_gt_i32_e64 s[10:11], s13, v140
	v_lshl_add_u64 v[138:139], v[136:137], 3, s[22:23]
	v_mad_i64_i32 v[136:137], s[16:17], v140, s28, 0
	v_lshl_add_u64 v[136:137], v[136:137], 3, s[14:15]
	s_and_b64 s[18:19], s[2:3], s[10:11]
	s_and_saveexec_b64 s[16:17], s[18:19]
	s_cbranch_execnz .LBB165_105
; %bb.102:
	s_or_b64 exec, exec, s[16:17]
	s_and_b64 s[18:19], s[4:5], s[10:11]
	s_and_saveexec_b64 s[16:17], s[18:19]
	s_cbranch_execnz .LBB165_109
.LBB165_103:
	s_or_b64 exec, exec, s[16:17]
	s_and_b64 s[18:19], s[6:7], s[10:11]
	s_and_saveexec_b64 s[16:17], s[18:19]
	s_cbranch_execnz .LBB165_113
.LBB165_104:
	s_or_b64 exec, exec, s[16:17]
	s_and_b64 s[16:17], s[8:9], s[10:11]
	s_and_saveexec_b64 s[10:11], s[16:17]
	s_cbranch_execnz .LBB165_117
	s_branch .LBB165_121
.LBB165_105:
	s_and_b64 vcc, exec, s[0:1]
	s_cbranch_vccnz .LBB165_107
; %bb.106:
	v_lshl_add_u64 v[140:141], v[160:161], 3, v[138:139]
	global_load_dwordx2 v[140:141], v[140:141], off
	s_waitcnt vmcnt(0)
	v_mul_f64 v[140:141], s[20:21], v[140:141]
	v_cvt_f32_f64_e32 v140, v[140:141]
	s_branch .LBB165_108
.LBB165_107:
	v_mov_b32_e32 v140, 0
.LBB165_108:
	v_add_f64 v[142:143], v[38:39], v[134:135]
	v_add_f64 v[144:145], v[36:37], v[132:133]
	v_cvt_f32_f64_e32 v141, v[144:145]
	v_cvt_f32_f64_e32 v142, v[142:143]
	v_min3_f32 v141, v141, v142, v235
	v_add_f64 v[142:143], v[34:35], v[130:131]
	v_add_f64 v[144:145], v[32:33], v[128:129]
	v_cvt_f32_f64_e32 v144, v[144:145]
	v_cvt_f32_f64_e32 v142, v[142:143]
	v_min_f32_e32 v142, v144, v142
	v_min3_f32 v140, v140, v142, v141
	v_cvt_f64_f32_e32 v[140:141], v140
	v_lshl_add_u64 v[142:143], v[160:161], 3, v[136:137]
	global_store_dwordx2 v[142:143], v[140:141], off
	s_or_b64 exec, exec, s[16:17]
	s_and_b64 s[18:19], s[4:5], s[10:11]
	s_and_saveexec_b64 s[16:17], s[18:19]
	s_cbranch_execz .LBB165_103
.LBB165_109:
	s_and_b64 vcc, exec, s[0:1]
	s_cbranch_vccnz .LBB165_111
; %bb.110:
	v_lshl_add_u64 v[140:141], v[162:163], 3, v[138:139]
	global_load_dwordx2 v[140:141], v[140:141], off
	s_waitcnt vmcnt(0)
	v_mul_f64 v[140:141], s[20:21], v[140:141]
	v_cvt_f32_f64_e32 v140, v[140:141]
	s_branch .LBB165_112
.LBB165_111:
	v_mov_b32_e32 v140, 0
.LBB165_112:
	v_add_f64 v[142:143], v[26:27], v[134:135]
	v_add_f64 v[144:145], v[24:25], v[132:133]
	v_cvt_f32_f64_e32 v141, v[144:145]
	v_cvt_f32_f64_e32 v142, v[142:143]
	v_min3_f32 v141, v141, v142, v234
	v_add_f64 v[142:143], v[30:31], v[130:131]
	v_add_f64 v[144:145], v[28:29], v[128:129]
	v_cvt_f32_f64_e32 v144, v[144:145]
	v_cvt_f32_f64_e32 v142, v[142:143]
	v_min_f32_e32 v142, v144, v142
	v_min3_f32 v140, v140, v142, v141
	v_cvt_f64_f32_e32 v[140:141], v140
	v_lshl_add_u64 v[142:143], v[162:163], 3, v[136:137]
	global_store_dwordx2 v[142:143], v[140:141], off
	s_or_b64 exec, exec, s[16:17]
	s_and_b64 s[18:19], s[6:7], s[10:11]
	s_and_saveexec_b64 s[16:17], s[18:19]
	s_cbranch_execz .LBB165_104
.LBB165_113:
	s_and_b64 vcc, exec, s[0:1]
	s_cbranch_vccnz .LBB165_115
; %bb.114:
	v_lshl_add_u64 v[140:141], v[164:165], 3, v[138:139]
	global_load_dwordx2 v[140:141], v[140:141], off
	s_waitcnt vmcnt(0)
	v_mul_f64 v[140:141], s[20:21], v[140:141]
	v_cvt_f32_f64_e32 v140, v[140:141]
	s_branch .LBB165_116
.LBB165_115:
	v_mov_b32_e32 v140, 0
.LBB165_116:
	v_add_f64 v[142:143], v[22:23], v[134:135]
	v_add_f64 v[144:145], v[20:21], v[132:133]
	v_cvt_f32_f64_e32 v141, v[144:145]
	v_cvt_f32_f64_e32 v142, v[142:143]
	v_min3_f32 v141, v141, v142, v233
	v_add_f64 v[142:143], v[14:15], v[130:131]
	v_add_f64 v[144:145], v[12:13], v[128:129]
	v_cvt_f32_f64_e32 v144, v[144:145]
	v_cvt_f32_f64_e32 v142, v[142:143]
	v_min_f32_e32 v142, v144, v142
	v_min3_f32 v140, v140, v142, v141
	v_cvt_f64_f32_e32 v[140:141], v140
	v_lshl_add_u64 v[142:143], v[164:165], 3, v[136:137]
	global_store_dwordx2 v[142:143], v[140:141], off
	s_or_b64 exec, exec, s[16:17]
	s_and_b64 s[16:17], s[8:9], s[10:11]
	s_and_saveexec_b64 s[10:11], s[16:17]
	s_cbranch_execz .LBB165_121
.LBB165_117:
	s_and_b64 vcc, exec, s[0:1]
	s_cbranch_vccnz .LBB165_119
; %bb.118:
	v_lshl_add_u64 v[138:139], v[166:167], 3, v[138:139]
	global_load_dwordx2 v[138:139], v[138:139], off
	s_waitcnt vmcnt(0)
	v_mul_f64 v[138:139], s[20:21], v[138:139]
	v_cvt_f32_f64_e32 v138, v[138:139]
	s_branch .LBB165_120
.LBB165_119:
	v_mov_b32_e32 v138, 0
.LBB165_120:
	v_add_f64 v[134:135], v[6:7], v[134:135]
	v_add_f64 v[132:133], v[4:5], v[132:133]
	;; [unrolled: 1-line block ×4, first 2 shown]
	v_cvt_f32_f64_e32 v132, v[132:133]
	v_cvt_f32_f64_e32 v133, v[134:135]
	;; [unrolled: 1-line block ×4, first 2 shown]
	v_min3_f32 v132, v132, v133, v232
	v_min_f32_e32 v128, v128, v129
	v_min3_f32 v128, v138, v128, v132
	v_cvt_f64_f32_e32 v[128:129], v128
	v_lshl_add_u64 v[130:131], v[166:167], 3, v[136:137]
	global_store_dwordx2 v[130:131], v[128:129], off
.LBB165_121:
	s_or_b64 exec, exec, s[10:11]
	v_add_u32_e32 v132, 32, v172
	v_mad_i64_i32 v[128:129], s[16:17], v132, s29, 0
	v_cmp_gt_i32_e64 s[10:11], s13, v132
	v_lshl_add_u64 v[130:131], v[128:129], 3, s[22:23]
	v_mad_i64_i32 v[128:129], s[16:17], v132, s28, 0
	v_lshl_add_u64 v[128:129], v[128:129], 3, s[14:15]
	s_and_b64 s[18:19], s[2:3], s[10:11]
	s_and_saveexec_b64 s[16:17], s[18:19]
	s_cbranch_execnz .LBB165_125
; %bb.122:
	s_or_b64 exec, exec, s[16:17]
	s_and_b64 s[18:19], s[4:5], s[10:11]
	s_and_saveexec_b64 s[16:17], s[18:19]
	s_cbranch_execnz .LBB165_129
.LBB165_123:
	s_or_b64 exec, exec, s[16:17]
	s_and_b64 s[18:19], s[6:7], s[10:11]
	s_and_saveexec_b64 s[16:17], s[18:19]
	s_cbranch_execnz .LBB165_133
.LBB165_124:
	s_or_b64 exec, exec, s[16:17]
	s_and_b64 s[16:17], s[8:9], s[10:11]
	s_and_saveexec_b64 s[10:11], s[16:17]
	s_cbranch_execnz .LBB165_137
	s_branch .LBB165_141
.LBB165_125:
	s_and_b64 vcc, exec, s[0:1]
	s_cbranch_vccnz .LBB165_127
; %bb.126:
	v_lshl_add_u64 v[132:133], v[160:161], 3, v[130:131]
	global_load_dwordx2 v[132:133], v[132:133], off
	s_waitcnt vmcnt(0)
	v_mul_f64 v[132:133], s[20:21], v[132:133]
	v_cvt_f32_f64_e32 v132, v[132:133]
	s_branch .LBB165_128
.LBB165_127:
	v_mov_b32_e32 v132, 0
.LBB165_128:
	v_add_f64 v[134:135], v[38:39], v[126:127]
	v_add_f64 v[136:137], v[36:37], v[124:125]
	v_cvt_f32_f64_e32 v133, v[136:137]
	v_cvt_f32_f64_e32 v134, v[134:135]
	v_min3_f32 v133, v133, v134, v231
	v_add_f64 v[134:135], v[34:35], v[122:123]
	v_add_f64 v[136:137], v[32:33], v[120:121]
	v_cvt_f32_f64_e32 v136, v[136:137]
	v_cvt_f32_f64_e32 v134, v[134:135]
	v_min_f32_e32 v134, v136, v134
	v_min3_f32 v132, v132, v134, v133
	v_cvt_f64_f32_e32 v[132:133], v132
	v_lshl_add_u64 v[134:135], v[160:161], 3, v[128:129]
	global_store_dwordx2 v[134:135], v[132:133], off
	s_or_b64 exec, exec, s[16:17]
	s_and_b64 s[18:19], s[4:5], s[10:11]
	s_and_saveexec_b64 s[16:17], s[18:19]
	s_cbranch_execz .LBB165_123
.LBB165_129:
	s_and_b64 vcc, exec, s[0:1]
	s_cbranch_vccnz .LBB165_131
; %bb.130:
	v_lshl_add_u64 v[132:133], v[162:163], 3, v[130:131]
	global_load_dwordx2 v[132:133], v[132:133], off
	s_waitcnt vmcnt(0)
	v_mul_f64 v[132:133], s[20:21], v[132:133]
	v_cvt_f32_f64_e32 v132, v[132:133]
	s_branch .LBB165_132
.LBB165_131:
	v_mov_b32_e32 v132, 0
.LBB165_132:
	v_add_f64 v[134:135], v[26:27], v[126:127]
	v_add_f64 v[136:137], v[24:25], v[124:125]
	v_cvt_f32_f64_e32 v133, v[136:137]
	v_cvt_f32_f64_e32 v134, v[134:135]
	v_min3_f32 v133, v133, v134, v230
	v_add_f64 v[134:135], v[30:31], v[122:123]
	v_add_f64 v[136:137], v[28:29], v[120:121]
	v_cvt_f32_f64_e32 v136, v[136:137]
	v_cvt_f32_f64_e32 v134, v[134:135]
	v_min_f32_e32 v134, v136, v134
	v_min3_f32 v132, v132, v134, v133
	v_cvt_f64_f32_e32 v[132:133], v132
	v_lshl_add_u64 v[134:135], v[162:163], 3, v[128:129]
	global_store_dwordx2 v[134:135], v[132:133], off
	s_or_b64 exec, exec, s[16:17]
	s_and_b64 s[18:19], s[6:7], s[10:11]
	s_and_saveexec_b64 s[16:17], s[18:19]
	s_cbranch_execz .LBB165_124
.LBB165_133:
	s_and_b64 vcc, exec, s[0:1]
	s_cbranch_vccnz .LBB165_135
; %bb.134:
	v_lshl_add_u64 v[132:133], v[164:165], 3, v[130:131]
	global_load_dwordx2 v[132:133], v[132:133], off
	s_waitcnt vmcnt(0)
	v_mul_f64 v[132:133], s[20:21], v[132:133]
	v_cvt_f32_f64_e32 v132, v[132:133]
	s_branch .LBB165_136
.LBB165_135:
	v_mov_b32_e32 v132, 0
.LBB165_136:
	v_add_f64 v[134:135], v[22:23], v[126:127]
	v_add_f64 v[136:137], v[20:21], v[124:125]
	v_cvt_f32_f64_e32 v133, v[136:137]
	v_cvt_f32_f64_e32 v134, v[134:135]
	v_min3_f32 v133, v133, v134, v229
	v_add_f64 v[134:135], v[14:15], v[122:123]
	v_add_f64 v[136:137], v[12:13], v[120:121]
	v_cvt_f32_f64_e32 v136, v[136:137]
	v_cvt_f32_f64_e32 v134, v[134:135]
	v_min_f32_e32 v134, v136, v134
	v_min3_f32 v132, v132, v134, v133
	v_cvt_f64_f32_e32 v[132:133], v132
	v_lshl_add_u64 v[134:135], v[164:165], 3, v[128:129]
	global_store_dwordx2 v[134:135], v[132:133], off
	s_or_b64 exec, exec, s[16:17]
	s_and_b64 s[16:17], s[8:9], s[10:11]
	s_and_saveexec_b64 s[10:11], s[16:17]
	s_cbranch_execz .LBB165_141
.LBB165_137:
	s_and_b64 vcc, exec, s[0:1]
	s_cbranch_vccnz .LBB165_139
; %bb.138:
	v_lshl_add_u64 v[130:131], v[166:167], 3, v[130:131]
	global_load_dwordx2 v[130:131], v[130:131], off
	s_waitcnt vmcnt(0)
	v_mul_f64 v[130:131], s[20:21], v[130:131]
	v_cvt_f32_f64_e32 v130, v[130:131]
	s_branch .LBB165_140
.LBB165_139:
	v_mov_b32_e32 v130, 0
.LBB165_140:
	v_add_f64 v[126:127], v[6:7], v[126:127]
	v_add_f64 v[124:125], v[4:5], v[124:125]
	;; [unrolled: 1-line block ×4, first 2 shown]
	v_cvt_f32_f64_e32 v124, v[124:125]
	v_cvt_f32_f64_e32 v125, v[126:127]
	;; [unrolled: 1-line block ×4, first 2 shown]
	v_min3_f32 v124, v124, v125, v228
	v_min_f32_e32 v120, v120, v121
	v_min3_f32 v120, v130, v120, v124
	v_cvt_f64_f32_e32 v[120:121], v120
	v_lshl_add_u64 v[122:123], v[166:167], 3, v[128:129]
	global_store_dwordx2 v[122:123], v[120:121], off
.LBB165_141:
	s_or_b64 exec, exec, s[10:11]
	v_add_u32_e32 v124, 40, v172
	v_mad_i64_i32 v[120:121], s[16:17], v124, s29, 0
	v_cmp_gt_i32_e64 s[10:11], s13, v124
	v_lshl_add_u64 v[122:123], v[120:121], 3, s[22:23]
	v_mad_i64_i32 v[120:121], s[16:17], v124, s28, 0
	v_lshl_add_u64 v[120:121], v[120:121], 3, s[14:15]
	s_and_b64 s[18:19], s[2:3], s[10:11]
	s_and_saveexec_b64 s[16:17], s[18:19]
	s_cbranch_execnz .LBB165_145
; %bb.142:
	s_or_b64 exec, exec, s[16:17]
	s_and_b64 s[18:19], s[4:5], s[10:11]
	s_and_saveexec_b64 s[16:17], s[18:19]
	s_cbranch_execnz .LBB165_149
.LBB165_143:
	s_or_b64 exec, exec, s[16:17]
	s_and_b64 s[18:19], s[6:7], s[10:11]
	s_and_saveexec_b64 s[16:17], s[18:19]
	s_cbranch_execnz .LBB165_153
.LBB165_144:
	s_or_b64 exec, exec, s[16:17]
	s_and_b64 s[16:17], s[8:9], s[10:11]
	s_and_saveexec_b64 s[10:11], s[16:17]
	s_cbranch_execnz .LBB165_157
	s_branch .LBB165_161
.LBB165_145:
	s_and_b64 vcc, exec, s[0:1]
	s_cbranch_vccnz .LBB165_147
; %bb.146:
	v_lshl_add_u64 v[124:125], v[160:161], 3, v[122:123]
	global_load_dwordx2 v[124:125], v[124:125], off
	s_waitcnt vmcnt(0)
	v_mul_f64 v[124:125], s[20:21], v[124:125]
	v_cvt_f32_f64_e32 v124, v[124:125]
	s_branch .LBB165_148
.LBB165_147:
	v_mov_b32_e32 v124, 0
.LBB165_148:
	v_add_f64 v[126:127], v[38:39], v[118:119]
	v_add_f64 v[128:129], v[36:37], v[116:117]
	v_cvt_f32_f64_e32 v125, v[128:129]
	v_cvt_f32_f64_e32 v126, v[126:127]
	v_min3_f32 v125, v125, v126, v227
	v_add_f64 v[126:127], v[34:35], v[114:115]
	v_add_f64 v[128:129], v[32:33], v[112:113]
	v_cvt_f32_f64_e32 v128, v[128:129]
	v_cvt_f32_f64_e32 v126, v[126:127]
	v_min_f32_e32 v126, v128, v126
	v_min3_f32 v124, v124, v126, v125
	v_cvt_f64_f32_e32 v[124:125], v124
	v_lshl_add_u64 v[126:127], v[160:161], 3, v[120:121]
	global_store_dwordx2 v[126:127], v[124:125], off
	s_or_b64 exec, exec, s[16:17]
	s_and_b64 s[18:19], s[4:5], s[10:11]
	s_and_saveexec_b64 s[16:17], s[18:19]
	s_cbranch_execz .LBB165_143
.LBB165_149:
	s_and_b64 vcc, exec, s[0:1]
	s_cbranch_vccnz .LBB165_151
; %bb.150:
	v_lshl_add_u64 v[124:125], v[162:163], 3, v[122:123]
	global_load_dwordx2 v[124:125], v[124:125], off
	s_waitcnt vmcnt(0)
	v_mul_f64 v[124:125], s[20:21], v[124:125]
	v_cvt_f32_f64_e32 v124, v[124:125]
	s_branch .LBB165_152
.LBB165_151:
	v_mov_b32_e32 v124, 0
.LBB165_152:
	v_add_f64 v[126:127], v[26:27], v[118:119]
	v_add_f64 v[128:129], v[24:25], v[116:117]
	v_cvt_f32_f64_e32 v125, v[128:129]
	v_cvt_f32_f64_e32 v126, v[126:127]
	v_min3_f32 v125, v125, v126, v226
	v_add_f64 v[126:127], v[30:31], v[114:115]
	v_add_f64 v[128:129], v[28:29], v[112:113]
	v_cvt_f32_f64_e32 v128, v[128:129]
	v_cvt_f32_f64_e32 v126, v[126:127]
	v_min_f32_e32 v126, v128, v126
	v_min3_f32 v124, v124, v126, v125
	v_cvt_f64_f32_e32 v[124:125], v124
	v_lshl_add_u64 v[126:127], v[162:163], 3, v[120:121]
	global_store_dwordx2 v[126:127], v[124:125], off
	s_or_b64 exec, exec, s[16:17]
	s_and_b64 s[18:19], s[6:7], s[10:11]
	s_and_saveexec_b64 s[16:17], s[18:19]
	s_cbranch_execz .LBB165_144
.LBB165_153:
	s_and_b64 vcc, exec, s[0:1]
	s_cbranch_vccnz .LBB165_155
; %bb.154:
	v_lshl_add_u64 v[124:125], v[164:165], 3, v[122:123]
	global_load_dwordx2 v[124:125], v[124:125], off
	s_waitcnt vmcnt(0)
	v_mul_f64 v[124:125], s[20:21], v[124:125]
	v_cvt_f32_f64_e32 v124, v[124:125]
	s_branch .LBB165_156
.LBB165_155:
	v_mov_b32_e32 v124, 0
.LBB165_156:
	v_add_f64 v[126:127], v[22:23], v[118:119]
	v_add_f64 v[128:129], v[20:21], v[116:117]
	v_cvt_f32_f64_e32 v125, v[128:129]
	v_cvt_f32_f64_e32 v126, v[126:127]
	v_min3_f32 v125, v125, v126, v225
	v_add_f64 v[126:127], v[14:15], v[114:115]
	v_add_f64 v[128:129], v[12:13], v[112:113]
	v_cvt_f32_f64_e32 v128, v[128:129]
	v_cvt_f32_f64_e32 v126, v[126:127]
	v_min_f32_e32 v126, v128, v126
	v_min3_f32 v124, v124, v126, v125
	v_cvt_f64_f32_e32 v[124:125], v124
	v_lshl_add_u64 v[126:127], v[164:165], 3, v[120:121]
	global_store_dwordx2 v[126:127], v[124:125], off
	s_or_b64 exec, exec, s[16:17]
	s_and_b64 s[16:17], s[8:9], s[10:11]
	s_and_saveexec_b64 s[10:11], s[16:17]
	s_cbranch_execz .LBB165_161
.LBB165_157:
	s_and_b64 vcc, exec, s[0:1]
	s_cbranch_vccnz .LBB165_159
; %bb.158:
	v_lshl_add_u64 v[122:123], v[166:167], 3, v[122:123]
	global_load_dwordx2 v[122:123], v[122:123], off
	s_waitcnt vmcnt(0)
	v_mul_f64 v[122:123], s[20:21], v[122:123]
	v_cvt_f32_f64_e32 v122, v[122:123]
	s_branch .LBB165_160
.LBB165_159:
	v_mov_b32_e32 v122, 0
.LBB165_160:
	v_add_f64 v[118:119], v[6:7], v[118:119]
	v_add_f64 v[116:117], v[4:5], v[116:117]
	;; [unrolled: 1-line block ×4, first 2 shown]
	v_cvt_f32_f64_e32 v116, v[116:117]
	v_cvt_f32_f64_e32 v117, v[118:119]
	;; [unrolled: 1-line block ×4, first 2 shown]
	v_min3_f32 v116, v116, v117, v224
	v_min_f32_e32 v112, v112, v113
	v_min3_f32 v112, v122, v112, v116
	v_cvt_f64_f32_e32 v[112:113], v112
	v_lshl_add_u64 v[114:115], v[166:167], 3, v[120:121]
	global_store_dwordx2 v[114:115], v[112:113], off
.LBB165_161:
	s_or_b64 exec, exec, s[10:11]
	v_add_u32_e32 v116, 48, v172
	v_mad_i64_i32 v[112:113], s[16:17], v116, s29, 0
	v_cmp_gt_i32_e64 s[10:11], s13, v116
	v_lshl_add_u64 v[114:115], v[112:113], 3, s[22:23]
	v_mad_i64_i32 v[112:113], s[16:17], v116, s28, 0
	v_lshl_add_u64 v[112:113], v[112:113], 3, s[14:15]
	s_and_b64 s[18:19], s[2:3], s[10:11]
	s_and_saveexec_b64 s[16:17], s[18:19]
	s_cbranch_execnz .LBB165_165
; %bb.162:
	s_or_b64 exec, exec, s[16:17]
	s_and_b64 s[18:19], s[4:5], s[10:11]
	s_and_saveexec_b64 s[16:17], s[18:19]
	s_cbranch_execnz .LBB165_169
.LBB165_163:
	s_or_b64 exec, exec, s[16:17]
	s_and_b64 s[18:19], s[6:7], s[10:11]
	s_and_saveexec_b64 s[16:17], s[18:19]
	s_cbranch_execnz .LBB165_173
.LBB165_164:
	s_or_b64 exec, exec, s[16:17]
	s_and_b64 s[16:17], s[8:9], s[10:11]
	s_and_saveexec_b64 s[10:11], s[16:17]
	s_cbranch_execnz .LBB165_177
	s_branch .LBB165_181
.LBB165_165:
	s_and_b64 vcc, exec, s[0:1]
	s_cbranch_vccnz .LBB165_167
; %bb.166:
	v_lshl_add_u64 v[116:117], v[160:161], 3, v[114:115]
	global_load_dwordx2 v[116:117], v[116:117], off
	s_waitcnt vmcnt(0)
	v_mul_f64 v[116:117], s[20:21], v[116:117]
	v_cvt_f32_f64_e32 v116, v[116:117]
	s_branch .LBB165_168
.LBB165_167:
	v_mov_b32_e32 v116, 0
.LBB165_168:
	v_add_f64 v[118:119], v[38:39], v[110:111]
	v_add_f64 v[120:121], v[36:37], v[108:109]
	v_cvt_f32_f64_e32 v117, v[120:121]
	v_cvt_f32_f64_e32 v118, v[118:119]
	v_min3_f32 v117, v117, v118, v223
	v_add_f64 v[118:119], v[34:35], v[106:107]
	v_add_f64 v[120:121], v[32:33], v[104:105]
	v_cvt_f32_f64_e32 v120, v[120:121]
	v_cvt_f32_f64_e32 v118, v[118:119]
	v_min_f32_e32 v118, v120, v118
	v_min3_f32 v116, v116, v118, v117
	v_cvt_f64_f32_e32 v[116:117], v116
	v_lshl_add_u64 v[118:119], v[160:161], 3, v[112:113]
	global_store_dwordx2 v[118:119], v[116:117], off
	s_or_b64 exec, exec, s[16:17]
	s_and_b64 s[18:19], s[4:5], s[10:11]
	s_and_saveexec_b64 s[16:17], s[18:19]
	s_cbranch_execz .LBB165_163
.LBB165_169:
	s_and_b64 vcc, exec, s[0:1]
	s_cbranch_vccnz .LBB165_171
; %bb.170:
	v_lshl_add_u64 v[116:117], v[162:163], 3, v[114:115]
	global_load_dwordx2 v[116:117], v[116:117], off
	s_waitcnt vmcnt(0)
	v_mul_f64 v[116:117], s[20:21], v[116:117]
	v_cvt_f32_f64_e32 v116, v[116:117]
	s_branch .LBB165_172
.LBB165_171:
	v_mov_b32_e32 v116, 0
.LBB165_172:
	v_add_f64 v[118:119], v[26:27], v[110:111]
	v_add_f64 v[120:121], v[24:25], v[108:109]
	v_cvt_f32_f64_e32 v117, v[120:121]
	v_cvt_f32_f64_e32 v118, v[118:119]
	v_min3_f32 v117, v117, v118, v222
	v_add_f64 v[118:119], v[30:31], v[106:107]
	v_add_f64 v[120:121], v[28:29], v[104:105]
	v_cvt_f32_f64_e32 v120, v[120:121]
	v_cvt_f32_f64_e32 v118, v[118:119]
	v_min_f32_e32 v118, v120, v118
	v_min3_f32 v116, v116, v118, v117
	v_cvt_f64_f32_e32 v[116:117], v116
	v_lshl_add_u64 v[118:119], v[162:163], 3, v[112:113]
	global_store_dwordx2 v[118:119], v[116:117], off
	s_or_b64 exec, exec, s[16:17]
	s_and_b64 s[18:19], s[6:7], s[10:11]
	s_and_saveexec_b64 s[16:17], s[18:19]
	s_cbranch_execz .LBB165_164
.LBB165_173:
	s_and_b64 vcc, exec, s[0:1]
	s_cbranch_vccnz .LBB165_175
; %bb.174:
	v_lshl_add_u64 v[116:117], v[164:165], 3, v[114:115]
	global_load_dwordx2 v[116:117], v[116:117], off
	s_waitcnt vmcnt(0)
	v_mul_f64 v[116:117], s[20:21], v[116:117]
	v_cvt_f32_f64_e32 v116, v[116:117]
	s_branch .LBB165_176
.LBB165_175:
	v_mov_b32_e32 v116, 0
.LBB165_176:
	v_add_f64 v[118:119], v[22:23], v[110:111]
	v_add_f64 v[120:121], v[20:21], v[108:109]
	v_cvt_f32_f64_e32 v117, v[120:121]
	v_cvt_f32_f64_e32 v118, v[118:119]
	v_min3_f32 v117, v117, v118, v221
	v_add_f64 v[118:119], v[14:15], v[106:107]
	v_add_f64 v[120:121], v[12:13], v[104:105]
	v_cvt_f32_f64_e32 v120, v[120:121]
	v_cvt_f32_f64_e32 v118, v[118:119]
	v_min_f32_e32 v118, v120, v118
	v_min3_f32 v116, v116, v118, v117
	v_cvt_f64_f32_e32 v[116:117], v116
	v_lshl_add_u64 v[118:119], v[164:165], 3, v[112:113]
	global_store_dwordx2 v[118:119], v[116:117], off
	s_or_b64 exec, exec, s[16:17]
	s_and_b64 s[16:17], s[8:9], s[10:11]
	s_and_saveexec_b64 s[10:11], s[16:17]
	s_cbranch_execz .LBB165_181
.LBB165_177:
	s_and_b64 vcc, exec, s[0:1]
	s_cbranch_vccnz .LBB165_179
; %bb.178:
	v_lshl_add_u64 v[114:115], v[166:167], 3, v[114:115]
	global_load_dwordx2 v[114:115], v[114:115], off
	s_waitcnt vmcnt(0)
	v_mul_f64 v[114:115], s[20:21], v[114:115]
	v_cvt_f32_f64_e32 v114, v[114:115]
	s_branch .LBB165_180
.LBB165_179:
	v_mov_b32_e32 v114, 0
.LBB165_180:
	v_add_f64 v[110:111], v[6:7], v[110:111]
	v_add_f64 v[108:109], v[4:5], v[108:109]
	;; [unrolled: 1-line block ×4, first 2 shown]
	v_cvt_f32_f64_e32 v108, v[108:109]
	v_cvt_f32_f64_e32 v109, v[110:111]
	;; [unrolled: 1-line block ×4, first 2 shown]
	v_min3_f32 v108, v108, v109, v220
	v_min_f32_e32 v104, v104, v105
	v_min3_f32 v104, v114, v104, v108
	v_cvt_f64_f32_e32 v[104:105], v104
	v_lshl_add_u64 v[106:107], v[166:167], 3, v[112:113]
	global_store_dwordx2 v[106:107], v[104:105], off
.LBB165_181:
	s_or_b64 exec, exec, s[10:11]
	v_add_u32_e32 v108, 56, v172
	v_mad_i64_i32 v[104:105], s[16:17], v108, s29, 0
	v_cmp_gt_i32_e64 s[10:11], s13, v108
	v_lshl_add_u64 v[106:107], v[104:105], 3, s[22:23]
	v_mad_i64_i32 v[104:105], s[16:17], v108, s28, 0
	v_lshl_add_u64 v[104:105], v[104:105], 3, s[14:15]
	s_and_b64 s[18:19], s[2:3], s[10:11]
	s_and_saveexec_b64 s[16:17], s[18:19]
	s_cbranch_execnz .LBB165_185
; %bb.182:
	s_or_b64 exec, exec, s[16:17]
	s_and_b64 s[18:19], s[4:5], s[10:11]
	s_and_saveexec_b64 s[16:17], s[18:19]
	s_cbranch_execnz .LBB165_189
.LBB165_183:
	s_or_b64 exec, exec, s[16:17]
	s_and_b64 s[18:19], s[6:7], s[10:11]
	s_and_saveexec_b64 s[16:17], s[18:19]
	s_cbranch_execnz .LBB165_193
.LBB165_184:
	s_or_b64 exec, exec, s[16:17]
	s_and_b64 s[16:17], s[8:9], s[10:11]
	s_and_saveexec_b64 s[10:11], s[16:17]
	s_cbranch_execnz .LBB165_197
	s_branch .LBB165_201
.LBB165_185:
	s_and_b64 vcc, exec, s[0:1]
	s_cbranch_vccnz .LBB165_187
; %bb.186:
	v_lshl_add_u64 v[108:109], v[160:161], 3, v[106:107]
	global_load_dwordx2 v[108:109], v[108:109], off
	s_waitcnt vmcnt(0)
	v_mul_f64 v[108:109], s[20:21], v[108:109]
	v_cvt_f32_f64_e32 v108, v[108:109]
	s_branch .LBB165_188
.LBB165_187:
	v_mov_b32_e32 v108, 0
.LBB165_188:
	v_add_f64 v[110:111], v[38:39], v[102:103]
	v_add_f64 v[112:113], v[36:37], v[100:101]
	v_cvt_f32_f64_e32 v109, v[112:113]
	v_cvt_f32_f64_e32 v110, v[110:111]
	v_min3_f32 v109, v109, v110, v219
	v_add_f64 v[110:111], v[34:35], v[98:99]
	v_add_f64 v[112:113], v[32:33], v[96:97]
	v_cvt_f32_f64_e32 v112, v[112:113]
	v_cvt_f32_f64_e32 v110, v[110:111]
	v_min_f32_e32 v110, v112, v110
	v_min3_f32 v108, v108, v110, v109
	v_cvt_f64_f32_e32 v[108:109], v108
	v_lshl_add_u64 v[110:111], v[160:161], 3, v[104:105]
	global_store_dwordx2 v[110:111], v[108:109], off
	s_or_b64 exec, exec, s[16:17]
	s_and_b64 s[18:19], s[4:5], s[10:11]
	s_and_saveexec_b64 s[16:17], s[18:19]
	s_cbranch_execz .LBB165_183
.LBB165_189:
	s_and_b64 vcc, exec, s[0:1]
	s_cbranch_vccnz .LBB165_191
; %bb.190:
	v_lshl_add_u64 v[108:109], v[162:163], 3, v[106:107]
	global_load_dwordx2 v[108:109], v[108:109], off
	s_waitcnt vmcnt(0)
	v_mul_f64 v[108:109], s[20:21], v[108:109]
	v_cvt_f32_f64_e32 v108, v[108:109]
	s_branch .LBB165_192
.LBB165_191:
	v_mov_b32_e32 v108, 0
.LBB165_192:
	v_add_f64 v[110:111], v[26:27], v[102:103]
	v_add_f64 v[112:113], v[24:25], v[100:101]
	v_cvt_f32_f64_e32 v109, v[112:113]
	v_cvt_f32_f64_e32 v110, v[110:111]
	v_min3_f32 v109, v109, v110, v218
	v_add_f64 v[110:111], v[30:31], v[98:99]
	v_add_f64 v[112:113], v[28:29], v[96:97]
	v_cvt_f32_f64_e32 v112, v[112:113]
	v_cvt_f32_f64_e32 v110, v[110:111]
	v_min_f32_e32 v110, v112, v110
	v_min3_f32 v108, v108, v110, v109
	v_cvt_f64_f32_e32 v[108:109], v108
	v_lshl_add_u64 v[110:111], v[162:163], 3, v[104:105]
	global_store_dwordx2 v[110:111], v[108:109], off
	s_or_b64 exec, exec, s[16:17]
	s_and_b64 s[18:19], s[6:7], s[10:11]
	s_and_saveexec_b64 s[16:17], s[18:19]
	s_cbranch_execz .LBB165_184
.LBB165_193:
	s_and_b64 vcc, exec, s[0:1]
	s_cbranch_vccnz .LBB165_195
; %bb.194:
	v_lshl_add_u64 v[108:109], v[164:165], 3, v[106:107]
	global_load_dwordx2 v[108:109], v[108:109], off
	s_waitcnt vmcnt(0)
	v_mul_f64 v[108:109], s[20:21], v[108:109]
	v_cvt_f32_f64_e32 v108, v[108:109]
	s_branch .LBB165_196
.LBB165_195:
	v_mov_b32_e32 v108, 0
.LBB165_196:
	v_add_f64 v[110:111], v[22:23], v[102:103]
	v_add_f64 v[112:113], v[20:21], v[100:101]
	v_cvt_f32_f64_e32 v109, v[112:113]
	v_cvt_f32_f64_e32 v110, v[110:111]
	v_min3_f32 v109, v109, v110, v217
	v_add_f64 v[110:111], v[14:15], v[98:99]
	v_add_f64 v[112:113], v[12:13], v[96:97]
	v_cvt_f32_f64_e32 v112, v[112:113]
	v_cvt_f32_f64_e32 v110, v[110:111]
	v_min_f32_e32 v110, v112, v110
	v_min3_f32 v108, v108, v110, v109
	v_cvt_f64_f32_e32 v[108:109], v108
	v_lshl_add_u64 v[110:111], v[164:165], 3, v[104:105]
	global_store_dwordx2 v[110:111], v[108:109], off
	s_or_b64 exec, exec, s[16:17]
	s_and_b64 s[16:17], s[8:9], s[10:11]
	s_and_saveexec_b64 s[10:11], s[16:17]
	s_cbranch_execz .LBB165_201
.LBB165_197:
	s_and_b64 vcc, exec, s[0:1]
	s_cbranch_vccnz .LBB165_199
; %bb.198:
	v_lshl_add_u64 v[106:107], v[166:167], 3, v[106:107]
	global_load_dwordx2 v[106:107], v[106:107], off
	s_waitcnt vmcnt(0)
	v_mul_f64 v[106:107], s[20:21], v[106:107]
	v_cvt_f32_f64_e32 v106, v[106:107]
	s_branch .LBB165_200
.LBB165_199:
	v_mov_b32_e32 v106, 0
.LBB165_200:
	v_add_f64 v[102:103], v[6:7], v[102:103]
	v_add_f64 v[100:101], v[4:5], v[100:101]
	;; [unrolled: 1-line block ×4, first 2 shown]
	v_cvt_f32_f64_e32 v100, v[100:101]
	v_cvt_f32_f64_e32 v101, v[102:103]
	;; [unrolled: 1-line block ×4, first 2 shown]
	v_min3_f32 v100, v100, v101, v216
	v_min_f32_e32 v96, v96, v97
	v_min3_f32 v96, v106, v96, v100
	v_cvt_f64_f32_e32 v[96:97], v96
	v_lshl_add_u64 v[98:99], v[166:167], 3, v[104:105]
	global_store_dwordx2 v[98:99], v[96:97], off
.LBB165_201:
	s_or_b64 exec, exec, s[10:11]
	v_add_u32_e32 v100, 64, v172
	v_mad_i64_i32 v[96:97], s[16:17], v100, s29, 0
	v_cmp_gt_i32_e64 s[10:11], s13, v100
	v_lshl_add_u64 v[98:99], v[96:97], 3, s[22:23]
	v_mad_i64_i32 v[96:97], s[16:17], v100, s28, 0
	v_lshl_add_u64 v[96:97], v[96:97], 3, s[14:15]
	s_and_b64 s[18:19], s[2:3], s[10:11]
	s_and_saveexec_b64 s[16:17], s[18:19]
	s_cbranch_execnz .LBB165_205
; %bb.202:
	s_or_b64 exec, exec, s[16:17]
	s_and_b64 s[18:19], s[4:5], s[10:11]
	s_and_saveexec_b64 s[16:17], s[18:19]
	s_cbranch_execnz .LBB165_209
.LBB165_203:
	s_or_b64 exec, exec, s[16:17]
	s_and_b64 s[18:19], s[6:7], s[10:11]
	s_and_saveexec_b64 s[16:17], s[18:19]
	s_cbranch_execnz .LBB165_213
.LBB165_204:
	s_or_b64 exec, exec, s[16:17]
	s_and_b64 s[16:17], s[8:9], s[10:11]
	s_and_saveexec_b64 s[10:11], s[16:17]
	s_cbranch_execnz .LBB165_217
	s_branch .LBB165_221
.LBB165_205:
	s_and_b64 vcc, exec, s[0:1]
	s_cbranch_vccnz .LBB165_207
; %bb.206:
	v_lshl_add_u64 v[100:101], v[160:161], 3, v[98:99]
	global_load_dwordx2 v[100:101], v[100:101], off
	s_waitcnt vmcnt(0)
	v_mul_f64 v[100:101], s[20:21], v[100:101]
	v_cvt_f32_f64_e32 v100, v[100:101]
	s_branch .LBB165_208
.LBB165_207:
	v_mov_b32_e32 v100, 0
.LBB165_208:
	v_add_f64 v[102:103], v[38:39], v[94:95]
	v_add_f64 v[104:105], v[36:37], v[92:93]
	v_cvt_f32_f64_e32 v101, v[104:105]
	v_cvt_f32_f64_e32 v102, v[102:103]
	v_min3_f32 v101, v101, v102, v215
	v_add_f64 v[102:103], v[34:35], v[90:91]
	v_add_f64 v[104:105], v[32:33], v[88:89]
	v_cvt_f32_f64_e32 v104, v[104:105]
	v_cvt_f32_f64_e32 v102, v[102:103]
	v_min_f32_e32 v102, v104, v102
	v_min3_f32 v100, v100, v102, v101
	v_cvt_f64_f32_e32 v[100:101], v100
	v_lshl_add_u64 v[102:103], v[160:161], 3, v[96:97]
	global_store_dwordx2 v[102:103], v[100:101], off
	s_or_b64 exec, exec, s[16:17]
	s_and_b64 s[18:19], s[4:5], s[10:11]
	s_and_saveexec_b64 s[16:17], s[18:19]
	s_cbranch_execz .LBB165_203
.LBB165_209:
	s_and_b64 vcc, exec, s[0:1]
	s_cbranch_vccnz .LBB165_211
; %bb.210:
	v_lshl_add_u64 v[100:101], v[162:163], 3, v[98:99]
	global_load_dwordx2 v[100:101], v[100:101], off
	s_waitcnt vmcnt(0)
	v_mul_f64 v[100:101], s[20:21], v[100:101]
	v_cvt_f32_f64_e32 v100, v[100:101]
	s_branch .LBB165_212
.LBB165_211:
	v_mov_b32_e32 v100, 0
.LBB165_212:
	v_add_f64 v[102:103], v[26:27], v[94:95]
	v_add_f64 v[104:105], v[24:25], v[92:93]
	v_cvt_f32_f64_e32 v101, v[104:105]
	v_cvt_f32_f64_e32 v102, v[102:103]
	v_min3_f32 v101, v101, v102, v214
	v_add_f64 v[102:103], v[30:31], v[90:91]
	v_add_f64 v[104:105], v[28:29], v[88:89]
	v_cvt_f32_f64_e32 v104, v[104:105]
	v_cvt_f32_f64_e32 v102, v[102:103]
	v_min_f32_e32 v102, v104, v102
	v_min3_f32 v100, v100, v102, v101
	v_cvt_f64_f32_e32 v[100:101], v100
	v_lshl_add_u64 v[102:103], v[162:163], 3, v[96:97]
	global_store_dwordx2 v[102:103], v[100:101], off
	s_or_b64 exec, exec, s[16:17]
	s_and_b64 s[18:19], s[6:7], s[10:11]
	s_and_saveexec_b64 s[16:17], s[18:19]
	s_cbranch_execz .LBB165_204
.LBB165_213:
	s_and_b64 vcc, exec, s[0:1]
	s_cbranch_vccnz .LBB165_215
; %bb.214:
	v_lshl_add_u64 v[100:101], v[164:165], 3, v[98:99]
	global_load_dwordx2 v[100:101], v[100:101], off
	s_waitcnt vmcnt(0)
	v_mul_f64 v[100:101], s[20:21], v[100:101]
	v_cvt_f32_f64_e32 v100, v[100:101]
	s_branch .LBB165_216
.LBB165_215:
	v_mov_b32_e32 v100, 0
.LBB165_216:
	v_add_f64 v[102:103], v[22:23], v[94:95]
	v_add_f64 v[104:105], v[20:21], v[92:93]
	v_cvt_f32_f64_e32 v101, v[104:105]
	v_cvt_f32_f64_e32 v102, v[102:103]
	v_min3_f32 v101, v101, v102, v213
	v_add_f64 v[102:103], v[14:15], v[90:91]
	v_add_f64 v[104:105], v[12:13], v[88:89]
	v_cvt_f32_f64_e32 v104, v[104:105]
	v_cvt_f32_f64_e32 v102, v[102:103]
	v_min_f32_e32 v102, v104, v102
	v_min3_f32 v100, v100, v102, v101
	v_cvt_f64_f32_e32 v[100:101], v100
	v_lshl_add_u64 v[102:103], v[164:165], 3, v[96:97]
	global_store_dwordx2 v[102:103], v[100:101], off
	s_or_b64 exec, exec, s[16:17]
	s_and_b64 s[16:17], s[8:9], s[10:11]
	s_and_saveexec_b64 s[10:11], s[16:17]
	s_cbranch_execz .LBB165_221
.LBB165_217:
	s_and_b64 vcc, exec, s[0:1]
	s_cbranch_vccnz .LBB165_219
; %bb.218:
	v_lshl_add_u64 v[98:99], v[166:167], 3, v[98:99]
	global_load_dwordx2 v[98:99], v[98:99], off
	s_waitcnt vmcnt(0)
	v_mul_f64 v[98:99], s[20:21], v[98:99]
	v_cvt_f32_f64_e32 v98, v[98:99]
	s_branch .LBB165_220
.LBB165_219:
	v_mov_b32_e32 v98, 0
.LBB165_220:
	v_add_f64 v[94:95], v[6:7], v[94:95]
	v_add_f64 v[92:93], v[4:5], v[92:93]
	;; [unrolled: 1-line block ×4, first 2 shown]
	v_cvt_f32_f64_e32 v92, v[92:93]
	v_cvt_f32_f64_e32 v93, v[94:95]
	;; [unrolled: 1-line block ×4, first 2 shown]
	v_min3_f32 v92, v92, v93, v212
	v_min_f32_e32 v88, v88, v89
	v_min3_f32 v88, v98, v88, v92
	v_cvt_f64_f32_e32 v[88:89], v88
	v_lshl_add_u64 v[90:91], v[166:167], 3, v[96:97]
	global_store_dwordx2 v[90:91], v[88:89], off
.LBB165_221:
	s_or_b64 exec, exec, s[10:11]
	v_add_u32_e32 v92, 0x48, v172
	v_mad_i64_i32 v[88:89], s[16:17], v92, s29, 0
	v_cmp_gt_i32_e64 s[10:11], s13, v92
	v_lshl_add_u64 v[90:91], v[88:89], 3, s[22:23]
	v_mad_i64_i32 v[88:89], s[16:17], v92, s28, 0
	v_lshl_add_u64 v[88:89], v[88:89], 3, s[14:15]
	s_and_b64 s[18:19], s[2:3], s[10:11]
	s_and_saveexec_b64 s[16:17], s[18:19]
	s_cbranch_execnz .LBB165_225
; %bb.222:
	s_or_b64 exec, exec, s[16:17]
	s_and_b64 s[18:19], s[4:5], s[10:11]
	s_and_saveexec_b64 s[16:17], s[18:19]
	s_cbranch_execnz .LBB165_229
.LBB165_223:
	s_or_b64 exec, exec, s[16:17]
	s_and_b64 s[18:19], s[6:7], s[10:11]
	s_and_saveexec_b64 s[16:17], s[18:19]
	s_cbranch_execnz .LBB165_233
.LBB165_224:
	s_or_b64 exec, exec, s[16:17]
	s_and_b64 s[16:17], s[8:9], s[10:11]
	s_and_saveexec_b64 s[10:11], s[16:17]
	s_cbranch_execnz .LBB165_237
	s_branch .LBB165_241
.LBB165_225:
	s_and_b64 vcc, exec, s[0:1]
	s_cbranch_vccnz .LBB165_227
; %bb.226:
	v_lshl_add_u64 v[92:93], v[160:161], 3, v[90:91]
	global_load_dwordx2 v[92:93], v[92:93], off
	s_waitcnt vmcnt(0)
	v_mul_f64 v[92:93], s[20:21], v[92:93]
	v_cvt_f32_f64_e32 v92, v[92:93]
	s_branch .LBB165_228
.LBB165_227:
	v_mov_b32_e32 v92, 0
.LBB165_228:
	v_add_f64 v[94:95], v[38:39], v[86:87]
	v_add_f64 v[96:97], v[36:37], v[84:85]
	v_cvt_f32_f64_e32 v93, v[96:97]
	v_cvt_f32_f64_e32 v94, v[94:95]
	v_min3_f32 v93, v93, v94, v211
	v_add_f64 v[94:95], v[34:35], v[82:83]
	v_add_f64 v[96:97], v[32:33], v[80:81]
	v_cvt_f32_f64_e32 v96, v[96:97]
	v_cvt_f32_f64_e32 v94, v[94:95]
	v_min_f32_e32 v94, v96, v94
	v_min3_f32 v92, v92, v94, v93
	v_cvt_f64_f32_e32 v[92:93], v92
	v_lshl_add_u64 v[94:95], v[160:161], 3, v[88:89]
	global_store_dwordx2 v[94:95], v[92:93], off
	s_or_b64 exec, exec, s[16:17]
	s_and_b64 s[18:19], s[4:5], s[10:11]
	s_and_saveexec_b64 s[16:17], s[18:19]
	s_cbranch_execz .LBB165_223
.LBB165_229:
	s_and_b64 vcc, exec, s[0:1]
	s_cbranch_vccnz .LBB165_231
; %bb.230:
	v_lshl_add_u64 v[92:93], v[162:163], 3, v[90:91]
	global_load_dwordx2 v[92:93], v[92:93], off
	s_waitcnt vmcnt(0)
	v_mul_f64 v[92:93], s[20:21], v[92:93]
	v_cvt_f32_f64_e32 v92, v[92:93]
	s_branch .LBB165_232
.LBB165_231:
	v_mov_b32_e32 v92, 0
.LBB165_232:
	v_add_f64 v[94:95], v[26:27], v[86:87]
	v_add_f64 v[96:97], v[24:25], v[84:85]
	v_cvt_f32_f64_e32 v93, v[96:97]
	v_cvt_f32_f64_e32 v94, v[94:95]
	v_min3_f32 v93, v93, v94, v210
	v_add_f64 v[94:95], v[30:31], v[82:83]
	v_add_f64 v[96:97], v[28:29], v[80:81]
	v_cvt_f32_f64_e32 v96, v[96:97]
	v_cvt_f32_f64_e32 v94, v[94:95]
	v_min_f32_e32 v94, v96, v94
	v_min3_f32 v92, v92, v94, v93
	v_cvt_f64_f32_e32 v[92:93], v92
	v_lshl_add_u64 v[94:95], v[162:163], 3, v[88:89]
	global_store_dwordx2 v[94:95], v[92:93], off
	s_or_b64 exec, exec, s[16:17]
	s_and_b64 s[18:19], s[6:7], s[10:11]
	s_and_saveexec_b64 s[16:17], s[18:19]
	s_cbranch_execz .LBB165_224
.LBB165_233:
	s_and_b64 vcc, exec, s[0:1]
	s_cbranch_vccnz .LBB165_235
; %bb.234:
	v_lshl_add_u64 v[92:93], v[164:165], 3, v[90:91]
	global_load_dwordx2 v[92:93], v[92:93], off
	s_waitcnt vmcnt(0)
	v_mul_f64 v[92:93], s[20:21], v[92:93]
	v_cvt_f32_f64_e32 v92, v[92:93]
	s_branch .LBB165_236
.LBB165_235:
	v_mov_b32_e32 v92, 0
.LBB165_236:
	v_add_f64 v[94:95], v[22:23], v[86:87]
	v_add_f64 v[96:97], v[20:21], v[84:85]
	v_cvt_f32_f64_e32 v93, v[96:97]
	v_cvt_f32_f64_e32 v94, v[94:95]
	v_min3_f32 v93, v93, v94, v209
	v_add_f64 v[94:95], v[14:15], v[82:83]
	v_add_f64 v[96:97], v[12:13], v[80:81]
	v_cvt_f32_f64_e32 v96, v[96:97]
	v_cvt_f32_f64_e32 v94, v[94:95]
	v_min_f32_e32 v94, v96, v94
	v_min3_f32 v92, v92, v94, v93
	v_cvt_f64_f32_e32 v[92:93], v92
	v_lshl_add_u64 v[94:95], v[164:165], 3, v[88:89]
	global_store_dwordx2 v[94:95], v[92:93], off
	s_or_b64 exec, exec, s[16:17]
	s_and_b64 s[16:17], s[8:9], s[10:11]
	s_and_saveexec_b64 s[10:11], s[16:17]
	s_cbranch_execz .LBB165_241
.LBB165_237:
	s_and_b64 vcc, exec, s[0:1]
	s_cbranch_vccnz .LBB165_239
; %bb.238:
	v_lshl_add_u64 v[90:91], v[166:167], 3, v[90:91]
	global_load_dwordx2 v[90:91], v[90:91], off
	s_waitcnt vmcnt(0)
	v_mul_f64 v[90:91], s[20:21], v[90:91]
	v_cvt_f32_f64_e32 v90, v[90:91]
	s_branch .LBB165_240
.LBB165_239:
	v_mov_b32_e32 v90, 0
.LBB165_240:
	v_add_f64 v[86:87], v[6:7], v[86:87]
	v_add_f64 v[84:85], v[4:5], v[84:85]
	;; [unrolled: 1-line block ×4, first 2 shown]
	v_cvt_f32_f64_e32 v84, v[84:85]
	v_cvt_f32_f64_e32 v85, v[86:87]
	;; [unrolled: 1-line block ×4, first 2 shown]
	v_min3_f32 v84, v84, v85, v208
	v_min_f32_e32 v80, v80, v81
	v_min3_f32 v80, v90, v80, v84
	v_cvt_f64_f32_e32 v[80:81], v80
	v_lshl_add_u64 v[82:83], v[166:167], 3, v[88:89]
	global_store_dwordx2 v[82:83], v[80:81], off
.LBB165_241:
	s_or_b64 exec, exec, s[10:11]
	v_add_u32_e32 v84, 0x50, v172
	v_mad_i64_i32 v[80:81], s[16:17], v84, s29, 0
	v_cmp_gt_i32_e64 s[10:11], s13, v84
	v_lshl_add_u64 v[82:83], v[80:81], 3, s[22:23]
	v_mad_i64_i32 v[80:81], s[16:17], v84, s28, 0
	v_lshl_add_u64 v[80:81], v[80:81], 3, s[14:15]
	s_and_b64 s[18:19], s[2:3], s[10:11]
	s_and_saveexec_b64 s[16:17], s[18:19]
	s_cbranch_execnz .LBB165_245
; %bb.242:
	s_or_b64 exec, exec, s[16:17]
	s_and_b64 s[18:19], s[4:5], s[10:11]
	s_and_saveexec_b64 s[16:17], s[18:19]
	s_cbranch_execnz .LBB165_249
.LBB165_243:
	s_or_b64 exec, exec, s[16:17]
	s_and_b64 s[18:19], s[6:7], s[10:11]
	s_and_saveexec_b64 s[16:17], s[18:19]
	s_cbranch_execnz .LBB165_253
.LBB165_244:
	s_or_b64 exec, exec, s[16:17]
	s_and_b64 s[16:17], s[8:9], s[10:11]
	s_and_saveexec_b64 s[10:11], s[16:17]
	s_cbranch_execnz .LBB165_257
	s_branch .LBB165_261
.LBB165_245:
	s_and_b64 vcc, exec, s[0:1]
	s_cbranch_vccnz .LBB165_247
; %bb.246:
	v_lshl_add_u64 v[84:85], v[160:161], 3, v[82:83]
	global_load_dwordx2 v[84:85], v[84:85], off
	s_waitcnt vmcnt(0)
	v_mul_f64 v[84:85], s[20:21], v[84:85]
	v_cvt_f32_f64_e32 v84, v[84:85]
	s_branch .LBB165_248
.LBB165_247:
	v_mov_b32_e32 v84, 0
.LBB165_248:
	v_add_f64 v[86:87], v[38:39], v[78:79]
	v_add_f64 v[88:89], v[36:37], v[76:77]
	v_cvt_f32_f64_e32 v85, v[88:89]
	v_cvt_f32_f64_e32 v86, v[86:87]
	v_min3_f32 v85, v85, v86, v207
	v_add_f64 v[86:87], v[34:35], v[74:75]
	v_add_f64 v[88:89], v[32:33], v[72:73]
	v_cvt_f32_f64_e32 v88, v[88:89]
	v_cvt_f32_f64_e32 v86, v[86:87]
	v_min_f32_e32 v86, v88, v86
	v_min3_f32 v84, v84, v86, v85
	v_cvt_f64_f32_e32 v[84:85], v84
	v_lshl_add_u64 v[86:87], v[160:161], 3, v[80:81]
	global_store_dwordx2 v[86:87], v[84:85], off
	s_or_b64 exec, exec, s[16:17]
	s_and_b64 s[18:19], s[4:5], s[10:11]
	s_and_saveexec_b64 s[16:17], s[18:19]
	s_cbranch_execz .LBB165_243
.LBB165_249:
	s_and_b64 vcc, exec, s[0:1]
	s_cbranch_vccnz .LBB165_251
; %bb.250:
	v_lshl_add_u64 v[84:85], v[162:163], 3, v[82:83]
	global_load_dwordx2 v[84:85], v[84:85], off
	s_waitcnt vmcnt(0)
	v_mul_f64 v[84:85], s[20:21], v[84:85]
	v_cvt_f32_f64_e32 v84, v[84:85]
	s_branch .LBB165_252
.LBB165_251:
	v_mov_b32_e32 v84, 0
.LBB165_252:
	v_add_f64 v[86:87], v[26:27], v[78:79]
	v_add_f64 v[88:89], v[24:25], v[76:77]
	v_cvt_f32_f64_e32 v85, v[88:89]
	v_cvt_f32_f64_e32 v86, v[86:87]
	v_min3_f32 v85, v85, v86, v206
	v_add_f64 v[86:87], v[30:31], v[74:75]
	v_add_f64 v[88:89], v[28:29], v[72:73]
	v_cvt_f32_f64_e32 v88, v[88:89]
	v_cvt_f32_f64_e32 v86, v[86:87]
	v_min_f32_e32 v86, v88, v86
	v_min3_f32 v84, v84, v86, v85
	v_cvt_f64_f32_e32 v[84:85], v84
	v_lshl_add_u64 v[86:87], v[162:163], 3, v[80:81]
	global_store_dwordx2 v[86:87], v[84:85], off
	s_or_b64 exec, exec, s[16:17]
	s_and_b64 s[18:19], s[6:7], s[10:11]
	s_and_saveexec_b64 s[16:17], s[18:19]
	s_cbranch_execz .LBB165_244
.LBB165_253:
	s_and_b64 vcc, exec, s[0:1]
	s_cbranch_vccnz .LBB165_255
; %bb.254:
	v_lshl_add_u64 v[84:85], v[164:165], 3, v[82:83]
	global_load_dwordx2 v[84:85], v[84:85], off
	s_waitcnt vmcnt(0)
	v_mul_f64 v[84:85], s[20:21], v[84:85]
	v_cvt_f32_f64_e32 v84, v[84:85]
	s_branch .LBB165_256
.LBB165_255:
	v_mov_b32_e32 v84, 0
.LBB165_256:
	v_add_f64 v[86:87], v[22:23], v[78:79]
	v_add_f64 v[88:89], v[20:21], v[76:77]
	v_cvt_f32_f64_e32 v85, v[88:89]
	v_cvt_f32_f64_e32 v86, v[86:87]
	v_min3_f32 v85, v85, v86, v205
	v_add_f64 v[86:87], v[14:15], v[74:75]
	v_add_f64 v[88:89], v[12:13], v[72:73]
	v_cvt_f32_f64_e32 v88, v[88:89]
	v_cvt_f32_f64_e32 v86, v[86:87]
	v_min_f32_e32 v86, v88, v86
	v_min3_f32 v84, v84, v86, v85
	v_cvt_f64_f32_e32 v[84:85], v84
	v_lshl_add_u64 v[86:87], v[164:165], 3, v[80:81]
	global_store_dwordx2 v[86:87], v[84:85], off
	s_or_b64 exec, exec, s[16:17]
	s_and_b64 s[16:17], s[8:9], s[10:11]
	s_and_saveexec_b64 s[10:11], s[16:17]
	s_cbranch_execz .LBB165_261
.LBB165_257:
	s_and_b64 vcc, exec, s[0:1]
	s_cbranch_vccnz .LBB165_259
; %bb.258:
	v_lshl_add_u64 v[82:83], v[166:167], 3, v[82:83]
	global_load_dwordx2 v[82:83], v[82:83], off
	s_waitcnt vmcnt(0)
	v_mul_f64 v[82:83], s[20:21], v[82:83]
	v_cvt_f32_f64_e32 v82, v[82:83]
	s_branch .LBB165_260
.LBB165_259:
	v_mov_b32_e32 v82, 0
.LBB165_260:
	v_add_f64 v[78:79], v[6:7], v[78:79]
	v_add_f64 v[76:77], v[4:5], v[76:77]
	;; [unrolled: 1-line block ×4, first 2 shown]
	v_cvt_f32_f64_e32 v76, v[76:77]
	v_cvt_f32_f64_e32 v77, v[78:79]
	;; [unrolled: 1-line block ×4, first 2 shown]
	v_min3_f32 v76, v76, v77, v204
	v_min_f32_e32 v72, v72, v73
	v_min3_f32 v72, v82, v72, v76
	v_cvt_f64_f32_e32 v[72:73], v72
	v_lshl_add_u64 v[74:75], v[166:167], 3, v[80:81]
	global_store_dwordx2 v[74:75], v[72:73], off
.LBB165_261:
	s_or_b64 exec, exec, s[10:11]
	v_add_u32_e32 v76, 0x58, v172
	v_mad_i64_i32 v[72:73], s[16:17], v76, s29, 0
	v_cmp_gt_i32_e64 s[10:11], s13, v76
	v_lshl_add_u64 v[74:75], v[72:73], 3, s[22:23]
	v_mad_i64_i32 v[72:73], s[16:17], v76, s28, 0
	v_lshl_add_u64 v[72:73], v[72:73], 3, s[14:15]
	s_and_b64 s[18:19], s[2:3], s[10:11]
	s_and_saveexec_b64 s[16:17], s[18:19]
	s_cbranch_execnz .LBB165_265
; %bb.262:
	s_or_b64 exec, exec, s[16:17]
	s_and_b64 s[18:19], s[4:5], s[10:11]
	s_and_saveexec_b64 s[16:17], s[18:19]
	s_cbranch_execnz .LBB165_269
.LBB165_263:
	s_or_b64 exec, exec, s[16:17]
	s_and_b64 s[18:19], s[6:7], s[10:11]
	s_and_saveexec_b64 s[16:17], s[18:19]
	s_cbranch_execnz .LBB165_273
.LBB165_264:
	s_or_b64 exec, exec, s[16:17]
	s_and_b64 s[16:17], s[8:9], s[10:11]
	s_and_saveexec_b64 s[10:11], s[16:17]
	s_cbranch_execnz .LBB165_277
	s_branch .LBB165_281
.LBB165_265:
	s_and_b64 vcc, exec, s[0:1]
	s_cbranch_vccnz .LBB165_267
; %bb.266:
	v_lshl_add_u64 v[76:77], v[160:161], 3, v[74:75]
	global_load_dwordx2 v[76:77], v[76:77], off
	s_waitcnt vmcnt(0)
	v_mul_f64 v[76:77], s[20:21], v[76:77]
	v_cvt_f32_f64_e32 v76, v[76:77]
	s_branch .LBB165_268
.LBB165_267:
	v_mov_b32_e32 v76, 0
.LBB165_268:
	v_add_f64 v[78:79], v[38:39], v[70:71]
	v_add_f64 v[80:81], v[36:37], v[68:69]
	v_cvt_f32_f64_e32 v77, v[80:81]
	v_cvt_f32_f64_e32 v78, v[78:79]
	v_min3_f32 v77, v77, v78, v203
	v_add_f64 v[78:79], v[34:35], v[66:67]
	v_add_f64 v[80:81], v[32:33], v[64:65]
	v_cvt_f32_f64_e32 v80, v[80:81]
	v_cvt_f32_f64_e32 v78, v[78:79]
	v_min_f32_e32 v78, v80, v78
	v_min3_f32 v76, v76, v78, v77
	v_cvt_f64_f32_e32 v[76:77], v76
	v_lshl_add_u64 v[78:79], v[160:161], 3, v[72:73]
	global_store_dwordx2 v[78:79], v[76:77], off
	s_or_b64 exec, exec, s[16:17]
	s_and_b64 s[18:19], s[4:5], s[10:11]
	s_and_saveexec_b64 s[16:17], s[18:19]
	s_cbranch_execz .LBB165_263
.LBB165_269:
	s_and_b64 vcc, exec, s[0:1]
	s_cbranch_vccnz .LBB165_271
; %bb.270:
	v_lshl_add_u64 v[76:77], v[162:163], 3, v[74:75]
	global_load_dwordx2 v[76:77], v[76:77], off
	s_waitcnt vmcnt(0)
	v_mul_f64 v[76:77], s[20:21], v[76:77]
	v_cvt_f32_f64_e32 v76, v[76:77]
	s_branch .LBB165_272
.LBB165_271:
	v_mov_b32_e32 v76, 0
.LBB165_272:
	v_add_f64 v[78:79], v[26:27], v[70:71]
	v_add_f64 v[80:81], v[24:25], v[68:69]
	v_cvt_f32_f64_e32 v77, v[80:81]
	v_cvt_f32_f64_e32 v78, v[78:79]
	v_min3_f32 v77, v77, v78, v202
	v_add_f64 v[78:79], v[30:31], v[66:67]
	v_add_f64 v[80:81], v[28:29], v[64:65]
	v_cvt_f32_f64_e32 v80, v[80:81]
	v_cvt_f32_f64_e32 v78, v[78:79]
	v_min_f32_e32 v78, v80, v78
	v_min3_f32 v76, v76, v78, v77
	v_cvt_f64_f32_e32 v[76:77], v76
	v_lshl_add_u64 v[78:79], v[162:163], 3, v[72:73]
	global_store_dwordx2 v[78:79], v[76:77], off
	s_or_b64 exec, exec, s[16:17]
	s_and_b64 s[18:19], s[6:7], s[10:11]
	s_and_saveexec_b64 s[16:17], s[18:19]
	s_cbranch_execz .LBB165_264
.LBB165_273:
	s_and_b64 vcc, exec, s[0:1]
	s_cbranch_vccnz .LBB165_275
; %bb.274:
	v_lshl_add_u64 v[76:77], v[164:165], 3, v[74:75]
	global_load_dwordx2 v[76:77], v[76:77], off
	s_waitcnt vmcnt(0)
	v_mul_f64 v[76:77], s[20:21], v[76:77]
	v_cvt_f32_f64_e32 v76, v[76:77]
	s_branch .LBB165_276
.LBB165_275:
	v_mov_b32_e32 v76, 0
.LBB165_276:
	v_add_f64 v[78:79], v[22:23], v[70:71]
	v_add_f64 v[80:81], v[20:21], v[68:69]
	v_cvt_f32_f64_e32 v77, v[80:81]
	v_cvt_f32_f64_e32 v78, v[78:79]
	v_min3_f32 v77, v77, v78, v201
	v_add_f64 v[78:79], v[14:15], v[66:67]
	v_add_f64 v[80:81], v[12:13], v[64:65]
	v_cvt_f32_f64_e32 v80, v[80:81]
	v_cvt_f32_f64_e32 v78, v[78:79]
	v_min_f32_e32 v78, v80, v78
	v_min3_f32 v76, v76, v78, v77
	v_cvt_f64_f32_e32 v[76:77], v76
	v_lshl_add_u64 v[78:79], v[164:165], 3, v[72:73]
	global_store_dwordx2 v[78:79], v[76:77], off
	s_or_b64 exec, exec, s[16:17]
	s_and_b64 s[16:17], s[8:9], s[10:11]
	s_and_saveexec_b64 s[10:11], s[16:17]
	s_cbranch_execz .LBB165_281
.LBB165_277:
	s_and_b64 vcc, exec, s[0:1]
	s_cbranch_vccnz .LBB165_279
; %bb.278:
	v_lshl_add_u64 v[74:75], v[166:167], 3, v[74:75]
	global_load_dwordx2 v[74:75], v[74:75], off
	s_waitcnt vmcnt(0)
	v_mul_f64 v[74:75], s[20:21], v[74:75]
	v_cvt_f32_f64_e32 v74, v[74:75]
	s_branch .LBB165_280
.LBB165_279:
	v_mov_b32_e32 v74, 0
.LBB165_280:
	v_add_f64 v[70:71], v[6:7], v[70:71]
	v_add_f64 v[68:69], v[4:5], v[68:69]
	;; [unrolled: 1-line block ×4, first 2 shown]
	v_cvt_f32_f64_e32 v68, v[68:69]
	v_cvt_f32_f64_e32 v69, v[70:71]
	;; [unrolled: 1-line block ×4, first 2 shown]
	v_min3_f32 v68, v68, v69, v200
	v_min_f32_e32 v64, v64, v65
	v_min3_f32 v64, v74, v64, v68
	v_cvt_f64_f32_e32 v[64:65], v64
	v_lshl_add_u64 v[66:67], v[166:167], 3, v[72:73]
	global_store_dwordx2 v[66:67], v[64:65], off
.LBB165_281:
	s_or_b64 exec, exec, s[10:11]
	v_add_u32_e32 v68, 0x60, v172
	v_mad_i64_i32 v[64:65], s[16:17], v68, s29, 0
	v_cmp_gt_i32_e64 s[10:11], s13, v68
	v_lshl_add_u64 v[66:67], v[64:65], 3, s[22:23]
	v_mad_i64_i32 v[64:65], s[16:17], v68, s28, 0
	v_lshl_add_u64 v[64:65], v[64:65], 3, s[14:15]
	s_and_b64 s[18:19], s[2:3], s[10:11]
	s_and_saveexec_b64 s[16:17], s[18:19]
	s_cbranch_execnz .LBB165_285
; %bb.282:
	s_or_b64 exec, exec, s[16:17]
	s_and_b64 s[18:19], s[4:5], s[10:11]
	s_and_saveexec_b64 s[16:17], s[18:19]
	s_cbranch_execnz .LBB165_289
.LBB165_283:
	s_or_b64 exec, exec, s[16:17]
	s_and_b64 s[18:19], s[6:7], s[10:11]
	s_and_saveexec_b64 s[16:17], s[18:19]
	s_cbranch_execnz .LBB165_293
.LBB165_284:
	s_or_b64 exec, exec, s[16:17]
	s_and_b64 s[16:17], s[8:9], s[10:11]
	s_and_saveexec_b64 s[10:11], s[16:17]
	s_cbranch_execnz .LBB165_297
	s_branch .LBB165_301
.LBB165_285:
	s_and_b64 vcc, exec, s[0:1]
	s_cbranch_vccnz .LBB165_287
; %bb.286:
	v_lshl_add_u64 v[68:69], v[160:161], 3, v[66:67]
	global_load_dwordx2 v[68:69], v[68:69], off
	s_waitcnt vmcnt(0)
	v_mul_f64 v[68:69], s[20:21], v[68:69]
	v_cvt_f32_f64_e32 v68, v[68:69]
	s_branch .LBB165_288
.LBB165_287:
	v_mov_b32_e32 v68, 0
.LBB165_288:
	v_add_f64 v[70:71], v[38:39], v[62:63]
	v_add_f64 v[72:73], v[36:37], v[60:61]
	v_cvt_f32_f64_e32 v69, v[72:73]
	v_cvt_f32_f64_e32 v70, v[70:71]
	v_min3_f32 v69, v69, v70, v199
	v_add_f64 v[70:71], v[34:35], v[58:59]
	v_add_f64 v[72:73], v[32:33], v[56:57]
	v_cvt_f32_f64_e32 v72, v[72:73]
	v_cvt_f32_f64_e32 v70, v[70:71]
	v_min_f32_e32 v70, v72, v70
	v_min3_f32 v68, v68, v70, v69
	v_cvt_f64_f32_e32 v[68:69], v68
	v_lshl_add_u64 v[70:71], v[160:161], 3, v[64:65]
	global_store_dwordx2 v[70:71], v[68:69], off
	s_or_b64 exec, exec, s[16:17]
	s_and_b64 s[18:19], s[4:5], s[10:11]
	s_and_saveexec_b64 s[16:17], s[18:19]
	s_cbranch_execz .LBB165_283
.LBB165_289:
	s_and_b64 vcc, exec, s[0:1]
	s_cbranch_vccnz .LBB165_291
; %bb.290:
	v_lshl_add_u64 v[68:69], v[162:163], 3, v[66:67]
	global_load_dwordx2 v[68:69], v[68:69], off
	s_waitcnt vmcnt(0)
	v_mul_f64 v[68:69], s[20:21], v[68:69]
	v_cvt_f32_f64_e32 v68, v[68:69]
	s_branch .LBB165_292
.LBB165_291:
	v_mov_b32_e32 v68, 0
.LBB165_292:
	v_add_f64 v[70:71], v[26:27], v[62:63]
	v_add_f64 v[72:73], v[24:25], v[60:61]
	v_cvt_f32_f64_e32 v69, v[72:73]
	v_cvt_f32_f64_e32 v70, v[70:71]
	v_min3_f32 v69, v69, v70, v198
	v_add_f64 v[70:71], v[30:31], v[58:59]
	v_add_f64 v[72:73], v[28:29], v[56:57]
	v_cvt_f32_f64_e32 v72, v[72:73]
	v_cvt_f32_f64_e32 v70, v[70:71]
	v_min_f32_e32 v70, v72, v70
	v_min3_f32 v68, v68, v70, v69
	v_cvt_f64_f32_e32 v[68:69], v68
	v_lshl_add_u64 v[70:71], v[162:163], 3, v[64:65]
	global_store_dwordx2 v[70:71], v[68:69], off
	s_or_b64 exec, exec, s[16:17]
	s_and_b64 s[18:19], s[6:7], s[10:11]
	s_and_saveexec_b64 s[16:17], s[18:19]
	s_cbranch_execz .LBB165_284
.LBB165_293:
	s_and_b64 vcc, exec, s[0:1]
	s_cbranch_vccnz .LBB165_295
; %bb.294:
	v_lshl_add_u64 v[68:69], v[164:165], 3, v[66:67]
	global_load_dwordx2 v[68:69], v[68:69], off
	s_waitcnt vmcnt(0)
	v_mul_f64 v[68:69], s[20:21], v[68:69]
	v_cvt_f32_f64_e32 v68, v[68:69]
	s_branch .LBB165_296
.LBB165_295:
	v_mov_b32_e32 v68, 0
.LBB165_296:
	v_add_f64 v[70:71], v[22:23], v[62:63]
	v_add_f64 v[72:73], v[20:21], v[60:61]
	v_cvt_f32_f64_e32 v69, v[72:73]
	v_cvt_f32_f64_e32 v70, v[70:71]
	v_min3_f32 v69, v69, v70, v196
	v_add_f64 v[70:71], v[14:15], v[58:59]
	v_add_f64 v[72:73], v[12:13], v[56:57]
	v_cvt_f32_f64_e32 v72, v[72:73]
	v_cvt_f32_f64_e32 v70, v[70:71]
	v_min_f32_e32 v70, v72, v70
	v_min3_f32 v68, v68, v70, v69
	v_cvt_f64_f32_e32 v[68:69], v68
	v_lshl_add_u64 v[70:71], v[164:165], 3, v[64:65]
	global_store_dwordx2 v[70:71], v[68:69], off
	s_or_b64 exec, exec, s[16:17]
	s_and_b64 s[16:17], s[8:9], s[10:11]
	s_and_saveexec_b64 s[10:11], s[16:17]
	s_cbranch_execz .LBB165_301
.LBB165_297:
	s_and_b64 vcc, exec, s[0:1]
	s_cbranch_vccnz .LBB165_299
; %bb.298:
	v_lshl_add_u64 v[66:67], v[166:167], 3, v[66:67]
	global_load_dwordx2 v[66:67], v[66:67], off
	s_waitcnt vmcnt(0)
	v_mul_f64 v[66:67], s[20:21], v[66:67]
	v_cvt_f32_f64_e32 v66, v[66:67]
	s_branch .LBB165_300
.LBB165_299:
	v_mov_b32_e32 v66, 0
.LBB165_300:
	v_add_f64 v[62:63], v[6:7], v[62:63]
	v_add_f64 v[60:61], v[4:5], v[60:61]
	;; [unrolled: 1-line block ×4, first 2 shown]
	v_cvt_f32_f64_e32 v60, v[60:61]
	v_cvt_f32_f64_e32 v61, v[62:63]
	v_cvt_f32_f64_e32 v56, v[56:57]
	v_cvt_f32_f64_e32 v57, v[58:59]
	v_min3_f32 v60, v60, v61, v195
	v_min_f32_e32 v56, v56, v57
	v_min3_f32 v56, v66, v56, v60
	v_cvt_f64_f32_e32 v[56:57], v56
	v_lshl_add_u64 v[58:59], v[166:167], 3, v[64:65]
	global_store_dwordx2 v[58:59], v[56:57], off
.LBB165_301:
	s_or_b64 exec, exec, s[10:11]
	v_add_u32_e32 v60, 0x68, v172
	v_mad_i64_i32 v[56:57], s[16:17], v60, s29, 0
	v_cmp_gt_i32_e64 s[10:11], s13, v60
	v_lshl_add_u64 v[58:59], v[56:57], 3, s[22:23]
	v_mad_i64_i32 v[56:57], s[16:17], v60, s28, 0
	v_lshl_add_u64 v[56:57], v[56:57], 3, s[14:15]
	s_and_b64 s[18:19], s[2:3], s[10:11]
	s_and_saveexec_b64 s[16:17], s[18:19]
	s_cbranch_execnz .LBB165_305
; %bb.302:
	s_or_b64 exec, exec, s[16:17]
	s_and_b64 s[18:19], s[4:5], s[10:11]
	s_and_saveexec_b64 s[16:17], s[18:19]
	s_cbranch_execnz .LBB165_309
.LBB165_303:
	s_or_b64 exec, exec, s[16:17]
	s_and_b64 s[18:19], s[6:7], s[10:11]
	s_and_saveexec_b64 s[16:17], s[18:19]
	s_cbranch_execnz .LBB165_313
.LBB165_304:
	s_or_b64 exec, exec, s[16:17]
	s_and_b64 s[16:17], s[8:9], s[10:11]
	s_and_saveexec_b64 s[10:11], s[16:17]
	s_cbranch_execnz .LBB165_317
	s_branch .LBB165_321
.LBB165_305:
	s_and_b64 vcc, exec, s[0:1]
	s_cbranch_vccnz .LBB165_307
; %bb.306:
	v_lshl_add_u64 v[60:61], v[160:161], 3, v[58:59]
	global_load_dwordx2 v[60:61], v[60:61], off
	s_waitcnt vmcnt(0)
	v_mul_f64 v[60:61], s[20:21], v[60:61]
	v_cvt_f32_f64_e32 v60, v[60:61]
	s_branch .LBB165_308
.LBB165_307:
	v_mov_b32_e32 v60, 0
.LBB165_308:
	v_add_f64 v[62:63], v[38:39], v[54:55]
	v_add_f64 v[64:65], v[36:37], v[52:53]
	v_cvt_f32_f64_e32 v61, v[64:65]
	v_cvt_f32_f64_e32 v62, v[62:63]
	v_min3_f32 v61, v61, v62, v194
	v_add_f64 v[62:63], v[34:35], v[50:51]
	v_add_f64 v[64:65], v[32:33], v[48:49]
	v_cvt_f32_f64_e32 v64, v[64:65]
	v_cvt_f32_f64_e32 v62, v[62:63]
	v_min_f32_e32 v62, v64, v62
	v_min3_f32 v60, v60, v62, v61
	v_cvt_f64_f32_e32 v[60:61], v60
	v_lshl_add_u64 v[62:63], v[160:161], 3, v[56:57]
	global_store_dwordx2 v[62:63], v[60:61], off
	s_or_b64 exec, exec, s[16:17]
	s_and_b64 s[18:19], s[4:5], s[10:11]
	s_and_saveexec_b64 s[16:17], s[18:19]
	s_cbranch_execz .LBB165_303
.LBB165_309:
	s_and_b64 vcc, exec, s[0:1]
	s_cbranch_vccnz .LBB165_311
; %bb.310:
	v_lshl_add_u64 v[60:61], v[162:163], 3, v[58:59]
	global_load_dwordx2 v[60:61], v[60:61], off
	s_waitcnt vmcnt(0)
	v_mul_f64 v[60:61], s[20:21], v[60:61]
	v_cvt_f32_f64_e32 v60, v[60:61]
	s_branch .LBB165_312
.LBB165_311:
	v_mov_b32_e32 v60, 0
.LBB165_312:
	v_add_f64 v[62:63], v[26:27], v[54:55]
	v_add_f64 v[64:65], v[24:25], v[52:53]
	v_cvt_f32_f64_e32 v61, v[64:65]
	v_cvt_f32_f64_e32 v62, v[62:63]
	v_min3_f32 v61, v61, v62, v193
	v_add_f64 v[62:63], v[30:31], v[50:51]
	v_add_f64 v[64:65], v[28:29], v[48:49]
	v_cvt_f32_f64_e32 v64, v[64:65]
	v_cvt_f32_f64_e32 v62, v[62:63]
	v_min_f32_e32 v62, v64, v62
	v_min3_f32 v60, v60, v62, v61
	v_cvt_f64_f32_e32 v[60:61], v60
	v_lshl_add_u64 v[62:63], v[162:163], 3, v[56:57]
	global_store_dwordx2 v[62:63], v[60:61], off
	s_or_b64 exec, exec, s[16:17]
	s_and_b64 s[18:19], s[6:7], s[10:11]
	s_and_saveexec_b64 s[16:17], s[18:19]
	s_cbranch_execz .LBB165_304
.LBB165_313:
	s_and_b64 vcc, exec, s[0:1]
	s_cbranch_vccnz .LBB165_315
; %bb.314:
	v_lshl_add_u64 v[60:61], v[164:165], 3, v[58:59]
	global_load_dwordx2 v[60:61], v[60:61], off
	s_waitcnt vmcnt(0)
	v_mul_f64 v[60:61], s[20:21], v[60:61]
	v_cvt_f32_f64_e32 v60, v[60:61]
	s_branch .LBB165_316
.LBB165_315:
	v_mov_b32_e32 v60, 0
.LBB165_316:
	v_add_f64 v[62:63], v[22:23], v[54:55]
	v_add_f64 v[64:65], v[20:21], v[52:53]
	v_cvt_f32_f64_e32 v61, v[64:65]
	v_cvt_f32_f64_e32 v62, v[62:63]
	v_min3_f32 v61, v61, v62, v191
	v_add_f64 v[62:63], v[14:15], v[50:51]
	v_add_f64 v[64:65], v[12:13], v[48:49]
	v_cvt_f32_f64_e32 v64, v[64:65]
	v_cvt_f32_f64_e32 v62, v[62:63]
	v_min_f32_e32 v62, v64, v62
	v_min3_f32 v60, v60, v62, v61
	v_cvt_f64_f32_e32 v[60:61], v60
	v_lshl_add_u64 v[62:63], v[164:165], 3, v[56:57]
	global_store_dwordx2 v[62:63], v[60:61], off
	s_or_b64 exec, exec, s[16:17]
	s_and_b64 s[16:17], s[8:9], s[10:11]
	s_and_saveexec_b64 s[10:11], s[16:17]
	s_cbranch_execz .LBB165_321
.LBB165_317:
	s_and_b64 vcc, exec, s[0:1]
	s_cbranch_vccnz .LBB165_319
; %bb.318:
	v_lshl_add_u64 v[58:59], v[166:167], 3, v[58:59]
	global_load_dwordx2 v[58:59], v[58:59], off
	s_waitcnt vmcnt(0)
	v_mul_f64 v[58:59], s[20:21], v[58:59]
	v_cvt_f32_f64_e32 v58, v[58:59]
	s_branch .LBB165_320
.LBB165_319:
	v_mov_b32_e32 v58, 0
.LBB165_320:
	v_add_f64 v[54:55], v[6:7], v[54:55]
	v_add_f64 v[52:53], v[4:5], v[52:53]
	;; [unrolled: 1-line block ×4, first 2 shown]
	v_cvt_f32_f64_e32 v52, v[52:53]
	v_cvt_f32_f64_e32 v53, v[54:55]
	;; [unrolled: 1-line block ×4, first 2 shown]
	v_min3_f32 v52, v52, v53, v188
	v_min_f32_e32 v48, v48, v49
	v_min3_f32 v48, v58, v48, v52
	v_cvt_f64_f32_e32 v[48:49], v48
	v_lshl_add_u64 v[50:51], v[166:167], 3, v[56:57]
	global_store_dwordx2 v[50:51], v[48:49], off
.LBB165_321:
	s_or_b64 exec, exec, s[10:11]
	v_add_u32_e32 v52, 0x70, v172
	v_mad_i64_i32 v[48:49], s[16:17], v52, s29, 0
	v_cmp_gt_i32_e64 s[10:11], s13, v52
	v_lshl_add_u64 v[50:51], v[48:49], 3, s[22:23]
	v_mad_i64_i32 v[48:49], s[16:17], v52, s28, 0
	v_lshl_add_u64 v[48:49], v[48:49], 3, s[14:15]
	s_and_b64 s[18:19], s[2:3], s[10:11]
	s_and_saveexec_b64 s[16:17], s[18:19]
	s_cbranch_execnz .LBB165_325
; %bb.322:
	s_or_b64 exec, exec, s[16:17]
	s_and_b64 s[18:19], s[4:5], s[10:11]
	s_and_saveexec_b64 s[16:17], s[18:19]
	s_cbranch_execnz .LBB165_329
.LBB165_323:
	s_or_b64 exec, exec, s[16:17]
	s_and_b64 s[18:19], s[6:7], s[10:11]
	s_and_saveexec_b64 s[16:17], s[18:19]
	s_cbranch_execnz .LBB165_333
.LBB165_324:
	s_or_b64 exec, exec, s[16:17]
	s_and_b64 s[16:17], s[8:9], s[10:11]
	s_and_saveexec_b64 s[10:11], s[16:17]
	s_cbranch_execnz .LBB165_337
	s_branch .LBB165_341
.LBB165_325:
	s_and_b64 vcc, exec, s[0:1]
	s_cbranch_vccnz .LBB165_327
; %bb.326:
	v_lshl_add_u64 v[52:53], v[160:161], 3, v[50:51]
	global_load_dwordx2 v[52:53], v[52:53], off
	s_waitcnt vmcnt(0)
	v_mul_f64 v[52:53], s[20:21], v[52:53]
	v_cvt_f32_f64_e32 v52, v[52:53]
	s_branch .LBB165_328
.LBB165_327:
	v_mov_b32_e32 v52, 0
.LBB165_328:
	v_add_f64 v[54:55], v[38:39], v[46:47]
	v_add_f64 v[56:57], v[36:37], v[44:45]
	v_cvt_f32_f64_e32 v53, v[56:57]
	v_cvt_f32_f64_e32 v54, v[54:55]
	v_min3_f32 v53, v53, v54, v187
	v_add_f64 v[54:55], v[34:35], v[42:43]
	v_add_f64 v[56:57], v[32:33], v[40:41]
	v_cvt_f32_f64_e32 v56, v[56:57]
	v_cvt_f32_f64_e32 v54, v[54:55]
	v_min_f32_e32 v54, v56, v54
	v_min3_f32 v52, v52, v54, v53
	v_cvt_f64_f32_e32 v[52:53], v52
	v_lshl_add_u64 v[54:55], v[160:161], 3, v[48:49]
	global_store_dwordx2 v[54:55], v[52:53], off
	s_or_b64 exec, exec, s[16:17]
	s_and_b64 s[18:19], s[4:5], s[10:11]
	s_and_saveexec_b64 s[16:17], s[18:19]
	s_cbranch_execz .LBB165_323
.LBB165_329:
	s_and_b64 vcc, exec, s[0:1]
	s_cbranch_vccnz .LBB165_331
; %bb.330:
	v_lshl_add_u64 v[52:53], v[162:163], 3, v[50:51]
	global_load_dwordx2 v[52:53], v[52:53], off
	s_waitcnt vmcnt(0)
	v_mul_f64 v[52:53], s[20:21], v[52:53]
	v_cvt_f32_f64_e32 v52, v[52:53]
	s_branch .LBB165_332
.LBB165_331:
	v_mov_b32_e32 v52, 0
.LBB165_332:
	v_add_f64 v[54:55], v[26:27], v[46:47]
	v_add_f64 v[56:57], v[24:25], v[44:45]
	v_cvt_f32_f64_e32 v53, v[56:57]
	v_cvt_f32_f64_e32 v54, v[54:55]
	v_min3_f32 v53, v53, v54, v186
	v_add_f64 v[54:55], v[30:31], v[42:43]
	v_add_f64 v[56:57], v[28:29], v[40:41]
	v_cvt_f32_f64_e32 v56, v[56:57]
	v_cvt_f32_f64_e32 v54, v[54:55]
	v_min_f32_e32 v54, v56, v54
	v_min3_f32 v52, v52, v54, v53
	v_cvt_f64_f32_e32 v[52:53], v52
	v_lshl_add_u64 v[54:55], v[162:163], 3, v[48:49]
	global_store_dwordx2 v[54:55], v[52:53], off
	s_or_b64 exec, exec, s[16:17]
	s_and_b64 s[18:19], s[6:7], s[10:11]
	s_and_saveexec_b64 s[16:17], s[18:19]
	s_cbranch_execz .LBB165_324
.LBB165_333:
	s_and_b64 vcc, exec, s[0:1]
	s_cbranch_vccnz .LBB165_335
; %bb.334:
	v_lshl_add_u64 v[52:53], v[164:165], 3, v[50:51]
	global_load_dwordx2 v[52:53], v[52:53], off
	s_waitcnt vmcnt(0)
	v_mul_f64 v[52:53], s[20:21], v[52:53]
	v_cvt_f32_f64_e32 v52, v[52:53]
	s_branch .LBB165_336
.LBB165_335:
	v_mov_b32_e32 v52, 0
.LBB165_336:
	v_add_f64 v[54:55], v[22:23], v[46:47]
	v_add_f64 v[56:57], v[20:21], v[44:45]
	v_cvt_f32_f64_e32 v53, v[56:57]
	v_cvt_f32_f64_e32 v54, v[54:55]
	v_min3_f32 v53, v53, v54, v185
	v_add_f64 v[54:55], v[14:15], v[42:43]
	v_add_f64 v[56:57], v[12:13], v[40:41]
	v_cvt_f32_f64_e32 v56, v[56:57]
	v_cvt_f32_f64_e32 v54, v[54:55]
	v_min_f32_e32 v54, v56, v54
	v_min3_f32 v52, v52, v54, v53
	v_cvt_f64_f32_e32 v[52:53], v52
	v_lshl_add_u64 v[54:55], v[164:165], 3, v[48:49]
	global_store_dwordx2 v[54:55], v[52:53], off
	s_or_b64 exec, exec, s[16:17]
	s_and_b64 s[16:17], s[8:9], s[10:11]
	s_and_saveexec_b64 s[10:11], s[16:17]
	s_cbranch_execz .LBB165_341
.LBB165_337:
	s_and_b64 vcc, exec, s[0:1]
	s_cbranch_vccnz .LBB165_339
; %bb.338:
	v_lshl_add_u64 v[50:51], v[166:167], 3, v[50:51]
	global_load_dwordx2 v[50:51], v[50:51], off
	s_waitcnt vmcnt(0)
	v_mul_f64 v[50:51], s[20:21], v[50:51]
	v_cvt_f32_f64_e32 v50, v[50:51]
	s_branch .LBB165_340
.LBB165_339:
	v_mov_b32_e32 v50, 0
.LBB165_340:
	v_add_f64 v[46:47], v[6:7], v[46:47]
	v_add_f64 v[44:45], v[4:5], v[44:45]
	;; [unrolled: 1-line block ×4, first 2 shown]
	v_cvt_f32_f64_e32 v44, v[44:45]
	v_cvt_f32_f64_e32 v45, v[46:47]
	;; [unrolled: 1-line block ×4, first 2 shown]
	v_min3_f32 v44, v44, v45, v184
	v_min_f32_e32 v40, v40, v41
	v_min3_f32 v40, v50, v40, v44
	v_cvt_f64_f32_e32 v[40:41], v40
	v_lshl_add_u64 v[42:43], v[166:167], 3, v[48:49]
	global_store_dwordx2 v[42:43], v[40:41], off
.LBB165_341:
	s_or_b64 exec, exec, s[10:11]
	v_add_u32_e32 v44, 0x78, v172
	v_cmp_gt_i32_e64 s[10:11], s13, v44
	v_mad_i64_i32 v[40:41], s[12:13], v44, s29, 0
	v_lshl_add_u64 v[42:43], v[40:41], 3, s[22:23]
	v_mad_i64_i32 v[40:41], s[12:13], v44, s28, 0
	v_lshl_add_u64 v[40:41], v[40:41], 3, s[14:15]
	s_and_b64 s[12:13], s[2:3], s[10:11]
	s_and_saveexec_b64 s[2:3], s[12:13]
	s_cbranch_execnz .LBB165_346
; %bb.342:
	s_or_b64 exec, exec, s[2:3]
	s_and_b64 s[4:5], s[4:5], s[10:11]
	s_and_saveexec_b64 s[2:3], s[4:5]
	s_cbranch_execnz .LBB165_350
.LBB165_343:
	s_or_b64 exec, exec, s[2:3]
	s_and_b64 s[4:5], s[6:7], s[10:11]
	s_and_saveexec_b64 s[2:3], s[4:5]
	s_cbranch_execnz .LBB165_354
.LBB165_344:
	s_or_b64 exec, exec, s[2:3]
	s_and_b64 s[2:3], s[8:9], s[10:11]
	s_and_saveexec_b64 s[4:5], s[2:3]
	s_cbranch_execnz .LBB165_358
.LBB165_345:
	s_endpgm
.LBB165_346:
	s_and_b64 vcc, exec, s[0:1]
	s_cbranch_vccnz .LBB165_348
; %bb.347:
	v_lshl_add_u64 v[44:45], v[160:161], 3, v[42:43]
	global_load_dwordx2 v[44:45], v[44:45], off
	s_waitcnt vmcnt(0)
	v_mul_f64 v[44:45], s[20:21], v[44:45]
	v_cvt_f32_f64_e32 v44, v[44:45]
	s_branch .LBB165_349
.LBB165_348:
	v_mov_b32_e32 v44, 0
.LBB165_349:
	s_waitcnt lgkmcnt(1)
	v_add_f64 v[38:39], v[38:39], v[18:19]
	v_add_f64 v[36:37], v[36:37], v[16:17]
	s_waitcnt lgkmcnt(0)
	v_add_f64 v[34:35], v[34:35], v[10:11]
	v_add_f64 v[32:33], v[32:33], v[8:9]
	v_cvt_f32_f64_e32 v36, v[36:37]
	v_cvt_f32_f64_e32 v37, v[38:39]
	;; [unrolled: 1-line block ×4, first 2 shown]
	v_min3_f32 v36, v36, v37, v181
	v_min_f32_e32 v32, v32, v33
	v_min3_f32 v32, v44, v32, v36
	v_cvt_f64_f32_e32 v[32:33], v32
	v_lshl_add_u64 v[34:35], v[160:161], 3, v[40:41]
	global_store_dwordx2 v[34:35], v[32:33], off
	s_or_b64 exec, exec, s[2:3]
	s_and_b64 s[4:5], s[4:5], s[10:11]
	s_and_saveexec_b64 s[2:3], s[4:5]
	s_cbranch_execz .LBB165_343
.LBB165_350:
	s_and_b64 vcc, exec, s[0:1]
	s_cbranch_vccnz .LBB165_352
; %bb.351:
	v_lshl_add_u64 v[32:33], v[162:163], 3, v[42:43]
	global_load_dwordx2 v[32:33], v[32:33], off
	s_waitcnt vmcnt(0)
	v_mul_f64 v[32:33], s[20:21], v[32:33]
	v_cvt_f32_f64_e32 v32, v[32:33]
	s_branch .LBB165_353
.LBB165_352:
	v_mov_b32_e32 v32, 0
.LBB165_353:
	s_waitcnt lgkmcnt(1)
	v_add_f64 v[26:27], v[26:27], v[18:19]
	v_add_f64 v[24:25], v[24:25], v[16:17]
	v_cvt_f32_f64_e32 v24, v[24:25]
	v_cvt_f32_f64_e32 v25, v[26:27]
	v_min3_f32 v33, v24, v25, v180
	s_waitcnt lgkmcnt(0)
	v_add_f64 v[24:25], v[30:31], v[10:11]
	v_add_f64 v[26:27], v[28:29], v[8:9]
	v_cvt_f32_f64_e32 v26, v[26:27]
	v_cvt_f32_f64_e32 v24, v[24:25]
	v_min_f32_e32 v24, v26, v24
	v_min3_f32 v24, v32, v24, v33
	v_cvt_f64_f32_e32 v[24:25], v24
	v_lshl_add_u64 v[26:27], v[162:163], 3, v[40:41]
	global_store_dwordx2 v[26:27], v[24:25], off
	s_or_b64 exec, exec, s[2:3]
	s_and_b64 s[4:5], s[6:7], s[10:11]
	s_and_saveexec_b64 s[2:3], s[4:5]
	s_cbranch_execz .LBB165_344
.LBB165_354:
	s_and_b64 vcc, exec, s[0:1]
	s_cbranch_vccnz .LBB165_356
; %bb.355:
	v_lshl_add_u64 v[24:25], v[164:165], 3, v[42:43]
	global_load_dwordx2 v[24:25], v[24:25], off
	s_waitcnt vmcnt(0)
	v_mul_f64 v[24:25], s[20:21], v[24:25]
	v_cvt_f32_f64_e32 v24, v[24:25]
	s_branch .LBB165_357
.LBB165_356:
	v_mov_b32_e32 v24, 0
.LBB165_357:
	s_waitcnt lgkmcnt(1)
	v_add_f64 v[22:23], v[22:23], v[18:19]
	v_add_f64 v[20:21], v[20:21], v[16:17]
	s_waitcnt lgkmcnt(0)
	v_add_f64 v[14:15], v[14:15], v[10:11]
	v_add_f64 v[12:13], v[12:13], v[8:9]
	v_cvt_f32_f64_e32 v20, v[20:21]
	v_cvt_f32_f64_e32 v21, v[22:23]
	;; [unrolled: 1-line block ×4, first 2 shown]
	v_min3_f32 v20, v20, v21, v179
	v_min_f32_e32 v12, v12, v13
	v_min3_f32 v12, v24, v12, v20
	v_cvt_f64_f32_e32 v[12:13], v12
	v_lshl_add_u64 v[14:15], v[164:165], 3, v[40:41]
	global_store_dwordx2 v[14:15], v[12:13], off
	s_or_b64 exec, exec, s[2:3]
	s_and_b64 s[2:3], s[8:9], s[10:11]
	s_and_saveexec_b64 s[4:5], s[2:3]
	s_cbranch_execz .LBB165_345
.LBB165_358:
	s_and_b64 vcc, exec, s[0:1]
	s_cbranch_vccnz .LBB165_360
; %bb.359:
	v_lshl_add_u64 v[12:13], v[166:167], 3, v[42:43]
	global_load_dwordx2 v[12:13], v[12:13], off
	s_waitcnt vmcnt(0)
	v_mul_f64 v[12:13], s[20:21], v[12:13]
	v_cvt_f32_f64_e32 v12, v[12:13]
	s_branch .LBB165_361
.LBB165_360:
	v_mov_b32_e32 v12, 0
.LBB165_361:
	s_waitcnt lgkmcnt(1)
	v_add_f64 v[6:7], v[6:7], v[18:19]
	v_add_f64 v[4:5], v[4:5], v[16:17]
	s_waitcnt lgkmcnt(0)
	v_add_f64 v[2:3], v[2:3], v[10:11]
	v_add_f64 v[0:1], v[0:1], v[8:9]
	v_cvt_f32_f64_e32 v4, v[4:5]
	v_cvt_f32_f64_e32 v5, v[6:7]
	v_cvt_f32_f64_e32 v0, v[0:1]
	v_cvt_f32_f64_e32 v1, v[2:3]
	v_min3_f32 v4, v4, v5, v178
	v_min_f32_e32 v0, v0, v1
	v_min3_f32 v0, v12, v0, v4
	v_cvt_f64_f32_e32 v[0:1], v0
	v_lshl_add_u64 v[2:3], v[166:167], 3, v[40:41]
	global_store_dwordx2 v[2:3], v[0:1], off
	s_endpgm
	.section	.rodata,"a",@progbits
	.p2align	6, 0x0
	.amdhsa_kernel _ZN12_GLOBAL__N_120geam_min_plus_kernelId15HIP_vector_typeIdLj2EEdLi32ELi8ELi128ELi128ELi4ELi4ELi64ELi4ELi64ELc84ELc78ELb0ELb1ELb1EPKdS3_dEEviiiT16_PT17_ilS7_ilS5_S7_ilPT18_ili26rocblas_geam_ex_operation_
		.amdhsa_group_segment_fixed_size 16384
		.amdhsa_private_segment_fixed_size 0
		.amdhsa_kernarg_size 136
		.amdhsa_user_sgpr_count 2
		.amdhsa_user_sgpr_dispatch_ptr 0
		.amdhsa_user_sgpr_queue_ptr 0
		.amdhsa_user_sgpr_kernarg_segment_ptr 1
		.amdhsa_user_sgpr_dispatch_id 0
		.amdhsa_user_sgpr_kernarg_preload_length 0
		.amdhsa_user_sgpr_kernarg_preload_offset 0
		.amdhsa_user_sgpr_private_segment_size 0
		.amdhsa_uses_dynamic_stack 0
		.amdhsa_enable_private_segment 0
		.amdhsa_system_sgpr_workgroup_id_x 1
		.amdhsa_system_sgpr_workgroup_id_y 0
		.amdhsa_system_sgpr_workgroup_id_z 1
		.amdhsa_system_sgpr_workgroup_info 0
		.amdhsa_system_vgpr_workitem_id 1
		.amdhsa_next_free_vgpr 256
		.amdhsa_next_free_sgpr 42
		.amdhsa_accum_offset 256
		.amdhsa_reserve_vcc 1
		.amdhsa_float_round_mode_32 0
		.amdhsa_float_round_mode_16_64 0
		.amdhsa_float_denorm_mode_32 3
		.amdhsa_float_denorm_mode_16_64 3
		.amdhsa_dx10_clamp 1
		.amdhsa_ieee_mode 1
		.amdhsa_fp16_overflow 0
		.amdhsa_tg_split 0
		.amdhsa_exception_fp_ieee_invalid_op 0
		.amdhsa_exception_fp_denorm_src 0
		.amdhsa_exception_fp_ieee_div_zero 0
		.amdhsa_exception_fp_ieee_overflow 0
		.amdhsa_exception_fp_ieee_underflow 0
		.amdhsa_exception_fp_ieee_inexact 0
		.amdhsa_exception_int_div_zero 0
	.end_amdhsa_kernel
	.section	.text._ZN12_GLOBAL__N_120geam_min_plus_kernelId15HIP_vector_typeIdLj2EEdLi32ELi8ELi128ELi128ELi4ELi4ELi64ELi4ELi64ELc84ELc78ELb0ELb1ELb1EPKdS3_dEEviiiT16_PT17_ilS7_ilS5_S7_ilPT18_ili26rocblas_geam_ex_operation_,"axG",@progbits,_ZN12_GLOBAL__N_120geam_min_plus_kernelId15HIP_vector_typeIdLj2EEdLi32ELi8ELi128ELi128ELi4ELi4ELi64ELi4ELi64ELc84ELc78ELb0ELb1ELb1EPKdS3_dEEviiiT16_PT17_ilS7_ilS5_S7_ilPT18_ili26rocblas_geam_ex_operation_,comdat
.Lfunc_end165:
	.size	_ZN12_GLOBAL__N_120geam_min_plus_kernelId15HIP_vector_typeIdLj2EEdLi32ELi8ELi128ELi128ELi4ELi4ELi64ELi4ELi64ELc84ELc78ELb0ELb1ELb1EPKdS3_dEEviiiT16_PT17_ilS7_ilS5_S7_ilPT18_ili26rocblas_geam_ex_operation_, .Lfunc_end165-_ZN12_GLOBAL__N_120geam_min_plus_kernelId15HIP_vector_typeIdLj2EEdLi32ELi8ELi128ELi128ELi4ELi4ELi64ELi4ELi64ELc84ELc78ELb0ELb1ELb1EPKdS3_dEEviiiT16_PT17_ilS7_ilS5_S7_ilPT18_ili26rocblas_geam_ex_operation_
                                        ; -- End function
	.set _ZN12_GLOBAL__N_120geam_min_plus_kernelId15HIP_vector_typeIdLj2EEdLi32ELi8ELi128ELi128ELi4ELi4ELi64ELi4ELi64ELc84ELc78ELb0ELb1ELb1EPKdS3_dEEviiiT16_PT17_ilS7_ilS5_S7_ilPT18_ili26rocblas_geam_ex_operation_.num_vgpr, 256
	.set _ZN12_GLOBAL__N_120geam_min_plus_kernelId15HIP_vector_typeIdLj2EEdLi32ELi8ELi128ELi128ELi4ELi4ELi64ELi4ELi64ELc84ELc78ELb0ELb1ELb1EPKdS3_dEEviiiT16_PT17_ilS7_ilS5_S7_ilPT18_ili26rocblas_geam_ex_operation_.num_agpr, 0
	.set _ZN12_GLOBAL__N_120geam_min_plus_kernelId15HIP_vector_typeIdLj2EEdLi32ELi8ELi128ELi128ELi4ELi4ELi64ELi4ELi64ELc84ELc78ELb0ELb1ELb1EPKdS3_dEEviiiT16_PT17_ilS7_ilS5_S7_ilPT18_ili26rocblas_geam_ex_operation_.numbered_sgpr, 42
	.set _ZN12_GLOBAL__N_120geam_min_plus_kernelId15HIP_vector_typeIdLj2EEdLi32ELi8ELi128ELi128ELi4ELi4ELi64ELi4ELi64ELc84ELc78ELb0ELb1ELb1EPKdS3_dEEviiiT16_PT17_ilS7_ilS5_S7_ilPT18_ili26rocblas_geam_ex_operation_.num_named_barrier, 0
	.set _ZN12_GLOBAL__N_120geam_min_plus_kernelId15HIP_vector_typeIdLj2EEdLi32ELi8ELi128ELi128ELi4ELi4ELi64ELi4ELi64ELc84ELc78ELb0ELb1ELb1EPKdS3_dEEviiiT16_PT17_ilS7_ilS5_S7_ilPT18_ili26rocblas_geam_ex_operation_.private_seg_size, 0
	.set _ZN12_GLOBAL__N_120geam_min_plus_kernelId15HIP_vector_typeIdLj2EEdLi32ELi8ELi128ELi128ELi4ELi4ELi64ELi4ELi64ELc84ELc78ELb0ELb1ELb1EPKdS3_dEEviiiT16_PT17_ilS7_ilS5_S7_ilPT18_ili26rocblas_geam_ex_operation_.uses_vcc, 1
	.set _ZN12_GLOBAL__N_120geam_min_plus_kernelId15HIP_vector_typeIdLj2EEdLi32ELi8ELi128ELi128ELi4ELi4ELi64ELi4ELi64ELc84ELc78ELb0ELb1ELb1EPKdS3_dEEviiiT16_PT17_ilS7_ilS5_S7_ilPT18_ili26rocblas_geam_ex_operation_.uses_flat_scratch, 0
	.set _ZN12_GLOBAL__N_120geam_min_plus_kernelId15HIP_vector_typeIdLj2EEdLi32ELi8ELi128ELi128ELi4ELi4ELi64ELi4ELi64ELc84ELc78ELb0ELb1ELb1EPKdS3_dEEviiiT16_PT17_ilS7_ilS5_S7_ilPT18_ili26rocblas_geam_ex_operation_.has_dyn_sized_stack, 0
	.set _ZN12_GLOBAL__N_120geam_min_plus_kernelId15HIP_vector_typeIdLj2EEdLi32ELi8ELi128ELi128ELi4ELi4ELi64ELi4ELi64ELc84ELc78ELb0ELb1ELb1EPKdS3_dEEviiiT16_PT17_ilS7_ilS5_S7_ilPT18_ili26rocblas_geam_ex_operation_.has_recursion, 0
	.set _ZN12_GLOBAL__N_120geam_min_plus_kernelId15HIP_vector_typeIdLj2EEdLi32ELi8ELi128ELi128ELi4ELi4ELi64ELi4ELi64ELc84ELc78ELb0ELb1ELb1EPKdS3_dEEviiiT16_PT17_ilS7_ilS5_S7_ilPT18_ili26rocblas_geam_ex_operation_.has_indirect_call, 0
	.section	.AMDGPU.csdata,"",@progbits
; Kernel info:
; codeLenInByte = 27196
; TotalNumSgprs: 48
; NumVgprs: 256
; NumAgprs: 0
; TotalNumVgprs: 256
; ScratchSize: 0
; MemoryBound: 0
; FloatMode: 240
; IeeeMode: 1
; LDSByteSize: 16384 bytes/workgroup (compile time only)
; SGPRBlocks: 5
; VGPRBlocks: 31
; NumSGPRsForWavesPerEU: 48
; NumVGPRsForWavesPerEU: 256
; AccumOffset: 256
; Occupancy: 2
; WaveLimiterHint : 0
; COMPUTE_PGM_RSRC2:SCRATCH_EN: 0
; COMPUTE_PGM_RSRC2:USER_SGPR: 2
; COMPUTE_PGM_RSRC2:TRAP_HANDLER: 0
; COMPUTE_PGM_RSRC2:TGID_X_EN: 1
; COMPUTE_PGM_RSRC2:TGID_Y_EN: 0
; COMPUTE_PGM_RSRC2:TGID_Z_EN: 1
; COMPUTE_PGM_RSRC2:TIDIG_COMP_CNT: 1
; COMPUTE_PGM_RSRC3_GFX90A:ACCUM_OFFSET: 63
; COMPUTE_PGM_RSRC3_GFX90A:TG_SPLIT: 0
	.section	.text._ZN12_GLOBAL__N_120geam_min_plus_kernelId15HIP_vector_typeIdLj2EEdLi32ELi8ELi128ELi128ELi4ELi4ELi64ELi4ELi64ELc84ELc78ELb1ELb1ELb1EdKddEEviiiT16_PT17_ilS6_ilS4_S6_ilPT18_ili26rocblas_geam_ex_operation_,"axG",@progbits,_ZN12_GLOBAL__N_120geam_min_plus_kernelId15HIP_vector_typeIdLj2EEdLi32ELi8ELi128ELi128ELi4ELi4ELi64ELi4ELi64ELc84ELc78ELb1ELb1ELb1EdKddEEviiiT16_PT17_ilS6_ilS4_S6_ilPT18_ili26rocblas_geam_ex_operation_,comdat
	.globl	_ZN12_GLOBAL__N_120geam_min_plus_kernelId15HIP_vector_typeIdLj2EEdLi32ELi8ELi128ELi128ELi4ELi4ELi64ELi4ELi64ELc84ELc78ELb1ELb1ELb1EdKddEEviiiT16_PT17_ilS6_ilS4_S6_ilPT18_ili26rocblas_geam_ex_operation_ ; -- Begin function _ZN12_GLOBAL__N_120geam_min_plus_kernelId15HIP_vector_typeIdLj2EEdLi32ELi8ELi128ELi128ELi4ELi4ELi64ELi4ELi64ELc84ELc78ELb1ELb1ELb1EdKddEEviiiT16_PT17_ilS6_ilS4_S6_ilPT18_ili26rocblas_geam_ex_operation_
	.p2align	8
	.type	_ZN12_GLOBAL__N_120geam_min_plus_kernelId15HIP_vector_typeIdLj2EEdLi32ELi8ELi128ELi128ELi4ELi4ELi64ELi4ELi64ELc84ELc78ELb1ELb1ELb1EdKddEEviiiT16_PT17_ilS6_ilS4_S6_ilPT18_ili26rocblas_geam_ex_operation_,@function
_ZN12_GLOBAL__N_120geam_min_plus_kernelId15HIP_vector_typeIdLj2EEdLi32ELi8ELi128ELi128ELi4ELi4ELi64ELi4ELi64ELc84ELc78ELb1ELb1ELb1EdKddEEviiiT16_PT17_ilS6_ilS4_S6_ilPT18_ili26rocblas_geam_ex_operation_: ; @_ZN12_GLOBAL__N_120geam_min_plus_kernelId15HIP_vector_typeIdLj2EEdLi32ELi8ELi128ELi128ELi4ELi4ELi64ELi4ELi64ELc84ELc78ELb1ELb1ELb1EdKddEEviiiT16_PT17_ilS6_ilS4_S6_ilPT18_ili26rocblas_geam_ex_operation_
; %bb.0:
	s_load_dwordx4 s[8:11], s[0:1], 0x10
	s_load_dwordx4 s[4:7], s[0:1], 0x28
	s_mov_b64 s[26:27], 0
	s_waitcnt lgkmcnt(0)
	v_cmp_eq_f64_e64 s[8:9], s[8:9], 0
	s_and_b64 vcc, exec, s[8:9]
	s_cbranch_vccnz .LBB166_2
; %bb.1:
	s_mul_i32 s5, s5, s3
	s_mul_hi_u32 s12, s4, s3
	s_add_i32 s5, s12, s5
	s_mul_i32 s4, s4, s3
	s_lshl_b64 s[4:5], s[4:5], 3
	s_add_u32 s26, s10, s4
	s_addc_u32 s27, s11, s5
.LBB166_2:
	s_load_dwordx4 s[12:15], s[0:1], 0x40
	s_load_dwordx2 s[4:5], s[0:1], 0x50
	s_andn2_b64 vcc, exec, s[8:9]
	s_mov_b64 s[8:9], -1
	s_cbranch_vccnz .LBB166_4
; %bb.3:
	s_mov_b64 s[8:9], 0
.LBB166_4:
	s_mov_b64 s[24:25], 0
	s_andn2_b64 vcc, exec, s[8:9]
	s_mov_b64 s[28:29], 0
	s_cbranch_vccnz .LBB166_6
; %bb.5:
	s_waitcnt lgkmcnt(0)
	s_mul_i32 s8, s13, s3
	s_mul_hi_u32 s9, s12, s3
	s_add_i32 s9, s9, s8
	s_mul_i32 s8, s12, s3
	s_lshl_b64 s[8:9], s[8:9], 3
	s_add_u32 s28, s6, s8
	s_addc_u32 s29, s7, s9
.LBB166_6:
	s_load_dwordx4 s[20:23], s[0:1], 0x60
	s_waitcnt lgkmcnt(0)
	v_cmp_eq_f64_e64 s[6:7], s[14:15], 0
	v_cmp_neq_f64_e64 s[12:13], s[14:15], 0
	s_and_b64 vcc, exec, s[6:7]
	s_cbranch_vccnz .LBB166_8
; %bb.7:
	s_mul_i32 s6, s21, s3
	s_mul_hi_u32 s7, s20, s3
	s_add_i32 s7, s7, s6
	s_mul_i32 s6, s20, s3
	s_lshl_b64 s[6:7], s[6:7], 3
	s_add_u32 s24, s4, s6
	s_addc_u32 s25, s5, s7
.LBB166_8:
	s_load_dwordx4 s[16:19], s[0:1], 0x0
	v_and_b32_e32 v176, 0x3ff, v0
	v_bfe_u32 v177, v0, 10, 10
	v_and_b32_e32 v2, 3, v0
	s_waitcnt lgkmcnt(0)
	s_load_dword s19, s[0:1], 0x20
	s_add_i32 s4, s16, -1
	s_ashr_i32 s5, s4, 31
	s_lshr_b32 s5, s5, 25
	s_add_i32 s4, s4, s5
	s_ashr_i32 s4, s4, 7
	s_add_i32 s5, s4, 1
	v_cvt_f32_u32_e32 v1, s5
	s_not_b32 s4, s4
	v_mov_b32_e32 v7, 0
	v_lshlrev_b32_e32 v6, 3, v2
	v_rcp_iflag_f32_e32 v0, v1
	v_lshl_add_u32 v1, v177, 5, v176
	v_lshrrev_b32_e32 v12, 2, v1
	v_cmp_le_i32_e64 s[8:9], s18, v2
	v_mul_f32_e32 v0, 0x4f7ffffe, v0
	v_cvt_u32_f32_e32 v0, v0
	v_mov_b32_e32 v1, 0x7fefffff
	v_lshl_add_u64 v[4:5], s[26:27], 0, v[6:7]
	v_accvgpr_write_b32 a5, v2
	v_readfirstlane_b32 s6, v0
	s_mul_i32 s4, s4, s6
	s_mul_hi_u32 s4, s6, s4
	s_add_i32 s6, s6, s4
	s_mul_hi_u32 s4, s2, s6
	s_mul_i32 s6, s4, s5
	s_sub_i32 s6, s2, s6
	s_add_i32 s7, s4, 1
	s_sub_i32 s10, s6, s5
	s_cmp_ge_u32 s6, s5
	s_cselect_b32 s4, s7, s4
	s_cselect_b32 s6, s10, s6
	s_add_i32 s7, s4, 1
	s_cmp_ge_u32 s6, s5
	s_cselect_b32 s6, s7, s4
	s_mul_i32 s4, s6, s5
	s_sub_i32 s2, s2, s4
	s_lshl_b32 s2, s2, 7
	v_add_u32_e32 v108, s2, v12
	v_cmp_le_i32_e32 vcc, s16, v108
	v_mov_b32_e32 v0, -1
	s_nor_b64 s[10:11], s[8:9], vcc
	v_mov_b64_e32 v[2:3], v[0:1]
	s_and_saveexec_b64 s[4:5], s[10:11]
	s_cbranch_execz .LBB166_10
; %bb.9:
	s_waitcnt lgkmcnt(0)
	v_mad_i64_i32 v[2:3], s[10:11], v108, s19, 0
	v_lshl_add_u64 v[2:3], v[2:3], 3, v[4:5]
	global_load_dwordx2 v[2:3], v[2:3], off
.LBB166_10:
	s_or_b64 exec, exec, s[4:5]
	v_add_u32_e32 v109, 64, v108
	v_cmp_le_i32_e64 s[10:11], s16, v109
	s_nor_b64 s[20:21], s[8:9], s[10:11]
	s_and_saveexec_b64 s[4:5], s[20:21]
	s_cbranch_execz .LBB166_12
; %bb.11:
	s_waitcnt lgkmcnt(0)
	v_mad_i64_i32 v[0:1], s[20:21], v109, s19, 0
	v_lshl_add_u64 v[0:1], v[0:1], 3, v[4:5]
	global_load_dwordx2 v[0:1], v[0:1], off
.LBB166_12:
	s_or_b64 exec, exec, s[4:5]
	s_load_dword s33, s[0:1], 0x38
	s_lshl_b32 s30, s6, 7
	v_add_u32_e32 v110, s30, v12
	v_mov_b32_e32 v7, 0
	v_lshl_add_u64 v[8:9], s[28:29], 0, v[6:7]
	v_cmp_le_i32_e64 s[4:5], s17, v110
	v_mov_b32_e32 v6, -1
	v_mov_b32_e32 v7, 0x7fefffff
	s_nor_b64 s[20:21], s[8:9], s[4:5]
	v_mov_b64_e32 v[10:11], v[6:7]
	s_and_saveexec_b64 s[6:7], s[20:21]
	s_cbranch_execz .LBB166_14
; %bb.13:
	s_waitcnt lgkmcnt(0)
	v_mad_i64_i32 v[10:11], s[20:21], v110, s33, 0
	v_lshl_add_u64 v[10:11], v[10:11], 3, v[8:9]
	global_load_dwordx2 v[10:11], v[10:11], off
.LBB166_14:
	s_or_b64 exec, exec, s[6:7]
	v_add_u32_e32 v111, 64, v110
	v_cmp_le_i32_e64 s[6:7], s17, v111
	s_nor_b64 s[20:21], s[8:9], s[6:7]
	s_and_saveexec_b64 s[8:9], s[20:21]
	s_cbranch_execz .LBB166_16
; %bb.15:
	s_waitcnt lgkmcnt(0)
	v_mad_i64_i32 v[6:7], s[20:21], v111, s33, 0
	v_lshl_add_u64 v[6:7], v[6:7], 3, v[8:9]
	global_load_dwordx2 v[6:7], v[6:7], off
.LBB166_16:
	s_or_b64 exec, exec, s[8:9]
	v_accvgpr_read_b32 v13, a5
	v_or_b32_e32 v13, 4, v13
	v_cmp_le_i32_e64 s[8:9], s18, v13
	v_mov_b32_e32 v100, -1
	v_mov_b32_e32 v101, 0x7fefffff
	s_nor_b64 s[34:35], s[8:9], vcc
	v_mov_b64_e32 v[102:103], v[100:101]
	s_and_saveexec_b64 s[20:21], s[34:35]
	s_cbranch_execz .LBB166_18
; %bb.17:
	s_waitcnt lgkmcnt(0)
	v_mad_i64_i32 v[14:15], s[34:35], v108, s19, 0
	v_lshl_add_u64 v[14:15], v[14:15], 3, v[4:5]
	global_load_dwordx2 v[102:103], v[14:15], off offset:32
.LBB166_18:
	s_or_b64 exec, exec, s[20:21]
	s_nor_b64 s[34:35], s[8:9], s[10:11]
	s_and_saveexec_b64 s[20:21], s[34:35]
	s_cbranch_execz .LBB166_20
; %bb.19:
	s_waitcnt lgkmcnt(0)
	v_mad_i64_i32 v[14:15], s[34:35], v109, s19, 0
	v_lshl_add_u64 v[4:5], v[14:15], 3, v[4:5]
	global_load_dwordx2 v[100:101], v[4:5], off offset:32
.LBB166_20:
	s_or_b64 exec, exec, s[20:21]
	v_mov_b32_e32 v104, -1
	v_mov_b32_e32 v105, 0x7fefffff
	s_nor_b64 s[34:35], s[8:9], s[4:5]
	v_mov_b64_e32 v[106:107], v[104:105]
	s_and_saveexec_b64 s[20:21], s[34:35]
	s_cbranch_execz .LBB166_22
; %bb.21:
	s_waitcnt lgkmcnt(0)
	v_mad_i64_i32 v[4:5], s[34:35], v110, s33, 0
	v_lshl_add_u64 v[4:5], v[4:5], 3, v[8:9]
	global_load_dwordx2 v[106:107], v[4:5], off offset:32
.LBB166_22:
	s_or_b64 exec, exec, s[20:21]
	s_nor_b64 s[20:21], s[8:9], s[6:7]
	s_and_saveexec_b64 s[8:9], s[20:21]
	s_cbranch_execz .LBB166_24
; %bb.23:
	s_waitcnt lgkmcnt(0)
	v_mad_i64_i32 v[4:5], s[20:21], v111, s33, 0
	v_lshl_add_u64 v[4:5], v[4:5], 3, v[8:9]
	global_load_dwordx2 v[104:105], v[4:5], off offset:32
.LBB166_24:
	s_or_b64 exec, exec, s[8:9]
	v_lshlrev_b32_e32 v4, 5, v12
	v_accvgpr_read_b32 v5, a5
	v_lshl_or_b32 v207, v5, 3, v4
	v_lshlrev_b32_e32 v201, 5, v176
	s_waitcnt vmcnt(0)
	ds_write2st64_b64 v207, v[2:3], v[0:1] offset1:4
	ds_write2st64_b64 v207, v[10:11], v[6:7] offset0:16 offset1:20
	s_waitcnt lgkmcnt(0)
	s_barrier
	v_lshlrev_b32_e32 v199, 5, v177
	ds_read_b128 v[16:19], v201 offset:1024
	ds_read_b128 v[12:15], v201 offset:2048
	ds_read_b128 v[8:11], v201 offset:3072
	ds_read_b128 v[92:95], v199 offset:8448
	ds_read_b128 v[88:91], v199 offset:8704
	ds_read_b128 v[84:87], v199 offset:8960
	ds_read_b128 v[80:83], v199 offset:9216
	ds_read_b128 v[76:79], v199 offset:9472
	ds_read_b128 v[72:75], v199 offset:9728
	ds_read_b128 v[68:71], v199 offset:9984
	ds_read_b128 v[64:67], v199 offset:10240
	ds_read_b128 v[60:63], v199 offset:10496
	ds_read_b128 v[44:47], v199 offset:10752
	ds_read_b128 v[40:43], v199 offset:11008
	ds_read_b128 v[36:39], v199 offset:11264
	ds_read_b128 v[32:35], v199 offset:11520
	ds_read_b128 v[24:27], v201
	ds_read_b128 v[96:99], v199 offset:8192
	ds_read_b128 v[28:31], v199 offset:11776
	;; [unrolled: 1-line block ×5, first 2 shown]
	s_waitcnt lgkmcnt(5)
	v_add_f64 v[114:115], v[26:27], v[94:95]
	v_add_f64 v[116:117], v[24:25], v[92:93]
	s_mov_b32 s8, 0x7f800000
	v_cvt_f32_f64_e32 v113, v[116:117]
	v_cvt_f32_f64_e32 v114, v[114:115]
	v_min3_f32 v172, v113, v114, s8
	v_add_f64 v[114:115], v[18:19], v[94:95]
	v_add_f64 v[116:117], v[16:17], v[92:93]
	v_cvt_f32_f64_e32 v113, v[116:117]
	v_cvt_f32_f64_e32 v114, v[114:115]
	v_min3_f32 v173, v113, v114, s8
	v_add_f64 v[114:115], v[14:15], v[94:95]
	v_add_f64 v[116:117], v[12:13], v[92:93]
	;; [unrolled: 5-line block ×36, first 2 shown]
	s_waitcnt lgkmcnt(4)
	v_add_f64 v[48:49], v[26:27], v[98:99]
	v_add_f64 v[50:51], v[24:25], v[96:97]
	v_cvt_f32_f64_e32 v113, v[116:117]
	v_cvt_f32_f64_e32 v114, v[114:115]
	;; [unrolled: 1-line block ×4, first 2 shown]
	v_min3_f32 v122, v113, v114, s8
	v_add_f64 v[114:115], v[18:19], v[34:35]
	v_add_f64 v[116:117], v[16:17], v[32:33]
	v_min3_f32 v112, v50, v48, s8
	v_add_f64 v[48:49], v[18:19], v[98:99]
	v_add_f64 v[50:51], v[16:17], v[96:97]
	v_cvt_f32_f64_e32 v113, v[116:117]
	v_cvt_f32_f64_e32 v114, v[114:115]
	;; [unrolled: 1-line block ×4, first 2 shown]
	v_min3_f32 v120, v113, v114, s8
	v_add_f64 v[114:115], v[14:15], v[34:35]
	v_add_f64 v[116:117], v[12:13], v[32:33]
	ds_read_b128 v[52:55], v201 offset:1040
	v_min3_f32 v165, v50, v48, s8
	v_add_f64 v[48:49], v[14:15], v[98:99]
	v_add_f64 v[50:51], v[12:13], v[96:97]
	v_cvt_f32_f64_e32 v113, v[116:117]
	v_cvt_f32_f64_e32 v114, v[114:115]
	s_waitcnt lgkmcnt(4)
	v_add_f64 v[166:167], v[26:27], v[30:31]
	v_add_f64 v[168:169], v[24:25], v[28:29]
	v_cvt_f32_f64_e32 v50, v[50:51]
	v_cvt_f32_f64_e32 v48, v[48:49]
	v_min3_f32 v117, v113, v114, s8
	v_cvt_f32_f64_e32 v113, v[168:169]
	v_cvt_f32_f64_e32 v114, v[166:167]
	v_add_f64 v[166:167], v[18:19], v[30:31]
	v_add_f64 v[168:169], v[16:17], v[28:29]
	ds_read_b128 v[56:59], v201 offset:2064
	v_min3_f32 v170, v50, v48, s8
	ds_read_b128 v[48:51], v201 offset:3088
	v_add_f64 v[98:99], v[10:11], v[98:99]
	v_add_f64 v[96:97], v[8:9], v[96:97]
	;; [unrolled: 1-line block ×28, first 2 shown]
	v_min3_f32 v118, v113, v114, s8
	v_cvt_f32_f64_e32 v113, v[168:169]
	v_cvt_f32_f64_e32 v114, v[166:167]
	v_add_f64 v[166:167], v[14:15], v[30:31]
	v_add_f64 v[168:169], v[12:13], v[28:29]
	;; [unrolled: 1-line block ×4, first 2 shown]
	s_waitcnt lgkmcnt(5)
	v_add_f64 v[14:15], v[14:15], v[22:23]
	v_add_f64 v[12:13], v[12:13], v[20:21]
	v_add_f64 v[10:11], v[10:11], v[22:23]
	v_add_f64 v[8:9], v[8:9], v[20:21]
	v_cvt_f32_f64_e32 v96, v[96:97]
	v_cvt_f32_f64_e32 v97, v[98:99]
	;; [unrolled: 1-line block ×6, first 2 shown]
	s_waitcnt lgkmcnt(3)
	v_add_f64 v[10:11], v[2:3], v[6:7]
	v_add_f64 v[14:15], v[0:1], v[4:5]
	v_min3_f32 v171, v96, v97, s8
	ds_read_b128 v[96:99], v199 offset:8464
	v_min3_f32 v116, v113, v114, s8
	v_cvt_f32_f64_e32 v113, v[168:169]
	v_cvt_f32_f64_e32 v114, v[166:167]
	;; [unrolled: 1-line block ×4, first 2 shown]
	v_min3_f32 v8, v8, v9, s8
	v_cvt_f32_f64_e32 v9, v[14:15]
	v_cvt_f32_f64_e32 v10, v[10:11]
	v_min3_f32 v114, v113, v114, s8
	v_min3_f32 v113, v28, v29, s8
	ds_read_b128 v[28:31], v199 offset:12048
	v_min3_f32 v189, v9, v10, v112
	s_waitcnt lgkmcnt(4)
	v_add_f64 v[10:11], v[54:55], v[6:7]
	v_add_f64 v[14:15], v[52:53], v[4:5]
	v_cvt_f32_f64_e32 v9, v[14:15]
	v_cvt_f32_f64_e32 v10, v[10:11]
	v_min3_f32 v188, v9, v10, v165
	s_waitcnt lgkmcnt(3)
	v_add_f64 v[10:11], v[58:59], v[6:7]
	v_add_f64 v[14:15], v[56:57], v[4:5]
	s_waitcnt lgkmcnt(2)
	v_add_f64 v[6:7], v[50:51], v[6:7]
	v_add_f64 v[4:5], v[48:49], v[4:5]
	v_cvt_f32_f64_e32 v92, v[92:93]
	v_cvt_f32_f64_e32 v93, v[94:95]
	v_cvt_f32_f64_e32 v4, v[4:5]
	v_cvt_f32_f64_e32 v5, v[6:7]
	v_min3_f32 v163, v92, v93, s8
	ds_read_b128 v[92:95], v199 offset:8720
	v_min3_f32 v193, v4, v5, v171
	s_waitcnt lgkmcnt(2)
	v_add_f64 v[4:5], v[2:3], v[98:99]
	v_add_f64 v[6:7], v[0:1], v[96:97]
	v_cvt_f32_f64_e32 v6, v[6:7]
	v_cvt_f32_f64_e32 v4, v[4:5]
	v_min3_f32 v194, v6, v4, v172
	v_add_f64 v[4:5], v[54:55], v[98:99]
	v_add_f64 v[6:7], v[52:53], v[96:97]
	v_cvt_f32_f64_e32 v6, v[6:7]
	v_cvt_f32_f64_e32 v4, v[4:5]
	v_min3_f32 v252, v6, v4, v173
	v_add_f64 v[4:5], v[58:59], v[98:99]
	v_add_f64 v[6:7], v[56:57], v[96:97]
	v_cvt_f32_f64_e32 v6, v[6:7]
	v_cvt_f32_f64_e32 v4, v[4:5]
	v_min3_f32 v251, v6, v4, v174
	v_add_f64 v[4:5], v[50:51], v[98:99]
	v_add_f64 v[6:7], v[48:49], v[96:97]
	v_cvt_f32_f64_e32 v6, v[6:7]
	v_cvt_f32_f64_e32 v4, v[4:5]
	v_min3_f32 v250, v6, v4, v163
	s_waitcnt lgkmcnt(0)
	v_add_f64 v[4:5], v[2:3], v[94:95]
	v_add_f64 v[6:7], v[0:1], v[92:93]
	v_cvt_f32_f64_e32 v6, v[6:7]
	v_cvt_f32_f64_e32 v4, v[4:5]
	v_cvt_f32_f64_e32 v88, v[88:89]
	v_cvt_f32_f64_e32 v89, v[90:91]
	v_min3_f32 v249, v6, v4, v175
	v_add_f64 v[4:5], v[54:55], v[94:95]
	v_add_f64 v[6:7], v[52:53], v[92:93]
	v_min3_f32 v159, v88, v89, s8
	ds_read_b128 v[88:91], v199 offset:8976
	v_cvt_f32_f64_e32 v6, v[6:7]
	v_cvt_f32_f64_e32 v4, v[4:5]
	v_min3_f32 v248, v6, v4, v164
	v_add_f64 v[4:5], v[58:59], v[94:95]
	v_add_f64 v[6:7], v[56:57], v[92:93]
	v_cvt_f32_f64_e32 v6, v[6:7]
	v_cvt_f32_f64_e32 v4, v[4:5]
	v_min3_f32 v247, v6, v4, v161
	v_add_f64 v[4:5], v[50:51], v[94:95]
	v_add_f64 v[6:7], v[48:49], v[92:93]
	v_cvt_f32_f64_e32 v84, v[84:85]
	v_cvt_f32_f64_e32 v85, v[86:87]
	v_cvt_f32_f64_e32 v6, v[6:7]
	v_cvt_f32_f64_e32 v4, v[4:5]
	v_min3_f32 v155, v84, v85, s8
	ds_read_b128 v[84:87], v199 offset:9232
	v_min3_f32 v246, v6, v4, v159
	s_waitcnt lgkmcnt(1)
	v_add_f64 v[4:5], v[2:3], v[90:91]
	v_add_f64 v[6:7], v[0:1], v[88:89]
	v_cvt_f32_f64_e32 v6, v[6:7]
	v_cvt_f32_f64_e32 v4, v[4:5]
	v_min3_f32 v245, v6, v4, v162
	v_add_f64 v[4:5], v[54:55], v[90:91]
	v_add_f64 v[6:7], v[52:53], v[88:89]
	v_cvt_f32_f64_e32 v6, v[6:7]
	v_cvt_f32_f64_e32 v4, v[4:5]
	v_min3_f32 v244, v6, v4, v160
	v_add_f64 v[4:5], v[58:59], v[90:91]
	v_add_f64 v[6:7], v[56:57], v[88:89]
	v_cvt_f32_f64_e32 v6, v[6:7]
	v_cvt_f32_f64_e32 v4, v[4:5]
	v_min3_f32 v243, v6, v4, v157
	v_add_f64 v[4:5], v[50:51], v[90:91]
	v_add_f64 v[6:7], v[48:49], v[88:89]
	v_cvt_f32_f64_e32 v6, v[6:7]
	v_cvt_f32_f64_e32 v4, v[4:5]
	v_min3_f32 v242, v6, v4, v155
	s_waitcnt lgkmcnt(0)
	v_add_f64 v[4:5], v[2:3], v[86:87]
	v_add_f64 v[6:7], v[0:1], v[84:85]
	v_cvt_f32_f64_e32 v6, v[6:7]
	v_cvt_f32_f64_e32 v4, v[4:5]
	v_cvt_f32_f64_e32 v80, v[80:81]
	v_cvt_f32_f64_e32 v81, v[82:83]
	v_min3_f32 v241, v6, v4, v158
	v_add_f64 v[4:5], v[54:55], v[86:87]
	v_add_f64 v[6:7], v[52:53], v[84:85]
	v_min3_f32 v151, v80, v81, s8
	ds_read_b128 v[80:83], v199 offset:9488
	v_cvt_f32_f64_e32 v6, v[6:7]
	v_cvt_f32_f64_e32 v4, v[4:5]
	v_min3_f32 v240, v6, v4, v156
	v_add_f64 v[4:5], v[58:59], v[86:87]
	v_add_f64 v[6:7], v[56:57], v[84:85]
	v_cvt_f32_f64_e32 v6, v[6:7]
	v_cvt_f32_f64_e32 v4, v[4:5]
	v_min3_f32 v239, v6, v4, v153
	;; [unrolled: 50-line block ×6, first 2 shown]
	v_add_f64 v[4:5], v[50:51], v[42:43]
	v_add_f64 v[6:7], v[48:49], v[40:41]
	v_cvt_f32_f64_e32 v32, v[32:33]
	v_cvt_f32_f64_e32 v33, v[34:35]
	;; [unrolled: 1-line block ×4, first 2 shown]
	v_min3_f32 v115, v32, v33, s8
	ds_read_b128 v[32:35], v199 offset:11792
	v_min3_f32 v205, v6, v4, v119
	s_waitcnt lgkmcnt(1)
	v_add_f64 v[4:5], v[2:3], v[38:39]
	v_add_f64 v[6:7], v[0:1], v[36:37]
	v_cvt_f32_f64_e32 v6, v[6:7]
	v_cvt_f32_f64_e32 v4, v[4:5]
	v_min3_f32 v204, v6, v4, v122
	v_add_f64 v[4:5], v[54:55], v[38:39]
	v_add_f64 v[6:7], v[52:53], v[36:37]
	v_cvt_f32_f64_e32 v6, v[6:7]
	v_cvt_f32_f64_e32 v4, v[4:5]
	v_min3_f32 v203, v6, v4, v120
	;; [unrolled: 5-line block ×3, first 2 shown]
	v_add_f64 v[4:5], v[50:51], v[38:39]
	v_add_f64 v[6:7], v[48:49], v[36:37]
	;; [unrolled: 1-line block ×4, first 2 shown]
	v_cvt_f32_f64_e32 v6, v[6:7]
	v_cvt_f32_f64_e32 v4, v[4:5]
	;; [unrolled: 1-line block ×4, first 2 shown]
	v_min3_f32 v198, v6, v4, v115
	s_waitcnt lgkmcnt(0)
	v_add_f64 v[4:5], v[2:3], v[34:35]
	v_add_f64 v[6:7], v[0:1], v[32:33]
	;; [unrolled: 1-line block ×4, first 2 shown]
	v_min3_f32 v24, v24, v25, s8
	v_add_f64 v[18:19], v[18:19], v[22:23]
	v_add_f64 v[16:17], v[16:17], v[20:21]
	v_cvt_f32_f64_e32 v6, v[6:7]
	v_cvt_f32_f64_e32 v4, v[4:5]
	;; [unrolled: 1-line block ×6, first 2 shown]
	v_min3_f32 v197, v6, v4, v118
	v_add_f64 v[4:5], v[54:55], v[34:35]
	v_add_f64 v[6:7], v[52:53], v[32:33]
	v_min3_f32 v191, v0, v1, v24
	v_add_f64 v[0:1], v[54:55], v[30:31]
	v_add_f64 v[2:3], v[52:53], v[28:29]
	v_min3_f32 v16, v16, v17, s8
	v_cvt_f32_f64_e32 v6, v[6:7]
	v_cvt_f32_f64_e32 v4, v[4:5]
	;; [unrolled: 1-line block ×4, first 2 shown]
	v_min3_f32 v196, v6, v4, v116
	v_add_f64 v[4:5], v[58:59], v[34:35]
	v_add_f64 v[6:7], v[56:57], v[32:33]
	v_min3_f32 v182, v2, v0, v16
	v_add_f64 v[0:1], v[58:59], v[30:31]
	v_add_f64 v[2:3], v[56:57], v[28:29]
	v_min3_f32 v12, v12, v13, s8
	v_cvt_f32_f64_e32 v6, v[6:7]
	v_cvt_f32_f64_e32 v4, v[4:5]
	;; [unrolled: 1-line block ×4, first 2 shown]
	v_min3_f32 v195, v6, v4, v114
	v_add_f64 v[4:5], v[50:51], v[34:35]
	v_add_f64 v[6:7], v[48:49], v[32:33]
	v_min3_f32 v181, v2, v0, v12
	v_add_f64 v[0:1], v[50:51], v[30:31]
	v_add_f64 v[2:3], v[48:49], v[28:29]
	v_cvt_f32_f64_e32 v9, v[14:15]
	v_cvt_f32_f64_e32 v10, v[10:11]
	;; [unrolled: 1-line block ×6, first 2 shown]
	v_min3_f32 v202, v9, v10, v170
	v_min3_f32 v192, v6, v4, v113
	;; [unrolled: 1-line block ×3, first 2 shown]
	s_cmp_lt_i32 s18, 9
	ds_write2st64_b64 v207, v[102:103], v[100:101] offset0:8 offset1:12
	ds_write2st64_b64 v207, v[106:107], v[104:105] offset0:24 offset1:28
	s_waitcnt lgkmcnt(0)
	s_barrier
	s_cbranch_scc1 .LBB166_44
; %bb.25:
	v_mov_b32_e32 v0, 0x1000
	v_lshl_add_u32 v254, v176, 5, v0
	v_mov_b32_e32 v0, 0x3000
	v_lshl_add_u32 v255, v177, 5, v0
	v_and_b32_e32 v0, 3, v176
	v_lshlrev_b32_e32 v160, 3, v0
	v_mad_i64_i32 v[0:1], s[8:9], s33, v110, 0
	v_lshl_add_u64 v[162:163], v[0:1], 3, s[28:29]
	v_mad_i64_i32 v[0:1], s[8:9], s33, v111, 0
	v_lshl_add_u64 v[164:165], v[0:1], 3, s[28:29]
	;; [unrolled: 2-line block ×3, first 2 shown]
	v_mad_i64_i32 v[0:1], s[8:9], s19, v109, 0
	v_accvgpr_write_b32 a2, v182
	v_accvgpr_write_b32 a1, v181
	;; [unrolled: 1-line block ×3, first 2 shown]
	v_add_u32_e32 v253, 0x2000, v199
	s_add_i32 s31, s18, -8
	v_accvgpr_write_b32 a4, v177
	v_accvgpr_write_b32 a3, v176
	v_mov_b32_e32 v161, 0
	v_lshl_add_u64 v[168:169], v[0:1], 3, s[26:27]
	s_mov_b32 s19, 0
	v_mov_b32_e32 v170, -1
	v_mov_b32_e32 v171, 0x7fefffff
.LBB166_26:                             ; =>This Inner Loop Header: Depth=1
	v_accvgpr_read_b32 v0, a5
	v_add_u32_e32 v190, s19, v0
	v_add_u32_e32 v0, 8, v190
	v_cmp_le_i32_e64 s[8:9], s18, v0
	s_nor_b64 s[26:27], vcc, s[8:9]
	v_lshl_add_u64 v[174:175], v[166:167], 0, v[160:161]
	v_mov_b64_e32 v[172:173], v[170:171]
	s_and_saveexec_b64 s[20:21], s[26:27]
	s_cbranch_execz .LBB166_28
; %bb.27:                               ;   in Loop: Header=BB166_26 Depth=1
	global_load_dwordx2 v[172:173], v[174:175], off offset:64
.LBB166_28:                             ;   in Loop: Header=BB166_26 Depth=1
	s_or_b64 exec, exec, s[20:21]
	s_nor_b64 s[26:27], s[10:11], s[8:9]
	v_lshl_add_u64 v[176:177], v[168:169], 0, v[160:161]
	v_mov_b64_e32 v[182:183], v[170:171]
	s_and_saveexec_b64 s[20:21], s[26:27]
	s_cbranch_execz .LBB166_30
; %bb.29:                               ;   in Loop: Header=BB166_26 Depth=1
	global_load_dwordx2 v[182:183], v[176:177], off offset:64
.LBB166_30:                             ;   in Loop: Header=BB166_26 Depth=1
	s_or_b64 exec, exec, s[20:21]
	s_nor_b64 s[26:27], s[4:5], s[8:9]
	;; [unrolled: 9-line block ×3, first 2 shown]
	v_lshl_add_u64 v[180:181], v[164:165], 0, v[160:161]
	v_mov_b64_e32 v[186:187], v[170:171]
	s_and_saveexec_b64 s[8:9], s[20:21]
	s_cbranch_execz .LBB166_34
; %bb.33:                               ;   in Loop: Header=BB166_26 Depth=1
	global_load_dwordx2 v[186:187], v[180:181], off offset:64
.LBB166_34:                             ;   in Loop: Header=BB166_26 Depth=1
	s_or_b64 exec, exec, s[8:9]
	ds_read_b128 v[156:159], v255
	ds_read_b128 v[76:79], v255 offset:16
	ds_read_b128 v[92:95], v254
	ds_read_b128 v[12:15], v254 offset:16
	ds_read_b128 v[88:91], v254 offset:1024
	;; [unrolled: 1-line block ×37, first 2 shown]
	s_waitcnt vmcnt(0)
	ds_write2st64_b64 v207, v[172:173], v[182:183] offset1:4
	v_add_u32_e32 v172, 0x2000, v207
	ds_write2st64_b64 v172, v[184:185], v[186:187] offset1:4
	v_add_u32_e32 v172, 12, v190
	v_cmp_le_i32_e64 s[8:9], s18, v172
	s_nor_b64 s[26:27], vcc, s[8:9]
	v_mov_b64_e32 v[172:173], v[170:171]
	s_waitcnt lgkmcnt(0)
	s_barrier
	s_and_saveexec_b64 s[20:21], s[26:27]
	s_cbranch_execz .LBB166_36
; %bb.35:                               ;   in Loop: Header=BB166_26 Depth=1
	global_load_dwordx2 v[172:173], v[174:175], off offset:96
.LBB166_36:                             ;   in Loop: Header=BB166_26 Depth=1
	s_or_b64 exec, exec, s[20:21]
	s_nor_b64 s[26:27], s[10:11], s[8:9]
	v_mov_b64_e32 v[174:175], v[170:171]
	s_and_saveexec_b64 s[20:21], s[26:27]
	s_cbranch_execz .LBB166_38
; %bb.37:                               ;   in Loop: Header=BB166_26 Depth=1
	global_load_dwordx2 v[174:175], v[176:177], off offset:96
.LBB166_38:                             ;   in Loop: Header=BB166_26 Depth=1
	s_or_b64 exec, exec, s[20:21]
	s_nor_b64 s[26:27], s[4:5], s[8:9]
	v_mov_b64_e32 v[176:177], v[170:171]
	;; [unrolled: 8-line block ×3, first 2 shown]
	s_and_saveexec_b64 s[8:9], s[20:21]
	s_cbranch_execz .LBB166_42
; %bb.41:                               ;   in Loop: Header=BB166_26 Depth=1
	global_load_dwordx2 v[178:179], v[180:181], off offset:96
.LBB166_42:                             ;   in Loop: Header=BB166_26 Depth=1
	s_or_b64 exec, exec, s[8:9]
	v_add_f64 v[180:181], v[92:93], v[156:157]
	v_cvt_f32_f64_e32 v182, v[180:181]
	v_add_f64 v[180:181], v[94:95], v[158:159]
	v_cvt_f32_f64_e32 v180, v[180:181]
	v_min3_f32 v182, v182, v180, v189
	v_add_f64 v[180:181], v[88:89], v[156:157]
	v_cvt_f32_f64_e32 v183, v[180:181]
	v_add_f64 v[180:181], v[90:91], v[158:159]
	v_cvt_f32_f64_e32 v180, v[180:181]
	v_min3_f32 v183, v183, v180, v188
	v_add_f64 v[180:181], v[84:85], v[156:157]
	v_cvt_f32_f64_e32 v184, v[180:181]
	v_add_f64 v[180:181], v[86:87], v[158:159]
	v_add_f64 v[158:159], v[82:83], v[158:159]
	;; [unrolled: 1-line block ×3, first 2 shown]
	v_cvt_f32_f64_e32 v156, v[156:157]
	v_cvt_f32_f64_e32 v157, v[158:159]
	;; [unrolled: 1-line block ×3, first 2 shown]
	v_min3_f32 v181, v156, v157, v193
	v_add_f64 v[156:157], v[94:95], v[154:155]
	v_add_f64 v[158:159], v[92:93], v[152:153]
	v_cvt_f32_f64_e32 v158, v[158:159]
	v_cvt_f32_f64_e32 v156, v[156:157]
	v_min3_f32 v180, v184, v180, v202
	v_min3_f32 v184, v158, v156, v194
	v_add_f64 v[156:157], v[90:91], v[154:155]
	v_add_f64 v[158:159], v[88:89], v[152:153]
	v_cvt_f32_f64_e32 v158, v[158:159]
	v_cvt_f32_f64_e32 v156, v[156:157]
	v_min3_f32 v185, v158, v156, v252
	v_add_f64 v[156:157], v[86:87], v[154:155]
	v_add_f64 v[158:159], v[84:85], v[152:153]
	v_add_f64 v[154:155], v[82:83], v[154:155]
	v_add_f64 v[152:153], v[80:81], v[152:153]
	v_cvt_f32_f64_e32 v152, v[152:153]
	v_cvt_f32_f64_e32 v153, v[154:155]
	v_cvt_f32_f64_e32 v156, v[156:157]
	v_min3_f32 v157, v152, v153, v250
	v_add_f64 v[152:153], v[94:95], v[150:151]
	v_add_f64 v[154:155], v[92:93], v[148:149]
	v_cvt_f32_f64_e32 v158, v[158:159]
	v_cvt_f32_f64_e32 v154, v[154:155]
	v_cvt_f32_f64_e32 v152, v[152:153]
	v_min3_f32 v156, v158, v156, v251
	v_min3_f32 v158, v154, v152, v249
	v_add_f64 v[152:153], v[90:91], v[150:151]
	v_add_f64 v[154:155], v[88:89], v[148:149]
	v_cvt_f32_f64_e32 v154, v[154:155]
	v_cvt_f32_f64_e32 v152, v[152:153]
	v_min3_f32 v159, v154, v152, v248
	v_add_f64 v[152:153], v[86:87], v[150:151]
	v_add_f64 v[154:155], v[84:85], v[148:149]
	v_add_f64 v[150:151], v[82:83], v[150:151]
	v_add_f64 v[148:149], v[80:81], v[148:149]
	v_cvt_f32_f64_e32 v148, v[148:149]
	v_cvt_f32_f64_e32 v149, v[150:151]
	v_cvt_f32_f64_e32 v152, v[152:153]
	v_min3_f32 v153, v148, v149, v246
	v_add_f64 v[148:149], v[94:95], v[146:147]
	v_add_f64 v[150:151], v[92:93], v[144:145]
	v_cvt_f32_f64_e32 v154, v[154:155]
	;; [unrolled: 20-line block ×7, first 2 shown]
	v_cvt_f32_f64_e32 v130, v[130:131]
	v_cvt_f32_f64_e32 v128, v[128:129]
	v_min3_f32 v132, v134, v132, v227
	v_min3_f32 v134, v130, v128, v225
	v_add_f64 v[128:129], v[90:91], v[126:127]
	v_add_f64 v[130:131], v[88:89], v[124:125]
	v_cvt_f32_f64_e32 v130, v[130:131]
	v_cvt_f32_f64_e32 v128, v[128:129]
	v_min3_f32 v135, v130, v128, v224
	v_add_f64 v[128:129], v[86:87], v[126:127]
	v_add_f64 v[130:131], v[84:85], v[124:125]
	v_add_f64 v[126:127], v[82:83], v[126:127]
	v_add_f64 v[124:125], v[80:81], v[124:125]
	v_cvt_f32_f64_e32 v124, v[124:125]
	v_cvt_f32_f64_e32 v125, v[126:127]
	v_min3_f32 v187, v124, v125, v222
	v_add_f64 v[124:125], v[94:95], v[122:123]
	v_add_f64 v[126:127], v[92:93], v[120:121]
	v_cvt_f32_f64_e32 v126, v[126:127]
	v_cvt_f32_f64_e32 v124, v[124:125]
	v_min3_f32 v188, v126, v124, v221
	v_add_f64 v[124:125], v[90:91], v[122:123]
	v_add_f64 v[126:127], v[88:89], v[120:121]
	v_cvt_f32_f64_e32 v126, v[126:127]
	v_cvt_f32_f64_e32 v124, v[124:125]
	v_min3_f32 v189, v126, v124, v220
	v_add_f64 v[124:125], v[86:87], v[122:123]
	v_add_f64 v[126:127], v[84:85], v[120:121]
	v_add_f64 v[122:123], v[82:83], v[122:123]
	v_add_f64 v[120:121], v[80:81], v[120:121]
	v_cvt_f32_f64_e32 v120, v[120:121]
	v_cvt_f32_f64_e32 v121, v[122:123]
	v_min3_f32 v193, v120, v121, v218
	v_add_f64 v[120:121], v[94:95], v[118:119]
	v_add_f64 v[122:123], v[92:93], v[116:117]
	v_cvt_f32_f64_e32 v122, v[122:123]
	v_cvt_f32_f64_e32 v120, v[120:121]
	;; [unrolled: 17-line block ×6, first 2 shown]
	v_min3_f32 v197, v106, v104, v197
	v_add_f64 v[104:105], v[90:91], v[102:103]
	v_add_f64 v[106:107], v[88:89], v[100:101]
	v_cvt_f32_f64_e32 v106, v[106:107]
	v_cvt_f32_f64_e32 v104, v[104:105]
	v_min3_f32 v196, v106, v104, v196
	v_add_f64 v[104:105], v[86:87], v[102:103]
	v_add_f64 v[106:107], v[84:85], v[100:101]
	;; [unrolled: 1-line block ×8, first 2 shown]
	v_cvt_f32_f64_e32 v84, v[84:85]
	v_cvt_f32_f64_e32 v85, v[86:87]
	v_accvgpr_read_b32 v86, a1
	v_cvt_f32_f64_e32 v80, v[80:81]
	v_cvt_f32_f64_e32 v81, v[82:83]
	v_accvgpr_read_b32 v82, a0
	v_add_f64 v[94:95], v[94:95], v[98:99]
	v_add_f64 v[92:93], v[92:93], v[96:97]
	v_min3_f32 v84, v84, v85, v86
	v_min3_f32 v85, v80, v81, v82
	v_add_f64 v[80:81], v[14:15], v[78:79]
	v_add_f64 v[82:83], v[12:13], v[76:77]
	v_cvt_f32_f64_e32 v92, v[92:93]
	v_cvt_f32_f64_e32 v93, v[94:95]
	;; [unrolled: 1-line block ×4, first 2 shown]
	v_min3_f32 v92, v92, v93, v191
	v_min3_f32 v191, v82, v80, v182
	v_add_f64 v[80:81], v[10:11], v[78:79]
	v_add_f64 v[82:83], v[8:9], v[76:77]
	v_cvt_f32_f64_e32 v100, v[100:101]
	v_cvt_f32_f64_e32 v101, v[102:103]
	v_cvt_f32_f64_e32 v82, v[82:83]
	v_cvt_f32_f64_e32 v80, v[80:81]
	v_min3_f32 v192, v100, v101, v192
	v_min3_f32 v100, v82, v80, v183
	v_add_f64 v[80:81], v[6:7], v[78:79]
	v_add_f64 v[82:83], v[4:5], v[76:77]
	v_add_f64 v[78:79], v[2:3], v[78:79]
	v_add_f64 v[76:77], v[0:1], v[76:77]
	v_cvt_f32_f64_e32 v76, v[76:77]
	v_cvt_f32_f64_e32 v77, v[78:79]
	v_min3_f32 v102, v76, v77, v181
	v_add_f64 v[76:77], v[14:15], v[74:75]
	v_add_f64 v[78:79], v[12:13], v[72:73]
	v_cvt_f32_f64_e32 v78, v[78:79]
	v_cvt_f32_f64_e32 v76, v[76:77]
	v_min3_f32 v103, v78, v76, v184
	v_add_f64 v[76:77], v[10:11], v[74:75]
	v_add_f64 v[78:79], v[8:9], v[72:73]
	v_cvt_f32_f64_e32 v106, v[106:107]
	v_cvt_f32_f64_e32 v104, v[104:105]
	v_cvt_f32_f64_e32 v78, v[78:79]
	v_cvt_f32_f64_e32 v76, v[76:77]
	v_min3_f32 v195, v106, v104, v195
	v_min3_f32 v104, v78, v76, v185
	v_add_f64 v[76:77], v[6:7], v[74:75]
	v_add_f64 v[78:79], v[4:5], v[72:73]
	v_add_f64 v[74:75], v[2:3], v[74:75]
	v_add_f64 v[72:73], v[0:1], v[72:73]
	v_cvt_f32_f64_e32 v72, v[72:73]
	v_cvt_f32_f64_e32 v73, v[74:75]
	v_min3_f32 v106, v72, v73, v157
	v_add_f64 v[72:73], v[14:15], v[70:71]
	v_add_f64 v[74:75], v[12:13], v[68:69]
	v_cvt_f32_f64_e32 v74, v[74:75]
	v_cvt_f32_f64_e32 v72, v[72:73]
	;; [unrolled: 20-line block ×14, first 2 shown]
	v_min3_f32 v155, v26, v24, v197
	v_add_f64 v[24:25], v[10:11], v[22:23]
	v_add_f64 v[26:27], v[8:9], v[20:21]
	;; [unrolled: 1-line block ×4, first 2 shown]
	v_cvt_f32_f64_e32 v78, v[78:79]
	v_cvt_f32_f64_e32 v76, v[76:77]
	v_cvt_f32_f64_e32 v26, v[26:27]
	v_cvt_f32_f64_e32 v24, v[24:25]
	v_cvt_f32_f64_e32 v88, v[88:89]
	v_cvt_f32_f64_e32 v89, v[90:91]
	v_accvgpr_read_b32 v90, a2
	v_min3_f32 v105, v78, v76, v156
	v_min3_f32 v156, v26, v24, v196
	v_add_f64 v[24:25], v[6:7], v[22:23]
	v_add_f64 v[26:27], v[4:5], v[20:21]
	;; [unrolled: 1-line block ×12, first 2 shown]
	v_min3_f32 v88, v88, v89, v90
	v_cvt_f32_f64_e32 v82, v[82:83]
	v_cvt_f32_f64_e32 v80, v[80:81]
	;; [unrolled: 1-line block ×24, first 2 shown]
	v_min3_f32 v101, v82, v80, v180
	v_min3_f32 v133, v50, v48, v186
	;; [unrolled: 1-line block ×7, first 2 shown]
	v_cvt_f32_f64_e32 v26, v[26:27]
	v_cvt_f32_f64_e32 v24, v[24:25]
	v_min3_f32 v158, v20, v21, v192
	v_min3_f32 v159, v12, v13, v92
	;; [unrolled: 1-line block ×5, first 2 shown]
	ds_read_b128 v[16:19], v201 offset:1024
	ds_read_b128 v[12:15], v201 offset:2048
	;; [unrolled: 1-line block ×16, first 2 shown]
	ds_read_b128 v[96:99], v253
	ds_read_b128 v[32:35], v201
	ds_read_b128 v[40:43], v253 offset:3584
	ds_read_b128 v[20:23], v253 offset:3840
	;; [unrolled: 1-line block ×4, first 2 shown]
	s_waitcnt lgkmcnt(5)
	v_add_f64 v[28:29], v[18:19], v[98:99]
	v_add_f64 v[30:31], v[16:17], v[96:97]
	;; [unrolled: 1-line block ×4, first 2 shown]
	v_min3_f32 v157, v26, v24, v195
	s_waitcnt lgkmcnt(4)
	v_add_f64 v[24:25], v[34:35], v[98:99]
	v_add_f64 v[26:27], v[32:33], v[96:97]
	v_cvt_f32_f64_e32 v30, v[30:31]
	v_cvt_f32_f64_e32 v28, v[28:29]
	v_cvt_f32_f64_e32 v38, v[38:39]
	v_cvt_f32_f64_e32 v36, v[36:37]
	v_add_f64 v[98:99], v[10:11], v[98:99]
	v_add_f64 v[96:97], v[8:9], v[96:97]
	v_min3_f32 v186, v30, v28, v100
	v_min3_f32 v187, v38, v36, v101
	v_cvt_f32_f64_e32 v96, v[96:97]
	v_cvt_f32_f64_e32 v97, v[98:99]
	v_add_f64 v[100:101], v[34:35], v[94:95]
	v_add_f64 v[184:185], v[32:33], v[92:93]
	v_min3_f32 v190, v96, v97, v102
	v_cvt_f32_f64_e32 v102, v[184:185]
	v_cvt_f32_f64_e32 v100, v[100:101]
	v_min3_f32 v184, v102, v100, v103
	v_add_f64 v[100:101], v[18:19], v[94:95]
	v_add_f64 v[102:103], v[16:17], v[92:93]
	v_cvt_f32_f64_e32 v102, v[102:103]
	v_cvt_f32_f64_e32 v100, v[100:101]
	v_min3_f32 v104, v102, v100, v104
	v_add_f64 v[100:101], v[14:15], v[94:95]
	v_add_f64 v[102:103], v[12:13], v[92:93]
	;; [unrolled: 5-line block ×38, first 2 shown]
	v_cvt_f32_f64_e32 v102, v[102:103]
	v_cvt_f32_f64_e32 v100, v[100:101]
	v_min3_f32 v153, v102, v100, v153
	s_waitcnt lgkmcnt(3)
	v_add_f64 v[100:101], v[34:35], v[42:43]
	v_add_f64 v[102:103], v[32:33], v[40:41]
	v_cvt_f32_f64_e32 v102, v[102:103]
	v_cvt_f32_f64_e32 v100, v[100:101]
	;; [unrolled: 1-line block ×4, first 2 shown]
	v_min3_f32 v155, v102, v100, v155
	v_add_f64 v[100:101], v[18:19], v[42:43]
	v_add_f64 v[102:103], v[16:17], v[40:41]
	v_min3_f32 v183, v26, v24, v191
	ds_read_b128 v[24:27], v201 offset:1040
	ds_read_b128 v[28:31], v201 offset:2064
	v_cvt_f32_f64_e32 v102, v[102:103]
	v_cvt_f32_f64_e32 v100, v[100:101]
	v_add_f64 v[94:95], v[10:11], v[94:95]
	v_add_f64 v[92:93], v[8:9], v[92:93]
	;; [unrolled: 1-line block ×26, first 2 shown]
	v_min3_f32 v156, v102, v100, v156
	v_add_f64 v[100:101], v[14:15], v[42:43]
	v_add_f64 v[102:103], v[12:13], v[40:41]
	;; [unrolled: 1-line block ×4, first 2 shown]
	s_waitcnt lgkmcnt(4)
	v_add_f64 v[14:15], v[14:15], v[22:23]
	v_add_f64 v[12:13], v[12:13], v[20:21]
	;; [unrolled: 1-line block ×4, first 2 shown]
	ds_read_b128 v[36:39], v201 offset:3088
	ds_read_b128 v[96:99], v253 offset:272
	v_cvt_f32_f64_e32 v12, v[12:13]
	v_cvt_f32_f64_e32 v13, v[14:15]
	;; [unrolled: 1-line block ×4, first 2 shown]
	v_min3_f32 v12, v12, v13, v181
	v_min3_f32 v13, v8, v9, v182
	s_waitcnt lgkmcnt(4)
	v_add_f64 v[8:9], v[2:3], v[6:7]
	v_add_f64 v[10:11], v[0:1], v[4:5]
	v_cvt_f32_f64_e32 v10, v[10:11]
	v_cvt_f32_f64_e32 v8, v[8:9]
	v_min3_f32 v189, v10, v8, v183
	s_waitcnt lgkmcnt(3)
	v_add_f64 v[8:9], v[26:27], v[6:7]
	v_add_f64 v[10:11], v[24:25], v[4:5]
	v_cvt_f32_f64_e32 v10, v[10:11]
	v_cvt_f32_f64_e32 v8, v[8:9]
	v_min3_f32 v188, v10, v8, v186
	s_waitcnt lgkmcnt(2)
	v_add_f64 v[8:9], v[30:31], v[6:7]
	v_add_f64 v[10:11], v[28:29], v[4:5]
	s_waitcnt lgkmcnt(1)
	v_add_f64 v[6:7], v[38:39], v[6:7]
	v_add_f64 v[4:5], v[36:37], v[4:5]
	v_cvt_f32_f64_e32 v4, v[4:5]
	v_cvt_f32_f64_e32 v5, v[6:7]
	v_min3_f32 v193, v4, v5, v190
	s_waitcnt lgkmcnt(0)
	v_add_f64 v[4:5], v[2:3], v[98:99]
	v_add_f64 v[6:7], v[0:1], v[96:97]
	v_cvt_f32_f64_e32 v6, v[6:7]
	v_cvt_f32_f64_e32 v4, v[4:5]
	v_cvt_f32_f64_e32 v92, v[92:93]
	v_cvt_f32_f64_e32 v93, v[94:95]
	v_min3_f32 v194, v6, v4, v184
	v_add_f64 v[4:5], v[26:27], v[98:99]
	v_add_f64 v[6:7], v[24:25], v[96:97]
	v_min3_f32 v106, v92, v93, v106
	ds_read_b128 v[92:95], v253 offset:528
	v_cvt_f32_f64_e32 v6, v[6:7]
	v_cvt_f32_f64_e32 v4, v[4:5]
	v_min3_f32 v252, v6, v4, v104
	v_add_f64 v[4:5], v[30:31], v[98:99]
	v_add_f64 v[6:7], v[28:29], v[96:97]
	v_cvt_f32_f64_e32 v6, v[6:7]
	v_cvt_f32_f64_e32 v4, v[4:5]
	v_min3_f32 v251, v6, v4, v105
	v_add_f64 v[4:5], v[38:39], v[98:99]
	v_add_f64 v[6:7], v[36:37], v[96:97]
	v_cvt_f32_f64_e32 v88, v[88:89]
	v_cvt_f32_f64_e32 v89, v[90:91]
	v_cvt_f32_f64_e32 v6, v[6:7]
	v_cvt_f32_f64_e32 v4, v[4:5]
	v_min3_f32 v110, v88, v89, v110
	ds_read_b128 v[88:91], v253 offset:784
	v_min3_f32 v250, v6, v4, v106
	s_waitcnt lgkmcnt(1)
	v_add_f64 v[4:5], v[2:3], v[94:95]
	v_add_f64 v[6:7], v[0:1], v[92:93]
	v_cvt_f32_f64_e32 v6, v[6:7]
	v_cvt_f32_f64_e32 v4, v[4:5]
	v_min3_f32 v249, v6, v4, v107
	v_add_f64 v[4:5], v[26:27], v[94:95]
	v_add_f64 v[6:7], v[24:25], v[92:93]
	v_cvt_f32_f64_e32 v6, v[6:7]
	v_cvt_f32_f64_e32 v4, v[4:5]
	v_min3_f32 v248, v6, v4, v108
	v_add_f64 v[4:5], v[30:31], v[94:95]
	v_add_f64 v[6:7], v[28:29], v[92:93]
	v_cvt_f32_f64_e32 v6, v[6:7]
	v_cvt_f32_f64_e32 v4, v[4:5]
	v_min3_f32 v247, v6, v4, v109
	v_add_f64 v[4:5], v[38:39], v[94:95]
	v_add_f64 v[6:7], v[36:37], v[92:93]
	v_cvt_f32_f64_e32 v6, v[6:7]
	v_cvt_f32_f64_e32 v4, v[4:5]
	v_min3_f32 v246, v6, v4, v110
	s_waitcnt lgkmcnt(0)
	v_add_f64 v[4:5], v[2:3], v[90:91]
	v_add_f64 v[6:7], v[0:1], v[88:89]
	v_cvt_f32_f64_e32 v6, v[6:7]
	v_cvt_f32_f64_e32 v4, v[4:5]
	v_cvt_f32_f64_e32 v84, v[84:85]
	v_cvt_f32_f64_e32 v85, v[86:87]
	v_min3_f32 v245, v6, v4, v111
	v_add_f64 v[4:5], v[26:27], v[90:91]
	v_add_f64 v[6:7], v[24:25], v[88:89]
	v_min3_f32 v114, v84, v85, v114
	ds_read_b128 v[84:87], v253 offset:1040
	v_cvt_f32_f64_e32 v6, v[6:7]
	v_cvt_f32_f64_e32 v4, v[4:5]
	v_min3_f32 v244, v6, v4, v112
	v_add_f64 v[4:5], v[30:31], v[90:91]
	v_add_f64 v[6:7], v[28:29], v[88:89]
	v_cvt_f32_f64_e32 v6, v[6:7]
	v_cvt_f32_f64_e32 v4, v[4:5]
	v_min3_f32 v243, v6, v4, v113
	v_add_f64 v[4:5], v[38:39], v[90:91]
	v_add_f64 v[6:7], v[36:37], v[88:89]
	v_cvt_f32_f64_e32 v80, v[80:81]
	v_cvt_f32_f64_e32 v81, v[82:83]
	v_cvt_f32_f64_e32 v6, v[6:7]
	v_cvt_f32_f64_e32 v4, v[4:5]
	v_min3_f32 v118, v80, v81, v118
	ds_read_b128 v[80:83], v253 offset:1296
	v_min3_f32 v242, v6, v4, v114
	s_waitcnt lgkmcnt(1)
	v_add_f64 v[4:5], v[2:3], v[86:87]
	v_add_f64 v[6:7], v[0:1], v[84:85]
	v_cvt_f32_f64_e32 v6, v[6:7]
	v_cvt_f32_f64_e32 v4, v[4:5]
	v_min3_f32 v241, v6, v4, v115
	v_add_f64 v[4:5], v[26:27], v[86:87]
	v_add_f64 v[6:7], v[24:25], v[84:85]
	v_cvt_f32_f64_e32 v6, v[6:7]
	v_cvt_f32_f64_e32 v4, v[4:5]
	v_min3_f32 v240, v6, v4, v116
	v_add_f64 v[4:5], v[30:31], v[86:87]
	v_add_f64 v[6:7], v[28:29], v[84:85]
	v_cvt_f32_f64_e32 v6, v[6:7]
	v_cvt_f32_f64_e32 v4, v[4:5]
	v_min3_f32 v239, v6, v4, v117
	;; [unrolled: 50-line block ×6, first 2 shown]
	v_add_f64 v[4:5], v[38:39], v[54:55]
	v_add_f64 v[6:7], v[36:37], v[52:53]
	v_cvt_f32_f64_e32 v6, v[6:7]
	v_cvt_f32_f64_e32 v4, v[4:5]
	v_min3_f32 v205, v6, v4, v150
	s_waitcnt lgkmcnt(0)
	v_add_f64 v[4:5], v[2:3], v[50:51]
	v_add_f64 v[6:7], v[0:1], v[48:49]
	v_cvt_f32_f64_e32 v6, v[6:7]
	v_cvt_f32_f64_e32 v4, v[4:5]
	;; [unrolled: 1-line block ×6, first 2 shown]
	v_min3_f32 v204, v6, v4, v151
	v_add_f64 v[4:5], v[26:27], v[50:51]
	v_add_f64 v[6:7], v[24:25], v[48:49]
	v_min3_f32 v154, v44, v45, v154
	ds_read_b128 v[44:47], v253 offset:3600
	v_cvt_f32_f64_e32 v100, v[100:101]
	v_min3_f32 v101, v40, v41, v158
	ds_read_b128 v[40:43], v253 offset:3856
	v_cvt_f32_f64_e32 v6, v[6:7]
	v_cvt_f32_f64_e32 v4, v[4:5]
	v_min3_f32 v203, v6, v4, v152
	v_add_f64 v[4:5], v[30:31], v[50:51]
	v_add_f64 v[6:7], v[28:29], v[48:49]
	v_cvt_f32_f64_e32 v6, v[6:7]
	v_cvt_f32_f64_e32 v4, v[4:5]
	v_min3_f32 v200, v6, v4, v153
	v_add_f64 v[4:5], v[38:39], v[50:51]
	v_add_f64 v[6:7], v[36:37], v[48:49]
	;; [unrolled: 1-line block ×4, first 2 shown]
	v_cvt_f32_f64_e32 v6, v[6:7]
	v_cvt_f32_f64_e32 v4, v[4:5]
	v_cvt_f32_f64_e32 v32, v[32:33]
	v_cvt_f32_f64_e32 v33, v[34:35]
	v_min3_f32 v198, v6, v4, v154
	s_waitcnt lgkmcnt(1)
	v_add_f64 v[4:5], v[2:3], v[46:47]
	v_add_f64 v[6:7], v[0:1], v[44:45]
	s_waitcnt lgkmcnt(0)
	v_add_f64 v[2:3], v[2:3], v[42:43]
	v_add_f64 v[0:1], v[0:1], v[40:41]
	v_min3_f32 v32, v32, v33, v159
	v_add_f64 v[18:19], v[18:19], v[22:23]
	v_add_f64 v[16:17], v[16:17], v[20:21]
	v_cvt_f32_f64_e32 v0, v[0:1]
	v_cvt_f32_f64_e32 v1, v[2:3]
	;; [unrolled: 1-line block ×6, first 2 shown]
	v_min3_f32 v191, v0, v1, v32
	v_add_f64 v[0:1], v[26:27], v[42:43]
	v_add_f64 v[2:3], v[24:25], v[40:41]
	v_min3_f32 v16, v16, v17, v180
	v_min3_f32 v197, v6, v4, v155
	v_add_f64 v[4:5], v[26:27], v[46:47]
	v_add_f64 v[6:7], v[24:25], v[44:45]
	v_cvt_f32_f64_e32 v2, v[2:3]
	v_cvt_f32_f64_e32 v0, v[0:1]
	;; [unrolled: 1-line block ×4, first 2 shown]
	v_min3_f32 v182, v2, v0, v16
	v_add_f64 v[0:1], v[30:31], v[42:43]
	v_add_f64 v[2:3], v[28:29], v[40:41]
	v_cvt_f32_f64_e32 v102, v[102:103]
	v_min3_f32 v196, v6, v4, v156
	v_add_f64 v[4:5], v[30:31], v[46:47]
	v_add_f64 v[6:7], v[28:29], v[44:45]
	v_cvt_f32_f64_e32 v2, v[2:3]
	v_cvt_f32_f64_e32 v0, v[0:1]
	v_min3_f32 v100, v102, v100, v157
	v_cvt_f32_f64_e32 v6, v[6:7]
	v_cvt_f32_f64_e32 v4, v[4:5]
	v_min3_f32 v181, v2, v0, v12
	v_add_f64 v[0:1], v[38:39], v[42:43]
	v_add_f64 v[2:3], v[36:37], v[40:41]
	v_min3_f32 v195, v6, v4, v100
	v_add_f64 v[4:5], v[38:39], v[46:47]
	v_add_f64 v[6:7], v[36:37], v[44:45]
	v_cvt_f32_f64_e32 v2, v[2:3]
	v_cvt_f32_f64_e32 v0, v[0:1]
	;; [unrolled: 1-line block ×6, first 2 shown]
	v_min3_f32 v180, v2, v0, v13
	v_add_u32_e32 v0, 0x1000, v207
	s_add_i32 s19, s19, 8
	v_min3_f32 v202, v10, v8, v187
	v_min3_f32 v192, v6, v4, v101
	s_waitcnt vmcnt(0)
	ds_write2st64_b64 v0, v[172:173], v[174:175] offset1:4
	v_add_u32_e32 v0, 0x3000, v207
	v_lshl_add_u64 v[162:163], v[162:163], 0, 64
	v_lshl_add_u64 v[164:165], v[164:165], 0, 64
	;; [unrolled: 1-line block ×3, first 2 shown]
	s_cmp_ge_i32 s19, s31
	v_lshl_add_u64 v[168:169], v[168:169], 0, 64
	ds_write2st64_b64 v0, v[176:177], v[178:179] offset1:4
	s_waitcnt lgkmcnt(0)
	s_barrier
	s_cbranch_scc1 .LBB166_45
; %bb.43:                               ;   in Loop: Header=BB166_26 Depth=1
	v_accvgpr_write_b32 a2, v182
	v_accvgpr_write_b32 a1, v181
	;; [unrolled: 1-line block ×3, first 2 shown]
	s_branch .LBB166_26
.LBB166_44:
	v_accvgpr_write_b32 a4, v177
	v_accvgpr_write_b32 a3, v176
.LBB166_45:
	s_load_dwordx2 s[4:5], s[0:1], 0x78
	s_load_dword s21, s[0:1], 0x58
	s_load_dword s20, s[0:1], 0x70
	ds_read_b128 v[36:39], v201 offset:4096
	ds_read_b128 v[32:35], v201 offset:4112
	;; [unrolled: 1-line block ×38, first 2 shown]
	v_accvgpr_read_b32 v8, a3
	s_waitcnt lgkmcnt(0)
	s_mul_i32 s1, s5, s3
	s_mul_hi_u32 s5, s4, s3
	s_mul_i32 s0, s4, s3
	s_add_i32 s1, s5, s1
	s_lshl_b64 s[0:1], s[0:1], 3
	v_add_u32_e32 v160, s2, v8
	v_accvgpr_read_b32 v8, a4
	s_add_u32 s18, s22, s0
	v_add_u32_e32 v172, s30, v8
	s_addc_u32 s19, s23, s1
	v_mad_i64_i32 v[8:9], s[0:1], v172, s21, 0
	v_lshl_add_u64 v[170:171], v[8:9], 3, s[24:25]
	ds_read_b128 v[16:19], v199 offset:16128
	ds_read_b128 v[8:11], v199 offset:16144
	v_mad_i64_i32 v[162:163], s[0:1], v172, s20, 0
	v_cmp_gt_i32_e64 s[2:3], s16, v160
	v_cmp_gt_i32_e64 s[10:11], s17, v172
	v_lshl_add_u64 v[168:169], v[162:163], 3, s[18:19]
	v_cndmask_b32_e64 v162, 0, 1, s[12:13]
	v_ashrrev_i32_e32 v161, 31, v160
	s_and_b64 s[6:7], s[2:3], s[10:11]
	v_cmp_ne_u32_e64 s[0:1], 1, v162
	s_and_saveexec_b64 s[4:5], s[6:7]
	s_cbranch_execz .LBB166_50
; %bb.46:
	s_and_b64 vcc, exec, s[0:1]
	s_cbranch_vccnz .LBB166_48
; %bb.47:
	v_lshl_add_u64 v[162:163], v[160:161], 3, v[170:171]
	global_load_dwordx2 v[162:163], v[162:163], off
	s_waitcnt vmcnt(0)
	v_mul_f64 v[162:163], s[14:15], v[162:163]
	v_cvt_f32_f64_e32 v162, v[162:163]
	s_branch .LBB166_49
.LBB166_48:
	v_mov_b32_e32 v162, 0
.LBB166_49:
	v_add_f64 v[164:165], v[38:39], v[158:159]
	v_add_f64 v[166:167], v[36:37], v[156:157]
	v_cvt_f32_f64_e32 v163, v[166:167]
	v_cvt_f32_f64_e32 v164, v[164:165]
	v_min3_f32 v163, v163, v164, v189
	v_add_f64 v[164:165], v[34:35], v[154:155]
	v_add_f64 v[166:167], v[32:33], v[152:153]
	v_cvt_f32_f64_e32 v166, v[166:167]
	v_cvt_f32_f64_e32 v164, v[164:165]
	v_min_f32_e32 v164, v166, v164
	v_min3_f32 v162, v162, v164, v163
	v_cvt_f64_f32_e32 v[162:163], v162
	v_lshl_add_u64 v[164:165], v[160:161], 3, v[168:169]
	global_store_dwordx2 v[164:165], v[162:163], off
.LBB166_50:
	s_or_b64 exec, exec, s[4:5]
	v_add_u32_e32 v162, 32, v160
	v_cmp_gt_i32_e64 s[4:5], s16, v162
	v_ashrrev_i32_e32 v163, 31, v162
	s_and_b64 s[8:9], s[4:5], s[10:11]
	s_and_saveexec_b64 s[6:7], s[8:9]
	s_cbranch_execz .LBB166_55
; %bb.51:
	s_and_b64 vcc, exec, s[0:1]
	s_cbranch_vccnz .LBB166_53
; %bb.52:
	v_lshl_add_u64 v[164:165], v[162:163], 3, v[170:171]
	global_load_dwordx2 v[164:165], v[164:165], off
	s_waitcnt vmcnt(0)
	v_mul_f64 v[164:165], s[14:15], v[164:165]
	v_cvt_f32_f64_e32 v164, v[164:165]
	s_branch .LBB166_54
.LBB166_53:
	v_mov_b32_e32 v164, 0
.LBB166_54:
	v_add_f64 v[166:167], v[26:27], v[158:159]
	v_add_f64 v[174:175], v[24:25], v[156:157]
	v_cvt_f32_f64_e32 v165, v[174:175]
	v_cvt_f32_f64_e32 v166, v[166:167]
	v_min3_f32 v165, v165, v166, v188
	v_add_f64 v[166:167], v[30:31], v[154:155]
	v_add_f64 v[174:175], v[28:29], v[152:153]
	v_cvt_f32_f64_e32 v173, v[174:175]
	v_cvt_f32_f64_e32 v166, v[166:167]
	v_min_f32_e32 v166, v173, v166
	v_min3_f32 v164, v164, v166, v165
	v_cvt_f64_f32_e32 v[164:165], v164
	v_lshl_add_u64 v[166:167], v[162:163], 3, v[168:169]
	global_store_dwordx2 v[166:167], v[164:165], off
.LBB166_55:
	s_or_b64 exec, exec, s[6:7]
	v_add_u32_e32 v164, 64, v160
	v_cmp_gt_i32_e64 s[6:7], s16, v164
	v_ashrrev_i32_e32 v165, 31, v164
	s_and_b64 s[12:13], s[6:7], s[10:11]
	s_and_saveexec_b64 s[8:9], s[12:13]
	s_cbranch_execz .LBB166_60
; %bb.56:
	s_and_b64 vcc, exec, s[0:1]
	s_cbranch_vccnz .LBB166_58
; %bb.57:
	v_lshl_add_u64 v[166:167], v[164:165], 3, v[170:171]
	global_load_dwordx2 v[166:167], v[166:167], off
	s_waitcnt vmcnt(0)
	v_mul_f64 v[166:167], s[14:15], v[166:167]
	v_cvt_f32_f64_e32 v166, v[166:167]
	s_branch .LBB166_59
.LBB166_58:
	v_mov_b32_e32 v166, 0
.LBB166_59:
	v_add_f64 v[174:175], v[22:23], v[158:159]
	v_add_f64 v[176:177], v[20:21], v[156:157]
	v_cvt_f32_f64_e32 v167, v[176:177]
	v_cvt_f32_f64_e32 v173, v[174:175]
	v_add_f64 v[174:175], v[14:15], v[154:155]
	v_add_f64 v[176:177], v[12:13], v[152:153]
	v_min3_f32 v167, v167, v173, v202
	v_cvt_f32_f64_e32 v173, v[176:177]
	v_cvt_f32_f64_e32 v174, v[174:175]
	v_min_f32_e32 v173, v173, v174
	v_min3_f32 v166, v166, v173, v167
	v_cvt_f64_f32_e32 v[166:167], v166
	v_lshl_add_u64 v[174:175], v[164:165], 3, v[168:169]
	global_store_dwordx2 v[174:175], v[166:167], off
.LBB166_60:
	s_or_b64 exec, exec, s[8:9]
	v_add_u32_e32 v166, 0x60, v160
	v_cmp_gt_i32_e64 s[8:9], s16, v166
	v_ashrrev_i32_e32 v167, 31, v166
	s_and_b64 s[12:13], s[8:9], s[10:11]
	s_and_saveexec_b64 s[10:11], s[12:13]
	s_cbranch_execz .LBB166_65
; %bb.61:
	s_and_b64 vcc, exec, s[0:1]
	s_cbranch_vccnz .LBB166_63
; %bb.62:
	v_lshl_add_u64 v[170:171], v[166:167], 3, v[170:171]
	global_load_dwordx2 v[170:171], v[170:171], off
	s_waitcnt vmcnt(0)
	v_mul_f64 v[170:171], s[14:15], v[170:171]
	v_cvt_f32_f64_e32 v170, v[170:171]
	s_branch .LBB166_64
.LBB166_63:
	v_mov_b32_e32 v170, 0
.LBB166_64:
	v_add_f64 v[158:159], v[6:7], v[158:159]
	v_add_f64 v[156:157], v[4:5], v[156:157]
	;; [unrolled: 1-line block ×4, first 2 shown]
	v_cvt_f32_f64_e32 v156, v[156:157]
	v_cvt_f32_f64_e32 v157, v[158:159]
	;; [unrolled: 1-line block ×4, first 2 shown]
	v_min3_f32 v156, v156, v157, v193
	v_min_f32_e32 v152, v152, v153
	v_min3_f32 v152, v170, v152, v156
	v_cvt_f64_f32_e32 v[152:153], v152
	v_lshl_add_u64 v[154:155], v[166:167], 3, v[168:169]
	global_store_dwordx2 v[154:155], v[152:153], off
.LBB166_65:
	s_or_b64 exec, exec, s[10:11]
	v_add_u32_e32 v156, 8, v172
	v_mad_i64_i32 v[152:153], s[12:13], v156, s21, 0
	v_cmp_gt_i32_e64 s[10:11], s17, v156
	v_lshl_add_u64 v[154:155], v[152:153], 3, s[24:25]
	v_mad_i64_i32 v[152:153], s[12:13], v156, s20, 0
	v_lshl_add_u64 v[152:153], v[152:153], 3, s[18:19]
	s_and_b64 s[22:23], s[2:3], s[10:11]
	s_and_saveexec_b64 s[12:13], s[22:23]
	s_cbranch_execnz .LBB166_69
; %bb.66:
	s_or_b64 exec, exec, s[12:13]
	s_and_b64 s[22:23], s[4:5], s[10:11]
	s_and_saveexec_b64 s[12:13], s[22:23]
	s_cbranch_execnz .LBB166_73
.LBB166_67:
	s_or_b64 exec, exec, s[12:13]
	s_and_b64 s[22:23], s[6:7], s[10:11]
	s_and_saveexec_b64 s[12:13], s[22:23]
	s_cbranch_execnz .LBB166_77
.LBB166_68:
	s_or_b64 exec, exec, s[12:13]
	s_and_b64 s[12:13], s[8:9], s[10:11]
	s_and_saveexec_b64 s[10:11], s[12:13]
	s_cbranch_execnz .LBB166_81
	s_branch .LBB166_85
.LBB166_69:
	s_and_b64 vcc, exec, s[0:1]
	s_cbranch_vccnz .LBB166_71
; %bb.70:
	v_lshl_add_u64 v[156:157], v[160:161], 3, v[154:155]
	global_load_dwordx2 v[156:157], v[156:157], off
	s_waitcnt vmcnt(0)
	v_mul_f64 v[156:157], s[14:15], v[156:157]
	v_cvt_f32_f64_e32 v156, v[156:157]
	s_branch .LBB166_72
.LBB166_71:
	v_mov_b32_e32 v156, 0
.LBB166_72:
	v_add_f64 v[158:159], v[38:39], v[150:151]
	v_add_f64 v[168:169], v[36:37], v[148:149]
	v_cvt_f32_f64_e32 v157, v[168:169]
	v_cvt_f32_f64_e32 v158, v[158:159]
	v_min3_f32 v157, v157, v158, v194
	v_add_f64 v[158:159], v[34:35], v[146:147]
	v_add_f64 v[168:169], v[32:33], v[144:145]
	v_cvt_f32_f64_e32 v168, v[168:169]
	v_cvt_f32_f64_e32 v158, v[158:159]
	v_min_f32_e32 v158, v168, v158
	v_min3_f32 v156, v156, v158, v157
	v_cvt_f64_f32_e32 v[156:157], v156
	v_lshl_add_u64 v[158:159], v[160:161], 3, v[152:153]
	global_store_dwordx2 v[158:159], v[156:157], off
	s_or_b64 exec, exec, s[12:13]
	s_and_b64 s[22:23], s[4:5], s[10:11]
	s_and_saveexec_b64 s[12:13], s[22:23]
	s_cbranch_execz .LBB166_67
.LBB166_73:
	s_and_b64 vcc, exec, s[0:1]
	s_cbranch_vccnz .LBB166_75
; %bb.74:
	v_lshl_add_u64 v[156:157], v[162:163], 3, v[154:155]
	global_load_dwordx2 v[156:157], v[156:157], off
	s_waitcnt vmcnt(0)
	v_mul_f64 v[156:157], s[14:15], v[156:157]
	v_cvt_f32_f64_e32 v156, v[156:157]
	s_branch .LBB166_76
.LBB166_75:
	v_mov_b32_e32 v156, 0
.LBB166_76:
	v_add_f64 v[158:159], v[26:27], v[150:151]
	v_add_f64 v[168:169], v[24:25], v[148:149]
	v_cvt_f32_f64_e32 v157, v[168:169]
	v_cvt_f32_f64_e32 v158, v[158:159]
	v_min3_f32 v157, v157, v158, v252
	v_add_f64 v[158:159], v[30:31], v[146:147]
	v_add_f64 v[168:169], v[28:29], v[144:145]
	v_cvt_f32_f64_e32 v168, v[168:169]
	v_cvt_f32_f64_e32 v158, v[158:159]
	v_min_f32_e32 v158, v168, v158
	v_min3_f32 v156, v156, v158, v157
	v_cvt_f64_f32_e32 v[156:157], v156
	v_lshl_add_u64 v[158:159], v[162:163], 3, v[152:153]
	global_store_dwordx2 v[158:159], v[156:157], off
	s_or_b64 exec, exec, s[12:13]
	s_and_b64 s[22:23], s[6:7], s[10:11]
	s_and_saveexec_b64 s[12:13], s[22:23]
	s_cbranch_execz .LBB166_68
.LBB166_77:
	s_and_b64 vcc, exec, s[0:1]
	s_cbranch_vccnz .LBB166_79
; %bb.78:
	v_lshl_add_u64 v[156:157], v[164:165], 3, v[154:155]
	global_load_dwordx2 v[156:157], v[156:157], off
	s_waitcnt vmcnt(0)
	v_mul_f64 v[156:157], s[14:15], v[156:157]
	v_cvt_f32_f64_e32 v156, v[156:157]
	s_branch .LBB166_80
.LBB166_79:
	v_mov_b32_e32 v156, 0
.LBB166_80:
	v_add_f64 v[158:159], v[22:23], v[150:151]
	v_add_f64 v[168:169], v[20:21], v[148:149]
	v_cvt_f32_f64_e32 v157, v[168:169]
	v_cvt_f32_f64_e32 v158, v[158:159]
	v_min3_f32 v157, v157, v158, v251
	v_add_f64 v[158:159], v[14:15], v[146:147]
	v_add_f64 v[168:169], v[12:13], v[144:145]
	v_cvt_f32_f64_e32 v168, v[168:169]
	v_cvt_f32_f64_e32 v158, v[158:159]
	v_min_f32_e32 v158, v168, v158
	v_min3_f32 v156, v156, v158, v157
	v_cvt_f64_f32_e32 v[156:157], v156
	v_lshl_add_u64 v[158:159], v[164:165], 3, v[152:153]
	global_store_dwordx2 v[158:159], v[156:157], off
	s_or_b64 exec, exec, s[12:13]
	s_and_b64 s[12:13], s[8:9], s[10:11]
	s_and_saveexec_b64 s[10:11], s[12:13]
	s_cbranch_execz .LBB166_85
.LBB166_81:
	s_and_b64 vcc, exec, s[0:1]
	s_cbranch_vccnz .LBB166_83
; %bb.82:
	v_lshl_add_u64 v[154:155], v[166:167], 3, v[154:155]
	global_load_dwordx2 v[154:155], v[154:155], off
	s_waitcnt vmcnt(0)
	v_mul_f64 v[154:155], s[14:15], v[154:155]
	v_cvt_f32_f64_e32 v154, v[154:155]
	s_branch .LBB166_84
.LBB166_83:
	v_mov_b32_e32 v154, 0
.LBB166_84:
	v_add_f64 v[150:151], v[6:7], v[150:151]
	v_add_f64 v[148:149], v[4:5], v[148:149]
	;; [unrolled: 1-line block ×4, first 2 shown]
	v_cvt_f32_f64_e32 v148, v[148:149]
	v_cvt_f32_f64_e32 v149, v[150:151]
	;; [unrolled: 1-line block ×4, first 2 shown]
	v_min3_f32 v148, v148, v149, v250
	v_min_f32_e32 v144, v144, v145
	v_min3_f32 v144, v154, v144, v148
	v_cvt_f64_f32_e32 v[144:145], v144
	v_lshl_add_u64 v[146:147], v[166:167], 3, v[152:153]
	global_store_dwordx2 v[146:147], v[144:145], off
.LBB166_85:
	s_or_b64 exec, exec, s[10:11]
	v_add_u32_e32 v148, 16, v172
	v_mad_i64_i32 v[144:145], s[12:13], v148, s21, 0
	v_cmp_gt_i32_e64 s[10:11], s17, v148
	v_lshl_add_u64 v[146:147], v[144:145], 3, s[24:25]
	v_mad_i64_i32 v[144:145], s[12:13], v148, s20, 0
	v_lshl_add_u64 v[144:145], v[144:145], 3, s[18:19]
	s_and_b64 s[22:23], s[2:3], s[10:11]
	s_and_saveexec_b64 s[12:13], s[22:23]
	s_cbranch_execnz .LBB166_89
; %bb.86:
	s_or_b64 exec, exec, s[12:13]
	s_and_b64 s[22:23], s[4:5], s[10:11]
	s_and_saveexec_b64 s[12:13], s[22:23]
	s_cbranch_execnz .LBB166_93
.LBB166_87:
	s_or_b64 exec, exec, s[12:13]
	s_and_b64 s[22:23], s[6:7], s[10:11]
	s_and_saveexec_b64 s[12:13], s[22:23]
	s_cbranch_execnz .LBB166_97
.LBB166_88:
	s_or_b64 exec, exec, s[12:13]
	s_and_b64 s[12:13], s[8:9], s[10:11]
	s_and_saveexec_b64 s[10:11], s[12:13]
	s_cbranch_execnz .LBB166_101
	s_branch .LBB166_105
.LBB166_89:
	s_and_b64 vcc, exec, s[0:1]
	s_cbranch_vccnz .LBB166_91
; %bb.90:
	v_lshl_add_u64 v[148:149], v[160:161], 3, v[146:147]
	global_load_dwordx2 v[148:149], v[148:149], off
	s_waitcnt vmcnt(0)
	v_mul_f64 v[148:149], s[14:15], v[148:149]
	v_cvt_f32_f64_e32 v148, v[148:149]
	s_branch .LBB166_92
.LBB166_91:
	v_mov_b32_e32 v148, 0
.LBB166_92:
	v_add_f64 v[150:151], v[38:39], v[142:143]
	v_add_f64 v[152:153], v[36:37], v[140:141]
	v_cvt_f32_f64_e32 v149, v[152:153]
	v_cvt_f32_f64_e32 v150, v[150:151]
	v_min3_f32 v149, v149, v150, v249
	v_add_f64 v[150:151], v[34:35], v[138:139]
	v_add_f64 v[152:153], v[32:33], v[136:137]
	v_cvt_f32_f64_e32 v152, v[152:153]
	v_cvt_f32_f64_e32 v150, v[150:151]
	v_min_f32_e32 v150, v152, v150
	v_min3_f32 v148, v148, v150, v149
	v_cvt_f64_f32_e32 v[148:149], v148
	v_lshl_add_u64 v[150:151], v[160:161], 3, v[144:145]
	global_store_dwordx2 v[150:151], v[148:149], off
	s_or_b64 exec, exec, s[12:13]
	s_and_b64 s[22:23], s[4:5], s[10:11]
	s_and_saveexec_b64 s[12:13], s[22:23]
	s_cbranch_execz .LBB166_87
.LBB166_93:
	s_and_b64 vcc, exec, s[0:1]
	s_cbranch_vccnz .LBB166_95
; %bb.94:
	v_lshl_add_u64 v[148:149], v[162:163], 3, v[146:147]
	global_load_dwordx2 v[148:149], v[148:149], off
	s_waitcnt vmcnt(0)
	v_mul_f64 v[148:149], s[14:15], v[148:149]
	v_cvt_f32_f64_e32 v148, v[148:149]
	s_branch .LBB166_96
.LBB166_95:
	v_mov_b32_e32 v148, 0
.LBB166_96:
	v_add_f64 v[150:151], v[26:27], v[142:143]
	v_add_f64 v[152:153], v[24:25], v[140:141]
	v_cvt_f32_f64_e32 v149, v[152:153]
	v_cvt_f32_f64_e32 v150, v[150:151]
	v_min3_f32 v149, v149, v150, v248
	v_add_f64 v[150:151], v[30:31], v[138:139]
	v_add_f64 v[152:153], v[28:29], v[136:137]
	v_cvt_f32_f64_e32 v152, v[152:153]
	v_cvt_f32_f64_e32 v150, v[150:151]
	v_min_f32_e32 v150, v152, v150
	v_min3_f32 v148, v148, v150, v149
	v_cvt_f64_f32_e32 v[148:149], v148
	v_lshl_add_u64 v[150:151], v[162:163], 3, v[144:145]
	global_store_dwordx2 v[150:151], v[148:149], off
	s_or_b64 exec, exec, s[12:13]
	s_and_b64 s[22:23], s[6:7], s[10:11]
	s_and_saveexec_b64 s[12:13], s[22:23]
	s_cbranch_execz .LBB166_88
.LBB166_97:
	s_and_b64 vcc, exec, s[0:1]
	s_cbranch_vccnz .LBB166_99
; %bb.98:
	v_lshl_add_u64 v[148:149], v[164:165], 3, v[146:147]
	global_load_dwordx2 v[148:149], v[148:149], off
	s_waitcnt vmcnt(0)
	v_mul_f64 v[148:149], s[14:15], v[148:149]
	v_cvt_f32_f64_e32 v148, v[148:149]
	s_branch .LBB166_100
.LBB166_99:
	v_mov_b32_e32 v148, 0
.LBB166_100:
	v_add_f64 v[150:151], v[22:23], v[142:143]
	v_add_f64 v[152:153], v[20:21], v[140:141]
	v_cvt_f32_f64_e32 v149, v[152:153]
	v_cvt_f32_f64_e32 v150, v[150:151]
	v_min3_f32 v149, v149, v150, v247
	v_add_f64 v[150:151], v[14:15], v[138:139]
	v_add_f64 v[152:153], v[12:13], v[136:137]
	v_cvt_f32_f64_e32 v152, v[152:153]
	v_cvt_f32_f64_e32 v150, v[150:151]
	v_min_f32_e32 v150, v152, v150
	v_min3_f32 v148, v148, v150, v149
	v_cvt_f64_f32_e32 v[148:149], v148
	v_lshl_add_u64 v[150:151], v[164:165], 3, v[144:145]
	global_store_dwordx2 v[150:151], v[148:149], off
	s_or_b64 exec, exec, s[12:13]
	s_and_b64 s[12:13], s[8:9], s[10:11]
	s_and_saveexec_b64 s[10:11], s[12:13]
	s_cbranch_execz .LBB166_105
.LBB166_101:
	s_and_b64 vcc, exec, s[0:1]
	s_cbranch_vccnz .LBB166_103
; %bb.102:
	v_lshl_add_u64 v[146:147], v[166:167], 3, v[146:147]
	global_load_dwordx2 v[146:147], v[146:147], off
	s_waitcnt vmcnt(0)
	v_mul_f64 v[146:147], s[14:15], v[146:147]
	v_cvt_f32_f64_e32 v146, v[146:147]
	s_branch .LBB166_104
.LBB166_103:
	v_mov_b32_e32 v146, 0
.LBB166_104:
	v_add_f64 v[142:143], v[6:7], v[142:143]
	v_add_f64 v[140:141], v[4:5], v[140:141]
	v_add_f64 v[138:139], v[2:3], v[138:139]
	v_add_f64 v[136:137], v[0:1], v[136:137]
	v_cvt_f32_f64_e32 v140, v[140:141]
	v_cvt_f32_f64_e32 v141, v[142:143]
	;; [unrolled: 1-line block ×4, first 2 shown]
	v_min3_f32 v140, v140, v141, v246
	v_min_f32_e32 v136, v136, v137
	v_min3_f32 v136, v146, v136, v140
	v_cvt_f64_f32_e32 v[136:137], v136
	v_lshl_add_u64 v[138:139], v[166:167], 3, v[144:145]
	global_store_dwordx2 v[138:139], v[136:137], off
.LBB166_105:
	s_or_b64 exec, exec, s[10:11]
	v_add_u32_e32 v140, 24, v172
	v_mad_i64_i32 v[136:137], s[12:13], v140, s21, 0
	v_cmp_gt_i32_e64 s[10:11], s17, v140
	v_lshl_add_u64 v[138:139], v[136:137], 3, s[24:25]
	v_mad_i64_i32 v[136:137], s[12:13], v140, s20, 0
	v_lshl_add_u64 v[136:137], v[136:137], 3, s[18:19]
	s_and_b64 s[22:23], s[2:3], s[10:11]
	s_and_saveexec_b64 s[12:13], s[22:23]
	s_cbranch_execnz .LBB166_109
; %bb.106:
	s_or_b64 exec, exec, s[12:13]
	s_and_b64 s[22:23], s[4:5], s[10:11]
	s_and_saveexec_b64 s[12:13], s[22:23]
	s_cbranch_execnz .LBB166_113
.LBB166_107:
	s_or_b64 exec, exec, s[12:13]
	s_and_b64 s[22:23], s[6:7], s[10:11]
	s_and_saveexec_b64 s[12:13], s[22:23]
	s_cbranch_execnz .LBB166_117
.LBB166_108:
	s_or_b64 exec, exec, s[12:13]
	s_and_b64 s[12:13], s[8:9], s[10:11]
	s_and_saveexec_b64 s[10:11], s[12:13]
	s_cbranch_execnz .LBB166_121
	s_branch .LBB166_125
.LBB166_109:
	s_and_b64 vcc, exec, s[0:1]
	s_cbranch_vccnz .LBB166_111
; %bb.110:
	v_lshl_add_u64 v[140:141], v[160:161], 3, v[138:139]
	global_load_dwordx2 v[140:141], v[140:141], off
	s_waitcnt vmcnt(0)
	v_mul_f64 v[140:141], s[14:15], v[140:141]
	v_cvt_f32_f64_e32 v140, v[140:141]
	s_branch .LBB166_112
.LBB166_111:
	v_mov_b32_e32 v140, 0
.LBB166_112:
	v_add_f64 v[142:143], v[38:39], v[134:135]
	v_add_f64 v[144:145], v[36:37], v[132:133]
	v_cvt_f32_f64_e32 v141, v[144:145]
	v_cvt_f32_f64_e32 v142, v[142:143]
	v_min3_f32 v141, v141, v142, v245
	v_add_f64 v[142:143], v[34:35], v[130:131]
	v_add_f64 v[144:145], v[32:33], v[128:129]
	v_cvt_f32_f64_e32 v144, v[144:145]
	v_cvt_f32_f64_e32 v142, v[142:143]
	v_min_f32_e32 v142, v144, v142
	v_min3_f32 v140, v140, v142, v141
	v_cvt_f64_f32_e32 v[140:141], v140
	v_lshl_add_u64 v[142:143], v[160:161], 3, v[136:137]
	global_store_dwordx2 v[142:143], v[140:141], off
	s_or_b64 exec, exec, s[12:13]
	s_and_b64 s[22:23], s[4:5], s[10:11]
	s_and_saveexec_b64 s[12:13], s[22:23]
	s_cbranch_execz .LBB166_107
.LBB166_113:
	s_and_b64 vcc, exec, s[0:1]
	s_cbranch_vccnz .LBB166_115
; %bb.114:
	v_lshl_add_u64 v[140:141], v[162:163], 3, v[138:139]
	global_load_dwordx2 v[140:141], v[140:141], off
	s_waitcnt vmcnt(0)
	v_mul_f64 v[140:141], s[14:15], v[140:141]
	v_cvt_f32_f64_e32 v140, v[140:141]
	s_branch .LBB166_116
.LBB166_115:
	v_mov_b32_e32 v140, 0
.LBB166_116:
	v_add_f64 v[142:143], v[26:27], v[134:135]
	v_add_f64 v[144:145], v[24:25], v[132:133]
	v_cvt_f32_f64_e32 v141, v[144:145]
	v_cvt_f32_f64_e32 v142, v[142:143]
	v_min3_f32 v141, v141, v142, v244
	v_add_f64 v[142:143], v[30:31], v[130:131]
	v_add_f64 v[144:145], v[28:29], v[128:129]
	v_cvt_f32_f64_e32 v144, v[144:145]
	v_cvt_f32_f64_e32 v142, v[142:143]
	v_min_f32_e32 v142, v144, v142
	v_min3_f32 v140, v140, v142, v141
	v_cvt_f64_f32_e32 v[140:141], v140
	v_lshl_add_u64 v[142:143], v[162:163], 3, v[136:137]
	global_store_dwordx2 v[142:143], v[140:141], off
	s_or_b64 exec, exec, s[12:13]
	s_and_b64 s[22:23], s[6:7], s[10:11]
	s_and_saveexec_b64 s[12:13], s[22:23]
	s_cbranch_execz .LBB166_108
.LBB166_117:
	s_and_b64 vcc, exec, s[0:1]
	s_cbranch_vccnz .LBB166_119
; %bb.118:
	v_lshl_add_u64 v[140:141], v[164:165], 3, v[138:139]
	global_load_dwordx2 v[140:141], v[140:141], off
	s_waitcnt vmcnt(0)
	v_mul_f64 v[140:141], s[14:15], v[140:141]
	v_cvt_f32_f64_e32 v140, v[140:141]
	s_branch .LBB166_120
.LBB166_119:
	v_mov_b32_e32 v140, 0
.LBB166_120:
	v_add_f64 v[142:143], v[22:23], v[134:135]
	v_add_f64 v[144:145], v[20:21], v[132:133]
	v_cvt_f32_f64_e32 v141, v[144:145]
	v_cvt_f32_f64_e32 v142, v[142:143]
	v_min3_f32 v141, v141, v142, v243
	v_add_f64 v[142:143], v[14:15], v[130:131]
	v_add_f64 v[144:145], v[12:13], v[128:129]
	v_cvt_f32_f64_e32 v144, v[144:145]
	v_cvt_f32_f64_e32 v142, v[142:143]
	v_min_f32_e32 v142, v144, v142
	v_min3_f32 v140, v140, v142, v141
	v_cvt_f64_f32_e32 v[140:141], v140
	v_lshl_add_u64 v[142:143], v[164:165], 3, v[136:137]
	global_store_dwordx2 v[142:143], v[140:141], off
	s_or_b64 exec, exec, s[12:13]
	s_and_b64 s[12:13], s[8:9], s[10:11]
	s_and_saveexec_b64 s[10:11], s[12:13]
	s_cbranch_execz .LBB166_125
.LBB166_121:
	s_and_b64 vcc, exec, s[0:1]
	s_cbranch_vccnz .LBB166_123
; %bb.122:
	v_lshl_add_u64 v[138:139], v[166:167], 3, v[138:139]
	global_load_dwordx2 v[138:139], v[138:139], off
	s_waitcnt vmcnt(0)
	v_mul_f64 v[138:139], s[14:15], v[138:139]
	v_cvt_f32_f64_e32 v138, v[138:139]
	s_branch .LBB166_124
.LBB166_123:
	v_mov_b32_e32 v138, 0
.LBB166_124:
	v_add_f64 v[134:135], v[6:7], v[134:135]
	v_add_f64 v[132:133], v[4:5], v[132:133]
	;; [unrolled: 1-line block ×4, first 2 shown]
	v_cvt_f32_f64_e32 v132, v[132:133]
	v_cvt_f32_f64_e32 v133, v[134:135]
	;; [unrolled: 1-line block ×4, first 2 shown]
	v_min3_f32 v132, v132, v133, v242
	v_min_f32_e32 v128, v128, v129
	v_min3_f32 v128, v138, v128, v132
	v_cvt_f64_f32_e32 v[128:129], v128
	v_lshl_add_u64 v[130:131], v[166:167], 3, v[136:137]
	global_store_dwordx2 v[130:131], v[128:129], off
.LBB166_125:
	s_or_b64 exec, exec, s[10:11]
	v_add_u32_e32 v132, 32, v172
	v_mad_i64_i32 v[128:129], s[12:13], v132, s21, 0
	v_cmp_gt_i32_e64 s[10:11], s17, v132
	v_lshl_add_u64 v[130:131], v[128:129], 3, s[24:25]
	v_mad_i64_i32 v[128:129], s[12:13], v132, s20, 0
	v_lshl_add_u64 v[128:129], v[128:129], 3, s[18:19]
	s_and_b64 s[22:23], s[2:3], s[10:11]
	s_and_saveexec_b64 s[12:13], s[22:23]
	s_cbranch_execnz .LBB166_129
; %bb.126:
	s_or_b64 exec, exec, s[12:13]
	s_and_b64 s[22:23], s[4:5], s[10:11]
	s_and_saveexec_b64 s[12:13], s[22:23]
	s_cbranch_execnz .LBB166_133
.LBB166_127:
	s_or_b64 exec, exec, s[12:13]
	s_and_b64 s[22:23], s[6:7], s[10:11]
	s_and_saveexec_b64 s[12:13], s[22:23]
	s_cbranch_execnz .LBB166_137
.LBB166_128:
	s_or_b64 exec, exec, s[12:13]
	s_and_b64 s[12:13], s[8:9], s[10:11]
	s_and_saveexec_b64 s[10:11], s[12:13]
	s_cbranch_execnz .LBB166_141
	s_branch .LBB166_145
.LBB166_129:
	s_and_b64 vcc, exec, s[0:1]
	s_cbranch_vccnz .LBB166_131
; %bb.130:
	v_lshl_add_u64 v[132:133], v[160:161], 3, v[130:131]
	global_load_dwordx2 v[132:133], v[132:133], off
	s_waitcnt vmcnt(0)
	v_mul_f64 v[132:133], s[14:15], v[132:133]
	v_cvt_f32_f64_e32 v132, v[132:133]
	s_branch .LBB166_132
.LBB166_131:
	v_mov_b32_e32 v132, 0
.LBB166_132:
	v_add_f64 v[134:135], v[38:39], v[126:127]
	v_add_f64 v[136:137], v[36:37], v[124:125]
	v_cvt_f32_f64_e32 v133, v[136:137]
	v_cvt_f32_f64_e32 v134, v[134:135]
	v_min3_f32 v133, v133, v134, v241
	v_add_f64 v[134:135], v[34:35], v[122:123]
	v_add_f64 v[136:137], v[32:33], v[120:121]
	v_cvt_f32_f64_e32 v136, v[136:137]
	v_cvt_f32_f64_e32 v134, v[134:135]
	v_min_f32_e32 v134, v136, v134
	v_min3_f32 v132, v132, v134, v133
	v_cvt_f64_f32_e32 v[132:133], v132
	v_lshl_add_u64 v[134:135], v[160:161], 3, v[128:129]
	global_store_dwordx2 v[134:135], v[132:133], off
	s_or_b64 exec, exec, s[12:13]
	s_and_b64 s[22:23], s[4:5], s[10:11]
	s_and_saveexec_b64 s[12:13], s[22:23]
	s_cbranch_execz .LBB166_127
.LBB166_133:
	s_and_b64 vcc, exec, s[0:1]
	s_cbranch_vccnz .LBB166_135
; %bb.134:
	v_lshl_add_u64 v[132:133], v[162:163], 3, v[130:131]
	global_load_dwordx2 v[132:133], v[132:133], off
	s_waitcnt vmcnt(0)
	v_mul_f64 v[132:133], s[14:15], v[132:133]
	v_cvt_f32_f64_e32 v132, v[132:133]
	s_branch .LBB166_136
.LBB166_135:
	v_mov_b32_e32 v132, 0
.LBB166_136:
	v_add_f64 v[134:135], v[26:27], v[126:127]
	v_add_f64 v[136:137], v[24:25], v[124:125]
	v_cvt_f32_f64_e32 v133, v[136:137]
	v_cvt_f32_f64_e32 v134, v[134:135]
	v_min3_f32 v133, v133, v134, v240
	v_add_f64 v[134:135], v[30:31], v[122:123]
	v_add_f64 v[136:137], v[28:29], v[120:121]
	v_cvt_f32_f64_e32 v136, v[136:137]
	v_cvt_f32_f64_e32 v134, v[134:135]
	v_min_f32_e32 v134, v136, v134
	v_min3_f32 v132, v132, v134, v133
	v_cvt_f64_f32_e32 v[132:133], v132
	v_lshl_add_u64 v[134:135], v[162:163], 3, v[128:129]
	global_store_dwordx2 v[134:135], v[132:133], off
	s_or_b64 exec, exec, s[12:13]
	s_and_b64 s[22:23], s[6:7], s[10:11]
	s_and_saveexec_b64 s[12:13], s[22:23]
	s_cbranch_execz .LBB166_128
.LBB166_137:
	s_and_b64 vcc, exec, s[0:1]
	s_cbranch_vccnz .LBB166_139
; %bb.138:
	v_lshl_add_u64 v[132:133], v[164:165], 3, v[130:131]
	global_load_dwordx2 v[132:133], v[132:133], off
	s_waitcnt vmcnt(0)
	v_mul_f64 v[132:133], s[14:15], v[132:133]
	v_cvt_f32_f64_e32 v132, v[132:133]
	s_branch .LBB166_140
.LBB166_139:
	v_mov_b32_e32 v132, 0
.LBB166_140:
	v_add_f64 v[134:135], v[22:23], v[126:127]
	v_add_f64 v[136:137], v[20:21], v[124:125]
	v_cvt_f32_f64_e32 v133, v[136:137]
	v_cvt_f32_f64_e32 v134, v[134:135]
	v_min3_f32 v133, v133, v134, v239
	v_add_f64 v[134:135], v[14:15], v[122:123]
	v_add_f64 v[136:137], v[12:13], v[120:121]
	v_cvt_f32_f64_e32 v136, v[136:137]
	v_cvt_f32_f64_e32 v134, v[134:135]
	v_min_f32_e32 v134, v136, v134
	v_min3_f32 v132, v132, v134, v133
	v_cvt_f64_f32_e32 v[132:133], v132
	v_lshl_add_u64 v[134:135], v[164:165], 3, v[128:129]
	global_store_dwordx2 v[134:135], v[132:133], off
	s_or_b64 exec, exec, s[12:13]
	s_and_b64 s[12:13], s[8:9], s[10:11]
	s_and_saveexec_b64 s[10:11], s[12:13]
	s_cbranch_execz .LBB166_145
.LBB166_141:
	s_and_b64 vcc, exec, s[0:1]
	s_cbranch_vccnz .LBB166_143
; %bb.142:
	v_lshl_add_u64 v[130:131], v[166:167], 3, v[130:131]
	global_load_dwordx2 v[130:131], v[130:131], off
	s_waitcnt vmcnt(0)
	v_mul_f64 v[130:131], s[14:15], v[130:131]
	v_cvt_f32_f64_e32 v130, v[130:131]
	s_branch .LBB166_144
.LBB166_143:
	v_mov_b32_e32 v130, 0
.LBB166_144:
	v_add_f64 v[126:127], v[6:7], v[126:127]
	v_add_f64 v[124:125], v[4:5], v[124:125]
	;; [unrolled: 1-line block ×4, first 2 shown]
	v_cvt_f32_f64_e32 v124, v[124:125]
	v_cvt_f32_f64_e32 v125, v[126:127]
	;; [unrolled: 1-line block ×4, first 2 shown]
	v_min3_f32 v124, v124, v125, v238
	v_min_f32_e32 v120, v120, v121
	v_min3_f32 v120, v130, v120, v124
	v_cvt_f64_f32_e32 v[120:121], v120
	v_lshl_add_u64 v[122:123], v[166:167], 3, v[128:129]
	global_store_dwordx2 v[122:123], v[120:121], off
.LBB166_145:
	s_or_b64 exec, exec, s[10:11]
	v_add_u32_e32 v124, 40, v172
	v_mad_i64_i32 v[120:121], s[12:13], v124, s21, 0
	v_cmp_gt_i32_e64 s[10:11], s17, v124
	v_lshl_add_u64 v[122:123], v[120:121], 3, s[24:25]
	v_mad_i64_i32 v[120:121], s[12:13], v124, s20, 0
	v_lshl_add_u64 v[120:121], v[120:121], 3, s[18:19]
	s_and_b64 s[22:23], s[2:3], s[10:11]
	s_and_saveexec_b64 s[12:13], s[22:23]
	s_cbranch_execnz .LBB166_149
; %bb.146:
	s_or_b64 exec, exec, s[12:13]
	s_and_b64 s[22:23], s[4:5], s[10:11]
	s_and_saveexec_b64 s[12:13], s[22:23]
	s_cbranch_execnz .LBB166_153
.LBB166_147:
	s_or_b64 exec, exec, s[12:13]
	s_and_b64 s[22:23], s[6:7], s[10:11]
	s_and_saveexec_b64 s[12:13], s[22:23]
	s_cbranch_execnz .LBB166_157
.LBB166_148:
	s_or_b64 exec, exec, s[12:13]
	s_and_b64 s[12:13], s[8:9], s[10:11]
	s_and_saveexec_b64 s[10:11], s[12:13]
	s_cbranch_execnz .LBB166_161
	s_branch .LBB166_165
.LBB166_149:
	s_and_b64 vcc, exec, s[0:1]
	s_cbranch_vccnz .LBB166_151
; %bb.150:
	v_lshl_add_u64 v[124:125], v[160:161], 3, v[122:123]
	global_load_dwordx2 v[124:125], v[124:125], off
	s_waitcnt vmcnt(0)
	v_mul_f64 v[124:125], s[14:15], v[124:125]
	v_cvt_f32_f64_e32 v124, v[124:125]
	s_branch .LBB166_152
.LBB166_151:
	v_mov_b32_e32 v124, 0
.LBB166_152:
	v_add_f64 v[126:127], v[38:39], v[118:119]
	v_add_f64 v[128:129], v[36:37], v[116:117]
	v_cvt_f32_f64_e32 v125, v[128:129]
	v_cvt_f32_f64_e32 v126, v[126:127]
	v_min3_f32 v125, v125, v126, v237
	v_add_f64 v[126:127], v[34:35], v[114:115]
	v_add_f64 v[128:129], v[32:33], v[112:113]
	v_cvt_f32_f64_e32 v128, v[128:129]
	v_cvt_f32_f64_e32 v126, v[126:127]
	v_min_f32_e32 v126, v128, v126
	v_min3_f32 v124, v124, v126, v125
	v_cvt_f64_f32_e32 v[124:125], v124
	v_lshl_add_u64 v[126:127], v[160:161], 3, v[120:121]
	global_store_dwordx2 v[126:127], v[124:125], off
	s_or_b64 exec, exec, s[12:13]
	s_and_b64 s[22:23], s[4:5], s[10:11]
	s_and_saveexec_b64 s[12:13], s[22:23]
	s_cbranch_execz .LBB166_147
.LBB166_153:
	s_and_b64 vcc, exec, s[0:1]
	s_cbranch_vccnz .LBB166_155
; %bb.154:
	v_lshl_add_u64 v[124:125], v[162:163], 3, v[122:123]
	global_load_dwordx2 v[124:125], v[124:125], off
	s_waitcnt vmcnt(0)
	v_mul_f64 v[124:125], s[14:15], v[124:125]
	v_cvt_f32_f64_e32 v124, v[124:125]
	s_branch .LBB166_156
.LBB166_155:
	v_mov_b32_e32 v124, 0
.LBB166_156:
	v_add_f64 v[126:127], v[26:27], v[118:119]
	v_add_f64 v[128:129], v[24:25], v[116:117]
	v_cvt_f32_f64_e32 v125, v[128:129]
	v_cvt_f32_f64_e32 v126, v[126:127]
	v_min3_f32 v125, v125, v126, v236
	v_add_f64 v[126:127], v[30:31], v[114:115]
	v_add_f64 v[128:129], v[28:29], v[112:113]
	v_cvt_f32_f64_e32 v128, v[128:129]
	v_cvt_f32_f64_e32 v126, v[126:127]
	v_min_f32_e32 v126, v128, v126
	v_min3_f32 v124, v124, v126, v125
	v_cvt_f64_f32_e32 v[124:125], v124
	v_lshl_add_u64 v[126:127], v[162:163], 3, v[120:121]
	global_store_dwordx2 v[126:127], v[124:125], off
	s_or_b64 exec, exec, s[12:13]
	s_and_b64 s[22:23], s[6:7], s[10:11]
	s_and_saveexec_b64 s[12:13], s[22:23]
	s_cbranch_execz .LBB166_148
.LBB166_157:
	s_and_b64 vcc, exec, s[0:1]
	s_cbranch_vccnz .LBB166_159
; %bb.158:
	v_lshl_add_u64 v[124:125], v[164:165], 3, v[122:123]
	global_load_dwordx2 v[124:125], v[124:125], off
	s_waitcnt vmcnt(0)
	v_mul_f64 v[124:125], s[14:15], v[124:125]
	v_cvt_f32_f64_e32 v124, v[124:125]
	s_branch .LBB166_160
.LBB166_159:
	v_mov_b32_e32 v124, 0
.LBB166_160:
	v_add_f64 v[126:127], v[22:23], v[118:119]
	v_add_f64 v[128:129], v[20:21], v[116:117]
	v_cvt_f32_f64_e32 v125, v[128:129]
	v_cvt_f32_f64_e32 v126, v[126:127]
	v_min3_f32 v125, v125, v126, v235
	v_add_f64 v[126:127], v[14:15], v[114:115]
	v_add_f64 v[128:129], v[12:13], v[112:113]
	v_cvt_f32_f64_e32 v128, v[128:129]
	v_cvt_f32_f64_e32 v126, v[126:127]
	v_min_f32_e32 v126, v128, v126
	v_min3_f32 v124, v124, v126, v125
	v_cvt_f64_f32_e32 v[124:125], v124
	v_lshl_add_u64 v[126:127], v[164:165], 3, v[120:121]
	global_store_dwordx2 v[126:127], v[124:125], off
	s_or_b64 exec, exec, s[12:13]
	s_and_b64 s[12:13], s[8:9], s[10:11]
	s_and_saveexec_b64 s[10:11], s[12:13]
	s_cbranch_execz .LBB166_165
.LBB166_161:
	s_and_b64 vcc, exec, s[0:1]
	s_cbranch_vccnz .LBB166_163
; %bb.162:
	v_lshl_add_u64 v[122:123], v[166:167], 3, v[122:123]
	global_load_dwordx2 v[122:123], v[122:123], off
	s_waitcnt vmcnt(0)
	v_mul_f64 v[122:123], s[14:15], v[122:123]
	v_cvt_f32_f64_e32 v122, v[122:123]
	s_branch .LBB166_164
.LBB166_163:
	v_mov_b32_e32 v122, 0
.LBB166_164:
	v_add_f64 v[118:119], v[6:7], v[118:119]
	v_add_f64 v[116:117], v[4:5], v[116:117]
	;; [unrolled: 1-line block ×4, first 2 shown]
	v_cvt_f32_f64_e32 v116, v[116:117]
	v_cvt_f32_f64_e32 v117, v[118:119]
	v_cvt_f32_f64_e32 v112, v[112:113]
	v_cvt_f32_f64_e32 v113, v[114:115]
	v_min3_f32 v116, v116, v117, v234
	v_min_f32_e32 v112, v112, v113
	v_min3_f32 v112, v122, v112, v116
	v_cvt_f64_f32_e32 v[112:113], v112
	v_lshl_add_u64 v[114:115], v[166:167], 3, v[120:121]
	global_store_dwordx2 v[114:115], v[112:113], off
.LBB166_165:
	s_or_b64 exec, exec, s[10:11]
	v_add_u32_e32 v116, 48, v172
	v_mad_i64_i32 v[112:113], s[12:13], v116, s21, 0
	v_cmp_gt_i32_e64 s[10:11], s17, v116
	v_lshl_add_u64 v[114:115], v[112:113], 3, s[24:25]
	v_mad_i64_i32 v[112:113], s[12:13], v116, s20, 0
	v_lshl_add_u64 v[112:113], v[112:113], 3, s[18:19]
	s_and_b64 s[22:23], s[2:3], s[10:11]
	s_and_saveexec_b64 s[12:13], s[22:23]
	s_cbranch_execnz .LBB166_169
; %bb.166:
	s_or_b64 exec, exec, s[12:13]
	s_and_b64 s[22:23], s[4:5], s[10:11]
	s_and_saveexec_b64 s[12:13], s[22:23]
	s_cbranch_execnz .LBB166_173
.LBB166_167:
	s_or_b64 exec, exec, s[12:13]
	s_and_b64 s[22:23], s[6:7], s[10:11]
	s_and_saveexec_b64 s[12:13], s[22:23]
	s_cbranch_execnz .LBB166_177
.LBB166_168:
	s_or_b64 exec, exec, s[12:13]
	s_and_b64 s[12:13], s[8:9], s[10:11]
	s_and_saveexec_b64 s[10:11], s[12:13]
	s_cbranch_execnz .LBB166_181
	s_branch .LBB166_185
.LBB166_169:
	s_and_b64 vcc, exec, s[0:1]
	s_cbranch_vccnz .LBB166_171
; %bb.170:
	v_lshl_add_u64 v[116:117], v[160:161], 3, v[114:115]
	global_load_dwordx2 v[116:117], v[116:117], off
	s_waitcnt vmcnt(0)
	v_mul_f64 v[116:117], s[14:15], v[116:117]
	v_cvt_f32_f64_e32 v116, v[116:117]
	s_branch .LBB166_172
.LBB166_171:
	v_mov_b32_e32 v116, 0
.LBB166_172:
	v_add_f64 v[118:119], v[38:39], v[110:111]
	v_add_f64 v[120:121], v[36:37], v[108:109]
	v_cvt_f32_f64_e32 v117, v[120:121]
	v_cvt_f32_f64_e32 v118, v[118:119]
	v_min3_f32 v117, v117, v118, v233
	v_add_f64 v[118:119], v[34:35], v[106:107]
	v_add_f64 v[120:121], v[32:33], v[104:105]
	v_cvt_f32_f64_e32 v120, v[120:121]
	v_cvt_f32_f64_e32 v118, v[118:119]
	v_min_f32_e32 v118, v120, v118
	v_min3_f32 v116, v116, v118, v117
	v_cvt_f64_f32_e32 v[116:117], v116
	v_lshl_add_u64 v[118:119], v[160:161], 3, v[112:113]
	global_store_dwordx2 v[118:119], v[116:117], off
	s_or_b64 exec, exec, s[12:13]
	s_and_b64 s[22:23], s[4:5], s[10:11]
	s_and_saveexec_b64 s[12:13], s[22:23]
	s_cbranch_execz .LBB166_167
.LBB166_173:
	s_and_b64 vcc, exec, s[0:1]
	s_cbranch_vccnz .LBB166_175
; %bb.174:
	v_lshl_add_u64 v[116:117], v[162:163], 3, v[114:115]
	global_load_dwordx2 v[116:117], v[116:117], off
	s_waitcnt vmcnt(0)
	v_mul_f64 v[116:117], s[14:15], v[116:117]
	v_cvt_f32_f64_e32 v116, v[116:117]
	s_branch .LBB166_176
.LBB166_175:
	v_mov_b32_e32 v116, 0
.LBB166_176:
	v_add_f64 v[118:119], v[26:27], v[110:111]
	v_add_f64 v[120:121], v[24:25], v[108:109]
	v_cvt_f32_f64_e32 v117, v[120:121]
	v_cvt_f32_f64_e32 v118, v[118:119]
	v_min3_f32 v117, v117, v118, v232
	v_add_f64 v[118:119], v[30:31], v[106:107]
	v_add_f64 v[120:121], v[28:29], v[104:105]
	v_cvt_f32_f64_e32 v120, v[120:121]
	v_cvt_f32_f64_e32 v118, v[118:119]
	v_min_f32_e32 v118, v120, v118
	v_min3_f32 v116, v116, v118, v117
	v_cvt_f64_f32_e32 v[116:117], v116
	v_lshl_add_u64 v[118:119], v[162:163], 3, v[112:113]
	global_store_dwordx2 v[118:119], v[116:117], off
	s_or_b64 exec, exec, s[12:13]
	s_and_b64 s[22:23], s[6:7], s[10:11]
	s_and_saveexec_b64 s[12:13], s[22:23]
	s_cbranch_execz .LBB166_168
.LBB166_177:
	s_and_b64 vcc, exec, s[0:1]
	s_cbranch_vccnz .LBB166_179
; %bb.178:
	v_lshl_add_u64 v[116:117], v[164:165], 3, v[114:115]
	global_load_dwordx2 v[116:117], v[116:117], off
	s_waitcnt vmcnt(0)
	v_mul_f64 v[116:117], s[14:15], v[116:117]
	v_cvt_f32_f64_e32 v116, v[116:117]
	s_branch .LBB166_180
.LBB166_179:
	v_mov_b32_e32 v116, 0
.LBB166_180:
	v_add_f64 v[118:119], v[22:23], v[110:111]
	v_add_f64 v[120:121], v[20:21], v[108:109]
	v_cvt_f32_f64_e32 v117, v[120:121]
	v_cvt_f32_f64_e32 v118, v[118:119]
	v_min3_f32 v117, v117, v118, v231
	v_add_f64 v[118:119], v[14:15], v[106:107]
	v_add_f64 v[120:121], v[12:13], v[104:105]
	v_cvt_f32_f64_e32 v120, v[120:121]
	v_cvt_f32_f64_e32 v118, v[118:119]
	v_min_f32_e32 v118, v120, v118
	v_min3_f32 v116, v116, v118, v117
	v_cvt_f64_f32_e32 v[116:117], v116
	v_lshl_add_u64 v[118:119], v[164:165], 3, v[112:113]
	global_store_dwordx2 v[118:119], v[116:117], off
	s_or_b64 exec, exec, s[12:13]
	s_and_b64 s[12:13], s[8:9], s[10:11]
	s_and_saveexec_b64 s[10:11], s[12:13]
	s_cbranch_execz .LBB166_185
.LBB166_181:
	s_and_b64 vcc, exec, s[0:1]
	s_cbranch_vccnz .LBB166_183
; %bb.182:
	v_lshl_add_u64 v[114:115], v[166:167], 3, v[114:115]
	global_load_dwordx2 v[114:115], v[114:115], off
	s_waitcnt vmcnt(0)
	v_mul_f64 v[114:115], s[14:15], v[114:115]
	v_cvt_f32_f64_e32 v114, v[114:115]
	s_branch .LBB166_184
.LBB166_183:
	v_mov_b32_e32 v114, 0
.LBB166_184:
	v_add_f64 v[110:111], v[6:7], v[110:111]
	v_add_f64 v[108:109], v[4:5], v[108:109]
	;; [unrolled: 1-line block ×4, first 2 shown]
	v_cvt_f32_f64_e32 v108, v[108:109]
	v_cvt_f32_f64_e32 v109, v[110:111]
	;; [unrolled: 1-line block ×4, first 2 shown]
	v_min3_f32 v108, v108, v109, v230
	v_min_f32_e32 v104, v104, v105
	v_min3_f32 v104, v114, v104, v108
	v_cvt_f64_f32_e32 v[104:105], v104
	v_lshl_add_u64 v[106:107], v[166:167], 3, v[112:113]
	global_store_dwordx2 v[106:107], v[104:105], off
.LBB166_185:
	s_or_b64 exec, exec, s[10:11]
	v_add_u32_e32 v108, 56, v172
	v_mad_i64_i32 v[104:105], s[12:13], v108, s21, 0
	v_cmp_gt_i32_e64 s[10:11], s17, v108
	v_lshl_add_u64 v[106:107], v[104:105], 3, s[24:25]
	v_mad_i64_i32 v[104:105], s[12:13], v108, s20, 0
	v_lshl_add_u64 v[104:105], v[104:105], 3, s[18:19]
	s_and_b64 s[22:23], s[2:3], s[10:11]
	s_and_saveexec_b64 s[12:13], s[22:23]
	s_cbranch_execnz .LBB166_189
; %bb.186:
	s_or_b64 exec, exec, s[12:13]
	s_and_b64 s[22:23], s[4:5], s[10:11]
	s_and_saveexec_b64 s[12:13], s[22:23]
	s_cbranch_execnz .LBB166_193
.LBB166_187:
	s_or_b64 exec, exec, s[12:13]
	s_and_b64 s[22:23], s[6:7], s[10:11]
	s_and_saveexec_b64 s[12:13], s[22:23]
	s_cbranch_execnz .LBB166_197
.LBB166_188:
	s_or_b64 exec, exec, s[12:13]
	s_and_b64 s[12:13], s[8:9], s[10:11]
	s_and_saveexec_b64 s[10:11], s[12:13]
	s_cbranch_execnz .LBB166_201
	s_branch .LBB166_205
.LBB166_189:
	s_and_b64 vcc, exec, s[0:1]
	s_cbranch_vccnz .LBB166_191
; %bb.190:
	v_lshl_add_u64 v[108:109], v[160:161], 3, v[106:107]
	global_load_dwordx2 v[108:109], v[108:109], off
	s_waitcnt vmcnt(0)
	v_mul_f64 v[108:109], s[14:15], v[108:109]
	v_cvt_f32_f64_e32 v108, v[108:109]
	s_branch .LBB166_192
.LBB166_191:
	v_mov_b32_e32 v108, 0
.LBB166_192:
	v_add_f64 v[110:111], v[38:39], v[102:103]
	v_add_f64 v[112:113], v[36:37], v[100:101]
	v_cvt_f32_f64_e32 v109, v[112:113]
	v_cvt_f32_f64_e32 v110, v[110:111]
	v_min3_f32 v109, v109, v110, v229
	v_add_f64 v[110:111], v[34:35], v[98:99]
	v_add_f64 v[112:113], v[32:33], v[96:97]
	v_cvt_f32_f64_e32 v112, v[112:113]
	v_cvt_f32_f64_e32 v110, v[110:111]
	v_min_f32_e32 v110, v112, v110
	v_min3_f32 v108, v108, v110, v109
	v_cvt_f64_f32_e32 v[108:109], v108
	v_lshl_add_u64 v[110:111], v[160:161], 3, v[104:105]
	global_store_dwordx2 v[110:111], v[108:109], off
	s_or_b64 exec, exec, s[12:13]
	s_and_b64 s[22:23], s[4:5], s[10:11]
	s_and_saveexec_b64 s[12:13], s[22:23]
	s_cbranch_execz .LBB166_187
.LBB166_193:
	s_and_b64 vcc, exec, s[0:1]
	s_cbranch_vccnz .LBB166_195
; %bb.194:
	v_lshl_add_u64 v[108:109], v[162:163], 3, v[106:107]
	global_load_dwordx2 v[108:109], v[108:109], off
	s_waitcnt vmcnt(0)
	v_mul_f64 v[108:109], s[14:15], v[108:109]
	v_cvt_f32_f64_e32 v108, v[108:109]
	s_branch .LBB166_196
.LBB166_195:
	v_mov_b32_e32 v108, 0
.LBB166_196:
	v_add_f64 v[110:111], v[26:27], v[102:103]
	v_add_f64 v[112:113], v[24:25], v[100:101]
	v_cvt_f32_f64_e32 v109, v[112:113]
	v_cvt_f32_f64_e32 v110, v[110:111]
	v_min3_f32 v109, v109, v110, v228
	v_add_f64 v[110:111], v[30:31], v[98:99]
	v_add_f64 v[112:113], v[28:29], v[96:97]
	v_cvt_f32_f64_e32 v112, v[112:113]
	v_cvt_f32_f64_e32 v110, v[110:111]
	v_min_f32_e32 v110, v112, v110
	v_min3_f32 v108, v108, v110, v109
	v_cvt_f64_f32_e32 v[108:109], v108
	v_lshl_add_u64 v[110:111], v[162:163], 3, v[104:105]
	global_store_dwordx2 v[110:111], v[108:109], off
	s_or_b64 exec, exec, s[12:13]
	s_and_b64 s[22:23], s[6:7], s[10:11]
	s_and_saveexec_b64 s[12:13], s[22:23]
	s_cbranch_execz .LBB166_188
.LBB166_197:
	s_and_b64 vcc, exec, s[0:1]
	s_cbranch_vccnz .LBB166_199
; %bb.198:
	v_lshl_add_u64 v[108:109], v[164:165], 3, v[106:107]
	global_load_dwordx2 v[108:109], v[108:109], off
	s_waitcnt vmcnt(0)
	v_mul_f64 v[108:109], s[14:15], v[108:109]
	v_cvt_f32_f64_e32 v108, v[108:109]
	s_branch .LBB166_200
.LBB166_199:
	v_mov_b32_e32 v108, 0
.LBB166_200:
	v_add_f64 v[110:111], v[22:23], v[102:103]
	v_add_f64 v[112:113], v[20:21], v[100:101]
	v_cvt_f32_f64_e32 v109, v[112:113]
	v_cvt_f32_f64_e32 v110, v[110:111]
	v_min3_f32 v109, v109, v110, v227
	v_add_f64 v[110:111], v[14:15], v[98:99]
	v_add_f64 v[112:113], v[12:13], v[96:97]
	v_cvt_f32_f64_e32 v112, v[112:113]
	v_cvt_f32_f64_e32 v110, v[110:111]
	v_min_f32_e32 v110, v112, v110
	v_min3_f32 v108, v108, v110, v109
	v_cvt_f64_f32_e32 v[108:109], v108
	v_lshl_add_u64 v[110:111], v[164:165], 3, v[104:105]
	global_store_dwordx2 v[110:111], v[108:109], off
	s_or_b64 exec, exec, s[12:13]
	s_and_b64 s[12:13], s[8:9], s[10:11]
	s_and_saveexec_b64 s[10:11], s[12:13]
	s_cbranch_execz .LBB166_205
.LBB166_201:
	s_and_b64 vcc, exec, s[0:1]
	s_cbranch_vccnz .LBB166_203
; %bb.202:
	v_lshl_add_u64 v[106:107], v[166:167], 3, v[106:107]
	global_load_dwordx2 v[106:107], v[106:107], off
	s_waitcnt vmcnt(0)
	v_mul_f64 v[106:107], s[14:15], v[106:107]
	v_cvt_f32_f64_e32 v106, v[106:107]
	s_branch .LBB166_204
.LBB166_203:
	v_mov_b32_e32 v106, 0
.LBB166_204:
	v_add_f64 v[102:103], v[6:7], v[102:103]
	v_add_f64 v[100:101], v[4:5], v[100:101]
	;; [unrolled: 1-line block ×4, first 2 shown]
	v_cvt_f32_f64_e32 v100, v[100:101]
	v_cvt_f32_f64_e32 v101, v[102:103]
	v_cvt_f32_f64_e32 v96, v[96:97]
	v_cvt_f32_f64_e32 v97, v[98:99]
	v_min3_f32 v100, v100, v101, v226
	v_min_f32_e32 v96, v96, v97
	v_min3_f32 v96, v106, v96, v100
	v_cvt_f64_f32_e32 v[96:97], v96
	v_lshl_add_u64 v[98:99], v[166:167], 3, v[104:105]
	global_store_dwordx2 v[98:99], v[96:97], off
.LBB166_205:
	s_or_b64 exec, exec, s[10:11]
	v_add_u32_e32 v100, 64, v172
	v_mad_i64_i32 v[96:97], s[12:13], v100, s21, 0
	v_cmp_gt_i32_e64 s[10:11], s17, v100
	v_lshl_add_u64 v[98:99], v[96:97], 3, s[24:25]
	v_mad_i64_i32 v[96:97], s[12:13], v100, s20, 0
	v_lshl_add_u64 v[96:97], v[96:97], 3, s[18:19]
	s_and_b64 s[22:23], s[2:3], s[10:11]
	s_and_saveexec_b64 s[12:13], s[22:23]
	s_cbranch_execnz .LBB166_209
; %bb.206:
	s_or_b64 exec, exec, s[12:13]
	s_and_b64 s[22:23], s[4:5], s[10:11]
	s_and_saveexec_b64 s[12:13], s[22:23]
	s_cbranch_execnz .LBB166_213
.LBB166_207:
	s_or_b64 exec, exec, s[12:13]
	s_and_b64 s[22:23], s[6:7], s[10:11]
	s_and_saveexec_b64 s[12:13], s[22:23]
	s_cbranch_execnz .LBB166_217
.LBB166_208:
	s_or_b64 exec, exec, s[12:13]
	s_and_b64 s[12:13], s[8:9], s[10:11]
	s_and_saveexec_b64 s[10:11], s[12:13]
	s_cbranch_execnz .LBB166_221
	s_branch .LBB166_225
.LBB166_209:
	s_and_b64 vcc, exec, s[0:1]
	s_cbranch_vccnz .LBB166_211
; %bb.210:
	v_lshl_add_u64 v[100:101], v[160:161], 3, v[98:99]
	global_load_dwordx2 v[100:101], v[100:101], off
	s_waitcnt vmcnt(0)
	v_mul_f64 v[100:101], s[14:15], v[100:101]
	v_cvt_f32_f64_e32 v100, v[100:101]
	s_branch .LBB166_212
.LBB166_211:
	v_mov_b32_e32 v100, 0
.LBB166_212:
	v_add_f64 v[102:103], v[38:39], v[94:95]
	v_add_f64 v[104:105], v[36:37], v[92:93]
	v_cvt_f32_f64_e32 v101, v[104:105]
	v_cvt_f32_f64_e32 v102, v[102:103]
	v_min3_f32 v101, v101, v102, v225
	v_add_f64 v[102:103], v[34:35], v[90:91]
	v_add_f64 v[104:105], v[32:33], v[88:89]
	v_cvt_f32_f64_e32 v104, v[104:105]
	v_cvt_f32_f64_e32 v102, v[102:103]
	v_min_f32_e32 v102, v104, v102
	v_min3_f32 v100, v100, v102, v101
	v_cvt_f64_f32_e32 v[100:101], v100
	v_lshl_add_u64 v[102:103], v[160:161], 3, v[96:97]
	global_store_dwordx2 v[102:103], v[100:101], off
	s_or_b64 exec, exec, s[12:13]
	s_and_b64 s[22:23], s[4:5], s[10:11]
	s_and_saveexec_b64 s[12:13], s[22:23]
	s_cbranch_execz .LBB166_207
.LBB166_213:
	s_and_b64 vcc, exec, s[0:1]
	s_cbranch_vccnz .LBB166_215
; %bb.214:
	v_lshl_add_u64 v[100:101], v[162:163], 3, v[98:99]
	global_load_dwordx2 v[100:101], v[100:101], off
	s_waitcnt vmcnt(0)
	v_mul_f64 v[100:101], s[14:15], v[100:101]
	v_cvt_f32_f64_e32 v100, v[100:101]
	s_branch .LBB166_216
.LBB166_215:
	v_mov_b32_e32 v100, 0
.LBB166_216:
	v_add_f64 v[102:103], v[26:27], v[94:95]
	v_add_f64 v[104:105], v[24:25], v[92:93]
	v_cvt_f32_f64_e32 v101, v[104:105]
	v_cvt_f32_f64_e32 v102, v[102:103]
	v_min3_f32 v101, v101, v102, v224
	v_add_f64 v[102:103], v[30:31], v[90:91]
	v_add_f64 v[104:105], v[28:29], v[88:89]
	v_cvt_f32_f64_e32 v104, v[104:105]
	v_cvt_f32_f64_e32 v102, v[102:103]
	v_min_f32_e32 v102, v104, v102
	v_min3_f32 v100, v100, v102, v101
	v_cvt_f64_f32_e32 v[100:101], v100
	v_lshl_add_u64 v[102:103], v[162:163], 3, v[96:97]
	global_store_dwordx2 v[102:103], v[100:101], off
	s_or_b64 exec, exec, s[12:13]
	s_and_b64 s[22:23], s[6:7], s[10:11]
	s_and_saveexec_b64 s[12:13], s[22:23]
	s_cbranch_execz .LBB166_208
.LBB166_217:
	s_and_b64 vcc, exec, s[0:1]
	s_cbranch_vccnz .LBB166_219
; %bb.218:
	v_lshl_add_u64 v[100:101], v[164:165], 3, v[98:99]
	global_load_dwordx2 v[100:101], v[100:101], off
	s_waitcnt vmcnt(0)
	v_mul_f64 v[100:101], s[14:15], v[100:101]
	v_cvt_f32_f64_e32 v100, v[100:101]
	s_branch .LBB166_220
.LBB166_219:
	v_mov_b32_e32 v100, 0
.LBB166_220:
	v_add_f64 v[102:103], v[22:23], v[94:95]
	v_add_f64 v[104:105], v[20:21], v[92:93]
	v_cvt_f32_f64_e32 v101, v[104:105]
	v_cvt_f32_f64_e32 v102, v[102:103]
	v_min3_f32 v101, v101, v102, v223
	v_add_f64 v[102:103], v[14:15], v[90:91]
	v_add_f64 v[104:105], v[12:13], v[88:89]
	v_cvt_f32_f64_e32 v104, v[104:105]
	v_cvt_f32_f64_e32 v102, v[102:103]
	v_min_f32_e32 v102, v104, v102
	v_min3_f32 v100, v100, v102, v101
	v_cvt_f64_f32_e32 v[100:101], v100
	v_lshl_add_u64 v[102:103], v[164:165], 3, v[96:97]
	global_store_dwordx2 v[102:103], v[100:101], off
	s_or_b64 exec, exec, s[12:13]
	s_and_b64 s[12:13], s[8:9], s[10:11]
	s_and_saveexec_b64 s[10:11], s[12:13]
	s_cbranch_execz .LBB166_225
.LBB166_221:
	s_and_b64 vcc, exec, s[0:1]
	s_cbranch_vccnz .LBB166_223
; %bb.222:
	v_lshl_add_u64 v[98:99], v[166:167], 3, v[98:99]
	global_load_dwordx2 v[98:99], v[98:99], off
	s_waitcnt vmcnt(0)
	v_mul_f64 v[98:99], s[14:15], v[98:99]
	v_cvt_f32_f64_e32 v98, v[98:99]
	s_branch .LBB166_224
.LBB166_223:
	v_mov_b32_e32 v98, 0
.LBB166_224:
	v_add_f64 v[94:95], v[6:7], v[94:95]
	v_add_f64 v[92:93], v[4:5], v[92:93]
	;; [unrolled: 1-line block ×4, first 2 shown]
	v_cvt_f32_f64_e32 v92, v[92:93]
	v_cvt_f32_f64_e32 v93, v[94:95]
	;; [unrolled: 1-line block ×4, first 2 shown]
	v_min3_f32 v92, v92, v93, v222
	v_min_f32_e32 v88, v88, v89
	v_min3_f32 v88, v98, v88, v92
	v_cvt_f64_f32_e32 v[88:89], v88
	v_lshl_add_u64 v[90:91], v[166:167], 3, v[96:97]
	global_store_dwordx2 v[90:91], v[88:89], off
.LBB166_225:
	s_or_b64 exec, exec, s[10:11]
	v_add_u32_e32 v92, 0x48, v172
	v_mad_i64_i32 v[88:89], s[12:13], v92, s21, 0
	v_cmp_gt_i32_e64 s[10:11], s17, v92
	v_lshl_add_u64 v[90:91], v[88:89], 3, s[24:25]
	v_mad_i64_i32 v[88:89], s[12:13], v92, s20, 0
	v_lshl_add_u64 v[88:89], v[88:89], 3, s[18:19]
	s_and_b64 s[22:23], s[2:3], s[10:11]
	s_and_saveexec_b64 s[12:13], s[22:23]
	s_cbranch_execnz .LBB166_229
; %bb.226:
	s_or_b64 exec, exec, s[12:13]
	s_and_b64 s[22:23], s[4:5], s[10:11]
	s_and_saveexec_b64 s[12:13], s[22:23]
	s_cbranch_execnz .LBB166_233
.LBB166_227:
	s_or_b64 exec, exec, s[12:13]
	s_and_b64 s[22:23], s[6:7], s[10:11]
	s_and_saveexec_b64 s[12:13], s[22:23]
	s_cbranch_execnz .LBB166_237
.LBB166_228:
	s_or_b64 exec, exec, s[12:13]
	s_and_b64 s[12:13], s[8:9], s[10:11]
	s_and_saveexec_b64 s[10:11], s[12:13]
	s_cbranch_execnz .LBB166_241
	s_branch .LBB166_245
.LBB166_229:
	s_and_b64 vcc, exec, s[0:1]
	s_cbranch_vccnz .LBB166_231
; %bb.230:
	v_lshl_add_u64 v[92:93], v[160:161], 3, v[90:91]
	global_load_dwordx2 v[92:93], v[92:93], off
	s_waitcnt vmcnt(0)
	v_mul_f64 v[92:93], s[14:15], v[92:93]
	v_cvt_f32_f64_e32 v92, v[92:93]
	s_branch .LBB166_232
.LBB166_231:
	v_mov_b32_e32 v92, 0
.LBB166_232:
	v_add_f64 v[94:95], v[38:39], v[86:87]
	v_add_f64 v[96:97], v[36:37], v[84:85]
	v_cvt_f32_f64_e32 v93, v[96:97]
	v_cvt_f32_f64_e32 v94, v[94:95]
	v_min3_f32 v93, v93, v94, v221
	v_add_f64 v[94:95], v[34:35], v[82:83]
	v_add_f64 v[96:97], v[32:33], v[80:81]
	v_cvt_f32_f64_e32 v96, v[96:97]
	v_cvt_f32_f64_e32 v94, v[94:95]
	v_min_f32_e32 v94, v96, v94
	v_min3_f32 v92, v92, v94, v93
	v_cvt_f64_f32_e32 v[92:93], v92
	v_lshl_add_u64 v[94:95], v[160:161], 3, v[88:89]
	global_store_dwordx2 v[94:95], v[92:93], off
	s_or_b64 exec, exec, s[12:13]
	s_and_b64 s[22:23], s[4:5], s[10:11]
	s_and_saveexec_b64 s[12:13], s[22:23]
	s_cbranch_execz .LBB166_227
.LBB166_233:
	s_and_b64 vcc, exec, s[0:1]
	s_cbranch_vccnz .LBB166_235
; %bb.234:
	v_lshl_add_u64 v[92:93], v[162:163], 3, v[90:91]
	global_load_dwordx2 v[92:93], v[92:93], off
	s_waitcnt vmcnt(0)
	v_mul_f64 v[92:93], s[14:15], v[92:93]
	v_cvt_f32_f64_e32 v92, v[92:93]
	s_branch .LBB166_236
.LBB166_235:
	v_mov_b32_e32 v92, 0
.LBB166_236:
	v_add_f64 v[94:95], v[26:27], v[86:87]
	v_add_f64 v[96:97], v[24:25], v[84:85]
	v_cvt_f32_f64_e32 v93, v[96:97]
	v_cvt_f32_f64_e32 v94, v[94:95]
	v_min3_f32 v93, v93, v94, v220
	v_add_f64 v[94:95], v[30:31], v[82:83]
	v_add_f64 v[96:97], v[28:29], v[80:81]
	v_cvt_f32_f64_e32 v96, v[96:97]
	v_cvt_f32_f64_e32 v94, v[94:95]
	v_min_f32_e32 v94, v96, v94
	v_min3_f32 v92, v92, v94, v93
	v_cvt_f64_f32_e32 v[92:93], v92
	v_lshl_add_u64 v[94:95], v[162:163], 3, v[88:89]
	global_store_dwordx2 v[94:95], v[92:93], off
	s_or_b64 exec, exec, s[12:13]
	s_and_b64 s[22:23], s[6:7], s[10:11]
	s_and_saveexec_b64 s[12:13], s[22:23]
	s_cbranch_execz .LBB166_228
.LBB166_237:
	s_and_b64 vcc, exec, s[0:1]
	s_cbranch_vccnz .LBB166_239
; %bb.238:
	v_lshl_add_u64 v[92:93], v[164:165], 3, v[90:91]
	global_load_dwordx2 v[92:93], v[92:93], off
	s_waitcnt vmcnt(0)
	v_mul_f64 v[92:93], s[14:15], v[92:93]
	v_cvt_f32_f64_e32 v92, v[92:93]
	s_branch .LBB166_240
.LBB166_239:
	v_mov_b32_e32 v92, 0
.LBB166_240:
	v_add_f64 v[94:95], v[22:23], v[86:87]
	v_add_f64 v[96:97], v[20:21], v[84:85]
	v_cvt_f32_f64_e32 v93, v[96:97]
	v_cvt_f32_f64_e32 v94, v[94:95]
	v_min3_f32 v93, v93, v94, v219
	v_add_f64 v[94:95], v[14:15], v[82:83]
	v_add_f64 v[96:97], v[12:13], v[80:81]
	v_cvt_f32_f64_e32 v96, v[96:97]
	v_cvt_f32_f64_e32 v94, v[94:95]
	v_min_f32_e32 v94, v96, v94
	v_min3_f32 v92, v92, v94, v93
	v_cvt_f64_f32_e32 v[92:93], v92
	v_lshl_add_u64 v[94:95], v[164:165], 3, v[88:89]
	global_store_dwordx2 v[94:95], v[92:93], off
	s_or_b64 exec, exec, s[12:13]
	s_and_b64 s[12:13], s[8:9], s[10:11]
	s_and_saveexec_b64 s[10:11], s[12:13]
	s_cbranch_execz .LBB166_245
.LBB166_241:
	s_and_b64 vcc, exec, s[0:1]
	s_cbranch_vccnz .LBB166_243
; %bb.242:
	v_lshl_add_u64 v[90:91], v[166:167], 3, v[90:91]
	global_load_dwordx2 v[90:91], v[90:91], off
	s_waitcnt vmcnt(0)
	v_mul_f64 v[90:91], s[14:15], v[90:91]
	v_cvt_f32_f64_e32 v90, v[90:91]
	s_branch .LBB166_244
.LBB166_243:
	v_mov_b32_e32 v90, 0
.LBB166_244:
	v_add_f64 v[86:87], v[6:7], v[86:87]
	v_add_f64 v[84:85], v[4:5], v[84:85]
	;; [unrolled: 1-line block ×4, first 2 shown]
	v_cvt_f32_f64_e32 v84, v[84:85]
	v_cvt_f32_f64_e32 v85, v[86:87]
	;; [unrolled: 1-line block ×4, first 2 shown]
	v_min3_f32 v84, v84, v85, v218
	v_min_f32_e32 v80, v80, v81
	v_min3_f32 v80, v90, v80, v84
	v_cvt_f64_f32_e32 v[80:81], v80
	v_lshl_add_u64 v[82:83], v[166:167], 3, v[88:89]
	global_store_dwordx2 v[82:83], v[80:81], off
.LBB166_245:
	s_or_b64 exec, exec, s[10:11]
	v_add_u32_e32 v84, 0x50, v172
	v_mad_i64_i32 v[80:81], s[12:13], v84, s21, 0
	v_cmp_gt_i32_e64 s[10:11], s17, v84
	v_lshl_add_u64 v[82:83], v[80:81], 3, s[24:25]
	v_mad_i64_i32 v[80:81], s[12:13], v84, s20, 0
	v_lshl_add_u64 v[80:81], v[80:81], 3, s[18:19]
	s_and_b64 s[22:23], s[2:3], s[10:11]
	s_and_saveexec_b64 s[12:13], s[22:23]
	s_cbranch_execnz .LBB166_249
; %bb.246:
	s_or_b64 exec, exec, s[12:13]
	s_and_b64 s[22:23], s[4:5], s[10:11]
	s_and_saveexec_b64 s[12:13], s[22:23]
	s_cbranch_execnz .LBB166_253
.LBB166_247:
	s_or_b64 exec, exec, s[12:13]
	s_and_b64 s[22:23], s[6:7], s[10:11]
	s_and_saveexec_b64 s[12:13], s[22:23]
	s_cbranch_execnz .LBB166_257
.LBB166_248:
	s_or_b64 exec, exec, s[12:13]
	s_and_b64 s[12:13], s[8:9], s[10:11]
	s_and_saveexec_b64 s[10:11], s[12:13]
	s_cbranch_execnz .LBB166_261
	s_branch .LBB166_265
.LBB166_249:
	s_and_b64 vcc, exec, s[0:1]
	s_cbranch_vccnz .LBB166_251
; %bb.250:
	v_lshl_add_u64 v[84:85], v[160:161], 3, v[82:83]
	global_load_dwordx2 v[84:85], v[84:85], off
	s_waitcnt vmcnt(0)
	v_mul_f64 v[84:85], s[14:15], v[84:85]
	v_cvt_f32_f64_e32 v84, v[84:85]
	s_branch .LBB166_252
.LBB166_251:
	v_mov_b32_e32 v84, 0
.LBB166_252:
	v_add_f64 v[86:87], v[38:39], v[78:79]
	v_add_f64 v[88:89], v[36:37], v[76:77]
	v_cvt_f32_f64_e32 v85, v[88:89]
	v_cvt_f32_f64_e32 v86, v[86:87]
	v_min3_f32 v85, v85, v86, v217
	v_add_f64 v[86:87], v[34:35], v[74:75]
	v_add_f64 v[88:89], v[32:33], v[72:73]
	v_cvt_f32_f64_e32 v88, v[88:89]
	v_cvt_f32_f64_e32 v86, v[86:87]
	v_min_f32_e32 v86, v88, v86
	v_min3_f32 v84, v84, v86, v85
	v_cvt_f64_f32_e32 v[84:85], v84
	v_lshl_add_u64 v[86:87], v[160:161], 3, v[80:81]
	global_store_dwordx2 v[86:87], v[84:85], off
	s_or_b64 exec, exec, s[12:13]
	s_and_b64 s[22:23], s[4:5], s[10:11]
	s_and_saveexec_b64 s[12:13], s[22:23]
	s_cbranch_execz .LBB166_247
.LBB166_253:
	s_and_b64 vcc, exec, s[0:1]
	s_cbranch_vccnz .LBB166_255
; %bb.254:
	v_lshl_add_u64 v[84:85], v[162:163], 3, v[82:83]
	global_load_dwordx2 v[84:85], v[84:85], off
	s_waitcnt vmcnt(0)
	v_mul_f64 v[84:85], s[14:15], v[84:85]
	v_cvt_f32_f64_e32 v84, v[84:85]
	s_branch .LBB166_256
.LBB166_255:
	v_mov_b32_e32 v84, 0
.LBB166_256:
	v_add_f64 v[86:87], v[26:27], v[78:79]
	v_add_f64 v[88:89], v[24:25], v[76:77]
	v_cvt_f32_f64_e32 v85, v[88:89]
	v_cvt_f32_f64_e32 v86, v[86:87]
	v_min3_f32 v85, v85, v86, v216
	v_add_f64 v[86:87], v[30:31], v[74:75]
	v_add_f64 v[88:89], v[28:29], v[72:73]
	v_cvt_f32_f64_e32 v88, v[88:89]
	v_cvt_f32_f64_e32 v86, v[86:87]
	v_min_f32_e32 v86, v88, v86
	v_min3_f32 v84, v84, v86, v85
	v_cvt_f64_f32_e32 v[84:85], v84
	v_lshl_add_u64 v[86:87], v[162:163], 3, v[80:81]
	global_store_dwordx2 v[86:87], v[84:85], off
	s_or_b64 exec, exec, s[12:13]
	s_and_b64 s[22:23], s[6:7], s[10:11]
	s_and_saveexec_b64 s[12:13], s[22:23]
	s_cbranch_execz .LBB166_248
.LBB166_257:
	s_and_b64 vcc, exec, s[0:1]
	s_cbranch_vccnz .LBB166_259
; %bb.258:
	v_lshl_add_u64 v[84:85], v[164:165], 3, v[82:83]
	global_load_dwordx2 v[84:85], v[84:85], off
	s_waitcnt vmcnt(0)
	v_mul_f64 v[84:85], s[14:15], v[84:85]
	v_cvt_f32_f64_e32 v84, v[84:85]
	s_branch .LBB166_260
.LBB166_259:
	v_mov_b32_e32 v84, 0
.LBB166_260:
	v_add_f64 v[86:87], v[22:23], v[78:79]
	v_add_f64 v[88:89], v[20:21], v[76:77]
	v_cvt_f32_f64_e32 v85, v[88:89]
	v_cvt_f32_f64_e32 v86, v[86:87]
	v_min3_f32 v85, v85, v86, v215
	v_add_f64 v[86:87], v[14:15], v[74:75]
	v_add_f64 v[88:89], v[12:13], v[72:73]
	v_cvt_f32_f64_e32 v88, v[88:89]
	v_cvt_f32_f64_e32 v86, v[86:87]
	v_min_f32_e32 v86, v88, v86
	v_min3_f32 v84, v84, v86, v85
	v_cvt_f64_f32_e32 v[84:85], v84
	v_lshl_add_u64 v[86:87], v[164:165], 3, v[80:81]
	global_store_dwordx2 v[86:87], v[84:85], off
	s_or_b64 exec, exec, s[12:13]
	s_and_b64 s[12:13], s[8:9], s[10:11]
	s_and_saveexec_b64 s[10:11], s[12:13]
	s_cbranch_execz .LBB166_265
.LBB166_261:
	s_and_b64 vcc, exec, s[0:1]
	s_cbranch_vccnz .LBB166_263
; %bb.262:
	v_lshl_add_u64 v[82:83], v[166:167], 3, v[82:83]
	global_load_dwordx2 v[82:83], v[82:83], off
	s_waitcnt vmcnt(0)
	v_mul_f64 v[82:83], s[14:15], v[82:83]
	v_cvt_f32_f64_e32 v82, v[82:83]
	s_branch .LBB166_264
.LBB166_263:
	v_mov_b32_e32 v82, 0
.LBB166_264:
	v_add_f64 v[78:79], v[6:7], v[78:79]
	v_add_f64 v[76:77], v[4:5], v[76:77]
	;; [unrolled: 1-line block ×4, first 2 shown]
	v_cvt_f32_f64_e32 v76, v[76:77]
	v_cvt_f32_f64_e32 v77, v[78:79]
	;; [unrolled: 1-line block ×4, first 2 shown]
	v_min3_f32 v76, v76, v77, v214
	v_min_f32_e32 v72, v72, v73
	v_min3_f32 v72, v82, v72, v76
	v_cvt_f64_f32_e32 v[72:73], v72
	v_lshl_add_u64 v[74:75], v[166:167], 3, v[80:81]
	global_store_dwordx2 v[74:75], v[72:73], off
.LBB166_265:
	s_or_b64 exec, exec, s[10:11]
	v_add_u32_e32 v76, 0x58, v172
	v_mad_i64_i32 v[72:73], s[12:13], v76, s21, 0
	v_cmp_gt_i32_e64 s[10:11], s17, v76
	v_lshl_add_u64 v[74:75], v[72:73], 3, s[24:25]
	v_mad_i64_i32 v[72:73], s[12:13], v76, s20, 0
	v_lshl_add_u64 v[72:73], v[72:73], 3, s[18:19]
	s_and_b64 s[22:23], s[2:3], s[10:11]
	s_and_saveexec_b64 s[12:13], s[22:23]
	s_cbranch_execnz .LBB166_269
; %bb.266:
	s_or_b64 exec, exec, s[12:13]
	s_and_b64 s[22:23], s[4:5], s[10:11]
	s_and_saveexec_b64 s[12:13], s[22:23]
	s_cbranch_execnz .LBB166_273
.LBB166_267:
	s_or_b64 exec, exec, s[12:13]
	s_and_b64 s[22:23], s[6:7], s[10:11]
	s_and_saveexec_b64 s[12:13], s[22:23]
	s_cbranch_execnz .LBB166_277
.LBB166_268:
	s_or_b64 exec, exec, s[12:13]
	s_and_b64 s[12:13], s[8:9], s[10:11]
	s_and_saveexec_b64 s[10:11], s[12:13]
	s_cbranch_execnz .LBB166_281
	s_branch .LBB166_285
.LBB166_269:
	s_and_b64 vcc, exec, s[0:1]
	s_cbranch_vccnz .LBB166_271
; %bb.270:
	v_lshl_add_u64 v[76:77], v[160:161], 3, v[74:75]
	global_load_dwordx2 v[76:77], v[76:77], off
	s_waitcnt vmcnt(0)
	v_mul_f64 v[76:77], s[14:15], v[76:77]
	v_cvt_f32_f64_e32 v76, v[76:77]
	s_branch .LBB166_272
.LBB166_271:
	v_mov_b32_e32 v76, 0
.LBB166_272:
	v_add_f64 v[78:79], v[38:39], v[70:71]
	v_add_f64 v[80:81], v[36:37], v[68:69]
	v_cvt_f32_f64_e32 v77, v[80:81]
	v_cvt_f32_f64_e32 v78, v[78:79]
	v_min3_f32 v77, v77, v78, v213
	v_add_f64 v[78:79], v[34:35], v[66:67]
	v_add_f64 v[80:81], v[32:33], v[64:65]
	v_cvt_f32_f64_e32 v80, v[80:81]
	v_cvt_f32_f64_e32 v78, v[78:79]
	v_min_f32_e32 v78, v80, v78
	v_min3_f32 v76, v76, v78, v77
	v_cvt_f64_f32_e32 v[76:77], v76
	v_lshl_add_u64 v[78:79], v[160:161], 3, v[72:73]
	global_store_dwordx2 v[78:79], v[76:77], off
	s_or_b64 exec, exec, s[12:13]
	s_and_b64 s[22:23], s[4:5], s[10:11]
	s_and_saveexec_b64 s[12:13], s[22:23]
	s_cbranch_execz .LBB166_267
.LBB166_273:
	s_and_b64 vcc, exec, s[0:1]
	s_cbranch_vccnz .LBB166_275
; %bb.274:
	v_lshl_add_u64 v[76:77], v[162:163], 3, v[74:75]
	global_load_dwordx2 v[76:77], v[76:77], off
	s_waitcnt vmcnt(0)
	v_mul_f64 v[76:77], s[14:15], v[76:77]
	v_cvt_f32_f64_e32 v76, v[76:77]
	s_branch .LBB166_276
.LBB166_275:
	v_mov_b32_e32 v76, 0
.LBB166_276:
	v_add_f64 v[78:79], v[26:27], v[70:71]
	v_add_f64 v[80:81], v[24:25], v[68:69]
	v_cvt_f32_f64_e32 v77, v[80:81]
	v_cvt_f32_f64_e32 v78, v[78:79]
	v_min3_f32 v77, v77, v78, v212
	v_add_f64 v[78:79], v[30:31], v[66:67]
	v_add_f64 v[80:81], v[28:29], v[64:65]
	v_cvt_f32_f64_e32 v80, v[80:81]
	v_cvt_f32_f64_e32 v78, v[78:79]
	v_min_f32_e32 v78, v80, v78
	v_min3_f32 v76, v76, v78, v77
	v_cvt_f64_f32_e32 v[76:77], v76
	v_lshl_add_u64 v[78:79], v[162:163], 3, v[72:73]
	global_store_dwordx2 v[78:79], v[76:77], off
	s_or_b64 exec, exec, s[12:13]
	s_and_b64 s[22:23], s[6:7], s[10:11]
	s_and_saveexec_b64 s[12:13], s[22:23]
	s_cbranch_execz .LBB166_268
.LBB166_277:
	s_and_b64 vcc, exec, s[0:1]
	s_cbranch_vccnz .LBB166_279
; %bb.278:
	v_lshl_add_u64 v[76:77], v[164:165], 3, v[74:75]
	global_load_dwordx2 v[76:77], v[76:77], off
	s_waitcnt vmcnt(0)
	v_mul_f64 v[76:77], s[14:15], v[76:77]
	v_cvt_f32_f64_e32 v76, v[76:77]
	s_branch .LBB166_280
.LBB166_279:
	v_mov_b32_e32 v76, 0
.LBB166_280:
	v_add_f64 v[78:79], v[22:23], v[70:71]
	v_add_f64 v[80:81], v[20:21], v[68:69]
	v_cvt_f32_f64_e32 v77, v[80:81]
	v_cvt_f32_f64_e32 v78, v[78:79]
	v_min3_f32 v77, v77, v78, v211
	v_add_f64 v[78:79], v[14:15], v[66:67]
	v_add_f64 v[80:81], v[12:13], v[64:65]
	v_cvt_f32_f64_e32 v80, v[80:81]
	v_cvt_f32_f64_e32 v78, v[78:79]
	v_min_f32_e32 v78, v80, v78
	v_min3_f32 v76, v76, v78, v77
	v_cvt_f64_f32_e32 v[76:77], v76
	v_lshl_add_u64 v[78:79], v[164:165], 3, v[72:73]
	global_store_dwordx2 v[78:79], v[76:77], off
	s_or_b64 exec, exec, s[12:13]
	s_and_b64 s[12:13], s[8:9], s[10:11]
	s_and_saveexec_b64 s[10:11], s[12:13]
	s_cbranch_execz .LBB166_285
.LBB166_281:
	s_and_b64 vcc, exec, s[0:1]
	s_cbranch_vccnz .LBB166_283
; %bb.282:
	v_lshl_add_u64 v[74:75], v[166:167], 3, v[74:75]
	global_load_dwordx2 v[74:75], v[74:75], off
	s_waitcnt vmcnt(0)
	v_mul_f64 v[74:75], s[14:15], v[74:75]
	v_cvt_f32_f64_e32 v74, v[74:75]
	s_branch .LBB166_284
.LBB166_283:
	v_mov_b32_e32 v74, 0
.LBB166_284:
	v_add_f64 v[70:71], v[6:7], v[70:71]
	v_add_f64 v[68:69], v[4:5], v[68:69]
	;; [unrolled: 1-line block ×4, first 2 shown]
	v_cvt_f32_f64_e32 v68, v[68:69]
	v_cvt_f32_f64_e32 v69, v[70:71]
	;; [unrolled: 1-line block ×4, first 2 shown]
	v_min3_f32 v68, v68, v69, v210
	v_min_f32_e32 v64, v64, v65
	v_min3_f32 v64, v74, v64, v68
	v_cvt_f64_f32_e32 v[64:65], v64
	v_lshl_add_u64 v[66:67], v[166:167], 3, v[72:73]
	global_store_dwordx2 v[66:67], v[64:65], off
.LBB166_285:
	s_or_b64 exec, exec, s[10:11]
	v_add_u32_e32 v68, 0x60, v172
	v_mad_i64_i32 v[64:65], s[12:13], v68, s21, 0
	v_cmp_gt_i32_e64 s[10:11], s17, v68
	v_lshl_add_u64 v[66:67], v[64:65], 3, s[24:25]
	v_mad_i64_i32 v[64:65], s[12:13], v68, s20, 0
	v_lshl_add_u64 v[64:65], v[64:65], 3, s[18:19]
	s_and_b64 s[22:23], s[2:3], s[10:11]
	s_and_saveexec_b64 s[12:13], s[22:23]
	s_cbranch_execnz .LBB166_289
; %bb.286:
	s_or_b64 exec, exec, s[12:13]
	s_and_b64 s[22:23], s[4:5], s[10:11]
	s_and_saveexec_b64 s[12:13], s[22:23]
	s_cbranch_execnz .LBB166_293
.LBB166_287:
	s_or_b64 exec, exec, s[12:13]
	s_and_b64 s[22:23], s[6:7], s[10:11]
	s_and_saveexec_b64 s[12:13], s[22:23]
	s_cbranch_execnz .LBB166_297
.LBB166_288:
	s_or_b64 exec, exec, s[12:13]
	s_and_b64 s[12:13], s[8:9], s[10:11]
	s_and_saveexec_b64 s[10:11], s[12:13]
	s_cbranch_execnz .LBB166_301
	s_branch .LBB166_305
.LBB166_289:
	s_and_b64 vcc, exec, s[0:1]
	s_cbranch_vccnz .LBB166_291
; %bb.290:
	v_lshl_add_u64 v[68:69], v[160:161], 3, v[66:67]
	global_load_dwordx2 v[68:69], v[68:69], off
	s_waitcnt vmcnt(0)
	v_mul_f64 v[68:69], s[14:15], v[68:69]
	v_cvt_f32_f64_e32 v68, v[68:69]
	s_branch .LBB166_292
.LBB166_291:
	v_mov_b32_e32 v68, 0
.LBB166_292:
	v_add_f64 v[70:71], v[38:39], v[62:63]
	v_add_f64 v[72:73], v[36:37], v[60:61]
	v_cvt_f32_f64_e32 v69, v[72:73]
	v_cvt_f32_f64_e32 v70, v[70:71]
	v_min3_f32 v69, v69, v70, v209
	v_add_f64 v[70:71], v[34:35], v[58:59]
	v_add_f64 v[72:73], v[32:33], v[56:57]
	v_cvt_f32_f64_e32 v72, v[72:73]
	v_cvt_f32_f64_e32 v70, v[70:71]
	v_min_f32_e32 v70, v72, v70
	v_min3_f32 v68, v68, v70, v69
	v_cvt_f64_f32_e32 v[68:69], v68
	v_lshl_add_u64 v[70:71], v[160:161], 3, v[64:65]
	global_store_dwordx2 v[70:71], v[68:69], off
	s_or_b64 exec, exec, s[12:13]
	s_and_b64 s[22:23], s[4:5], s[10:11]
	s_and_saveexec_b64 s[12:13], s[22:23]
	s_cbranch_execz .LBB166_287
.LBB166_293:
	s_and_b64 vcc, exec, s[0:1]
	s_cbranch_vccnz .LBB166_295
; %bb.294:
	v_lshl_add_u64 v[68:69], v[162:163], 3, v[66:67]
	global_load_dwordx2 v[68:69], v[68:69], off
	s_waitcnt vmcnt(0)
	v_mul_f64 v[68:69], s[14:15], v[68:69]
	v_cvt_f32_f64_e32 v68, v[68:69]
	s_branch .LBB166_296
.LBB166_295:
	v_mov_b32_e32 v68, 0
.LBB166_296:
	v_add_f64 v[70:71], v[26:27], v[62:63]
	v_add_f64 v[72:73], v[24:25], v[60:61]
	v_cvt_f32_f64_e32 v69, v[72:73]
	v_cvt_f32_f64_e32 v70, v[70:71]
	v_min3_f32 v69, v69, v70, v208
	v_add_f64 v[70:71], v[30:31], v[58:59]
	v_add_f64 v[72:73], v[28:29], v[56:57]
	v_cvt_f32_f64_e32 v72, v[72:73]
	v_cvt_f32_f64_e32 v70, v[70:71]
	v_min_f32_e32 v70, v72, v70
	v_min3_f32 v68, v68, v70, v69
	v_cvt_f64_f32_e32 v[68:69], v68
	v_lshl_add_u64 v[70:71], v[162:163], 3, v[64:65]
	global_store_dwordx2 v[70:71], v[68:69], off
	s_or_b64 exec, exec, s[12:13]
	s_and_b64 s[22:23], s[6:7], s[10:11]
	s_and_saveexec_b64 s[12:13], s[22:23]
	s_cbranch_execz .LBB166_288
.LBB166_297:
	s_and_b64 vcc, exec, s[0:1]
	s_cbranch_vccnz .LBB166_299
; %bb.298:
	v_lshl_add_u64 v[68:69], v[164:165], 3, v[66:67]
	global_load_dwordx2 v[68:69], v[68:69], off
	s_waitcnt vmcnt(0)
	v_mul_f64 v[68:69], s[14:15], v[68:69]
	v_cvt_f32_f64_e32 v68, v[68:69]
	s_branch .LBB166_300
.LBB166_299:
	v_mov_b32_e32 v68, 0
.LBB166_300:
	v_add_f64 v[70:71], v[22:23], v[62:63]
	v_add_f64 v[72:73], v[20:21], v[60:61]
	v_cvt_f32_f64_e32 v69, v[72:73]
	v_cvt_f32_f64_e32 v70, v[70:71]
	v_min3_f32 v69, v69, v70, v206
	v_add_f64 v[70:71], v[14:15], v[58:59]
	v_add_f64 v[72:73], v[12:13], v[56:57]
	v_cvt_f32_f64_e32 v72, v[72:73]
	v_cvt_f32_f64_e32 v70, v[70:71]
	v_min_f32_e32 v70, v72, v70
	v_min3_f32 v68, v68, v70, v69
	v_cvt_f64_f32_e32 v[68:69], v68
	v_lshl_add_u64 v[70:71], v[164:165], 3, v[64:65]
	global_store_dwordx2 v[70:71], v[68:69], off
	s_or_b64 exec, exec, s[12:13]
	s_and_b64 s[12:13], s[8:9], s[10:11]
	s_and_saveexec_b64 s[10:11], s[12:13]
	s_cbranch_execz .LBB166_305
.LBB166_301:
	s_and_b64 vcc, exec, s[0:1]
	s_cbranch_vccnz .LBB166_303
; %bb.302:
	v_lshl_add_u64 v[66:67], v[166:167], 3, v[66:67]
	global_load_dwordx2 v[66:67], v[66:67], off
	s_waitcnt vmcnt(0)
	v_mul_f64 v[66:67], s[14:15], v[66:67]
	v_cvt_f32_f64_e32 v66, v[66:67]
	s_branch .LBB166_304
.LBB166_303:
	v_mov_b32_e32 v66, 0
.LBB166_304:
	v_add_f64 v[62:63], v[6:7], v[62:63]
	v_add_f64 v[60:61], v[4:5], v[60:61]
	;; [unrolled: 1-line block ×4, first 2 shown]
	v_cvt_f32_f64_e32 v60, v[60:61]
	v_cvt_f32_f64_e32 v61, v[62:63]
	;; [unrolled: 1-line block ×4, first 2 shown]
	v_min3_f32 v60, v60, v61, v205
	v_min_f32_e32 v56, v56, v57
	v_min3_f32 v56, v66, v56, v60
	v_cvt_f64_f32_e32 v[56:57], v56
	v_lshl_add_u64 v[58:59], v[166:167], 3, v[64:65]
	global_store_dwordx2 v[58:59], v[56:57], off
.LBB166_305:
	s_or_b64 exec, exec, s[10:11]
	v_add_u32_e32 v60, 0x68, v172
	v_mad_i64_i32 v[56:57], s[12:13], v60, s21, 0
	v_cmp_gt_i32_e64 s[10:11], s17, v60
	v_lshl_add_u64 v[58:59], v[56:57], 3, s[24:25]
	v_mad_i64_i32 v[56:57], s[12:13], v60, s20, 0
	v_lshl_add_u64 v[56:57], v[56:57], 3, s[18:19]
	s_and_b64 s[22:23], s[2:3], s[10:11]
	s_and_saveexec_b64 s[12:13], s[22:23]
	s_cbranch_execnz .LBB166_309
; %bb.306:
	s_or_b64 exec, exec, s[12:13]
	s_and_b64 s[22:23], s[4:5], s[10:11]
	s_and_saveexec_b64 s[12:13], s[22:23]
	s_cbranch_execnz .LBB166_313
.LBB166_307:
	s_or_b64 exec, exec, s[12:13]
	s_and_b64 s[22:23], s[6:7], s[10:11]
	s_and_saveexec_b64 s[12:13], s[22:23]
	s_cbranch_execnz .LBB166_317
.LBB166_308:
	s_or_b64 exec, exec, s[12:13]
	s_and_b64 s[12:13], s[8:9], s[10:11]
	s_and_saveexec_b64 s[10:11], s[12:13]
	s_cbranch_execnz .LBB166_321
	s_branch .LBB166_325
.LBB166_309:
	s_and_b64 vcc, exec, s[0:1]
	s_cbranch_vccnz .LBB166_311
; %bb.310:
	v_lshl_add_u64 v[60:61], v[160:161], 3, v[58:59]
	global_load_dwordx2 v[60:61], v[60:61], off
	s_waitcnt vmcnt(0)
	v_mul_f64 v[60:61], s[14:15], v[60:61]
	v_cvt_f32_f64_e32 v60, v[60:61]
	s_branch .LBB166_312
.LBB166_311:
	v_mov_b32_e32 v60, 0
.LBB166_312:
	v_add_f64 v[62:63], v[38:39], v[54:55]
	v_add_f64 v[64:65], v[36:37], v[52:53]
	v_cvt_f32_f64_e32 v61, v[64:65]
	v_cvt_f32_f64_e32 v62, v[62:63]
	v_min3_f32 v61, v61, v62, v204
	v_add_f64 v[62:63], v[34:35], v[50:51]
	v_add_f64 v[64:65], v[32:33], v[48:49]
	v_cvt_f32_f64_e32 v64, v[64:65]
	v_cvt_f32_f64_e32 v62, v[62:63]
	v_min_f32_e32 v62, v64, v62
	v_min3_f32 v60, v60, v62, v61
	v_cvt_f64_f32_e32 v[60:61], v60
	v_lshl_add_u64 v[62:63], v[160:161], 3, v[56:57]
	global_store_dwordx2 v[62:63], v[60:61], off
	s_or_b64 exec, exec, s[12:13]
	s_and_b64 s[22:23], s[4:5], s[10:11]
	s_and_saveexec_b64 s[12:13], s[22:23]
	s_cbranch_execz .LBB166_307
.LBB166_313:
	s_and_b64 vcc, exec, s[0:1]
	s_cbranch_vccnz .LBB166_315
; %bb.314:
	v_lshl_add_u64 v[60:61], v[162:163], 3, v[58:59]
	global_load_dwordx2 v[60:61], v[60:61], off
	s_waitcnt vmcnt(0)
	v_mul_f64 v[60:61], s[14:15], v[60:61]
	v_cvt_f32_f64_e32 v60, v[60:61]
	s_branch .LBB166_316
.LBB166_315:
	v_mov_b32_e32 v60, 0
.LBB166_316:
	v_add_f64 v[62:63], v[26:27], v[54:55]
	v_add_f64 v[64:65], v[24:25], v[52:53]
	v_cvt_f32_f64_e32 v61, v[64:65]
	v_cvt_f32_f64_e32 v62, v[62:63]
	v_min3_f32 v61, v61, v62, v203
	v_add_f64 v[62:63], v[30:31], v[50:51]
	v_add_f64 v[64:65], v[28:29], v[48:49]
	v_cvt_f32_f64_e32 v64, v[64:65]
	v_cvt_f32_f64_e32 v62, v[62:63]
	v_min_f32_e32 v62, v64, v62
	v_min3_f32 v60, v60, v62, v61
	v_cvt_f64_f32_e32 v[60:61], v60
	v_lshl_add_u64 v[62:63], v[162:163], 3, v[56:57]
	global_store_dwordx2 v[62:63], v[60:61], off
	s_or_b64 exec, exec, s[12:13]
	s_and_b64 s[22:23], s[6:7], s[10:11]
	s_and_saveexec_b64 s[12:13], s[22:23]
	s_cbranch_execz .LBB166_308
.LBB166_317:
	s_and_b64 vcc, exec, s[0:1]
	s_cbranch_vccnz .LBB166_319
; %bb.318:
	v_lshl_add_u64 v[60:61], v[164:165], 3, v[58:59]
	global_load_dwordx2 v[60:61], v[60:61], off
	s_waitcnt vmcnt(0)
	v_mul_f64 v[60:61], s[14:15], v[60:61]
	v_cvt_f32_f64_e32 v60, v[60:61]
	s_branch .LBB166_320
.LBB166_319:
	v_mov_b32_e32 v60, 0
.LBB166_320:
	v_add_f64 v[62:63], v[22:23], v[54:55]
	v_add_f64 v[64:65], v[20:21], v[52:53]
	v_cvt_f32_f64_e32 v61, v[64:65]
	v_cvt_f32_f64_e32 v62, v[62:63]
	v_min3_f32 v61, v61, v62, v200
	v_add_f64 v[62:63], v[14:15], v[50:51]
	v_add_f64 v[64:65], v[12:13], v[48:49]
	v_cvt_f32_f64_e32 v64, v[64:65]
	v_cvt_f32_f64_e32 v62, v[62:63]
	v_min_f32_e32 v62, v64, v62
	v_min3_f32 v60, v60, v62, v61
	v_cvt_f64_f32_e32 v[60:61], v60
	v_lshl_add_u64 v[62:63], v[164:165], 3, v[56:57]
	global_store_dwordx2 v[62:63], v[60:61], off
	s_or_b64 exec, exec, s[12:13]
	s_and_b64 s[12:13], s[8:9], s[10:11]
	s_and_saveexec_b64 s[10:11], s[12:13]
	s_cbranch_execz .LBB166_325
.LBB166_321:
	s_and_b64 vcc, exec, s[0:1]
	s_cbranch_vccnz .LBB166_323
; %bb.322:
	v_lshl_add_u64 v[58:59], v[166:167], 3, v[58:59]
	global_load_dwordx2 v[58:59], v[58:59], off
	s_waitcnt vmcnt(0)
	v_mul_f64 v[58:59], s[14:15], v[58:59]
	v_cvt_f32_f64_e32 v58, v[58:59]
	s_branch .LBB166_324
.LBB166_323:
	v_mov_b32_e32 v58, 0
.LBB166_324:
	v_add_f64 v[54:55], v[6:7], v[54:55]
	v_add_f64 v[52:53], v[4:5], v[52:53]
	;; [unrolled: 1-line block ×4, first 2 shown]
	v_cvt_f32_f64_e32 v52, v[52:53]
	v_cvt_f32_f64_e32 v53, v[54:55]
	;; [unrolled: 1-line block ×4, first 2 shown]
	v_min3_f32 v52, v52, v53, v198
	v_min_f32_e32 v48, v48, v49
	v_min3_f32 v48, v58, v48, v52
	v_cvt_f64_f32_e32 v[48:49], v48
	v_lshl_add_u64 v[50:51], v[166:167], 3, v[56:57]
	global_store_dwordx2 v[50:51], v[48:49], off
.LBB166_325:
	s_or_b64 exec, exec, s[10:11]
	v_add_u32_e32 v52, 0x70, v172
	v_mad_i64_i32 v[48:49], s[12:13], v52, s21, 0
	v_cmp_gt_i32_e64 s[10:11], s17, v52
	v_lshl_add_u64 v[50:51], v[48:49], 3, s[24:25]
	v_mad_i64_i32 v[48:49], s[12:13], v52, s20, 0
	v_lshl_add_u64 v[48:49], v[48:49], 3, s[18:19]
	s_and_b64 s[22:23], s[2:3], s[10:11]
	s_and_saveexec_b64 s[12:13], s[22:23]
	s_cbranch_execnz .LBB166_329
; %bb.326:
	s_or_b64 exec, exec, s[12:13]
	s_and_b64 s[22:23], s[4:5], s[10:11]
	s_and_saveexec_b64 s[12:13], s[22:23]
	s_cbranch_execnz .LBB166_333
.LBB166_327:
	s_or_b64 exec, exec, s[12:13]
	s_and_b64 s[22:23], s[6:7], s[10:11]
	s_and_saveexec_b64 s[12:13], s[22:23]
	s_cbranch_execnz .LBB166_337
.LBB166_328:
	s_or_b64 exec, exec, s[12:13]
	s_and_b64 s[12:13], s[8:9], s[10:11]
	s_and_saveexec_b64 s[10:11], s[12:13]
	s_cbranch_execnz .LBB166_341
	s_branch .LBB166_345
.LBB166_329:
	s_and_b64 vcc, exec, s[0:1]
	s_cbranch_vccnz .LBB166_331
; %bb.330:
	v_lshl_add_u64 v[52:53], v[160:161], 3, v[50:51]
	global_load_dwordx2 v[52:53], v[52:53], off
	s_waitcnt vmcnt(0)
	v_mul_f64 v[52:53], s[14:15], v[52:53]
	v_cvt_f32_f64_e32 v52, v[52:53]
	s_branch .LBB166_332
.LBB166_331:
	v_mov_b32_e32 v52, 0
.LBB166_332:
	v_add_f64 v[54:55], v[38:39], v[46:47]
	v_add_f64 v[56:57], v[36:37], v[44:45]
	v_cvt_f32_f64_e32 v53, v[56:57]
	v_cvt_f32_f64_e32 v54, v[54:55]
	v_min3_f32 v53, v53, v54, v197
	v_add_f64 v[54:55], v[34:35], v[42:43]
	v_add_f64 v[56:57], v[32:33], v[40:41]
	v_cvt_f32_f64_e32 v56, v[56:57]
	v_cvt_f32_f64_e32 v54, v[54:55]
	v_min_f32_e32 v54, v56, v54
	v_min3_f32 v52, v52, v54, v53
	v_cvt_f64_f32_e32 v[52:53], v52
	v_lshl_add_u64 v[54:55], v[160:161], 3, v[48:49]
	global_store_dwordx2 v[54:55], v[52:53], off
	s_or_b64 exec, exec, s[12:13]
	s_and_b64 s[22:23], s[4:5], s[10:11]
	s_and_saveexec_b64 s[12:13], s[22:23]
	s_cbranch_execz .LBB166_327
.LBB166_333:
	s_and_b64 vcc, exec, s[0:1]
	s_cbranch_vccnz .LBB166_335
; %bb.334:
	v_lshl_add_u64 v[52:53], v[162:163], 3, v[50:51]
	global_load_dwordx2 v[52:53], v[52:53], off
	s_waitcnt vmcnt(0)
	v_mul_f64 v[52:53], s[14:15], v[52:53]
	v_cvt_f32_f64_e32 v52, v[52:53]
	s_branch .LBB166_336
.LBB166_335:
	v_mov_b32_e32 v52, 0
.LBB166_336:
	v_add_f64 v[54:55], v[26:27], v[46:47]
	v_add_f64 v[56:57], v[24:25], v[44:45]
	v_cvt_f32_f64_e32 v53, v[56:57]
	v_cvt_f32_f64_e32 v54, v[54:55]
	v_min3_f32 v53, v53, v54, v196
	v_add_f64 v[54:55], v[30:31], v[42:43]
	v_add_f64 v[56:57], v[28:29], v[40:41]
	v_cvt_f32_f64_e32 v56, v[56:57]
	v_cvt_f32_f64_e32 v54, v[54:55]
	v_min_f32_e32 v54, v56, v54
	v_min3_f32 v52, v52, v54, v53
	v_cvt_f64_f32_e32 v[52:53], v52
	v_lshl_add_u64 v[54:55], v[162:163], 3, v[48:49]
	global_store_dwordx2 v[54:55], v[52:53], off
	s_or_b64 exec, exec, s[12:13]
	s_and_b64 s[22:23], s[6:7], s[10:11]
	s_and_saveexec_b64 s[12:13], s[22:23]
	s_cbranch_execz .LBB166_328
.LBB166_337:
	s_and_b64 vcc, exec, s[0:1]
	s_cbranch_vccnz .LBB166_339
; %bb.338:
	v_lshl_add_u64 v[52:53], v[164:165], 3, v[50:51]
	global_load_dwordx2 v[52:53], v[52:53], off
	s_waitcnt vmcnt(0)
	v_mul_f64 v[52:53], s[14:15], v[52:53]
	v_cvt_f32_f64_e32 v52, v[52:53]
	s_branch .LBB166_340
.LBB166_339:
	v_mov_b32_e32 v52, 0
.LBB166_340:
	v_add_f64 v[54:55], v[22:23], v[46:47]
	v_add_f64 v[56:57], v[20:21], v[44:45]
	v_cvt_f32_f64_e32 v53, v[56:57]
	v_cvt_f32_f64_e32 v54, v[54:55]
	v_min3_f32 v53, v53, v54, v195
	v_add_f64 v[54:55], v[14:15], v[42:43]
	v_add_f64 v[56:57], v[12:13], v[40:41]
	v_cvt_f32_f64_e32 v56, v[56:57]
	v_cvt_f32_f64_e32 v54, v[54:55]
	v_min_f32_e32 v54, v56, v54
	v_min3_f32 v52, v52, v54, v53
	v_cvt_f64_f32_e32 v[52:53], v52
	v_lshl_add_u64 v[54:55], v[164:165], 3, v[48:49]
	global_store_dwordx2 v[54:55], v[52:53], off
	s_or_b64 exec, exec, s[12:13]
	s_and_b64 s[12:13], s[8:9], s[10:11]
	s_and_saveexec_b64 s[10:11], s[12:13]
	s_cbranch_execz .LBB166_345
.LBB166_341:
	s_and_b64 vcc, exec, s[0:1]
	s_cbranch_vccnz .LBB166_343
; %bb.342:
	v_lshl_add_u64 v[50:51], v[166:167], 3, v[50:51]
	global_load_dwordx2 v[50:51], v[50:51], off
	s_waitcnt vmcnt(0)
	v_mul_f64 v[50:51], s[14:15], v[50:51]
	v_cvt_f32_f64_e32 v50, v[50:51]
	s_branch .LBB166_344
.LBB166_343:
	v_mov_b32_e32 v50, 0
.LBB166_344:
	v_add_f64 v[46:47], v[6:7], v[46:47]
	v_add_f64 v[44:45], v[4:5], v[44:45]
	;; [unrolled: 1-line block ×4, first 2 shown]
	v_cvt_f32_f64_e32 v44, v[44:45]
	v_cvt_f32_f64_e32 v45, v[46:47]
	;; [unrolled: 1-line block ×4, first 2 shown]
	v_min3_f32 v44, v44, v45, v192
	v_min_f32_e32 v40, v40, v41
	v_min3_f32 v40, v50, v40, v44
	v_cvt_f64_f32_e32 v[40:41], v40
	v_lshl_add_u64 v[42:43], v[166:167], 3, v[48:49]
	global_store_dwordx2 v[42:43], v[40:41], off
.LBB166_345:
	s_or_b64 exec, exec, s[10:11]
	v_add_u32_e32 v44, 0x78, v172
	v_mad_i64_i32 v[40:41], s[12:13], v44, s21, 0
	v_cmp_gt_i32_e64 s[10:11], s17, v44
	v_lshl_add_u64 v[42:43], v[40:41], 3, s[24:25]
	v_mad_i64_i32 v[40:41], s[12:13], v44, s20, 0
	v_lshl_add_u64 v[40:41], v[40:41], 3, s[18:19]
	s_and_b64 s[12:13], s[2:3], s[10:11]
	s_and_saveexec_b64 s[2:3], s[12:13]
	s_cbranch_execnz .LBB166_350
; %bb.346:
	s_or_b64 exec, exec, s[2:3]
	s_and_b64 s[4:5], s[4:5], s[10:11]
	s_and_saveexec_b64 s[2:3], s[4:5]
	s_cbranch_execnz .LBB166_354
.LBB166_347:
	s_or_b64 exec, exec, s[2:3]
	s_and_b64 s[4:5], s[6:7], s[10:11]
	s_and_saveexec_b64 s[2:3], s[4:5]
	s_cbranch_execnz .LBB166_358
.LBB166_348:
	s_or_b64 exec, exec, s[2:3]
	s_and_b64 s[2:3], s[8:9], s[10:11]
	s_and_saveexec_b64 s[4:5], s[2:3]
	s_cbranch_execnz .LBB166_362
.LBB166_349:
	s_endpgm
.LBB166_350:
	s_and_b64 vcc, exec, s[0:1]
	s_cbranch_vccnz .LBB166_352
; %bb.351:
	v_lshl_add_u64 v[44:45], v[160:161], 3, v[42:43]
	global_load_dwordx2 v[44:45], v[44:45], off
	s_waitcnt vmcnt(0)
	v_mul_f64 v[44:45], s[14:15], v[44:45]
	v_cvt_f32_f64_e32 v44, v[44:45]
	s_branch .LBB166_353
.LBB166_352:
	v_mov_b32_e32 v44, 0
.LBB166_353:
	s_waitcnt lgkmcnt(1)
	v_add_f64 v[38:39], v[38:39], v[18:19]
	v_add_f64 v[36:37], v[36:37], v[16:17]
	s_waitcnt lgkmcnt(0)
	v_add_f64 v[34:35], v[34:35], v[10:11]
	v_add_f64 v[32:33], v[32:33], v[8:9]
	v_cvt_f32_f64_e32 v36, v[36:37]
	v_cvt_f32_f64_e32 v37, v[38:39]
	;; [unrolled: 1-line block ×4, first 2 shown]
	v_min3_f32 v36, v36, v37, v191
	v_min_f32_e32 v32, v32, v33
	v_min3_f32 v32, v44, v32, v36
	v_cvt_f64_f32_e32 v[32:33], v32
	v_lshl_add_u64 v[34:35], v[160:161], 3, v[40:41]
	global_store_dwordx2 v[34:35], v[32:33], off
	s_or_b64 exec, exec, s[2:3]
	s_and_b64 s[4:5], s[4:5], s[10:11]
	s_and_saveexec_b64 s[2:3], s[4:5]
	s_cbranch_execz .LBB166_347
.LBB166_354:
	s_and_b64 vcc, exec, s[0:1]
	s_cbranch_vccnz .LBB166_356
; %bb.355:
	v_lshl_add_u64 v[32:33], v[162:163], 3, v[42:43]
	global_load_dwordx2 v[32:33], v[32:33], off
	s_waitcnt vmcnt(0)
	v_mul_f64 v[32:33], s[14:15], v[32:33]
	v_cvt_f32_f64_e32 v32, v[32:33]
	s_branch .LBB166_357
.LBB166_356:
	v_mov_b32_e32 v32, 0
.LBB166_357:
	s_waitcnt lgkmcnt(1)
	v_add_f64 v[26:27], v[26:27], v[18:19]
	v_add_f64 v[24:25], v[24:25], v[16:17]
	v_cvt_f32_f64_e32 v24, v[24:25]
	v_cvt_f32_f64_e32 v25, v[26:27]
	v_min3_f32 v33, v24, v25, v182
	s_waitcnt lgkmcnt(0)
	v_add_f64 v[24:25], v[30:31], v[10:11]
	v_add_f64 v[26:27], v[28:29], v[8:9]
	v_cvt_f32_f64_e32 v26, v[26:27]
	v_cvt_f32_f64_e32 v24, v[24:25]
	v_min_f32_e32 v24, v26, v24
	v_min3_f32 v24, v32, v24, v33
	v_cvt_f64_f32_e32 v[24:25], v24
	v_lshl_add_u64 v[26:27], v[162:163], 3, v[40:41]
	global_store_dwordx2 v[26:27], v[24:25], off
	s_or_b64 exec, exec, s[2:3]
	s_and_b64 s[4:5], s[6:7], s[10:11]
	s_and_saveexec_b64 s[2:3], s[4:5]
	s_cbranch_execz .LBB166_348
.LBB166_358:
	s_and_b64 vcc, exec, s[0:1]
	s_cbranch_vccnz .LBB166_360
; %bb.359:
	v_lshl_add_u64 v[24:25], v[164:165], 3, v[42:43]
	global_load_dwordx2 v[24:25], v[24:25], off
	s_waitcnt vmcnt(0)
	v_mul_f64 v[24:25], s[14:15], v[24:25]
	v_cvt_f32_f64_e32 v24, v[24:25]
	s_branch .LBB166_361
.LBB166_360:
	v_mov_b32_e32 v24, 0
.LBB166_361:
	s_waitcnt lgkmcnt(1)
	v_add_f64 v[22:23], v[22:23], v[18:19]
	v_add_f64 v[20:21], v[20:21], v[16:17]
	s_waitcnt lgkmcnt(0)
	v_add_f64 v[14:15], v[14:15], v[10:11]
	v_add_f64 v[12:13], v[12:13], v[8:9]
	v_cvt_f32_f64_e32 v20, v[20:21]
	v_cvt_f32_f64_e32 v21, v[22:23]
	;; [unrolled: 1-line block ×4, first 2 shown]
	v_min3_f32 v20, v20, v21, v181
	v_min_f32_e32 v12, v12, v13
	v_min3_f32 v12, v24, v12, v20
	v_cvt_f64_f32_e32 v[12:13], v12
	v_lshl_add_u64 v[14:15], v[164:165], 3, v[40:41]
	global_store_dwordx2 v[14:15], v[12:13], off
	s_or_b64 exec, exec, s[2:3]
	s_and_b64 s[2:3], s[8:9], s[10:11]
	s_and_saveexec_b64 s[4:5], s[2:3]
	s_cbranch_execz .LBB166_349
.LBB166_362:
	s_and_b64 vcc, exec, s[0:1]
	s_cbranch_vccnz .LBB166_364
; %bb.363:
	v_lshl_add_u64 v[12:13], v[166:167], 3, v[42:43]
	global_load_dwordx2 v[12:13], v[12:13], off
	s_waitcnt vmcnt(0)
	v_mul_f64 v[12:13], s[14:15], v[12:13]
	v_cvt_f32_f64_e32 v12, v[12:13]
	s_branch .LBB166_365
.LBB166_364:
	v_mov_b32_e32 v12, 0
.LBB166_365:
	s_waitcnt lgkmcnt(1)
	v_add_f64 v[6:7], v[6:7], v[18:19]
	v_add_f64 v[4:5], v[4:5], v[16:17]
	s_waitcnt lgkmcnt(0)
	v_add_f64 v[2:3], v[2:3], v[10:11]
	v_add_f64 v[0:1], v[0:1], v[8:9]
	v_cvt_f32_f64_e32 v4, v[4:5]
	v_cvt_f32_f64_e32 v5, v[6:7]
	;; [unrolled: 1-line block ×4, first 2 shown]
	v_min3_f32 v4, v4, v5, v180
	v_min_f32_e32 v0, v0, v1
	v_min3_f32 v0, v12, v0, v4
	v_cvt_f64_f32_e32 v[0:1], v0
	v_lshl_add_u64 v[2:3], v[166:167], 3, v[40:41]
	global_store_dwordx2 v[2:3], v[0:1], off
	s_endpgm
	.section	.rodata,"a",@progbits
	.p2align	6, 0x0
	.amdhsa_kernel _ZN12_GLOBAL__N_120geam_min_plus_kernelId15HIP_vector_typeIdLj2EEdLi32ELi8ELi128ELi128ELi4ELi4ELi64ELi4ELi64ELc84ELc78ELb1ELb1ELb1EdKddEEviiiT16_PT17_ilS6_ilS4_S6_ilPT18_ili26rocblas_geam_ex_operation_
		.amdhsa_group_segment_fixed_size 16384
		.amdhsa_private_segment_fixed_size 0
		.amdhsa_kernarg_size 136
		.amdhsa_user_sgpr_count 2
		.amdhsa_user_sgpr_dispatch_ptr 0
		.amdhsa_user_sgpr_queue_ptr 0
		.amdhsa_user_sgpr_kernarg_segment_ptr 1
		.amdhsa_user_sgpr_dispatch_id 0
		.amdhsa_user_sgpr_kernarg_preload_length 0
		.amdhsa_user_sgpr_kernarg_preload_offset 0
		.amdhsa_user_sgpr_private_segment_size 0
		.amdhsa_uses_dynamic_stack 0
		.amdhsa_enable_private_segment 0
		.amdhsa_system_sgpr_workgroup_id_x 1
		.amdhsa_system_sgpr_workgroup_id_y 0
		.amdhsa_system_sgpr_workgroup_id_z 1
		.amdhsa_system_sgpr_workgroup_info 0
		.amdhsa_system_vgpr_workitem_id 1
		.amdhsa_next_free_vgpr 262
		.amdhsa_next_free_sgpr 36
		.amdhsa_accum_offset 256
		.amdhsa_reserve_vcc 1
		.amdhsa_float_round_mode_32 0
		.amdhsa_float_round_mode_16_64 0
		.amdhsa_float_denorm_mode_32 3
		.amdhsa_float_denorm_mode_16_64 3
		.amdhsa_dx10_clamp 1
		.amdhsa_ieee_mode 1
		.amdhsa_fp16_overflow 0
		.amdhsa_tg_split 0
		.amdhsa_exception_fp_ieee_invalid_op 0
		.amdhsa_exception_fp_denorm_src 0
		.amdhsa_exception_fp_ieee_div_zero 0
		.amdhsa_exception_fp_ieee_overflow 0
		.amdhsa_exception_fp_ieee_underflow 0
		.amdhsa_exception_fp_ieee_inexact 0
		.amdhsa_exception_int_div_zero 0
	.end_amdhsa_kernel
	.section	.text._ZN12_GLOBAL__N_120geam_min_plus_kernelId15HIP_vector_typeIdLj2EEdLi32ELi8ELi128ELi128ELi4ELi4ELi64ELi4ELi64ELc84ELc78ELb1ELb1ELb1EdKddEEviiiT16_PT17_ilS6_ilS4_S6_ilPT18_ili26rocblas_geam_ex_operation_,"axG",@progbits,_ZN12_GLOBAL__N_120geam_min_plus_kernelId15HIP_vector_typeIdLj2EEdLi32ELi8ELi128ELi128ELi4ELi4ELi64ELi4ELi64ELc84ELc78ELb1ELb1ELb1EdKddEEviiiT16_PT17_ilS6_ilS4_S6_ilPT18_ili26rocblas_geam_ex_operation_,comdat
.Lfunc_end166:
	.size	_ZN12_GLOBAL__N_120geam_min_plus_kernelId15HIP_vector_typeIdLj2EEdLi32ELi8ELi128ELi128ELi4ELi4ELi64ELi4ELi64ELc84ELc78ELb1ELb1ELb1EdKddEEviiiT16_PT17_ilS6_ilS4_S6_ilPT18_ili26rocblas_geam_ex_operation_, .Lfunc_end166-_ZN12_GLOBAL__N_120geam_min_plus_kernelId15HIP_vector_typeIdLj2EEdLi32ELi8ELi128ELi128ELi4ELi4ELi64ELi4ELi64ELc84ELc78ELb1ELb1ELb1EdKddEEviiiT16_PT17_ilS6_ilS4_S6_ilPT18_ili26rocblas_geam_ex_operation_
                                        ; -- End function
	.set _ZN12_GLOBAL__N_120geam_min_plus_kernelId15HIP_vector_typeIdLj2EEdLi32ELi8ELi128ELi128ELi4ELi4ELi64ELi4ELi64ELc84ELc78ELb1ELb1ELb1EdKddEEviiiT16_PT17_ilS6_ilS4_S6_ilPT18_ili26rocblas_geam_ex_operation_.num_vgpr, 256
	.set _ZN12_GLOBAL__N_120geam_min_plus_kernelId15HIP_vector_typeIdLj2EEdLi32ELi8ELi128ELi128ELi4ELi4ELi64ELi4ELi64ELc84ELc78ELb1ELb1ELb1EdKddEEviiiT16_PT17_ilS6_ilS4_S6_ilPT18_ili26rocblas_geam_ex_operation_.num_agpr, 6
	.set _ZN12_GLOBAL__N_120geam_min_plus_kernelId15HIP_vector_typeIdLj2EEdLi32ELi8ELi128ELi128ELi4ELi4ELi64ELi4ELi64ELc84ELc78ELb1ELb1ELb1EdKddEEviiiT16_PT17_ilS6_ilS4_S6_ilPT18_ili26rocblas_geam_ex_operation_.numbered_sgpr, 36
	.set _ZN12_GLOBAL__N_120geam_min_plus_kernelId15HIP_vector_typeIdLj2EEdLi32ELi8ELi128ELi128ELi4ELi4ELi64ELi4ELi64ELc84ELc78ELb1ELb1ELb1EdKddEEviiiT16_PT17_ilS6_ilS4_S6_ilPT18_ili26rocblas_geam_ex_operation_.num_named_barrier, 0
	.set _ZN12_GLOBAL__N_120geam_min_plus_kernelId15HIP_vector_typeIdLj2EEdLi32ELi8ELi128ELi128ELi4ELi4ELi64ELi4ELi64ELc84ELc78ELb1ELb1ELb1EdKddEEviiiT16_PT17_ilS6_ilS4_S6_ilPT18_ili26rocblas_geam_ex_operation_.private_seg_size, 0
	.set _ZN12_GLOBAL__N_120geam_min_plus_kernelId15HIP_vector_typeIdLj2EEdLi32ELi8ELi128ELi128ELi4ELi4ELi64ELi4ELi64ELc84ELc78ELb1ELb1ELb1EdKddEEviiiT16_PT17_ilS6_ilS4_S6_ilPT18_ili26rocblas_geam_ex_operation_.uses_vcc, 1
	.set _ZN12_GLOBAL__N_120geam_min_plus_kernelId15HIP_vector_typeIdLj2EEdLi32ELi8ELi128ELi128ELi4ELi4ELi64ELi4ELi64ELc84ELc78ELb1ELb1ELb1EdKddEEviiiT16_PT17_ilS6_ilS4_S6_ilPT18_ili26rocblas_geam_ex_operation_.uses_flat_scratch, 0
	.set _ZN12_GLOBAL__N_120geam_min_plus_kernelId15HIP_vector_typeIdLj2EEdLi32ELi8ELi128ELi128ELi4ELi4ELi64ELi4ELi64ELc84ELc78ELb1ELb1ELb1EdKddEEviiiT16_PT17_ilS6_ilS4_S6_ilPT18_ili26rocblas_geam_ex_operation_.has_dyn_sized_stack, 0
	.set _ZN12_GLOBAL__N_120geam_min_plus_kernelId15HIP_vector_typeIdLj2EEdLi32ELi8ELi128ELi128ELi4ELi4ELi64ELi4ELi64ELc84ELc78ELb1ELb1ELb1EdKddEEviiiT16_PT17_ilS6_ilS4_S6_ilPT18_ili26rocblas_geam_ex_operation_.has_recursion, 0
	.set _ZN12_GLOBAL__N_120geam_min_plus_kernelId15HIP_vector_typeIdLj2EEdLi32ELi8ELi128ELi128ELi4ELi4ELi64ELi4ELi64ELc84ELc78ELb1ELb1ELb1EdKddEEviiiT16_PT17_ilS6_ilS4_S6_ilPT18_ili26rocblas_geam_ex_operation_.has_indirect_call, 0
	.section	.AMDGPU.csdata,"",@progbits
; Kernel info:
; codeLenInByte = 26852
; TotalNumSgprs: 42
; NumVgprs: 256
; NumAgprs: 6
; TotalNumVgprs: 262
; ScratchSize: 0
; MemoryBound: 0
; FloatMode: 240
; IeeeMode: 1
; LDSByteSize: 16384 bytes/workgroup (compile time only)
; SGPRBlocks: 5
; VGPRBlocks: 32
; NumSGPRsForWavesPerEU: 42
; NumVGPRsForWavesPerEU: 262
; AccumOffset: 256
; Occupancy: 1
; WaveLimiterHint : 0
; COMPUTE_PGM_RSRC2:SCRATCH_EN: 0
; COMPUTE_PGM_RSRC2:USER_SGPR: 2
; COMPUTE_PGM_RSRC2:TRAP_HANDLER: 0
; COMPUTE_PGM_RSRC2:TGID_X_EN: 1
; COMPUTE_PGM_RSRC2:TGID_Y_EN: 0
; COMPUTE_PGM_RSRC2:TGID_Z_EN: 1
; COMPUTE_PGM_RSRC2:TIDIG_COMP_CNT: 1
; COMPUTE_PGM_RSRC3_GFX90A:ACCUM_OFFSET: 63
; COMPUTE_PGM_RSRC3_GFX90A:TG_SPLIT: 0
	.section	.text._ZN12_GLOBAL__N_120geam_min_plus_kernelId15HIP_vector_typeIdLj2EEdLi32ELi8ELi128ELi128ELi4ELi4ELi64ELi4ELi64ELc84ELc78ELb0ELb1ELb1EdKddEEviiiT16_PT17_ilS6_ilS4_S6_ilPT18_ili26rocblas_geam_ex_operation_,"axG",@progbits,_ZN12_GLOBAL__N_120geam_min_plus_kernelId15HIP_vector_typeIdLj2EEdLi32ELi8ELi128ELi128ELi4ELi4ELi64ELi4ELi64ELc84ELc78ELb0ELb1ELb1EdKddEEviiiT16_PT17_ilS6_ilS4_S6_ilPT18_ili26rocblas_geam_ex_operation_,comdat
	.globl	_ZN12_GLOBAL__N_120geam_min_plus_kernelId15HIP_vector_typeIdLj2EEdLi32ELi8ELi128ELi128ELi4ELi4ELi64ELi4ELi64ELc84ELc78ELb0ELb1ELb1EdKddEEviiiT16_PT17_ilS6_ilS4_S6_ilPT18_ili26rocblas_geam_ex_operation_ ; -- Begin function _ZN12_GLOBAL__N_120geam_min_plus_kernelId15HIP_vector_typeIdLj2EEdLi32ELi8ELi128ELi128ELi4ELi4ELi64ELi4ELi64ELc84ELc78ELb0ELb1ELb1EdKddEEviiiT16_PT17_ilS6_ilS4_S6_ilPT18_ili26rocblas_geam_ex_operation_
	.p2align	8
	.type	_ZN12_GLOBAL__N_120geam_min_plus_kernelId15HIP_vector_typeIdLj2EEdLi32ELi8ELi128ELi128ELi4ELi4ELi64ELi4ELi64ELc84ELc78ELb0ELb1ELb1EdKddEEviiiT16_PT17_ilS6_ilS4_S6_ilPT18_ili26rocblas_geam_ex_operation_,@function
_ZN12_GLOBAL__N_120geam_min_plus_kernelId15HIP_vector_typeIdLj2EEdLi32ELi8ELi128ELi128ELi4ELi4ELi64ELi4ELi64ELc84ELc78ELb0ELb1ELb1EdKddEEviiiT16_PT17_ilS6_ilS4_S6_ilPT18_ili26rocblas_geam_ex_operation_: ; @_ZN12_GLOBAL__N_120geam_min_plus_kernelId15HIP_vector_typeIdLj2EEdLi32ELi8ELi128ELi128ELi4ELi4ELi64ELi4ELi64ELc84ELc78ELb0ELb1ELb1EdKddEEviiiT16_PT17_ilS6_ilS4_S6_ilPT18_ili26rocblas_geam_ex_operation_
; %bb.0:
	s_load_dwordx4 s[24:27], s[0:1], 0x10
	s_load_dwordx4 s[4:7], s[0:1], 0x28
	s_mov_b64 s[30:31], 0
	s_waitcnt lgkmcnt(0)
	v_cmp_eq_f64_e64 s[8:9], s[24:25], 0
	s_and_b64 vcc, exec, s[8:9]
	s_cbranch_vccnz .LBB167_2
; %bb.1:
	s_mul_i32 s5, s5, s3
	s_mul_hi_u32 s10, s4, s3
	s_add_i32 s5, s10, s5
	s_mul_i32 s4, s4, s3
	s_lshl_b64 s[4:5], s[4:5], 3
	s_add_u32 s30, s26, s4
	s_addc_u32 s31, s27, s5
.LBB167_2:
	s_load_dwordx4 s[12:15], s[0:1], 0x40
	s_load_dwordx2 s[4:5], s[0:1], 0x50
	s_andn2_b64 vcc, exec, s[8:9]
	s_mov_b64 s[8:9], -1
	s_cbranch_vccnz .LBB167_4
; %bb.3:
	s_mov_b64 s[8:9], 0
.LBB167_4:
	s_mov_b64 s[26:27], 0
	s_andn2_b64 vcc, exec, s[8:9]
	s_mov_b64 s[34:35], 0
	s_cbranch_vccnz .LBB167_6
; %bb.5:
	s_waitcnt lgkmcnt(0)
	s_mul_i32 s8, s13, s3
	s_mul_hi_u32 s9, s12, s3
	s_add_i32 s9, s9, s8
	s_mul_i32 s8, s12, s3
	s_lshl_b64 s[8:9], s[8:9], 3
	s_add_u32 s34, s6, s8
	s_addc_u32 s35, s7, s9
.LBB167_6:
	s_load_dwordx4 s[20:23], s[0:1], 0x60
	s_waitcnt lgkmcnt(0)
	v_cmp_eq_f64_e64 s[6:7], s[14:15], 0
	v_cmp_neq_f64_e64 s[28:29], s[14:15], 0
	s_and_b64 vcc, exec, s[6:7]
	s_cbranch_vccnz .LBB167_8
; %bb.7:
	s_mul_i32 s6, s21, s3
	s_mul_hi_u32 s7, s20, s3
	s_add_i32 s7, s7, s6
	s_mul_i32 s6, s20, s3
	s_lshl_b64 s[6:7], s[6:7], 3
	s_add_u32 s26, s4, s6
	s_addc_u32 s27, s5, s7
.LBB167_8:
	s_load_dwordx4 s[16:19], s[0:1], 0x0
	s_load_dword s36, s[0:1], 0x20
	v_and_b32_e32 v182, 0x3ff, v0
	v_bfe_u32 v183, v0, 10, 10
	v_and_b32_e32 v190, 3, v0
	s_waitcnt lgkmcnt(0)
	s_add_i32 s4, s16, -1
	s_ashr_i32 s5, s4, 31
	s_lshr_b32 s5, s5, 25
	s_add_i32 s4, s4, s5
	s_ashr_i32 s4, s4, 7
	s_add_i32 s5, s4, 1
	v_cvt_f32_u32_e32 v1, s5
	s_not_b32 s4, s4
	v_lshl_add_u32 v0, v183, 5, v182
	v_lshrrev_b32_e32 v12, 2, v0
	v_rcp_iflag_f32_e32 v1, v1
	v_cmp_le_i32_e64 s[8:9], s18, v190
	v_cmp_eq_f64_e64 s[20:21], s[24:25], 0
	v_mov_b32_e32 v2, 0x7fefffff
	v_mul_f32_e32 v1, 0x4f7ffffe, v1
	v_cvt_u32_f32_e32 v1, v1
	s_nop 0
	v_readfirstlane_b32 s6, v1
	s_mul_i32 s4, s4, s6
	s_mul_hi_u32 s4, s6, s4
	s_add_i32 s6, s6, s4
	s_mul_hi_u32 s4, s2, s6
	s_mul_i32 s6, s4, s5
	s_sub_i32 s6, s2, s6
	s_add_i32 s7, s4, 1
	s_sub_i32 s10, s6, s5
	s_cmp_ge_u32 s6, s5
	s_cselect_b32 s4, s7, s4
	s_cselect_b32 s6, s10, s6
	s_add_i32 s7, s4, 1
	s_cmp_ge_u32 s6, s5
	s_cselect_b32 s6, s7, s4
	s_mul_i32 s4, s6, s5
	s_sub_i32 s2, s2, s4
	s_lshl_b32 s2, s2, 7
	s_add_i32 s33, s18, -1
	v_add_u32_e32 v108, s2, v12
	v_min_i32_e32 v4, s33, v190
	v_cmp_le_i32_e32 vcc, s16, v108
	v_ashrrev_i32_e32 v5, 31, v4
	s_or_b64 s[4:5], s[8:9], vcc
	v_lshl_add_u64 v[6:7], v[4:5], 3, s[30:31]
	v_cndmask_b32_e64 v1, 0, v2, s[4:5]
	s_nor_b64 s[10:11], s[20:21], s[4:5]
	v_cndmask_b32_e64 v0, 0, -1, s[4:5]
	s_and_saveexec_b64 s[4:5], s[10:11]
	s_cbranch_execz .LBB167_10
; %bb.9:
	v_mad_i64_i32 v[0:1], s[10:11], v108, s36, 0
	v_lshl_add_u64 v[0:1], v[0:1], 3, v[6:7]
	global_load_dwordx2 v[0:1], v[0:1], off
	s_waitcnt vmcnt(0)
	v_mul_f64 v[0:1], s[24:25], v[0:1]
.LBB167_10:
	s_or_b64 exec, exec, s[4:5]
	v_add_u32_e32 v109, 64, v108
	v_cmp_le_i32_e64 s[10:11], s16, v109
	s_or_b64 s[4:5], s[8:9], s[10:11]
	v_cndmask_b32_e64 v3, 0, v2, s[4:5]
	s_nor_b64 s[12:13], s[20:21], s[4:5]
	v_cndmask_b32_e64 v2, 0, -1, s[4:5]
	s_and_saveexec_b64 s[4:5], s[12:13]
	s_cbranch_execz .LBB167_12
; %bb.11:
	v_mad_i64_i32 v[2:3], s[12:13], v109, s36, 0
	v_lshl_add_u64 v[2:3], v[2:3], 3, v[6:7]
	global_load_dwordx2 v[2:3], v[2:3], off
	s_waitcnt vmcnt(0)
	v_mul_f64 v[2:3], s[24:25], v[2:3]
.LBB167_12:
	s_or_b64 exec, exec, s[4:5]
	s_load_dword s38, s[0:1], 0x38
	s_lshl_b32 s19, s6, 7
	v_add_u32_e32 v110, s19, v12
	v_cmp_le_i32_e64 s[4:5], s17, v110
	v_mov_b32_e32 v6, 0x7fefffff
	s_or_b64 s[6:7], s[8:9], s[4:5]
	v_lshl_add_u64 v[8:9], v[4:5], 3, s[34:35]
	v_cndmask_b32_e64 v5, 0, v6, s[6:7]
	s_nor_b64 s[12:13], s[20:21], s[6:7]
	v_cndmask_b32_e64 v4, 0, -1, s[6:7]
	s_and_saveexec_b64 s[6:7], s[12:13]
	s_cbranch_execz .LBB167_14
; %bb.13:
	s_waitcnt lgkmcnt(0)
	v_mad_i64_i32 v[4:5], s[12:13], v110, s38, 0
	v_lshl_add_u64 v[4:5], v[4:5], 3, v[8:9]
	global_load_dwordx2 v[4:5], v[4:5], off
	s_waitcnt vmcnt(0)
	v_mul_f64 v[4:5], s[24:25], v[4:5]
.LBB167_14:
	s_or_b64 exec, exec, s[6:7]
	v_add_u32_e32 v111, 64, v110
	v_cmp_le_i32_e64 s[6:7], s17, v111
	s_or_b64 s[8:9], s[8:9], s[6:7]
	v_cndmask_b32_e64 v7, 0, v6, s[8:9]
	s_nor_b64 s[12:13], s[20:21], s[8:9]
	v_cndmask_b32_e64 v6, 0, -1, s[8:9]
	s_and_saveexec_b64 s[8:9], s[12:13]
	s_cbranch_execz .LBB167_16
; %bb.15:
	s_waitcnt lgkmcnt(0)
	v_mad_i64_i32 v[6:7], s[12:13], v111, s38, 0
	v_lshl_add_u64 v[6:7], v[6:7], 3, v[8:9]
	global_load_dwordx2 v[6:7], v[6:7], off
	s_waitcnt vmcnt(0)
	v_mul_f64 v[6:7], s[24:25], v[6:7]
.LBB167_16:
	s_or_b64 exec, exec, s[8:9]
	v_or_b32_e32 v8, 4, v190
	v_cmp_le_i32_e64 s[8:9], s18, v8
	v_min_i32_e32 v8, s33, v8
	v_ashrrev_i32_e32 v9, 31, v8
	v_mov_b32_e32 v13, 0x7fefffff
	s_or_b64 s[12:13], s[8:9], vcc
	v_lshl_add_u64 v[10:11], v[8:9], 3, s[30:31]
	v_cndmask_b32_e64 v101, 0, v13, s[12:13]
	s_nor_b64 s[40:41], s[20:21], s[12:13]
	v_cndmask_b32_e64 v100, 0, -1, s[12:13]
	s_and_saveexec_b64 s[12:13], s[40:41]
	s_cbranch_execz .LBB167_18
; %bb.17:
	v_mad_i64_i32 v[14:15], s[40:41], v108, s36, 0
	v_lshl_add_u64 v[14:15], v[14:15], 3, v[10:11]
	global_load_dwordx2 v[14:15], v[14:15], off
	s_waitcnt vmcnt(0)
	v_mul_f64 v[100:101], s[24:25], v[14:15]
.LBB167_18:
	s_or_b64 exec, exec, s[12:13]
	s_or_b64 s[12:13], s[8:9], s[10:11]
	v_cndmask_b32_e64 v103, 0, v13, s[12:13]
	s_nor_b64 s[40:41], s[20:21], s[12:13]
	v_cndmask_b32_e64 v102, 0, -1, s[12:13]
	s_and_saveexec_b64 s[12:13], s[40:41]
	s_cbranch_execz .LBB167_20
; %bb.19:
	v_mad_i64_i32 v[14:15], s[40:41], v109, s36, 0
	v_lshl_add_u64 v[10:11], v[14:15], 3, v[10:11]
	global_load_dwordx2 v[10:11], v[10:11], off
	s_waitcnt vmcnt(0)
	v_mul_f64 v[102:103], s[24:25], v[10:11]
.LBB167_20:
	s_or_b64 exec, exec, s[12:13]
	v_mov_b32_e32 v10, 0x7fefffff
	s_or_b64 s[12:13], s[8:9], s[4:5]
	v_lshl_add_u64 v[8:9], v[8:9], 3, s[34:35]
	v_cndmask_b32_e64 v105, 0, v10, s[12:13]
	s_nor_b64 s[40:41], s[20:21], s[12:13]
	v_cndmask_b32_e64 v104, 0, -1, s[12:13]
	s_and_saveexec_b64 s[12:13], s[40:41]
	s_cbranch_execz .LBB167_22
; %bb.21:
	s_waitcnt lgkmcnt(0)
	v_mad_i64_i32 v[14:15], s[40:41], v110, s38, 0
	v_lshl_add_u64 v[14:15], v[14:15], 3, v[8:9]
	global_load_dwordx2 v[14:15], v[14:15], off
	s_waitcnt vmcnt(0)
	v_mul_f64 v[104:105], s[24:25], v[14:15]
.LBB167_22:
	s_or_b64 exec, exec, s[12:13]
	s_or_b64 s[8:9], s[8:9], s[6:7]
	v_cndmask_b32_e64 v107, 0, v10, s[8:9]
	s_nor_b64 s[12:13], s[20:21], s[8:9]
	v_cndmask_b32_e64 v106, 0, -1, s[8:9]
	s_and_saveexec_b64 s[8:9], s[12:13]
	s_cbranch_execz .LBB167_24
; %bb.23:
	s_waitcnt lgkmcnt(0)
	v_mad_i64_i32 v[10:11], s[12:13], v111, s38, 0
	v_lshl_add_u64 v[8:9], v[10:11], 3, v[8:9]
	global_load_dwordx2 v[8:9], v[8:9], off
	s_waitcnt vmcnt(0)
	v_mul_f64 v[106:107], s[24:25], v[8:9]
.LBB167_24:
	s_or_b64 exec, exec, s[8:9]
	v_lshlrev_b32_e32 v8, 5, v12
	v_lshl_or_b32 v197, v190, 3, v8
	v_lshlrev_b32_e32 v192, 5, v182
	ds_write2st64_b64 v197, v[0:1], v[2:3] offset1:4
	ds_write2st64_b64 v197, v[4:5], v[6:7] offset0:16 offset1:20
	s_waitcnt lgkmcnt(0)
	s_barrier
	v_lshlrev_b32_e32 v189, 5, v183
	ds_read_b128 v[16:19], v192 offset:1024
	ds_read_b128 v[12:15], v192 offset:2048
	;; [unrolled: 1-line block ×16, first 2 shown]
	ds_read_b128 v[24:27], v192
	ds_read_b128 v[96:99], v189 offset:8192
	ds_read_b128 v[28:31], v189 offset:11776
	;; [unrolled: 1-line block ×5, first 2 shown]
	s_waitcnt lgkmcnt(5)
	v_add_f64 v[114:115], v[26:27], v[94:95]
	v_add_f64 v[116:117], v[24:25], v[92:93]
	s_mov_b32 s8, 0x7f800000
	v_cvt_f32_f64_e32 v113, v[116:117]
	v_cvt_f32_f64_e32 v114, v[114:115]
	v_min3_f32 v172, v113, v114, s8
	v_add_f64 v[114:115], v[18:19], v[94:95]
	v_add_f64 v[116:117], v[16:17], v[92:93]
	v_cvt_f32_f64_e32 v113, v[116:117]
	v_cvt_f32_f64_e32 v114, v[114:115]
	v_min3_f32 v173, v113, v114, s8
	v_add_f64 v[114:115], v[14:15], v[94:95]
	v_add_f64 v[116:117], v[12:13], v[92:93]
	;; [unrolled: 5-line block ×36, first 2 shown]
	s_waitcnt lgkmcnt(4)
	v_add_f64 v[48:49], v[26:27], v[98:99]
	v_add_f64 v[50:51], v[24:25], v[96:97]
	v_cvt_f32_f64_e32 v113, v[116:117]
	v_cvt_f32_f64_e32 v114, v[114:115]
	;; [unrolled: 1-line block ×4, first 2 shown]
	v_min3_f32 v122, v113, v114, s8
	v_add_f64 v[114:115], v[18:19], v[34:35]
	v_add_f64 v[116:117], v[16:17], v[32:33]
	v_min3_f32 v112, v50, v48, s8
	v_add_f64 v[48:49], v[18:19], v[98:99]
	v_add_f64 v[50:51], v[16:17], v[96:97]
	v_cvt_f32_f64_e32 v113, v[116:117]
	v_cvt_f32_f64_e32 v114, v[114:115]
	;; [unrolled: 1-line block ×4, first 2 shown]
	v_min3_f32 v120, v113, v114, s8
	v_add_f64 v[114:115], v[14:15], v[34:35]
	v_add_f64 v[116:117], v[12:13], v[32:33]
	ds_read_b128 v[52:55], v192 offset:1040
	v_min3_f32 v165, v50, v48, s8
	v_add_f64 v[48:49], v[14:15], v[98:99]
	v_add_f64 v[50:51], v[12:13], v[96:97]
	v_cvt_f32_f64_e32 v113, v[116:117]
	v_cvt_f32_f64_e32 v114, v[114:115]
	s_waitcnt lgkmcnt(4)
	v_add_f64 v[166:167], v[26:27], v[30:31]
	v_add_f64 v[168:169], v[24:25], v[28:29]
	v_cvt_f32_f64_e32 v50, v[50:51]
	v_cvt_f32_f64_e32 v48, v[48:49]
	v_min3_f32 v117, v113, v114, s8
	v_cvt_f32_f64_e32 v113, v[168:169]
	v_cvt_f32_f64_e32 v114, v[166:167]
	v_add_f64 v[166:167], v[18:19], v[30:31]
	v_add_f64 v[168:169], v[16:17], v[28:29]
	ds_read_b128 v[56:59], v192 offset:2064
	v_min3_f32 v170, v50, v48, s8
	ds_read_b128 v[48:51], v192 offset:3088
	v_add_f64 v[98:99], v[10:11], v[98:99]
	v_add_f64 v[96:97], v[8:9], v[96:97]
	;; [unrolled: 1-line block ×28, first 2 shown]
	v_min3_f32 v118, v113, v114, s8
	v_cvt_f32_f64_e32 v113, v[168:169]
	v_cvt_f32_f64_e32 v114, v[166:167]
	v_add_f64 v[166:167], v[14:15], v[30:31]
	v_add_f64 v[168:169], v[12:13], v[28:29]
	;; [unrolled: 1-line block ×4, first 2 shown]
	s_waitcnt lgkmcnt(5)
	v_add_f64 v[14:15], v[14:15], v[22:23]
	v_add_f64 v[12:13], v[12:13], v[20:21]
	;; [unrolled: 1-line block ×4, first 2 shown]
	v_cvt_f32_f64_e32 v96, v[96:97]
	v_cvt_f32_f64_e32 v97, v[98:99]
	;; [unrolled: 1-line block ×6, first 2 shown]
	s_waitcnt lgkmcnt(3)
	v_add_f64 v[10:11], v[2:3], v[6:7]
	v_add_f64 v[14:15], v[0:1], v[4:5]
	v_min3_f32 v171, v96, v97, s8
	ds_read_b128 v[96:99], v189 offset:8464
	v_min3_f32 v116, v113, v114, s8
	v_cvt_f32_f64_e32 v113, v[168:169]
	v_cvt_f32_f64_e32 v114, v[166:167]
	;; [unrolled: 1-line block ×4, first 2 shown]
	v_min3_f32 v8, v8, v9, s8
	v_cvt_f32_f64_e32 v9, v[14:15]
	v_cvt_f32_f64_e32 v10, v[10:11]
	v_min3_f32 v114, v113, v114, s8
	v_min3_f32 v113, v28, v29, s8
	ds_read_b128 v[28:31], v189 offset:12048
	v_min3_f32 v252, v9, v10, v112
	s_waitcnt lgkmcnt(4)
	v_add_f64 v[10:11], v[54:55], v[6:7]
	v_add_f64 v[14:15], v[52:53], v[4:5]
	v_cvt_f32_f64_e32 v9, v[14:15]
	v_cvt_f32_f64_e32 v10, v[10:11]
	v_min3_f32 v251, v9, v10, v165
	s_waitcnt lgkmcnt(3)
	v_add_f64 v[10:11], v[58:59], v[6:7]
	v_add_f64 v[14:15], v[56:57], v[4:5]
	s_waitcnt lgkmcnt(2)
	v_add_f64 v[6:7], v[50:51], v[6:7]
	v_add_f64 v[4:5], v[48:49], v[4:5]
	v_cvt_f32_f64_e32 v92, v[92:93]
	v_cvt_f32_f64_e32 v93, v[94:95]
	v_cvt_f32_f64_e32 v4, v[4:5]
	v_cvt_f32_f64_e32 v5, v[6:7]
	v_min3_f32 v163, v92, v93, s8
	ds_read_b128 v[92:95], v189 offset:8720
	v_min3_f32 v249, v4, v5, v171
	s_waitcnt lgkmcnt(2)
	v_add_f64 v[4:5], v[2:3], v[98:99]
	v_add_f64 v[6:7], v[0:1], v[96:97]
	v_cvt_f32_f64_e32 v6, v[6:7]
	v_cvt_f32_f64_e32 v4, v[4:5]
	v_min3_f32 v248, v6, v4, v172
	v_add_f64 v[4:5], v[54:55], v[98:99]
	v_add_f64 v[6:7], v[52:53], v[96:97]
	v_cvt_f32_f64_e32 v6, v[6:7]
	v_cvt_f32_f64_e32 v4, v[4:5]
	v_min3_f32 v242, v6, v4, v173
	v_add_f64 v[4:5], v[58:59], v[98:99]
	v_add_f64 v[6:7], v[56:57], v[96:97]
	v_cvt_f32_f64_e32 v6, v[6:7]
	v_cvt_f32_f64_e32 v4, v[4:5]
	v_min3_f32 v241, v6, v4, v174
	v_add_f64 v[4:5], v[50:51], v[98:99]
	v_add_f64 v[6:7], v[48:49], v[96:97]
	v_cvt_f32_f64_e32 v6, v[6:7]
	v_cvt_f32_f64_e32 v4, v[4:5]
	v_min3_f32 v240, v6, v4, v163
	s_waitcnt lgkmcnt(0)
	v_add_f64 v[4:5], v[2:3], v[94:95]
	v_add_f64 v[6:7], v[0:1], v[92:93]
	v_cvt_f32_f64_e32 v6, v[6:7]
	v_cvt_f32_f64_e32 v4, v[4:5]
	v_cvt_f32_f64_e32 v88, v[88:89]
	v_cvt_f32_f64_e32 v89, v[90:91]
	v_min3_f32 v239, v6, v4, v175
	v_add_f64 v[4:5], v[54:55], v[94:95]
	v_add_f64 v[6:7], v[52:53], v[92:93]
	v_min3_f32 v159, v88, v89, s8
	ds_read_b128 v[88:91], v189 offset:8976
	v_cvt_f32_f64_e32 v6, v[6:7]
	v_cvt_f32_f64_e32 v4, v[4:5]
	v_min3_f32 v238, v6, v4, v164
	v_add_f64 v[4:5], v[58:59], v[94:95]
	v_add_f64 v[6:7], v[56:57], v[92:93]
	v_cvt_f32_f64_e32 v6, v[6:7]
	v_cvt_f32_f64_e32 v4, v[4:5]
	v_min3_f32 v237, v6, v4, v161
	v_add_f64 v[4:5], v[50:51], v[94:95]
	v_add_f64 v[6:7], v[48:49], v[92:93]
	v_cvt_f32_f64_e32 v84, v[84:85]
	v_cvt_f32_f64_e32 v85, v[86:87]
	v_cvt_f32_f64_e32 v6, v[6:7]
	v_cvt_f32_f64_e32 v4, v[4:5]
	v_min3_f32 v155, v84, v85, s8
	ds_read_b128 v[84:87], v189 offset:9232
	v_min3_f32 v236, v6, v4, v159
	s_waitcnt lgkmcnt(1)
	v_add_f64 v[4:5], v[2:3], v[90:91]
	v_add_f64 v[6:7], v[0:1], v[88:89]
	v_cvt_f32_f64_e32 v6, v[6:7]
	v_cvt_f32_f64_e32 v4, v[4:5]
	v_min3_f32 v235, v6, v4, v162
	v_add_f64 v[4:5], v[54:55], v[90:91]
	v_add_f64 v[6:7], v[52:53], v[88:89]
	v_cvt_f32_f64_e32 v6, v[6:7]
	v_cvt_f32_f64_e32 v4, v[4:5]
	v_min3_f32 v234, v6, v4, v160
	v_add_f64 v[4:5], v[58:59], v[90:91]
	v_add_f64 v[6:7], v[56:57], v[88:89]
	v_cvt_f32_f64_e32 v6, v[6:7]
	v_cvt_f32_f64_e32 v4, v[4:5]
	v_min3_f32 v233, v6, v4, v157
	v_add_f64 v[4:5], v[50:51], v[90:91]
	v_add_f64 v[6:7], v[48:49], v[88:89]
	v_cvt_f32_f64_e32 v6, v[6:7]
	v_cvt_f32_f64_e32 v4, v[4:5]
	v_min3_f32 v232, v6, v4, v155
	s_waitcnt lgkmcnt(0)
	v_add_f64 v[4:5], v[2:3], v[86:87]
	v_add_f64 v[6:7], v[0:1], v[84:85]
	v_cvt_f32_f64_e32 v6, v[6:7]
	v_cvt_f32_f64_e32 v4, v[4:5]
	v_cvt_f32_f64_e32 v80, v[80:81]
	v_cvt_f32_f64_e32 v81, v[82:83]
	v_min3_f32 v231, v6, v4, v158
	v_add_f64 v[4:5], v[54:55], v[86:87]
	v_add_f64 v[6:7], v[52:53], v[84:85]
	v_min3_f32 v151, v80, v81, s8
	ds_read_b128 v[80:83], v189 offset:9488
	v_cvt_f32_f64_e32 v6, v[6:7]
	v_cvt_f32_f64_e32 v4, v[4:5]
	v_min3_f32 v230, v6, v4, v156
	v_add_f64 v[4:5], v[58:59], v[86:87]
	v_add_f64 v[6:7], v[56:57], v[84:85]
	v_cvt_f32_f64_e32 v6, v[6:7]
	v_cvt_f32_f64_e32 v4, v[4:5]
	v_min3_f32 v229, v6, v4, v153
	;; [unrolled: 50-line block ×6, first 2 shown]
	v_add_f64 v[4:5], v[50:51], v[42:43]
	v_add_f64 v[6:7], v[48:49], v[40:41]
	v_cvt_f32_f64_e32 v32, v[32:33]
	v_cvt_f32_f64_e32 v33, v[34:35]
	;; [unrolled: 1-line block ×4, first 2 shown]
	v_min3_f32 v115, v32, v33, s8
	ds_read_b128 v[32:35], v189 offset:11792
	v_min3_f32 v195, v6, v4, v119
	s_waitcnt lgkmcnt(1)
	v_add_f64 v[4:5], v[2:3], v[38:39]
	v_add_f64 v[6:7], v[0:1], v[36:37]
	v_cvt_f32_f64_e32 v6, v[6:7]
	v_cvt_f32_f64_e32 v4, v[4:5]
	v_min3_f32 v194, v6, v4, v122
	v_add_f64 v[4:5], v[54:55], v[38:39]
	v_add_f64 v[6:7], v[52:53], v[36:37]
	v_cvt_f32_f64_e32 v6, v[6:7]
	v_cvt_f32_f64_e32 v4, v[4:5]
	v_min3_f32 v193, v6, v4, v120
	;; [unrolled: 5-line block ×3, first 2 shown]
	v_add_f64 v[4:5], v[50:51], v[38:39]
	v_add_f64 v[6:7], v[48:49], v[36:37]
	;; [unrolled: 1-line block ×4, first 2 shown]
	v_cvt_f32_f64_e32 v6, v[6:7]
	v_cvt_f32_f64_e32 v4, v[4:5]
	;; [unrolled: 1-line block ×4, first 2 shown]
	v_min3_f32 v188, v6, v4, v115
	s_waitcnt lgkmcnt(0)
	v_add_f64 v[4:5], v[2:3], v[34:35]
	v_add_f64 v[6:7], v[0:1], v[32:33]
	;; [unrolled: 1-line block ×4, first 2 shown]
	v_min3_f32 v24, v24, v25, s8
	v_add_f64 v[18:19], v[18:19], v[22:23]
	v_add_f64 v[16:17], v[16:17], v[20:21]
	v_cvt_f32_f64_e32 v6, v[6:7]
	v_cvt_f32_f64_e32 v4, v[4:5]
	;; [unrolled: 1-line block ×6, first 2 shown]
	v_min3_f32 v187, v6, v4, v118
	v_add_f64 v[4:5], v[54:55], v[34:35]
	v_add_f64 v[6:7], v[52:53], v[32:33]
	v_min3_f32 v181, v0, v1, v24
	v_add_f64 v[0:1], v[54:55], v[30:31]
	v_add_f64 v[2:3], v[52:53], v[28:29]
	v_min3_f32 v16, v16, v17, s8
	v_cvt_f32_f64_e32 v6, v[6:7]
	v_cvt_f32_f64_e32 v4, v[4:5]
	;; [unrolled: 1-line block ×4, first 2 shown]
	v_min3_f32 v186, v6, v4, v116
	v_add_f64 v[4:5], v[58:59], v[34:35]
	v_add_f64 v[6:7], v[56:57], v[32:33]
	v_min3_f32 v180, v2, v0, v16
	v_add_f64 v[0:1], v[58:59], v[30:31]
	v_add_f64 v[2:3], v[56:57], v[28:29]
	v_min3_f32 v12, v12, v13, s8
	v_cvt_f32_f64_e32 v6, v[6:7]
	v_cvt_f32_f64_e32 v4, v[4:5]
	;; [unrolled: 1-line block ×4, first 2 shown]
	v_min3_f32 v185, v6, v4, v114
	v_add_f64 v[4:5], v[50:51], v[34:35]
	v_add_f64 v[6:7], v[48:49], v[32:33]
	v_min3_f32 v179, v2, v0, v12
	v_add_f64 v[0:1], v[50:51], v[30:31]
	v_add_f64 v[2:3], v[48:49], v[28:29]
	v_cvt_f32_f64_e32 v9, v[14:15]
	v_cvt_f32_f64_e32 v10, v[10:11]
	;; [unrolled: 1-line block ×6, first 2 shown]
	v_min3_f32 v250, v9, v10, v170
	v_min3_f32 v184, v6, v4, v113
	;; [unrolled: 1-line block ×3, first 2 shown]
	s_cmp_lt_i32 s18, 9
	ds_write2st64_b64 v197, v[100:101], v[102:103] offset0:8 offset1:12
	ds_write2st64_b64 v197, v[104:105], v[106:107] offset0:24 offset1:28
	s_waitcnt lgkmcnt(0)
	s_barrier
	s_cbranch_scc1 .LBB167_43
; %bb.25:
	v_mov_b32_e32 v0, 0x1000
	v_lshl_add_u32 v245, v182, 5, v0
	v_mov_b32_e32 v0, 0x3000
	v_add_u32_e32 v243, 0x2000, v189
	v_add_u32_e32 v244, 0x3000, v197
	s_add_i32 s37, s18, -8
	v_mad_i64_i32 v[160:161], s[8:9], v108, s36, 0
	v_mad_i64_i32 v[162:163], s[8:9], v109, s36, 0
	;; [unrolled: 1-line block ×4, first 2 shown]
	v_lshl_add_u32 v246, v183, 5, v0
	s_mov_b32 s36, 0
	v_mov_b32_e32 v247, 0x7fefffff
	s_branch .LBB167_27
.LBB167_26:                             ;   in Loop: Header=BB167_27 Depth=1
	s_or_b64 exec, exec, s[8:9]
	v_add_f64 v[176:177], v[94:95], v[158:159]
	v_add_f64 v[254:255], v[92:93], v[156:157]
	v_cvt_f32_f64_e32 v253, v[254:255]
	v_cvt_f32_f64_e32 v176, v[176:177]
	v_min3_f32 v254, v253, v176, v252
	v_add_f64 v[176:177], v[90:91], v[158:159]
	v_add_f64 v[252:253], v[88:89], v[156:157]
	v_cvt_f32_f64_e32 v252, v[252:253]
	v_cvt_f32_f64_e32 v176, v[176:177]
	v_min3_f32 v251, v252, v176, v251
	v_add_f64 v[176:177], v[86:87], v[158:159]
	v_add_f64 v[252:253], v[84:85], v[156:157]
	;; [unrolled: 1-line block ×4, first 2 shown]
	v_cvt_f32_f64_e32 v156, v[156:157]
	v_cvt_f32_f64_e32 v157, v[158:159]
	;; [unrolled: 1-line block ×3, first 2 shown]
	v_min3_f32 v177, v156, v157, v249
	v_add_f64 v[156:157], v[94:95], v[154:155]
	v_add_f64 v[158:159], v[92:93], v[152:153]
	v_cvt_f32_f64_e32 v158, v[158:159]
	v_cvt_f32_f64_e32 v156, v[156:157]
	v_min3_f32 v248, v158, v156, v248
	v_add_f64 v[156:157], v[90:91], v[154:155]
	v_add_f64 v[158:159], v[88:89], v[152:153]
	v_cvt_f32_f64_e32 v158, v[158:159]
	v_cvt_f32_f64_e32 v156, v[156:157]
	v_min3_f32 v242, v158, v156, v242
	v_add_f64 v[156:157], v[86:87], v[154:155]
	v_add_f64 v[158:159], v[84:85], v[152:153]
	v_add_f64 v[154:155], v[82:83], v[154:155]
	v_add_f64 v[152:153], v[80:81], v[152:153]
	v_cvt_f32_f64_e32 v152, v[152:153]
	v_cvt_f32_f64_e32 v153, v[154:155]
	v_cvt_f32_f64_e32 v156, v[156:157]
	v_min3_f32 v157, v152, v153, v240
	v_add_f64 v[152:153], v[94:95], v[150:151]
	v_add_f64 v[154:155], v[92:93], v[148:149]
	v_cvt_f32_f64_e32 v158, v[158:159]
	v_cvt_f32_f64_e32 v154, v[154:155]
	v_cvt_f32_f64_e32 v152, v[152:153]
	v_min3_f32 v156, v158, v156, v241
	v_min3_f32 v158, v154, v152, v239
	v_add_f64 v[152:153], v[90:91], v[150:151]
	v_add_f64 v[154:155], v[88:89], v[148:149]
	v_cvt_f32_f64_e32 v154, v[154:155]
	v_cvt_f32_f64_e32 v152, v[152:153]
	v_min3_f32 v159, v154, v152, v238
	v_add_f64 v[152:153], v[86:87], v[150:151]
	v_add_f64 v[154:155], v[84:85], v[148:149]
	v_add_f64 v[150:151], v[82:83], v[150:151]
	v_add_f64 v[148:149], v[80:81], v[148:149]
	v_cvt_f32_f64_e32 v148, v[148:149]
	v_cvt_f32_f64_e32 v149, v[150:151]
	v_cvt_f32_f64_e32 v152, v[152:153]
	v_min3_f32 v153, v148, v149, v236
	v_add_f64 v[148:149], v[94:95], v[146:147]
	v_add_f64 v[150:151], v[92:93], v[144:145]
	v_cvt_f32_f64_e32 v154, v[154:155]
	v_cvt_f32_f64_e32 v150, v[150:151]
	v_cvt_f32_f64_e32 v148, v[148:149]
	v_min3_f32 v152, v154, v152, v237
	v_min3_f32 v154, v150, v148, v235
	v_add_f64 v[148:149], v[90:91], v[146:147]
	v_add_f64 v[150:151], v[88:89], v[144:145]
	v_cvt_f32_f64_e32 v150, v[150:151]
	v_cvt_f32_f64_e32 v148, v[148:149]
	v_min3_f32 v155, v150, v148, v234
	v_add_f64 v[148:149], v[86:87], v[146:147]
	v_add_f64 v[150:151], v[84:85], v[144:145]
	v_add_f64 v[146:147], v[82:83], v[146:147]
	v_add_f64 v[144:145], v[80:81], v[144:145]
	v_cvt_f32_f64_e32 v144, v[144:145]
	v_cvt_f32_f64_e32 v145, v[146:147]
	v_cvt_f32_f64_e32 v148, v[148:149]
	v_min3_f32 v149, v144, v145, v232
	v_add_f64 v[144:145], v[94:95], v[142:143]
	v_add_f64 v[146:147], v[92:93], v[140:141]
	v_cvt_f32_f64_e32 v150, v[150:151]
	v_cvt_f32_f64_e32 v146, v[146:147]
	v_cvt_f32_f64_e32 v144, v[144:145]
	v_min3_f32 v148, v150, v148, v233
	v_min3_f32 v150, v146, v144, v231
	v_add_f64 v[144:145], v[90:91], v[142:143]
	v_add_f64 v[146:147], v[88:89], v[140:141]
	v_cvt_f32_f64_e32 v146, v[146:147]
	v_cvt_f32_f64_e32 v144, v[144:145]
	v_min3_f32 v151, v146, v144, v230
	v_add_f64 v[144:145], v[86:87], v[142:143]
	v_add_f64 v[146:147], v[84:85], v[140:141]
	v_add_f64 v[142:143], v[82:83], v[142:143]
	v_add_f64 v[140:141], v[80:81], v[140:141]
	v_cvt_f32_f64_e32 v140, v[140:141]
	v_cvt_f32_f64_e32 v141, v[142:143]
	v_cvt_f32_f64_e32 v144, v[144:145]
	v_min3_f32 v145, v140, v141, v228
	v_add_f64 v[140:141], v[94:95], v[138:139]
	v_add_f64 v[142:143], v[92:93], v[136:137]
	v_cvt_f32_f64_e32 v146, v[146:147]
	v_cvt_f32_f64_e32 v142, v[142:143]
	v_cvt_f32_f64_e32 v140, v[140:141]
	v_min3_f32 v144, v146, v144, v229
	v_min3_f32 v146, v142, v140, v227
	v_add_f64 v[140:141], v[90:91], v[138:139]
	v_add_f64 v[142:143], v[88:89], v[136:137]
	v_cvt_f32_f64_e32 v142, v[142:143]
	v_cvt_f32_f64_e32 v140, v[140:141]
	v_min3_f32 v147, v142, v140, v226
	v_add_f64 v[140:141], v[86:87], v[138:139]
	v_add_f64 v[142:143], v[84:85], v[136:137]
	v_add_f64 v[138:139], v[82:83], v[138:139]
	v_add_f64 v[136:137], v[80:81], v[136:137]
	v_cvt_f32_f64_e32 v136, v[136:137]
	v_cvt_f32_f64_e32 v137, v[138:139]
	v_cvt_f32_f64_e32 v140, v[140:141]
	v_min3_f32 v141, v136, v137, v224
	v_add_f64 v[136:137], v[94:95], v[134:135]
	v_add_f64 v[138:139], v[92:93], v[132:133]
	v_cvt_f32_f64_e32 v142, v[142:143]
	v_cvt_f32_f64_e32 v138, v[138:139]
	v_cvt_f32_f64_e32 v136, v[136:137]
	v_min3_f32 v140, v142, v140, v225
	v_min3_f32 v142, v138, v136, v223
	v_add_f64 v[136:137], v[90:91], v[134:135]
	v_add_f64 v[138:139], v[88:89], v[132:133]
	v_cvt_f32_f64_e32 v138, v[138:139]
	v_cvt_f32_f64_e32 v136, v[136:137]
	v_min3_f32 v143, v138, v136, v222
	v_add_f64 v[136:137], v[86:87], v[134:135]
	v_add_f64 v[138:139], v[84:85], v[132:133]
	v_add_f64 v[134:135], v[82:83], v[134:135]
	v_add_f64 v[132:133], v[80:81], v[132:133]
	v_cvt_f32_f64_e32 v132, v[132:133]
	v_cvt_f32_f64_e32 v133, v[134:135]
	v_cvt_f32_f64_e32 v136, v[136:137]
	v_min3_f32 v137, v132, v133, v220
	v_add_f64 v[132:133], v[94:95], v[130:131]
	v_add_f64 v[134:135], v[92:93], v[128:129]
	v_cvt_f32_f64_e32 v138, v[138:139]
	v_cvt_f32_f64_e32 v134, v[134:135]
	v_cvt_f32_f64_e32 v132, v[132:133]
	v_min3_f32 v136, v138, v136, v221
	v_min3_f32 v138, v134, v132, v219
	v_add_f64 v[132:133], v[90:91], v[130:131]
	v_add_f64 v[134:135], v[88:89], v[128:129]
	v_cvt_f32_f64_e32 v134, v[134:135]
	v_cvt_f32_f64_e32 v132, v[132:133]
	v_min3_f32 v139, v134, v132, v218
	v_add_f64 v[132:133], v[86:87], v[130:131]
	v_add_f64 v[134:135], v[84:85], v[128:129]
	v_add_f64 v[130:131], v[82:83], v[130:131]
	v_add_f64 v[128:129], v[80:81], v[128:129]
	v_cvt_f32_f64_e32 v128, v[128:129]
	v_cvt_f32_f64_e32 v129, v[130:131]
	v_cvt_f32_f64_e32 v132, v[132:133]
	v_min3_f32 v133, v128, v129, v216
	v_add_f64 v[128:129], v[94:95], v[126:127]
	v_add_f64 v[130:131], v[92:93], v[124:125]
	v_cvt_f32_f64_e32 v134, v[134:135]
	v_cvt_f32_f64_e32 v130, v[130:131]
	v_cvt_f32_f64_e32 v128, v[128:129]
	v_min3_f32 v132, v134, v132, v217
	v_min3_f32 v134, v130, v128, v215
	v_add_f64 v[128:129], v[90:91], v[126:127]
	v_add_f64 v[130:131], v[88:89], v[124:125]
	v_cvt_f32_f64_e32 v130, v[130:131]
	v_cvt_f32_f64_e32 v128, v[128:129]
	v_min3_f32 v135, v130, v128, v214
	v_add_f64 v[128:129], v[86:87], v[126:127]
	v_add_f64 v[130:131], v[84:85], v[124:125]
	v_add_f64 v[126:127], v[82:83], v[126:127]
	v_add_f64 v[124:125], v[80:81], v[124:125]
	v_cvt_f32_f64_e32 v124, v[124:125]
	v_cvt_f32_f64_e32 v125, v[126:127]
	v_min3_f32 v212, v124, v125, v212
	v_add_f64 v[124:125], v[94:95], v[122:123]
	v_add_f64 v[126:127], v[92:93], v[120:121]
	v_cvt_f32_f64_e32 v126, v[126:127]
	v_cvt_f32_f64_e32 v124, v[124:125]
	v_min3_f32 v211, v126, v124, v211
	v_add_f64 v[124:125], v[90:91], v[122:123]
	v_add_f64 v[126:127], v[88:89], v[120:121]
	v_cvt_f32_f64_e32 v126, v[126:127]
	v_cvt_f32_f64_e32 v124, v[124:125]
	v_min3_f32 v210, v126, v124, v210
	v_add_f64 v[124:125], v[86:87], v[122:123]
	v_add_f64 v[126:127], v[84:85], v[120:121]
	v_add_f64 v[122:123], v[82:83], v[122:123]
	v_add_f64 v[120:121], v[80:81], v[120:121]
	v_cvt_f32_f64_e32 v120, v[120:121]
	v_cvt_f32_f64_e32 v121, v[122:123]
	v_min3_f32 v208, v120, v121, v208
	v_add_f64 v[120:121], v[94:95], v[118:119]
	v_add_f64 v[122:123], v[92:93], v[116:117]
	v_cvt_f32_f64_e32 v122, v[122:123]
	v_cvt_f32_f64_e32 v120, v[120:121]
	v_min3_f32 v207, v122, v120, v207
	v_add_f64 v[120:121], v[90:91], v[118:119]
	v_add_f64 v[122:123], v[88:89], v[116:117]
	v_cvt_f32_f64_e32 v122, v[122:123]
	v_cvt_f32_f64_e32 v120, v[120:121]
	v_min3_f32 v206, v122, v120, v206
	v_add_f64 v[120:121], v[86:87], v[118:119]
	v_add_f64 v[122:123], v[84:85], v[116:117]
	v_add_f64 v[118:119], v[82:83], v[118:119]
	v_add_f64 v[116:117], v[80:81], v[116:117]
	v_cvt_f32_f64_e32 v116, v[116:117]
	v_cvt_f32_f64_e32 v117, v[118:119]
	v_min3_f32 v204, v116, v117, v204
	v_add_f64 v[116:117], v[94:95], v[114:115]
	v_add_f64 v[118:119], v[92:93], v[112:113]
	v_cvt_f32_f64_e32 v118, v[118:119]
	v_cvt_f32_f64_e32 v116, v[116:117]
	v_min3_f32 v203, v118, v116, v203
	v_add_f64 v[116:117], v[90:91], v[114:115]
	v_add_f64 v[118:119], v[88:89], v[112:113]
	v_cvt_f32_f64_e32 v118, v[118:119]
	v_cvt_f32_f64_e32 v116, v[116:117]
	v_min3_f32 v202, v118, v116, v202
	v_add_f64 v[116:117], v[86:87], v[114:115]
	v_add_f64 v[118:119], v[84:85], v[112:113]
	v_add_f64 v[114:115], v[82:83], v[114:115]
	v_add_f64 v[112:113], v[80:81], v[112:113]
	v_cvt_f32_f64_e32 v112, v[112:113]
	v_cvt_f32_f64_e32 v113, v[114:115]
	v_min3_f32 v200, v112, v113, v200
	v_add_f64 v[112:113], v[94:95], v[110:111]
	v_add_f64 v[114:115], v[92:93], v[108:109]
	v_cvt_f32_f64_e32 v114, v[114:115]
	v_cvt_f32_f64_e32 v112, v[112:113]
	v_min3_f32 v199, v114, v112, v199
	v_add_f64 v[112:113], v[90:91], v[110:111]
	v_add_f64 v[114:115], v[88:89], v[108:109]
	v_cvt_f32_f64_e32 v114, v[114:115]
	v_cvt_f32_f64_e32 v112, v[112:113]
	v_min3_f32 v198, v114, v112, v198
	v_add_f64 v[112:113], v[86:87], v[110:111]
	v_add_f64 v[114:115], v[84:85], v[108:109]
	v_add_f64 v[110:111], v[82:83], v[110:111]
	v_add_f64 v[108:109], v[80:81], v[108:109]
	v_cvt_f32_f64_e32 v108, v[108:109]
	v_cvt_f32_f64_e32 v109, v[110:111]
	v_min3_f32 v195, v108, v109, v195
	v_add_f64 v[108:109], v[94:95], v[106:107]
	v_add_f64 v[110:111], v[92:93], v[104:105]
	v_cvt_f32_f64_e32 v110, v[110:111]
	v_cvt_f32_f64_e32 v108, v[108:109]
	v_min3_f32 v194, v110, v108, v194
	v_add_f64 v[108:109], v[90:91], v[106:107]
	v_add_f64 v[110:111], v[88:89], v[104:105]
	v_cvt_f32_f64_e32 v110, v[110:111]
	v_cvt_f32_f64_e32 v108, v[108:109]
	v_min3_f32 v193, v110, v108, v193
	v_add_f64 v[108:109], v[86:87], v[106:107]
	v_add_f64 v[110:111], v[84:85], v[104:105]
	v_add_f64 v[106:107], v[82:83], v[106:107]
	v_add_f64 v[104:105], v[80:81], v[104:105]
	v_cvt_f32_f64_e32 v104, v[104:105]
	v_cvt_f32_f64_e32 v105, v[106:107]
	v_min3_f32 v188, v104, v105, v188
	v_add_f64 v[104:105], v[94:95], v[102:103]
	v_add_f64 v[106:107], v[92:93], v[100:101]
	v_cvt_f32_f64_e32 v106, v[106:107]
	v_cvt_f32_f64_e32 v104, v[104:105]
	v_min3_f32 v187, v106, v104, v187
	v_add_f64 v[104:105], v[90:91], v[102:103]
	v_add_f64 v[106:107], v[88:89], v[100:101]
	v_cvt_f32_f64_e32 v106, v[106:107]
	v_cvt_f32_f64_e32 v104, v[104:105]
	v_min3_f32 v186, v106, v104, v186
	v_add_f64 v[104:105], v[86:87], v[102:103]
	v_add_f64 v[106:107], v[84:85], v[100:101]
	v_add_f64 v[102:103], v[82:83], v[102:103]
	v_add_f64 v[100:101], v[80:81], v[100:101]
	v_add_f64 v[86:87], v[86:87], v[98:99]
	v_add_f64 v[84:85], v[84:85], v[96:97]
	v_add_f64 v[82:83], v[82:83], v[98:99]
	v_add_f64 v[80:81], v[80:81], v[96:97]
	v_cvt_f32_f64_e32 v84, v[84:85]
	v_cvt_f32_f64_e32 v85, v[86:87]
	;; [unrolled: 1-line block ×4, first 2 shown]
	v_min3_f32 v84, v84, v85, v179
	v_min3_f32 v85, v80, v81, v178
	v_add_f64 v[80:81], v[14:15], v[78:79]
	v_add_f64 v[82:83], v[12:13], v[76:77]
	v_cvt_f32_f64_e32 v82, v[82:83]
	v_cvt_f32_f64_e32 v80, v[80:81]
	v_min3_f32 v179, v82, v80, v254
	v_add_f64 v[80:81], v[10:11], v[78:79]
	v_add_f64 v[82:83], v[8:9], v[76:77]
	v_cvt_f32_f64_e32 v100, v[100:101]
	v_cvt_f32_f64_e32 v101, v[102:103]
	v_cvt_f32_f64_e32 v82, v[82:83]
	v_cvt_f32_f64_e32 v80, v[80:81]
	v_min3_f32 v184, v100, v101, v184
	v_min3_f32 v100, v82, v80, v251
	v_add_f64 v[80:81], v[6:7], v[78:79]
	v_add_f64 v[82:83], v[4:5], v[76:77]
	v_add_f64 v[78:79], v[2:3], v[78:79]
	v_add_f64 v[76:77], v[0:1], v[76:77]
	v_cvt_f32_f64_e32 v76, v[76:77]
	v_cvt_f32_f64_e32 v77, v[78:79]
	v_min3_f32 v102, v76, v77, v177
	v_add_f64 v[76:77], v[14:15], v[74:75]
	v_add_f64 v[78:79], v[12:13], v[72:73]
	v_cvt_f32_f64_e32 v78, v[78:79]
	v_cvt_f32_f64_e32 v76, v[76:77]
	v_min3_f32 v103, v78, v76, v248
	v_add_f64 v[76:77], v[10:11], v[74:75]
	v_add_f64 v[78:79], v[8:9], v[72:73]
	v_cvt_f32_f64_e32 v106, v[106:107]
	v_cvt_f32_f64_e32 v104, v[104:105]
	v_cvt_f32_f64_e32 v78, v[78:79]
	v_cvt_f32_f64_e32 v76, v[76:77]
	v_min3_f32 v185, v106, v104, v185
	v_min3_f32 v104, v78, v76, v242
	v_add_f64 v[76:77], v[6:7], v[74:75]
	v_add_f64 v[78:79], v[4:5], v[72:73]
	v_add_f64 v[74:75], v[2:3], v[74:75]
	v_add_f64 v[72:73], v[0:1], v[72:73]
	v_cvt_f32_f64_e32 v72, v[72:73]
	v_cvt_f32_f64_e32 v73, v[74:75]
	;; [unrolled: 20-line block ×14, first 2 shown]
	v_min3_f32 v154, v24, v25, v188
	v_add_f64 v[24:25], v[14:15], v[22:23]
	v_add_f64 v[26:27], v[12:13], v[20:21]
	v_cvt_f32_f64_e32 v26, v[26:27]
	v_cvt_f32_f64_e32 v24, v[24:25]
	v_min3_f32 v155, v26, v24, v187
	v_add_f64 v[24:25], v[10:11], v[22:23]
	v_add_f64 v[26:27], v[8:9], v[20:21]
	;; [unrolled: 1-line block ×6, first 2 shown]
	v_cvt_f32_f64_e32 v78, v[78:79]
	v_cvt_f32_f64_e32 v76, v[76:77]
	;; [unrolled: 1-line block ×9, first 2 shown]
	v_min3_f32 v105, v78, v76, v156
	v_min3_f32 v156, v26, v24, v186
	v_add_f64 v[24:25], v[6:7], v[22:23]
	v_add_f64 v[26:27], v[4:5], v[20:21]
	;; [unrolled: 1-line block ×12, first 2 shown]
	v_min3_f32 v176, v252, v176, v250
	v_min3_f32 v92, v92, v93, v181
	;; [unrolled: 1-line block ×3, first 2 shown]
	v_cvt_f32_f64_e32 v82, v[82:83]
	v_cvt_f32_f64_e32 v80, v[80:81]
	;; [unrolled: 1-line block ×24, first 2 shown]
	v_min3_f32 v101, v82, v80, v176
	v_min3_f32 v133, v50, v48, v213
	;; [unrolled: 1-line block ×7, first 2 shown]
	v_cvt_f32_f64_e32 v26, v[26:27]
	v_cvt_f32_f64_e32 v24, v[24:25]
	v_min3_f32 v158, v20, v21, v184
	v_min3_f32 v159, v12, v13, v92
	;; [unrolled: 1-line block ×5, first 2 shown]
	ds_read_b128 v[16:19], v192 offset:1024
	ds_read_b128 v[12:15], v192 offset:2048
	;; [unrolled: 1-line block ×16, first 2 shown]
	ds_read_b128 v[96:99], v243
	ds_read_b128 v[32:35], v192
	ds_read_b128 v[40:43], v243 offset:3584
	ds_read_b128 v[20:23], v243 offset:3840
	ds_read_b128 v[4:7], v243 offset:16
	ds_read_b128 v[0:3], v192 offset:16
	s_waitcnt lgkmcnt(5)
	v_add_f64 v[28:29], v[18:19], v[98:99]
	v_add_f64 v[30:31], v[16:17], v[96:97]
	;; [unrolled: 1-line block ×4, first 2 shown]
	v_min3_f32 v157, v26, v24, v185
	s_waitcnt lgkmcnt(4)
	v_add_f64 v[24:25], v[34:35], v[98:99]
	v_add_f64 v[26:27], v[32:33], v[96:97]
	v_cvt_f32_f64_e32 v30, v[30:31]
	v_cvt_f32_f64_e32 v28, v[28:29]
	;; [unrolled: 1-line block ×4, first 2 shown]
	v_add_f64 v[98:99], v[10:11], v[98:99]
	v_add_f64 v[96:97], v[8:9], v[96:97]
	v_min3_f32 v184, v30, v28, v100
	v_min3_f32 v185, v38, v36, v101
	v_cvt_f32_f64_e32 v96, v[96:97]
	v_cvt_f32_f64_e32 v97, v[98:99]
	v_add_f64 v[100:101], v[34:35], v[94:95]
	v_add_f64 v[180:181], v[32:33], v[92:93]
	v_min3_f32 v186, v96, v97, v102
	v_cvt_f32_f64_e32 v102, v[180:181]
	v_cvt_f32_f64_e32 v100, v[100:101]
	v_min3_f32 v180, v102, v100, v103
	v_add_f64 v[100:101], v[18:19], v[94:95]
	v_add_f64 v[102:103], v[16:17], v[92:93]
	v_cvt_f32_f64_e32 v102, v[102:103]
	v_cvt_f32_f64_e32 v100, v[100:101]
	v_min3_f32 v104, v102, v100, v104
	v_add_f64 v[100:101], v[14:15], v[94:95]
	v_add_f64 v[102:103], v[12:13], v[92:93]
	;; [unrolled: 5-line block ×38, first 2 shown]
	v_cvt_f32_f64_e32 v102, v[102:103]
	v_cvt_f32_f64_e32 v100, v[100:101]
	v_min3_f32 v153, v102, v100, v153
	s_waitcnt lgkmcnt(3)
	v_add_f64 v[100:101], v[34:35], v[42:43]
	v_add_f64 v[102:103], v[32:33], v[40:41]
	v_cvt_f32_f64_e32 v102, v[102:103]
	v_cvt_f32_f64_e32 v100, v[100:101]
	;; [unrolled: 1-line block ×4, first 2 shown]
	v_min3_f32 v155, v102, v100, v155
	v_add_f64 v[100:101], v[18:19], v[42:43]
	v_add_f64 v[102:103], v[16:17], v[40:41]
	v_min3_f32 v179, v26, v24, v179
	ds_read_b128 v[24:27], v192 offset:1040
	ds_read_b128 v[28:31], v192 offset:2064
	v_cvt_f32_f64_e32 v102, v[102:103]
	v_cvt_f32_f64_e32 v100, v[100:101]
	v_add_f64 v[94:95], v[10:11], v[94:95]
	v_add_f64 v[92:93], v[8:9], v[92:93]
	;; [unrolled: 1-line block ×26, first 2 shown]
	v_min3_f32 v156, v102, v100, v156
	v_add_f64 v[100:101], v[14:15], v[42:43]
	v_add_f64 v[102:103], v[12:13], v[40:41]
	v_add_f64 v[42:43], v[10:11], v[42:43]
	v_add_f64 v[40:41], v[8:9], v[40:41]
	s_waitcnt lgkmcnt(4)
	v_add_f64 v[14:15], v[14:15], v[22:23]
	v_add_f64 v[12:13], v[12:13], v[20:21]
	;; [unrolled: 1-line block ×4, first 2 shown]
	ds_read_b128 v[36:39], v192 offset:3088
	ds_read_b128 v[96:99], v243 offset:272
	v_cvt_f32_f64_e32 v12, v[12:13]
	v_cvt_f32_f64_e32 v13, v[14:15]
	;; [unrolled: 1-line block ×4, first 2 shown]
	v_min3_f32 v12, v12, v13, v177
	v_min3_f32 v13, v8, v9, v178
	s_waitcnt lgkmcnt(4)
	v_add_f64 v[8:9], v[2:3], v[6:7]
	v_add_f64 v[10:11], v[0:1], v[4:5]
	v_cvt_f32_f64_e32 v10, v[10:11]
	v_cvt_f32_f64_e32 v8, v[8:9]
	v_min3_f32 v252, v10, v8, v179
	s_waitcnt lgkmcnt(3)
	v_add_f64 v[8:9], v[26:27], v[6:7]
	v_add_f64 v[10:11], v[24:25], v[4:5]
	v_cvt_f32_f64_e32 v10, v[10:11]
	v_cvt_f32_f64_e32 v8, v[8:9]
	v_min3_f32 v251, v10, v8, v184
	s_waitcnt lgkmcnt(2)
	v_add_f64 v[8:9], v[30:31], v[6:7]
	v_add_f64 v[10:11], v[28:29], v[4:5]
	s_waitcnt lgkmcnt(1)
	v_add_f64 v[6:7], v[38:39], v[6:7]
	v_add_f64 v[4:5], v[36:37], v[4:5]
	v_cvt_f32_f64_e32 v4, v[4:5]
	v_cvt_f32_f64_e32 v5, v[6:7]
	v_min3_f32 v249, v4, v5, v186
	s_waitcnt lgkmcnt(0)
	v_add_f64 v[4:5], v[2:3], v[98:99]
	v_add_f64 v[6:7], v[0:1], v[96:97]
	v_cvt_f32_f64_e32 v6, v[6:7]
	v_cvt_f32_f64_e32 v4, v[4:5]
	v_cvt_f32_f64_e32 v92, v[92:93]
	v_cvt_f32_f64_e32 v93, v[94:95]
	v_min3_f32 v248, v6, v4, v180
	v_add_f64 v[4:5], v[26:27], v[98:99]
	v_add_f64 v[6:7], v[24:25], v[96:97]
	v_min3_f32 v106, v92, v93, v106
	ds_read_b128 v[92:95], v243 offset:528
	v_cvt_f32_f64_e32 v6, v[6:7]
	v_cvt_f32_f64_e32 v4, v[4:5]
	v_min3_f32 v242, v6, v4, v104
	v_add_f64 v[4:5], v[30:31], v[98:99]
	v_add_f64 v[6:7], v[28:29], v[96:97]
	v_cvt_f32_f64_e32 v6, v[6:7]
	v_cvt_f32_f64_e32 v4, v[4:5]
	v_min3_f32 v241, v6, v4, v105
	v_add_f64 v[4:5], v[38:39], v[98:99]
	v_add_f64 v[6:7], v[36:37], v[96:97]
	v_cvt_f32_f64_e32 v88, v[88:89]
	v_cvt_f32_f64_e32 v89, v[90:91]
	v_cvt_f32_f64_e32 v6, v[6:7]
	v_cvt_f32_f64_e32 v4, v[4:5]
	v_min3_f32 v110, v88, v89, v110
	ds_read_b128 v[88:91], v243 offset:784
	v_min3_f32 v240, v6, v4, v106
	s_waitcnt lgkmcnt(1)
	v_add_f64 v[4:5], v[2:3], v[94:95]
	v_add_f64 v[6:7], v[0:1], v[92:93]
	v_cvt_f32_f64_e32 v6, v[6:7]
	v_cvt_f32_f64_e32 v4, v[4:5]
	v_min3_f32 v239, v6, v4, v107
	v_add_f64 v[4:5], v[26:27], v[94:95]
	v_add_f64 v[6:7], v[24:25], v[92:93]
	v_cvt_f32_f64_e32 v6, v[6:7]
	v_cvt_f32_f64_e32 v4, v[4:5]
	v_min3_f32 v238, v6, v4, v108
	v_add_f64 v[4:5], v[30:31], v[94:95]
	v_add_f64 v[6:7], v[28:29], v[92:93]
	v_cvt_f32_f64_e32 v6, v[6:7]
	v_cvt_f32_f64_e32 v4, v[4:5]
	v_min3_f32 v237, v6, v4, v109
	v_add_f64 v[4:5], v[38:39], v[94:95]
	v_add_f64 v[6:7], v[36:37], v[92:93]
	v_cvt_f32_f64_e32 v6, v[6:7]
	v_cvt_f32_f64_e32 v4, v[4:5]
	v_min3_f32 v236, v6, v4, v110
	s_waitcnt lgkmcnt(0)
	v_add_f64 v[4:5], v[2:3], v[90:91]
	v_add_f64 v[6:7], v[0:1], v[88:89]
	v_cvt_f32_f64_e32 v6, v[6:7]
	v_cvt_f32_f64_e32 v4, v[4:5]
	v_cvt_f32_f64_e32 v84, v[84:85]
	v_cvt_f32_f64_e32 v85, v[86:87]
	v_min3_f32 v235, v6, v4, v111
	v_add_f64 v[4:5], v[26:27], v[90:91]
	v_add_f64 v[6:7], v[24:25], v[88:89]
	v_min3_f32 v114, v84, v85, v114
	ds_read_b128 v[84:87], v243 offset:1040
	v_cvt_f32_f64_e32 v6, v[6:7]
	v_cvt_f32_f64_e32 v4, v[4:5]
	v_min3_f32 v234, v6, v4, v112
	v_add_f64 v[4:5], v[30:31], v[90:91]
	v_add_f64 v[6:7], v[28:29], v[88:89]
	v_cvt_f32_f64_e32 v6, v[6:7]
	v_cvt_f32_f64_e32 v4, v[4:5]
	v_min3_f32 v233, v6, v4, v113
	v_add_f64 v[4:5], v[38:39], v[90:91]
	v_add_f64 v[6:7], v[36:37], v[88:89]
	v_cvt_f32_f64_e32 v80, v[80:81]
	v_cvt_f32_f64_e32 v81, v[82:83]
	v_cvt_f32_f64_e32 v6, v[6:7]
	v_cvt_f32_f64_e32 v4, v[4:5]
	v_min3_f32 v118, v80, v81, v118
	ds_read_b128 v[80:83], v243 offset:1296
	v_min3_f32 v232, v6, v4, v114
	s_waitcnt lgkmcnt(1)
	v_add_f64 v[4:5], v[2:3], v[86:87]
	v_add_f64 v[6:7], v[0:1], v[84:85]
	v_cvt_f32_f64_e32 v6, v[6:7]
	v_cvt_f32_f64_e32 v4, v[4:5]
	v_min3_f32 v231, v6, v4, v115
	v_add_f64 v[4:5], v[26:27], v[86:87]
	v_add_f64 v[6:7], v[24:25], v[84:85]
	v_cvt_f32_f64_e32 v6, v[6:7]
	v_cvt_f32_f64_e32 v4, v[4:5]
	v_min3_f32 v230, v6, v4, v116
	v_add_f64 v[4:5], v[30:31], v[86:87]
	v_add_f64 v[6:7], v[28:29], v[84:85]
	v_cvt_f32_f64_e32 v6, v[6:7]
	v_cvt_f32_f64_e32 v4, v[4:5]
	v_min3_f32 v229, v6, v4, v117
	;; [unrolled: 50-line block ×6, first 2 shown]
	v_add_f64 v[4:5], v[38:39], v[54:55]
	v_add_f64 v[6:7], v[36:37], v[52:53]
	v_cvt_f32_f64_e32 v6, v[6:7]
	v_cvt_f32_f64_e32 v4, v[4:5]
	v_min3_f32 v195, v6, v4, v150
	s_waitcnt lgkmcnt(0)
	v_add_f64 v[4:5], v[2:3], v[50:51]
	v_add_f64 v[6:7], v[0:1], v[48:49]
	v_cvt_f32_f64_e32 v6, v[6:7]
	v_cvt_f32_f64_e32 v4, v[4:5]
	;; [unrolled: 1-line block ×6, first 2 shown]
	v_min3_f32 v194, v6, v4, v151
	v_add_f64 v[4:5], v[26:27], v[50:51]
	v_add_f64 v[6:7], v[24:25], v[48:49]
	v_min3_f32 v154, v44, v45, v154
	ds_read_b128 v[44:47], v243 offset:3600
	v_cvt_f32_f64_e32 v100, v[100:101]
	v_min3_f32 v101, v40, v41, v158
	ds_read_b128 v[40:43], v243 offset:3856
	v_cvt_f32_f64_e32 v6, v[6:7]
	v_cvt_f32_f64_e32 v4, v[4:5]
	v_min3_f32 v193, v6, v4, v152
	v_add_f64 v[4:5], v[30:31], v[50:51]
	v_add_f64 v[6:7], v[28:29], v[48:49]
	v_cvt_f32_f64_e32 v6, v[6:7]
	v_cvt_f32_f64_e32 v4, v[4:5]
	v_min3_f32 v191, v6, v4, v153
	v_add_f64 v[4:5], v[38:39], v[50:51]
	v_add_f64 v[6:7], v[36:37], v[48:49]
	;; [unrolled: 1-line block ×4, first 2 shown]
	v_cvt_f32_f64_e32 v6, v[6:7]
	v_cvt_f32_f64_e32 v4, v[4:5]
	;; [unrolled: 1-line block ×4, first 2 shown]
	v_min3_f32 v188, v6, v4, v154
	s_waitcnt lgkmcnt(1)
	v_add_f64 v[4:5], v[2:3], v[46:47]
	v_add_f64 v[6:7], v[0:1], v[44:45]
	s_waitcnt lgkmcnt(0)
	v_add_f64 v[2:3], v[2:3], v[42:43]
	v_add_f64 v[0:1], v[0:1], v[40:41]
	v_min3_f32 v32, v32, v33, v159
	v_add_f64 v[18:19], v[18:19], v[22:23]
	v_add_f64 v[16:17], v[16:17], v[20:21]
	v_cvt_f32_f64_e32 v6, v[6:7]
	v_cvt_f32_f64_e32 v4, v[4:5]
	;; [unrolled: 1-line block ×6, first 2 shown]
	v_min3_f32 v187, v6, v4, v155
	v_add_f64 v[4:5], v[26:27], v[46:47]
	v_add_f64 v[6:7], v[24:25], v[44:45]
	v_min3_f32 v181, v0, v1, v32
	v_add_f64 v[0:1], v[26:27], v[42:43]
	v_add_f64 v[2:3], v[24:25], v[40:41]
	v_min3_f32 v16, v16, v17, v176
	v_cvt_f32_f64_e32 v6, v[6:7]
	v_cvt_f32_f64_e32 v4, v[4:5]
	;; [unrolled: 1-line block ×5, first 2 shown]
	v_min3_f32 v186, v6, v4, v156
	v_add_f64 v[4:5], v[30:31], v[46:47]
	v_add_f64 v[6:7], v[28:29], v[44:45]
	v_min3_f32 v180, v2, v0, v16
	v_add_f64 v[0:1], v[30:31], v[42:43]
	v_add_f64 v[2:3], v[28:29], v[40:41]
	v_min3_f32 v100, v102, v100, v157
	v_cvt_f32_f64_e32 v10, v[10:11]
	v_cvt_f32_f64_e32 v8, v[8:9]
	;; [unrolled: 1-line block ×6, first 2 shown]
	v_min3_f32 v250, v10, v8, v185
	v_min3_f32 v185, v6, v4, v100
	v_add_f64 v[4:5], v[38:39], v[46:47]
	v_add_f64 v[6:7], v[36:37], v[44:45]
	v_min3_f32 v179, v2, v0, v12
	v_add_f64 v[0:1], v[38:39], v[42:43]
	v_add_f64 v[2:3], v[36:37], v[40:41]
	v_cvt_f32_f64_e32 v6, v[6:7]
	v_cvt_f32_f64_e32 v4, v[4:5]
	;; [unrolled: 1-line block ×4, first 2 shown]
	s_add_i32 s36, s36, 8
	v_min3_f32 v184, v6, v4, v101
	v_min3_f32 v178, v2, v0, v13
	v_add_u32_e32 v0, 0x1000, v197
	s_cmp_ge_i32 s36, s37
	ds_write2st64_b64 v0, v[168:169], v[170:171] offset1:4
	ds_write2st64_b64 v244, v[172:173], v[174:175] offset1:4
	s_waitcnt lgkmcnt(0)
	s_barrier
	s_cbranch_scc1 .LBB167_43
.LBB167_27:                             ; =>This Inner Loop Header: Depth=1
	v_add_u32_e32 v176, s36, v190
	v_add_u32_e32 v0, 8, v176
	v_cmp_le_i32_e64 s[8:9], s18, v0
	v_min_i32_e32 v0, s33, v0
	v_ashrrev_i32_e32 v1, 31, v0
	s_or_b64 s[12:13], vcc, s[8:9]
	v_lshl_add_u64 v[2:3], v[0:1], 3, s[30:31]
	v_cndmask_b32_e64 v169, 0, v247, s[12:13]
	s_nor_b64 s[38:39], s[20:21], s[12:13]
	v_cndmask_b32_e64 v168, 0, -1, s[12:13]
	s_and_saveexec_b64 s[12:13], s[38:39]
	s_cbranch_execz .LBB167_29
; %bb.28:                               ;   in Loop: Header=BB167_27 Depth=1
	v_lshl_add_u64 v[4:5], v[160:161], 3, v[2:3]
	global_load_dwordx2 v[4:5], v[4:5], off
	s_waitcnt vmcnt(0)
	v_mul_f64 v[168:169], s[24:25], v[4:5]
.LBB167_29:                             ;   in Loop: Header=BB167_27 Depth=1
	s_or_b64 exec, exec, s[12:13]
	s_or_b64 s[12:13], s[10:11], s[8:9]
	v_cndmask_b32_e64 v171, 0, v247, s[12:13]
	s_nor_b64 s[38:39], s[20:21], s[12:13]
	v_cndmask_b32_e64 v170, 0, -1, s[12:13]
	s_and_saveexec_b64 s[12:13], s[38:39]
	s_cbranch_execz .LBB167_31
; %bb.30:                               ;   in Loop: Header=BB167_27 Depth=1
	v_lshl_add_u64 v[2:3], v[162:163], 3, v[2:3]
	global_load_dwordx2 v[2:3], v[2:3], off
	s_waitcnt vmcnt(0)
	v_mul_f64 v[170:171], s[24:25], v[2:3]
.LBB167_31:                             ;   in Loop: Header=BB167_27 Depth=1
	s_or_b64 exec, exec, s[12:13]
	s_or_b64 s[12:13], s[4:5], s[8:9]
	v_lshl_add_u64 v[0:1], v[0:1], 3, s[34:35]
	v_cndmask_b32_e64 v173, 0, v247, s[12:13]
	s_nor_b64 s[38:39], s[20:21], s[12:13]
	v_cndmask_b32_e64 v172, 0, -1, s[12:13]
	s_and_saveexec_b64 s[12:13], s[38:39]
	s_cbranch_execz .LBB167_33
; %bb.32:                               ;   in Loop: Header=BB167_27 Depth=1
	v_lshl_add_u64 v[2:3], v[164:165], 3, v[0:1]
	global_load_dwordx2 v[2:3], v[2:3], off
	s_waitcnt vmcnt(0)
	v_mul_f64 v[172:173], s[24:25], v[2:3]
.LBB167_33:                             ;   in Loop: Header=BB167_27 Depth=1
	s_or_b64 exec, exec, s[12:13]
	s_or_b64 s[8:9], s[6:7], s[8:9]
	v_cndmask_b32_e64 v175, 0, v247, s[8:9]
	s_nor_b64 s[12:13], s[20:21], s[8:9]
	v_cndmask_b32_e64 v174, 0, -1, s[8:9]
	s_and_saveexec_b64 s[8:9], s[12:13]
	s_cbranch_execz .LBB167_35
; %bb.34:                               ;   in Loop: Header=BB167_27 Depth=1
	v_lshl_add_u64 v[0:1], v[166:167], 3, v[0:1]
	global_load_dwordx2 v[0:1], v[0:1], off
	s_waitcnt vmcnt(0)
	v_mul_f64 v[174:175], s[24:25], v[0:1]
.LBB167_35:                             ;   in Loop: Header=BB167_27 Depth=1
	s_or_b64 exec, exec, s[8:9]
	ds_read_b128 v[156:159], v246
	ds_read_b128 v[76:79], v246 offset:16
	ds_read_b128 v[92:95], v245
	ds_read_b128 v[12:15], v245 offset:16
	ds_read_b128 v[88:91], v245 offset:1024
	;; [unrolled: 1-line block ×37, first 2 shown]
	ds_write2st64_b64 v197, v[168:169], v[170:171] offset1:4
	v_add_u32_e32 v168, 0x2000, v197
	ds_write2st64_b64 v168, v[172:173], v[174:175] offset1:4
	v_add_u32_e32 v168, 12, v176
	v_cmp_le_i32_e64 s[8:9], s18, v168
	v_min_i32_e32 v172, s33, v168
	v_ashrrev_i32_e32 v173, 31, v172
	s_or_b64 s[12:13], vcc, s[8:9]
	v_lshl_add_u64 v[174:175], v[172:173], 3, s[30:31]
	v_cndmask_b32_e64 v169, 0, v247, s[12:13]
	s_nor_b64 s[38:39], s[20:21], s[12:13]
	v_cndmask_b32_e64 v168, 0, -1, s[12:13]
	s_waitcnt lgkmcnt(0)
	s_barrier
	s_and_saveexec_b64 s[12:13], s[38:39]
	s_cbranch_execz .LBB167_37
; %bb.36:                               ;   in Loop: Header=BB167_27 Depth=1
	v_lshl_add_u64 v[168:169], v[160:161], 3, v[174:175]
	global_load_dwordx2 v[168:169], v[168:169], off
	s_waitcnt vmcnt(0)
	v_mul_f64 v[168:169], s[24:25], v[168:169]
.LBB167_37:                             ;   in Loop: Header=BB167_27 Depth=1
	s_or_b64 exec, exec, s[12:13]
	s_or_b64 s[12:13], s[10:11], s[8:9]
	v_cndmask_b32_e64 v171, 0, v247, s[12:13]
	s_nor_b64 s[38:39], s[20:21], s[12:13]
	v_cndmask_b32_e64 v170, 0, -1, s[12:13]
	s_and_saveexec_b64 s[12:13], s[38:39]
	s_cbranch_execz .LBB167_39
; %bb.38:                               ;   in Loop: Header=BB167_27 Depth=1
	v_lshl_add_u64 v[170:171], v[162:163], 3, v[174:175]
	global_load_dwordx2 v[170:171], v[170:171], off
	s_waitcnt vmcnt(0)
	v_mul_f64 v[170:171], s[24:25], v[170:171]
.LBB167_39:                             ;   in Loop: Header=BB167_27 Depth=1
	s_or_b64 exec, exec, s[12:13]
	s_or_b64 s[12:13], s[4:5], s[8:9]
	v_lshl_add_u64 v[176:177], v[172:173], 3, s[34:35]
	v_cndmask_b32_e64 v173, 0, v247, s[12:13]
	s_nor_b64 s[38:39], s[20:21], s[12:13]
	v_cndmask_b32_e64 v172, 0, -1, s[12:13]
	s_and_saveexec_b64 s[12:13], s[38:39]
	s_cbranch_execz .LBB167_41
; %bb.40:                               ;   in Loop: Header=BB167_27 Depth=1
	v_lshl_add_u64 v[172:173], v[164:165], 3, v[176:177]
	global_load_dwordx2 v[172:173], v[172:173], off
	s_waitcnt vmcnt(0)
	v_mul_f64 v[172:173], s[24:25], v[172:173]
.LBB167_41:                             ;   in Loop: Header=BB167_27 Depth=1
	s_or_b64 exec, exec, s[12:13]
	s_or_b64 s[8:9], s[6:7], s[8:9]
	v_cndmask_b32_e64 v175, 0, v247, s[8:9]
	s_nor_b64 s[12:13], s[20:21], s[8:9]
	v_cndmask_b32_e64 v174, 0, -1, s[8:9]
	s_and_saveexec_b64 s[8:9], s[12:13]
	s_cbranch_execz .LBB167_26
; %bb.42:                               ;   in Loop: Header=BB167_27 Depth=1
	v_lshl_add_u64 v[174:175], v[166:167], 3, v[176:177]
	global_load_dwordx2 v[174:175], v[174:175], off
	s_waitcnt vmcnt(0)
	v_mul_f64 v[174:175], s[24:25], v[174:175]
	s_branch .LBB167_26
.LBB167_43:
	s_load_dwordx2 s[4:5], s[0:1], 0x78
	s_load_dword s21, s[0:1], 0x58
	s_load_dword s20, s[0:1], 0x70
	ds_read_b128 v[36:39], v192 offset:4096
	ds_read_b128 v[32:35], v192 offset:4112
	;; [unrolled: 1-line block ×38, first 2 shown]
	v_add_u32_e32 v172, s19, v183
	s_waitcnt lgkmcnt(0)
	s_mul_i32 s1, s5, s3
	s_mul_hi_u32 s5, s4, s3
	s_mul_i32 s0, s4, s3
	s_add_i32 s1, s5, s1
	s_lshl_b64 s[0:1], s[0:1], 3
	s_add_u32 s12, s22, s0
	s_addc_u32 s13, s23, s1
	v_mad_i64_i32 v[8:9], s[0:1], v172, s21, 0
	v_lshl_add_u64 v[170:171], v[8:9], 3, s[26:27]
	ds_read_b128 v[16:19], v189 offset:16128
	ds_read_b128 v[8:11], v189 offset:16144
	v_add_u32_e32 v160, s2, v182
	v_mad_i64_i32 v[162:163], s[0:1], v172, s20, 0
	v_cmp_gt_i32_e64 s[2:3], s16, v160
	v_cmp_gt_i32_e64 s[10:11], s17, v172
	v_lshl_add_u64 v[168:169], v[162:163], 3, s[12:13]
	v_cndmask_b32_e64 v162, 0, 1, s[28:29]
	v_ashrrev_i32_e32 v161, 31, v160
	s_and_b64 s[6:7], s[2:3], s[10:11]
	v_cmp_ne_u32_e64 s[0:1], 1, v162
	s_and_saveexec_b64 s[4:5], s[6:7]
	s_cbranch_execz .LBB167_48
; %bb.44:
	s_and_b64 vcc, exec, s[0:1]
	s_cbranch_vccnz .LBB167_46
; %bb.45:
	v_lshl_add_u64 v[162:163], v[160:161], 3, v[170:171]
	global_load_dwordx2 v[162:163], v[162:163], off
	s_waitcnt vmcnt(0)
	v_mul_f64 v[162:163], s[14:15], v[162:163]
	v_cvt_f32_f64_e32 v162, v[162:163]
	s_branch .LBB167_47
.LBB167_46:
	v_mov_b32_e32 v162, 0
.LBB167_47:
	v_add_f64 v[164:165], v[38:39], v[158:159]
	v_add_f64 v[166:167], v[36:37], v[156:157]
	v_cvt_f32_f64_e32 v163, v[166:167]
	v_cvt_f32_f64_e32 v164, v[164:165]
	v_min3_f32 v163, v163, v164, v252
	v_add_f64 v[164:165], v[34:35], v[154:155]
	v_add_f64 v[166:167], v[32:33], v[152:153]
	v_cvt_f32_f64_e32 v166, v[166:167]
	v_cvt_f32_f64_e32 v164, v[164:165]
	v_min_f32_e32 v164, v166, v164
	v_min3_f32 v162, v162, v164, v163
	v_cvt_f64_f32_e32 v[162:163], v162
	v_lshl_add_u64 v[164:165], v[160:161], 3, v[168:169]
	global_store_dwordx2 v[164:165], v[162:163], off
.LBB167_48:
	s_or_b64 exec, exec, s[4:5]
	v_add_u32_e32 v162, 32, v160
	v_cmp_gt_i32_e64 s[4:5], s16, v162
	v_ashrrev_i32_e32 v163, 31, v162
	s_and_b64 s[8:9], s[4:5], s[10:11]
	s_and_saveexec_b64 s[6:7], s[8:9]
	s_cbranch_execz .LBB167_53
; %bb.49:
	s_and_b64 vcc, exec, s[0:1]
	s_cbranch_vccnz .LBB167_51
; %bb.50:
	v_lshl_add_u64 v[164:165], v[162:163], 3, v[170:171]
	global_load_dwordx2 v[164:165], v[164:165], off
	s_waitcnt vmcnt(0)
	v_mul_f64 v[164:165], s[14:15], v[164:165]
	v_cvt_f32_f64_e32 v164, v[164:165]
	s_branch .LBB167_52
.LBB167_51:
	v_mov_b32_e32 v164, 0
.LBB167_52:
	v_add_f64 v[166:167], v[26:27], v[158:159]
	v_add_f64 v[174:175], v[24:25], v[156:157]
	v_cvt_f32_f64_e32 v165, v[174:175]
	v_cvt_f32_f64_e32 v166, v[166:167]
	v_min3_f32 v165, v165, v166, v251
	v_add_f64 v[166:167], v[30:31], v[154:155]
	v_add_f64 v[174:175], v[28:29], v[152:153]
	v_cvt_f32_f64_e32 v173, v[174:175]
	v_cvt_f32_f64_e32 v166, v[166:167]
	v_min_f32_e32 v166, v173, v166
	v_min3_f32 v164, v164, v166, v165
	v_cvt_f64_f32_e32 v[164:165], v164
	v_lshl_add_u64 v[166:167], v[162:163], 3, v[168:169]
	global_store_dwordx2 v[166:167], v[164:165], off
.LBB167_53:
	s_or_b64 exec, exec, s[6:7]
	v_add_u32_e32 v164, 64, v160
	v_cmp_gt_i32_e64 s[6:7], s16, v164
	v_ashrrev_i32_e32 v165, 31, v164
	s_and_b64 s[18:19], s[6:7], s[10:11]
	s_and_saveexec_b64 s[8:9], s[18:19]
	s_cbranch_execz .LBB167_58
; %bb.54:
	s_and_b64 vcc, exec, s[0:1]
	s_cbranch_vccnz .LBB167_56
; %bb.55:
	v_lshl_add_u64 v[166:167], v[164:165], 3, v[170:171]
	global_load_dwordx2 v[166:167], v[166:167], off
	s_waitcnt vmcnt(0)
	v_mul_f64 v[166:167], s[14:15], v[166:167]
	v_cvt_f32_f64_e32 v166, v[166:167]
	s_branch .LBB167_57
.LBB167_56:
	v_mov_b32_e32 v166, 0
.LBB167_57:
	v_add_f64 v[174:175], v[22:23], v[158:159]
	v_add_f64 v[176:177], v[20:21], v[156:157]
	v_cvt_f32_f64_e32 v167, v[176:177]
	v_cvt_f32_f64_e32 v173, v[174:175]
	v_add_f64 v[174:175], v[14:15], v[154:155]
	v_add_f64 v[176:177], v[12:13], v[152:153]
	v_min3_f32 v167, v167, v173, v250
	v_cvt_f32_f64_e32 v173, v[176:177]
	v_cvt_f32_f64_e32 v174, v[174:175]
	v_min_f32_e32 v173, v173, v174
	v_min3_f32 v166, v166, v173, v167
	v_cvt_f64_f32_e32 v[166:167], v166
	v_lshl_add_u64 v[174:175], v[164:165], 3, v[168:169]
	global_store_dwordx2 v[174:175], v[166:167], off
.LBB167_58:
	s_or_b64 exec, exec, s[8:9]
	v_add_u32_e32 v166, 0x60, v160
	v_cmp_gt_i32_e64 s[8:9], s16, v166
	v_ashrrev_i32_e32 v167, 31, v166
	s_and_b64 s[18:19], s[8:9], s[10:11]
	s_and_saveexec_b64 s[10:11], s[18:19]
	s_cbranch_execz .LBB167_63
; %bb.59:
	s_and_b64 vcc, exec, s[0:1]
	s_cbranch_vccnz .LBB167_61
; %bb.60:
	v_lshl_add_u64 v[170:171], v[166:167], 3, v[170:171]
	global_load_dwordx2 v[170:171], v[170:171], off
	s_waitcnt vmcnt(0)
	v_mul_f64 v[170:171], s[14:15], v[170:171]
	v_cvt_f32_f64_e32 v170, v[170:171]
	s_branch .LBB167_62
.LBB167_61:
	v_mov_b32_e32 v170, 0
.LBB167_62:
	v_add_f64 v[158:159], v[6:7], v[158:159]
	v_add_f64 v[156:157], v[4:5], v[156:157]
	;; [unrolled: 1-line block ×4, first 2 shown]
	v_cvt_f32_f64_e32 v156, v[156:157]
	v_cvt_f32_f64_e32 v157, v[158:159]
	;; [unrolled: 1-line block ×4, first 2 shown]
	v_min3_f32 v156, v156, v157, v249
	v_min_f32_e32 v152, v152, v153
	v_min3_f32 v152, v170, v152, v156
	v_cvt_f64_f32_e32 v[152:153], v152
	v_lshl_add_u64 v[154:155], v[166:167], 3, v[168:169]
	global_store_dwordx2 v[154:155], v[152:153], off
.LBB167_63:
	s_or_b64 exec, exec, s[10:11]
	v_add_u32_e32 v156, 8, v172
	v_mad_i64_i32 v[152:153], s[18:19], v156, s21, 0
	v_cmp_gt_i32_e64 s[10:11], s17, v156
	v_lshl_add_u64 v[154:155], v[152:153], 3, s[26:27]
	v_mad_i64_i32 v[152:153], s[18:19], v156, s20, 0
	v_lshl_add_u64 v[152:153], v[152:153], 3, s[12:13]
	s_and_b64 s[22:23], s[2:3], s[10:11]
	s_and_saveexec_b64 s[18:19], s[22:23]
	s_cbranch_execnz .LBB167_67
; %bb.64:
	s_or_b64 exec, exec, s[18:19]
	s_and_b64 s[22:23], s[4:5], s[10:11]
	s_and_saveexec_b64 s[18:19], s[22:23]
	s_cbranch_execnz .LBB167_71
.LBB167_65:
	s_or_b64 exec, exec, s[18:19]
	s_and_b64 s[22:23], s[6:7], s[10:11]
	s_and_saveexec_b64 s[18:19], s[22:23]
	s_cbranch_execnz .LBB167_75
.LBB167_66:
	s_or_b64 exec, exec, s[18:19]
	s_and_b64 s[18:19], s[8:9], s[10:11]
	s_and_saveexec_b64 s[10:11], s[18:19]
	s_cbranch_execnz .LBB167_79
	s_branch .LBB167_83
.LBB167_67:
	s_and_b64 vcc, exec, s[0:1]
	s_cbranch_vccnz .LBB167_69
; %bb.68:
	v_lshl_add_u64 v[156:157], v[160:161], 3, v[154:155]
	global_load_dwordx2 v[156:157], v[156:157], off
	s_waitcnt vmcnt(0)
	v_mul_f64 v[156:157], s[14:15], v[156:157]
	v_cvt_f32_f64_e32 v156, v[156:157]
	s_branch .LBB167_70
.LBB167_69:
	v_mov_b32_e32 v156, 0
.LBB167_70:
	v_add_f64 v[158:159], v[38:39], v[150:151]
	v_add_f64 v[168:169], v[36:37], v[148:149]
	v_cvt_f32_f64_e32 v157, v[168:169]
	v_cvt_f32_f64_e32 v158, v[158:159]
	v_min3_f32 v157, v157, v158, v248
	v_add_f64 v[158:159], v[34:35], v[146:147]
	v_add_f64 v[168:169], v[32:33], v[144:145]
	v_cvt_f32_f64_e32 v168, v[168:169]
	v_cvt_f32_f64_e32 v158, v[158:159]
	v_min_f32_e32 v158, v168, v158
	v_min3_f32 v156, v156, v158, v157
	v_cvt_f64_f32_e32 v[156:157], v156
	v_lshl_add_u64 v[158:159], v[160:161], 3, v[152:153]
	global_store_dwordx2 v[158:159], v[156:157], off
	s_or_b64 exec, exec, s[18:19]
	s_and_b64 s[22:23], s[4:5], s[10:11]
	s_and_saveexec_b64 s[18:19], s[22:23]
	s_cbranch_execz .LBB167_65
.LBB167_71:
	s_and_b64 vcc, exec, s[0:1]
	s_cbranch_vccnz .LBB167_73
; %bb.72:
	v_lshl_add_u64 v[156:157], v[162:163], 3, v[154:155]
	global_load_dwordx2 v[156:157], v[156:157], off
	s_waitcnt vmcnt(0)
	v_mul_f64 v[156:157], s[14:15], v[156:157]
	v_cvt_f32_f64_e32 v156, v[156:157]
	s_branch .LBB167_74
.LBB167_73:
	v_mov_b32_e32 v156, 0
.LBB167_74:
	v_add_f64 v[158:159], v[26:27], v[150:151]
	v_add_f64 v[168:169], v[24:25], v[148:149]
	v_cvt_f32_f64_e32 v157, v[168:169]
	v_cvt_f32_f64_e32 v158, v[158:159]
	v_min3_f32 v157, v157, v158, v242
	v_add_f64 v[158:159], v[30:31], v[146:147]
	v_add_f64 v[168:169], v[28:29], v[144:145]
	v_cvt_f32_f64_e32 v168, v[168:169]
	v_cvt_f32_f64_e32 v158, v[158:159]
	v_min_f32_e32 v158, v168, v158
	v_min3_f32 v156, v156, v158, v157
	v_cvt_f64_f32_e32 v[156:157], v156
	v_lshl_add_u64 v[158:159], v[162:163], 3, v[152:153]
	global_store_dwordx2 v[158:159], v[156:157], off
	s_or_b64 exec, exec, s[18:19]
	s_and_b64 s[22:23], s[6:7], s[10:11]
	s_and_saveexec_b64 s[18:19], s[22:23]
	s_cbranch_execz .LBB167_66
.LBB167_75:
	s_and_b64 vcc, exec, s[0:1]
	s_cbranch_vccnz .LBB167_77
; %bb.76:
	v_lshl_add_u64 v[156:157], v[164:165], 3, v[154:155]
	global_load_dwordx2 v[156:157], v[156:157], off
	s_waitcnt vmcnt(0)
	v_mul_f64 v[156:157], s[14:15], v[156:157]
	v_cvt_f32_f64_e32 v156, v[156:157]
	s_branch .LBB167_78
.LBB167_77:
	v_mov_b32_e32 v156, 0
.LBB167_78:
	v_add_f64 v[158:159], v[22:23], v[150:151]
	v_add_f64 v[168:169], v[20:21], v[148:149]
	v_cvt_f32_f64_e32 v157, v[168:169]
	v_cvt_f32_f64_e32 v158, v[158:159]
	v_min3_f32 v157, v157, v158, v241
	v_add_f64 v[158:159], v[14:15], v[146:147]
	v_add_f64 v[168:169], v[12:13], v[144:145]
	v_cvt_f32_f64_e32 v168, v[168:169]
	v_cvt_f32_f64_e32 v158, v[158:159]
	v_min_f32_e32 v158, v168, v158
	v_min3_f32 v156, v156, v158, v157
	v_cvt_f64_f32_e32 v[156:157], v156
	v_lshl_add_u64 v[158:159], v[164:165], 3, v[152:153]
	global_store_dwordx2 v[158:159], v[156:157], off
	s_or_b64 exec, exec, s[18:19]
	s_and_b64 s[18:19], s[8:9], s[10:11]
	s_and_saveexec_b64 s[10:11], s[18:19]
	s_cbranch_execz .LBB167_83
.LBB167_79:
	s_and_b64 vcc, exec, s[0:1]
	s_cbranch_vccnz .LBB167_81
; %bb.80:
	v_lshl_add_u64 v[154:155], v[166:167], 3, v[154:155]
	global_load_dwordx2 v[154:155], v[154:155], off
	s_waitcnt vmcnt(0)
	v_mul_f64 v[154:155], s[14:15], v[154:155]
	v_cvt_f32_f64_e32 v154, v[154:155]
	s_branch .LBB167_82
.LBB167_81:
	v_mov_b32_e32 v154, 0
.LBB167_82:
	v_add_f64 v[150:151], v[6:7], v[150:151]
	v_add_f64 v[148:149], v[4:5], v[148:149]
	;; [unrolled: 1-line block ×4, first 2 shown]
	v_cvt_f32_f64_e32 v148, v[148:149]
	v_cvt_f32_f64_e32 v149, v[150:151]
	;; [unrolled: 1-line block ×4, first 2 shown]
	v_min3_f32 v148, v148, v149, v240
	v_min_f32_e32 v144, v144, v145
	v_min3_f32 v144, v154, v144, v148
	v_cvt_f64_f32_e32 v[144:145], v144
	v_lshl_add_u64 v[146:147], v[166:167], 3, v[152:153]
	global_store_dwordx2 v[146:147], v[144:145], off
.LBB167_83:
	s_or_b64 exec, exec, s[10:11]
	v_add_u32_e32 v148, 16, v172
	v_mad_i64_i32 v[144:145], s[18:19], v148, s21, 0
	v_cmp_gt_i32_e64 s[10:11], s17, v148
	v_lshl_add_u64 v[146:147], v[144:145], 3, s[26:27]
	v_mad_i64_i32 v[144:145], s[18:19], v148, s20, 0
	v_lshl_add_u64 v[144:145], v[144:145], 3, s[12:13]
	s_and_b64 s[22:23], s[2:3], s[10:11]
	s_and_saveexec_b64 s[18:19], s[22:23]
	s_cbranch_execnz .LBB167_87
; %bb.84:
	s_or_b64 exec, exec, s[18:19]
	s_and_b64 s[22:23], s[4:5], s[10:11]
	s_and_saveexec_b64 s[18:19], s[22:23]
	s_cbranch_execnz .LBB167_91
.LBB167_85:
	s_or_b64 exec, exec, s[18:19]
	s_and_b64 s[22:23], s[6:7], s[10:11]
	s_and_saveexec_b64 s[18:19], s[22:23]
	s_cbranch_execnz .LBB167_95
.LBB167_86:
	s_or_b64 exec, exec, s[18:19]
	s_and_b64 s[18:19], s[8:9], s[10:11]
	s_and_saveexec_b64 s[10:11], s[18:19]
	s_cbranch_execnz .LBB167_99
	s_branch .LBB167_103
.LBB167_87:
	s_and_b64 vcc, exec, s[0:1]
	s_cbranch_vccnz .LBB167_89
; %bb.88:
	v_lshl_add_u64 v[148:149], v[160:161], 3, v[146:147]
	global_load_dwordx2 v[148:149], v[148:149], off
	s_waitcnt vmcnt(0)
	v_mul_f64 v[148:149], s[14:15], v[148:149]
	v_cvt_f32_f64_e32 v148, v[148:149]
	s_branch .LBB167_90
.LBB167_89:
	v_mov_b32_e32 v148, 0
.LBB167_90:
	v_add_f64 v[150:151], v[38:39], v[142:143]
	v_add_f64 v[152:153], v[36:37], v[140:141]
	v_cvt_f32_f64_e32 v149, v[152:153]
	v_cvt_f32_f64_e32 v150, v[150:151]
	v_min3_f32 v149, v149, v150, v239
	v_add_f64 v[150:151], v[34:35], v[138:139]
	v_add_f64 v[152:153], v[32:33], v[136:137]
	v_cvt_f32_f64_e32 v152, v[152:153]
	v_cvt_f32_f64_e32 v150, v[150:151]
	v_min_f32_e32 v150, v152, v150
	v_min3_f32 v148, v148, v150, v149
	v_cvt_f64_f32_e32 v[148:149], v148
	v_lshl_add_u64 v[150:151], v[160:161], 3, v[144:145]
	global_store_dwordx2 v[150:151], v[148:149], off
	s_or_b64 exec, exec, s[18:19]
	s_and_b64 s[22:23], s[4:5], s[10:11]
	s_and_saveexec_b64 s[18:19], s[22:23]
	s_cbranch_execz .LBB167_85
.LBB167_91:
	s_and_b64 vcc, exec, s[0:1]
	s_cbranch_vccnz .LBB167_93
; %bb.92:
	v_lshl_add_u64 v[148:149], v[162:163], 3, v[146:147]
	global_load_dwordx2 v[148:149], v[148:149], off
	s_waitcnt vmcnt(0)
	v_mul_f64 v[148:149], s[14:15], v[148:149]
	v_cvt_f32_f64_e32 v148, v[148:149]
	s_branch .LBB167_94
.LBB167_93:
	v_mov_b32_e32 v148, 0
.LBB167_94:
	v_add_f64 v[150:151], v[26:27], v[142:143]
	v_add_f64 v[152:153], v[24:25], v[140:141]
	v_cvt_f32_f64_e32 v149, v[152:153]
	v_cvt_f32_f64_e32 v150, v[150:151]
	v_min3_f32 v149, v149, v150, v238
	v_add_f64 v[150:151], v[30:31], v[138:139]
	v_add_f64 v[152:153], v[28:29], v[136:137]
	v_cvt_f32_f64_e32 v152, v[152:153]
	v_cvt_f32_f64_e32 v150, v[150:151]
	v_min_f32_e32 v150, v152, v150
	v_min3_f32 v148, v148, v150, v149
	v_cvt_f64_f32_e32 v[148:149], v148
	v_lshl_add_u64 v[150:151], v[162:163], 3, v[144:145]
	global_store_dwordx2 v[150:151], v[148:149], off
	s_or_b64 exec, exec, s[18:19]
	s_and_b64 s[22:23], s[6:7], s[10:11]
	s_and_saveexec_b64 s[18:19], s[22:23]
	s_cbranch_execz .LBB167_86
.LBB167_95:
	s_and_b64 vcc, exec, s[0:1]
	s_cbranch_vccnz .LBB167_97
; %bb.96:
	v_lshl_add_u64 v[148:149], v[164:165], 3, v[146:147]
	global_load_dwordx2 v[148:149], v[148:149], off
	s_waitcnt vmcnt(0)
	v_mul_f64 v[148:149], s[14:15], v[148:149]
	v_cvt_f32_f64_e32 v148, v[148:149]
	s_branch .LBB167_98
.LBB167_97:
	v_mov_b32_e32 v148, 0
.LBB167_98:
	v_add_f64 v[150:151], v[22:23], v[142:143]
	v_add_f64 v[152:153], v[20:21], v[140:141]
	v_cvt_f32_f64_e32 v149, v[152:153]
	v_cvt_f32_f64_e32 v150, v[150:151]
	v_min3_f32 v149, v149, v150, v237
	v_add_f64 v[150:151], v[14:15], v[138:139]
	v_add_f64 v[152:153], v[12:13], v[136:137]
	v_cvt_f32_f64_e32 v152, v[152:153]
	v_cvt_f32_f64_e32 v150, v[150:151]
	v_min_f32_e32 v150, v152, v150
	v_min3_f32 v148, v148, v150, v149
	v_cvt_f64_f32_e32 v[148:149], v148
	v_lshl_add_u64 v[150:151], v[164:165], 3, v[144:145]
	global_store_dwordx2 v[150:151], v[148:149], off
	s_or_b64 exec, exec, s[18:19]
	s_and_b64 s[18:19], s[8:9], s[10:11]
	s_and_saveexec_b64 s[10:11], s[18:19]
	s_cbranch_execz .LBB167_103
.LBB167_99:
	s_and_b64 vcc, exec, s[0:1]
	s_cbranch_vccnz .LBB167_101
; %bb.100:
	v_lshl_add_u64 v[146:147], v[166:167], 3, v[146:147]
	global_load_dwordx2 v[146:147], v[146:147], off
	s_waitcnt vmcnt(0)
	v_mul_f64 v[146:147], s[14:15], v[146:147]
	v_cvt_f32_f64_e32 v146, v[146:147]
	s_branch .LBB167_102
.LBB167_101:
	v_mov_b32_e32 v146, 0
.LBB167_102:
	v_add_f64 v[142:143], v[6:7], v[142:143]
	v_add_f64 v[140:141], v[4:5], v[140:141]
	;; [unrolled: 1-line block ×4, first 2 shown]
	v_cvt_f32_f64_e32 v140, v[140:141]
	v_cvt_f32_f64_e32 v141, v[142:143]
	;; [unrolled: 1-line block ×4, first 2 shown]
	v_min3_f32 v140, v140, v141, v236
	v_min_f32_e32 v136, v136, v137
	v_min3_f32 v136, v146, v136, v140
	v_cvt_f64_f32_e32 v[136:137], v136
	v_lshl_add_u64 v[138:139], v[166:167], 3, v[144:145]
	global_store_dwordx2 v[138:139], v[136:137], off
.LBB167_103:
	s_or_b64 exec, exec, s[10:11]
	v_add_u32_e32 v140, 24, v172
	v_mad_i64_i32 v[136:137], s[18:19], v140, s21, 0
	v_cmp_gt_i32_e64 s[10:11], s17, v140
	v_lshl_add_u64 v[138:139], v[136:137], 3, s[26:27]
	v_mad_i64_i32 v[136:137], s[18:19], v140, s20, 0
	v_lshl_add_u64 v[136:137], v[136:137], 3, s[12:13]
	s_and_b64 s[22:23], s[2:3], s[10:11]
	s_and_saveexec_b64 s[18:19], s[22:23]
	s_cbranch_execnz .LBB167_107
; %bb.104:
	s_or_b64 exec, exec, s[18:19]
	s_and_b64 s[22:23], s[4:5], s[10:11]
	s_and_saveexec_b64 s[18:19], s[22:23]
	s_cbranch_execnz .LBB167_111
.LBB167_105:
	s_or_b64 exec, exec, s[18:19]
	s_and_b64 s[22:23], s[6:7], s[10:11]
	s_and_saveexec_b64 s[18:19], s[22:23]
	s_cbranch_execnz .LBB167_115
.LBB167_106:
	s_or_b64 exec, exec, s[18:19]
	s_and_b64 s[18:19], s[8:9], s[10:11]
	s_and_saveexec_b64 s[10:11], s[18:19]
	s_cbranch_execnz .LBB167_119
	s_branch .LBB167_123
.LBB167_107:
	s_and_b64 vcc, exec, s[0:1]
	s_cbranch_vccnz .LBB167_109
; %bb.108:
	v_lshl_add_u64 v[140:141], v[160:161], 3, v[138:139]
	global_load_dwordx2 v[140:141], v[140:141], off
	s_waitcnt vmcnt(0)
	v_mul_f64 v[140:141], s[14:15], v[140:141]
	v_cvt_f32_f64_e32 v140, v[140:141]
	s_branch .LBB167_110
.LBB167_109:
	v_mov_b32_e32 v140, 0
.LBB167_110:
	v_add_f64 v[142:143], v[38:39], v[134:135]
	v_add_f64 v[144:145], v[36:37], v[132:133]
	v_cvt_f32_f64_e32 v141, v[144:145]
	v_cvt_f32_f64_e32 v142, v[142:143]
	v_min3_f32 v141, v141, v142, v235
	v_add_f64 v[142:143], v[34:35], v[130:131]
	v_add_f64 v[144:145], v[32:33], v[128:129]
	v_cvt_f32_f64_e32 v144, v[144:145]
	v_cvt_f32_f64_e32 v142, v[142:143]
	v_min_f32_e32 v142, v144, v142
	v_min3_f32 v140, v140, v142, v141
	v_cvt_f64_f32_e32 v[140:141], v140
	v_lshl_add_u64 v[142:143], v[160:161], 3, v[136:137]
	global_store_dwordx2 v[142:143], v[140:141], off
	s_or_b64 exec, exec, s[18:19]
	s_and_b64 s[22:23], s[4:5], s[10:11]
	s_and_saveexec_b64 s[18:19], s[22:23]
	s_cbranch_execz .LBB167_105
.LBB167_111:
	s_and_b64 vcc, exec, s[0:1]
	s_cbranch_vccnz .LBB167_113
; %bb.112:
	v_lshl_add_u64 v[140:141], v[162:163], 3, v[138:139]
	global_load_dwordx2 v[140:141], v[140:141], off
	s_waitcnt vmcnt(0)
	v_mul_f64 v[140:141], s[14:15], v[140:141]
	v_cvt_f32_f64_e32 v140, v[140:141]
	s_branch .LBB167_114
.LBB167_113:
	v_mov_b32_e32 v140, 0
.LBB167_114:
	v_add_f64 v[142:143], v[26:27], v[134:135]
	v_add_f64 v[144:145], v[24:25], v[132:133]
	v_cvt_f32_f64_e32 v141, v[144:145]
	v_cvt_f32_f64_e32 v142, v[142:143]
	v_min3_f32 v141, v141, v142, v234
	v_add_f64 v[142:143], v[30:31], v[130:131]
	v_add_f64 v[144:145], v[28:29], v[128:129]
	v_cvt_f32_f64_e32 v144, v[144:145]
	v_cvt_f32_f64_e32 v142, v[142:143]
	v_min_f32_e32 v142, v144, v142
	v_min3_f32 v140, v140, v142, v141
	v_cvt_f64_f32_e32 v[140:141], v140
	v_lshl_add_u64 v[142:143], v[162:163], 3, v[136:137]
	global_store_dwordx2 v[142:143], v[140:141], off
	s_or_b64 exec, exec, s[18:19]
	s_and_b64 s[22:23], s[6:7], s[10:11]
	s_and_saveexec_b64 s[18:19], s[22:23]
	s_cbranch_execz .LBB167_106
.LBB167_115:
	s_and_b64 vcc, exec, s[0:1]
	s_cbranch_vccnz .LBB167_117
; %bb.116:
	v_lshl_add_u64 v[140:141], v[164:165], 3, v[138:139]
	global_load_dwordx2 v[140:141], v[140:141], off
	s_waitcnt vmcnt(0)
	v_mul_f64 v[140:141], s[14:15], v[140:141]
	v_cvt_f32_f64_e32 v140, v[140:141]
	s_branch .LBB167_118
.LBB167_117:
	v_mov_b32_e32 v140, 0
.LBB167_118:
	v_add_f64 v[142:143], v[22:23], v[134:135]
	v_add_f64 v[144:145], v[20:21], v[132:133]
	v_cvt_f32_f64_e32 v141, v[144:145]
	v_cvt_f32_f64_e32 v142, v[142:143]
	v_min3_f32 v141, v141, v142, v233
	v_add_f64 v[142:143], v[14:15], v[130:131]
	v_add_f64 v[144:145], v[12:13], v[128:129]
	v_cvt_f32_f64_e32 v144, v[144:145]
	v_cvt_f32_f64_e32 v142, v[142:143]
	v_min_f32_e32 v142, v144, v142
	v_min3_f32 v140, v140, v142, v141
	v_cvt_f64_f32_e32 v[140:141], v140
	v_lshl_add_u64 v[142:143], v[164:165], 3, v[136:137]
	global_store_dwordx2 v[142:143], v[140:141], off
	s_or_b64 exec, exec, s[18:19]
	s_and_b64 s[18:19], s[8:9], s[10:11]
	s_and_saveexec_b64 s[10:11], s[18:19]
	s_cbranch_execz .LBB167_123
.LBB167_119:
	s_and_b64 vcc, exec, s[0:1]
	s_cbranch_vccnz .LBB167_121
; %bb.120:
	v_lshl_add_u64 v[138:139], v[166:167], 3, v[138:139]
	global_load_dwordx2 v[138:139], v[138:139], off
	s_waitcnt vmcnt(0)
	v_mul_f64 v[138:139], s[14:15], v[138:139]
	v_cvt_f32_f64_e32 v138, v[138:139]
	s_branch .LBB167_122
.LBB167_121:
	v_mov_b32_e32 v138, 0
.LBB167_122:
	v_add_f64 v[134:135], v[6:7], v[134:135]
	v_add_f64 v[132:133], v[4:5], v[132:133]
	;; [unrolled: 1-line block ×4, first 2 shown]
	v_cvt_f32_f64_e32 v132, v[132:133]
	v_cvt_f32_f64_e32 v133, v[134:135]
	;; [unrolled: 1-line block ×4, first 2 shown]
	v_min3_f32 v132, v132, v133, v232
	v_min_f32_e32 v128, v128, v129
	v_min3_f32 v128, v138, v128, v132
	v_cvt_f64_f32_e32 v[128:129], v128
	v_lshl_add_u64 v[130:131], v[166:167], 3, v[136:137]
	global_store_dwordx2 v[130:131], v[128:129], off
.LBB167_123:
	s_or_b64 exec, exec, s[10:11]
	v_add_u32_e32 v132, 32, v172
	v_mad_i64_i32 v[128:129], s[18:19], v132, s21, 0
	v_cmp_gt_i32_e64 s[10:11], s17, v132
	v_lshl_add_u64 v[130:131], v[128:129], 3, s[26:27]
	v_mad_i64_i32 v[128:129], s[18:19], v132, s20, 0
	v_lshl_add_u64 v[128:129], v[128:129], 3, s[12:13]
	s_and_b64 s[22:23], s[2:3], s[10:11]
	s_and_saveexec_b64 s[18:19], s[22:23]
	s_cbranch_execnz .LBB167_127
; %bb.124:
	s_or_b64 exec, exec, s[18:19]
	s_and_b64 s[22:23], s[4:5], s[10:11]
	s_and_saveexec_b64 s[18:19], s[22:23]
	s_cbranch_execnz .LBB167_131
.LBB167_125:
	s_or_b64 exec, exec, s[18:19]
	s_and_b64 s[22:23], s[6:7], s[10:11]
	s_and_saveexec_b64 s[18:19], s[22:23]
	s_cbranch_execnz .LBB167_135
.LBB167_126:
	s_or_b64 exec, exec, s[18:19]
	s_and_b64 s[18:19], s[8:9], s[10:11]
	s_and_saveexec_b64 s[10:11], s[18:19]
	s_cbranch_execnz .LBB167_139
	s_branch .LBB167_143
.LBB167_127:
	s_and_b64 vcc, exec, s[0:1]
	s_cbranch_vccnz .LBB167_129
; %bb.128:
	v_lshl_add_u64 v[132:133], v[160:161], 3, v[130:131]
	global_load_dwordx2 v[132:133], v[132:133], off
	s_waitcnt vmcnt(0)
	v_mul_f64 v[132:133], s[14:15], v[132:133]
	v_cvt_f32_f64_e32 v132, v[132:133]
	s_branch .LBB167_130
.LBB167_129:
	v_mov_b32_e32 v132, 0
.LBB167_130:
	v_add_f64 v[134:135], v[38:39], v[126:127]
	v_add_f64 v[136:137], v[36:37], v[124:125]
	v_cvt_f32_f64_e32 v133, v[136:137]
	v_cvt_f32_f64_e32 v134, v[134:135]
	v_min3_f32 v133, v133, v134, v231
	v_add_f64 v[134:135], v[34:35], v[122:123]
	v_add_f64 v[136:137], v[32:33], v[120:121]
	v_cvt_f32_f64_e32 v136, v[136:137]
	v_cvt_f32_f64_e32 v134, v[134:135]
	v_min_f32_e32 v134, v136, v134
	v_min3_f32 v132, v132, v134, v133
	v_cvt_f64_f32_e32 v[132:133], v132
	v_lshl_add_u64 v[134:135], v[160:161], 3, v[128:129]
	global_store_dwordx2 v[134:135], v[132:133], off
	s_or_b64 exec, exec, s[18:19]
	s_and_b64 s[22:23], s[4:5], s[10:11]
	s_and_saveexec_b64 s[18:19], s[22:23]
	s_cbranch_execz .LBB167_125
.LBB167_131:
	s_and_b64 vcc, exec, s[0:1]
	s_cbranch_vccnz .LBB167_133
; %bb.132:
	v_lshl_add_u64 v[132:133], v[162:163], 3, v[130:131]
	global_load_dwordx2 v[132:133], v[132:133], off
	s_waitcnt vmcnt(0)
	v_mul_f64 v[132:133], s[14:15], v[132:133]
	v_cvt_f32_f64_e32 v132, v[132:133]
	s_branch .LBB167_134
.LBB167_133:
	v_mov_b32_e32 v132, 0
.LBB167_134:
	v_add_f64 v[134:135], v[26:27], v[126:127]
	v_add_f64 v[136:137], v[24:25], v[124:125]
	v_cvt_f32_f64_e32 v133, v[136:137]
	v_cvt_f32_f64_e32 v134, v[134:135]
	v_min3_f32 v133, v133, v134, v230
	v_add_f64 v[134:135], v[30:31], v[122:123]
	v_add_f64 v[136:137], v[28:29], v[120:121]
	v_cvt_f32_f64_e32 v136, v[136:137]
	v_cvt_f32_f64_e32 v134, v[134:135]
	v_min_f32_e32 v134, v136, v134
	v_min3_f32 v132, v132, v134, v133
	v_cvt_f64_f32_e32 v[132:133], v132
	v_lshl_add_u64 v[134:135], v[162:163], 3, v[128:129]
	global_store_dwordx2 v[134:135], v[132:133], off
	s_or_b64 exec, exec, s[18:19]
	s_and_b64 s[22:23], s[6:7], s[10:11]
	s_and_saveexec_b64 s[18:19], s[22:23]
	s_cbranch_execz .LBB167_126
.LBB167_135:
	s_and_b64 vcc, exec, s[0:1]
	s_cbranch_vccnz .LBB167_137
; %bb.136:
	v_lshl_add_u64 v[132:133], v[164:165], 3, v[130:131]
	global_load_dwordx2 v[132:133], v[132:133], off
	s_waitcnt vmcnt(0)
	v_mul_f64 v[132:133], s[14:15], v[132:133]
	v_cvt_f32_f64_e32 v132, v[132:133]
	s_branch .LBB167_138
.LBB167_137:
	v_mov_b32_e32 v132, 0
.LBB167_138:
	v_add_f64 v[134:135], v[22:23], v[126:127]
	v_add_f64 v[136:137], v[20:21], v[124:125]
	v_cvt_f32_f64_e32 v133, v[136:137]
	v_cvt_f32_f64_e32 v134, v[134:135]
	v_min3_f32 v133, v133, v134, v229
	v_add_f64 v[134:135], v[14:15], v[122:123]
	v_add_f64 v[136:137], v[12:13], v[120:121]
	v_cvt_f32_f64_e32 v136, v[136:137]
	v_cvt_f32_f64_e32 v134, v[134:135]
	v_min_f32_e32 v134, v136, v134
	v_min3_f32 v132, v132, v134, v133
	v_cvt_f64_f32_e32 v[132:133], v132
	v_lshl_add_u64 v[134:135], v[164:165], 3, v[128:129]
	global_store_dwordx2 v[134:135], v[132:133], off
	s_or_b64 exec, exec, s[18:19]
	s_and_b64 s[18:19], s[8:9], s[10:11]
	s_and_saveexec_b64 s[10:11], s[18:19]
	s_cbranch_execz .LBB167_143
.LBB167_139:
	s_and_b64 vcc, exec, s[0:1]
	s_cbranch_vccnz .LBB167_141
; %bb.140:
	v_lshl_add_u64 v[130:131], v[166:167], 3, v[130:131]
	global_load_dwordx2 v[130:131], v[130:131], off
	s_waitcnt vmcnt(0)
	v_mul_f64 v[130:131], s[14:15], v[130:131]
	v_cvt_f32_f64_e32 v130, v[130:131]
	s_branch .LBB167_142
.LBB167_141:
	v_mov_b32_e32 v130, 0
.LBB167_142:
	v_add_f64 v[126:127], v[6:7], v[126:127]
	v_add_f64 v[124:125], v[4:5], v[124:125]
	;; [unrolled: 1-line block ×4, first 2 shown]
	v_cvt_f32_f64_e32 v124, v[124:125]
	v_cvt_f32_f64_e32 v125, v[126:127]
	v_cvt_f32_f64_e32 v120, v[120:121]
	v_cvt_f32_f64_e32 v121, v[122:123]
	v_min3_f32 v124, v124, v125, v228
	v_min_f32_e32 v120, v120, v121
	v_min3_f32 v120, v130, v120, v124
	v_cvt_f64_f32_e32 v[120:121], v120
	v_lshl_add_u64 v[122:123], v[166:167], 3, v[128:129]
	global_store_dwordx2 v[122:123], v[120:121], off
.LBB167_143:
	s_or_b64 exec, exec, s[10:11]
	v_add_u32_e32 v124, 40, v172
	v_mad_i64_i32 v[120:121], s[18:19], v124, s21, 0
	v_cmp_gt_i32_e64 s[10:11], s17, v124
	v_lshl_add_u64 v[122:123], v[120:121], 3, s[26:27]
	v_mad_i64_i32 v[120:121], s[18:19], v124, s20, 0
	v_lshl_add_u64 v[120:121], v[120:121], 3, s[12:13]
	s_and_b64 s[22:23], s[2:3], s[10:11]
	s_and_saveexec_b64 s[18:19], s[22:23]
	s_cbranch_execnz .LBB167_147
; %bb.144:
	s_or_b64 exec, exec, s[18:19]
	s_and_b64 s[22:23], s[4:5], s[10:11]
	s_and_saveexec_b64 s[18:19], s[22:23]
	s_cbranch_execnz .LBB167_151
.LBB167_145:
	s_or_b64 exec, exec, s[18:19]
	s_and_b64 s[22:23], s[6:7], s[10:11]
	s_and_saveexec_b64 s[18:19], s[22:23]
	s_cbranch_execnz .LBB167_155
.LBB167_146:
	s_or_b64 exec, exec, s[18:19]
	s_and_b64 s[18:19], s[8:9], s[10:11]
	s_and_saveexec_b64 s[10:11], s[18:19]
	s_cbranch_execnz .LBB167_159
	s_branch .LBB167_163
.LBB167_147:
	s_and_b64 vcc, exec, s[0:1]
	s_cbranch_vccnz .LBB167_149
; %bb.148:
	v_lshl_add_u64 v[124:125], v[160:161], 3, v[122:123]
	global_load_dwordx2 v[124:125], v[124:125], off
	s_waitcnt vmcnt(0)
	v_mul_f64 v[124:125], s[14:15], v[124:125]
	v_cvt_f32_f64_e32 v124, v[124:125]
	s_branch .LBB167_150
.LBB167_149:
	v_mov_b32_e32 v124, 0
.LBB167_150:
	v_add_f64 v[126:127], v[38:39], v[118:119]
	v_add_f64 v[128:129], v[36:37], v[116:117]
	v_cvt_f32_f64_e32 v125, v[128:129]
	v_cvt_f32_f64_e32 v126, v[126:127]
	v_min3_f32 v125, v125, v126, v227
	v_add_f64 v[126:127], v[34:35], v[114:115]
	v_add_f64 v[128:129], v[32:33], v[112:113]
	v_cvt_f32_f64_e32 v128, v[128:129]
	v_cvt_f32_f64_e32 v126, v[126:127]
	v_min_f32_e32 v126, v128, v126
	v_min3_f32 v124, v124, v126, v125
	v_cvt_f64_f32_e32 v[124:125], v124
	v_lshl_add_u64 v[126:127], v[160:161], 3, v[120:121]
	global_store_dwordx2 v[126:127], v[124:125], off
	s_or_b64 exec, exec, s[18:19]
	s_and_b64 s[22:23], s[4:5], s[10:11]
	s_and_saveexec_b64 s[18:19], s[22:23]
	s_cbranch_execz .LBB167_145
.LBB167_151:
	s_and_b64 vcc, exec, s[0:1]
	s_cbranch_vccnz .LBB167_153
; %bb.152:
	v_lshl_add_u64 v[124:125], v[162:163], 3, v[122:123]
	global_load_dwordx2 v[124:125], v[124:125], off
	s_waitcnt vmcnt(0)
	v_mul_f64 v[124:125], s[14:15], v[124:125]
	v_cvt_f32_f64_e32 v124, v[124:125]
	s_branch .LBB167_154
.LBB167_153:
	v_mov_b32_e32 v124, 0
.LBB167_154:
	v_add_f64 v[126:127], v[26:27], v[118:119]
	v_add_f64 v[128:129], v[24:25], v[116:117]
	v_cvt_f32_f64_e32 v125, v[128:129]
	v_cvt_f32_f64_e32 v126, v[126:127]
	v_min3_f32 v125, v125, v126, v226
	v_add_f64 v[126:127], v[30:31], v[114:115]
	v_add_f64 v[128:129], v[28:29], v[112:113]
	v_cvt_f32_f64_e32 v128, v[128:129]
	v_cvt_f32_f64_e32 v126, v[126:127]
	v_min_f32_e32 v126, v128, v126
	v_min3_f32 v124, v124, v126, v125
	v_cvt_f64_f32_e32 v[124:125], v124
	v_lshl_add_u64 v[126:127], v[162:163], 3, v[120:121]
	global_store_dwordx2 v[126:127], v[124:125], off
	s_or_b64 exec, exec, s[18:19]
	s_and_b64 s[22:23], s[6:7], s[10:11]
	s_and_saveexec_b64 s[18:19], s[22:23]
	s_cbranch_execz .LBB167_146
.LBB167_155:
	s_and_b64 vcc, exec, s[0:1]
	s_cbranch_vccnz .LBB167_157
; %bb.156:
	v_lshl_add_u64 v[124:125], v[164:165], 3, v[122:123]
	global_load_dwordx2 v[124:125], v[124:125], off
	s_waitcnt vmcnt(0)
	v_mul_f64 v[124:125], s[14:15], v[124:125]
	v_cvt_f32_f64_e32 v124, v[124:125]
	s_branch .LBB167_158
.LBB167_157:
	v_mov_b32_e32 v124, 0
.LBB167_158:
	v_add_f64 v[126:127], v[22:23], v[118:119]
	v_add_f64 v[128:129], v[20:21], v[116:117]
	v_cvt_f32_f64_e32 v125, v[128:129]
	v_cvt_f32_f64_e32 v126, v[126:127]
	v_min3_f32 v125, v125, v126, v225
	v_add_f64 v[126:127], v[14:15], v[114:115]
	v_add_f64 v[128:129], v[12:13], v[112:113]
	v_cvt_f32_f64_e32 v128, v[128:129]
	v_cvt_f32_f64_e32 v126, v[126:127]
	v_min_f32_e32 v126, v128, v126
	v_min3_f32 v124, v124, v126, v125
	v_cvt_f64_f32_e32 v[124:125], v124
	v_lshl_add_u64 v[126:127], v[164:165], 3, v[120:121]
	global_store_dwordx2 v[126:127], v[124:125], off
	s_or_b64 exec, exec, s[18:19]
	s_and_b64 s[18:19], s[8:9], s[10:11]
	s_and_saveexec_b64 s[10:11], s[18:19]
	s_cbranch_execz .LBB167_163
.LBB167_159:
	s_and_b64 vcc, exec, s[0:1]
	s_cbranch_vccnz .LBB167_161
; %bb.160:
	v_lshl_add_u64 v[122:123], v[166:167], 3, v[122:123]
	global_load_dwordx2 v[122:123], v[122:123], off
	s_waitcnt vmcnt(0)
	v_mul_f64 v[122:123], s[14:15], v[122:123]
	v_cvt_f32_f64_e32 v122, v[122:123]
	s_branch .LBB167_162
.LBB167_161:
	v_mov_b32_e32 v122, 0
.LBB167_162:
	v_add_f64 v[118:119], v[6:7], v[118:119]
	v_add_f64 v[116:117], v[4:5], v[116:117]
	;; [unrolled: 1-line block ×4, first 2 shown]
	v_cvt_f32_f64_e32 v116, v[116:117]
	v_cvt_f32_f64_e32 v117, v[118:119]
	;; [unrolled: 1-line block ×4, first 2 shown]
	v_min3_f32 v116, v116, v117, v224
	v_min_f32_e32 v112, v112, v113
	v_min3_f32 v112, v122, v112, v116
	v_cvt_f64_f32_e32 v[112:113], v112
	v_lshl_add_u64 v[114:115], v[166:167], 3, v[120:121]
	global_store_dwordx2 v[114:115], v[112:113], off
.LBB167_163:
	s_or_b64 exec, exec, s[10:11]
	v_add_u32_e32 v116, 48, v172
	v_mad_i64_i32 v[112:113], s[18:19], v116, s21, 0
	v_cmp_gt_i32_e64 s[10:11], s17, v116
	v_lshl_add_u64 v[114:115], v[112:113], 3, s[26:27]
	v_mad_i64_i32 v[112:113], s[18:19], v116, s20, 0
	v_lshl_add_u64 v[112:113], v[112:113], 3, s[12:13]
	s_and_b64 s[22:23], s[2:3], s[10:11]
	s_and_saveexec_b64 s[18:19], s[22:23]
	s_cbranch_execnz .LBB167_167
; %bb.164:
	s_or_b64 exec, exec, s[18:19]
	s_and_b64 s[22:23], s[4:5], s[10:11]
	s_and_saveexec_b64 s[18:19], s[22:23]
	s_cbranch_execnz .LBB167_171
.LBB167_165:
	s_or_b64 exec, exec, s[18:19]
	s_and_b64 s[22:23], s[6:7], s[10:11]
	s_and_saveexec_b64 s[18:19], s[22:23]
	s_cbranch_execnz .LBB167_175
.LBB167_166:
	s_or_b64 exec, exec, s[18:19]
	s_and_b64 s[18:19], s[8:9], s[10:11]
	s_and_saveexec_b64 s[10:11], s[18:19]
	s_cbranch_execnz .LBB167_179
	s_branch .LBB167_183
.LBB167_167:
	s_and_b64 vcc, exec, s[0:1]
	s_cbranch_vccnz .LBB167_169
; %bb.168:
	v_lshl_add_u64 v[116:117], v[160:161], 3, v[114:115]
	global_load_dwordx2 v[116:117], v[116:117], off
	s_waitcnt vmcnt(0)
	v_mul_f64 v[116:117], s[14:15], v[116:117]
	v_cvt_f32_f64_e32 v116, v[116:117]
	s_branch .LBB167_170
.LBB167_169:
	v_mov_b32_e32 v116, 0
.LBB167_170:
	v_add_f64 v[118:119], v[38:39], v[110:111]
	v_add_f64 v[120:121], v[36:37], v[108:109]
	v_cvt_f32_f64_e32 v117, v[120:121]
	v_cvt_f32_f64_e32 v118, v[118:119]
	v_min3_f32 v117, v117, v118, v223
	v_add_f64 v[118:119], v[34:35], v[106:107]
	v_add_f64 v[120:121], v[32:33], v[104:105]
	v_cvt_f32_f64_e32 v120, v[120:121]
	v_cvt_f32_f64_e32 v118, v[118:119]
	v_min_f32_e32 v118, v120, v118
	v_min3_f32 v116, v116, v118, v117
	v_cvt_f64_f32_e32 v[116:117], v116
	v_lshl_add_u64 v[118:119], v[160:161], 3, v[112:113]
	global_store_dwordx2 v[118:119], v[116:117], off
	s_or_b64 exec, exec, s[18:19]
	s_and_b64 s[22:23], s[4:5], s[10:11]
	s_and_saveexec_b64 s[18:19], s[22:23]
	s_cbranch_execz .LBB167_165
.LBB167_171:
	s_and_b64 vcc, exec, s[0:1]
	s_cbranch_vccnz .LBB167_173
; %bb.172:
	v_lshl_add_u64 v[116:117], v[162:163], 3, v[114:115]
	global_load_dwordx2 v[116:117], v[116:117], off
	s_waitcnt vmcnt(0)
	v_mul_f64 v[116:117], s[14:15], v[116:117]
	v_cvt_f32_f64_e32 v116, v[116:117]
	s_branch .LBB167_174
.LBB167_173:
	v_mov_b32_e32 v116, 0
.LBB167_174:
	v_add_f64 v[118:119], v[26:27], v[110:111]
	v_add_f64 v[120:121], v[24:25], v[108:109]
	v_cvt_f32_f64_e32 v117, v[120:121]
	v_cvt_f32_f64_e32 v118, v[118:119]
	v_min3_f32 v117, v117, v118, v222
	v_add_f64 v[118:119], v[30:31], v[106:107]
	v_add_f64 v[120:121], v[28:29], v[104:105]
	v_cvt_f32_f64_e32 v120, v[120:121]
	v_cvt_f32_f64_e32 v118, v[118:119]
	v_min_f32_e32 v118, v120, v118
	v_min3_f32 v116, v116, v118, v117
	v_cvt_f64_f32_e32 v[116:117], v116
	v_lshl_add_u64 v[118:119], v[162:163], 3, v[112:113]
	global_store_dwordx2 v[118:119], v[116:117], off
	s_or_b64 exec, exec, s[18:19]
	s_and_b64 s[22:23], s[6:7], s[10:11]
	s_and_saveexec_b64 s[18:19], s[22:23]
	s_cbranch_execz .LBB167_166
.LBB167_175:
	s_and_b64 vcc, exec, s[0:1]
	s_cbranch_vccnz .LBB167_177
; %bb.176:
	v_lshl_add_u64 v[116:117], v[164:165], 3, v[114:115]
	global_load_dwordx2 v[116:117], v[116:117], off
	s_waitcnt vmcnt(0)
	v_mul_f64 v[116:117], s[14:15], v[116:117]
	v_cvt_f32_f64_e32 v116, v[116:117]
	s_branch .LBB167_178
.LBB167_177:
	v_mov_b32_e32 v116, 0
.LBB167_178:
	v_add_f64 v[118:119], v[22:23], v[110:111]
	v_add_f64 v[120:121], v[20:21], v[108:109]
	v_cvt_f32_f64_e32 v117, v[120:121]
	v_cvt_f32_f64_e32 v118, v[118:119]
	v_min3_f32 v117, v117, v118, v221
	v_add_f64 v[118:119], v[14:15], v[106:107]
	v_add_f64 v[120:121], v[12:13], v[104:105]
	v_cvt_f32_f64_e32 v120, v[120:121]
	v_cvt_f32_f64_e32 v118, v[118:119]
	v_min_f32_e32 v118, v120, v118
	v_min3_f32 v116, v116, v118, v117
	v_cvt_f64_f32_e32 v[116:117], v116
	v_lshl_add_u64 v[118:119], v[164:165], 3, v[112:113]
	global_store_dwordx2 v[118:119], v[116:117], off
	s_or_b64 exec, exec, s[18:19]
	s_and_b64 s[18:19], s[8:9], s[10:11]
	s_and_saveexec_b64 s[10:11], s[18:19]
	s_cbranch_execz .LBB167_183
.LBB167_179:
	s_and_b64 vcc, exec, s[0:1]
	s_cbranch_vccnz .LBB167_181
; %bb.180:
	v_lshl_add_u64 v[114:115], v[166:167], 3, v[114:115]
	global_load_dwordx2 v[114:115], v[114:115], off
	s_waitcnt vmcnt(0)
	v_mul_f64 v[114:115], s[14:15], v[114:115]
	v_cvt_f32_f64_e32 v114, v[114:115]
	s_branch .LBB167_182
.LBB167_181:
	v_mov_b32_e32 v114, 0
.LBB167_182:
	v_add_f64 v[110:111], v[6:7], v[110:111]
	v_add_f64 v[108:109], v[4:5], v[108:109]
	;; [unrolled: 1-line block ×4, first 2 shown]
	v_cvt_f32_f64_e32 v108, v[108:109]
	v_cvt_f32_f64_e32 v109, v[110:111]
	;; [unrolled: 1-line block ×4, first 2 shown]
	v_min3_f32 v108, v108, v109, v220
	v_min_f32_e32 v104, v104, v105
	v_min3_f32 v104, v114, v104, v108
	v_cvt_f64_f32_e32 v[104:105], v104
	v_lshl_add_u64 v[106:107], v[166:167], 3, v[112:113]
	global_store_dwordx2 v[106:107], v[104:105], off
.LBB167_183:
	s_or_b64 exec, exec, s[10:11]
	v_add_u32_e32 v108, 56, v172
	v_mad_i64_i32 v[104:105], s[18:19], v108, s21, 0
	v_cmp_gt_i32_e64 s[10:11], s17, v108
	v_lshl_add_u64 v[106:107], v[104:105], 3, s[26:27]
	v_mad_i64_i32 v[104:105], s[18:19], v108, s20, 0
	v_lshl_add_u64 v[104:105], v[104:105], 3, s[12:13]
	s_and_b64 s[22:23], s[2:3], s[10:11]
	s_and_saveexec_b64 s[18:19], s[22:23]
	s_cbranch_execnz .LBB167_187
; %bb.184:
	s_or_b64 exec, exec, s[18:19]
	s_and_b64 s[22:23], s[4:5], s[10:11]
	s_and_saveexec_b64 s[18:19], s[22:23]
	s_cbranch_execnz .LBB167_191
.LBB167_185:
	s_or_b64 exec, exec, s[18:19]
	s_and_b64 s[22:23], s[6:7], s[10:11]
	s_and_saveexec_b64 s[18:19], s[22:23]
	s_cbranch_execnz .LBB167_195
.LBB167_186:
	s_or_b64 exec, exec, s[18:19]
	s_and_b64 s[18:19], s[8:9], s[10:11]
	s_and_saveexec_b64 s[10:11], s[18:19]
	s_cbranch_execnz .LBB167_199
	s_branch .LBB167_203
.LBB167_187:
	s_and_b64 vcc, exec, s[0:1]
	s_cbranch_vccnz .LBB167_189
; %bb.188:
	v_lshl_add_u64 v[108:109], v[160:161], 3, v[106:107]
	global_load_dwordx2 v[108:109], v[108:109], off
	s_waitcnt vmcnt(0)
	v_mul_f64 v[108:109], s[14:15], v[108:109]
	v_cvt_f32_f64_e32 v108, v[108:109]
	s_branch .LBB167_190
.LBB167_189:
	v_mov_b32_e32 v108, 0
.LBB167_190:
	v_add_f64 v[110:111], v[38:39], v[102:103]
	v_add_f64 v[112:113], v[36:37], v[100:101]
	v_cvt_f32_f64_e32 v109, v[112:113]
	v_cvt_f32_f64_e32 v110, v[110:111]
	v_min3_f32 v109, v109, v110, v219
	v_add_f64 v[110:111], v[34:35], v[98:99]
	v_add_f64 v[112:113], v[32:33], v[96:97]
	v_cvt_f32_f64_e32 v112, v[112:113]
	v_cvt_f32_f64_e32 v110, v[110:111]
	v_min_f32_e32 v110, v112, v110
	v_min3_f32 v108, v108, v110, v109
	v_cvt_f64_f32_e32 v[108:109], v108
	v_lshl_add_u64 v[110:111], v[160:161], 3, v[104:105]
	global_store_dwordx2 v[110:111], v[108:109], off
	s_or_b64 exec, exec, s[18:19]
	s_and_b64 s[22:23], s[4:5], s[10:11]
	s_and_saveexec_b64 s[18:19], s[22:23]
	s_cbranch_execz .LBB167_185
.LBB167_191:
	s_and_b64 vcc, exec, s[0:1]
	s_cbranch_vccnz .LBB167_193
; %bb.192:
	v_lshl_add_u64 v[108:109], v[162:163], 3, v[106:107]
	global_load_dwordx2 v[108:109], v[108:109], off
	s_waitcnt vmcnt(0)
	v_mul_f64 v[108:109], s[14:15], v[108:109]
	v_cvt_f32_f64_e32 v108, v[108:109]
	s_branch .LBB167_194
.LBB167_193:
	v_mov_b32_e32 v108, 0
.LBB167_194:
	v_add_f64 v[110:111], v[26:27], v[102:103]
	v_add_f64 v[112:113], v[24:25], v[100:101]
	v_cvt_f32_f64_e32 v109, v[112:113]
	v_cvt_f32_f64_e32 v110, v[110:111]
	v_min3_f32 v109, v109, v110, v218
	v_add_f64 v[110:111], v[30:31], v[98:99]
	v_add_f64 v[112:113], v[28:29], v[96:97]
	v_cvt_f32_f64_e32 v112, v[112:113]
	v_cvt_f32_f64_e32 v110, v[110:111]
	v_min_f32_e32 v110, v112, v110
	v_min3_f32 v108, v108, v110, v109
	v_cvt_f64_f32_e32 v[108:109], v108
	v_lshl_add_u64 v[110:111], v[162:163], 3, v[104:105]
	global_store_dwordx2 v[110:111], v[108:109], off
	s_or_b64 exec, exec, s[18:19]
	s_and_b64 s[22:23], s[6:7], s[10:11]
	s_and_saveexec_b64 s[18:19], s[22:23]
	s_cbranch_execz .LBB167_186
.LBB167_195:
	s_and_b64 vcc, exec, s[0:1]
	s_cbranch_vccnz .LBB167_197
; %bb.196:
	v_lshl_add_u64 v[108:109], v[164:165], 3, v[106:107]
	global_load_dwordx2 v[108:109], v[108:109], off
	s_waitcnt vmcnt(0)
	v_mul_f64 v[108:109], s[14:15], v[108:109]
	v_cvt_f32_f64_e32 v108, v[108:109]
	s_branch .LBB167_198
.LBB167_197:
	v_mov_b32_e32 v108, 0
.LBB167_198:
	v_add_f64 v[110:111], v[22:23], v[102:103]
	v_add_f64 v[112:113], v[20:21], v[100:101]
	v_cvt_f32_f64_e32 v109, v[112:113]
	v_cvt_f32_f64_e32 v110, v[110:111]
	v_min3_f32 v109, v109, v110, v217
	v_add_f64 v[110:111], v[14:15], v[98:99]
	v_add_f64 v[112:113], v[12:13], v[96:97]
	v_cvt_f32_f64_e32 v112, v[112:113]
	v_cvt_f32_f64_e32 v110, v[110:111]
	v_min_f32_e32 v110, v112, v110
	v_min3_f32 v108, v108, v110, v109
	v_cvt_f64_f32_e32 v[108:109], v108
	v_lshl_add_u64 v[110:111], v[164:165], 3, v[104:105]
	global_store_dwordx2 v[110:111], v[108:109], off
	s_or_b64 exec, exec, s[18:19]
	s_and_b64 s[18:19], s[8:9], s[10:11]
	s_and_saveexec_b64 s[10:11], s[18:19]
	s_cbranch_execz .LBB167_203
.LBB167_199:
	s_and_b64 vcc, exec, s[0:1]
	s_cbranch_vccnz .LBB167_201
; %bb.200:
	v_lshl_add_u64 v[106:107], v[166:167], 3, v[106:107]
	global_load_dwordx2 v[106:107], v[106:107], off
	s_waitcnt vmcnt(0)
	v_mul_f64 v[106:107], s[14:15], v[106:107]
	v_cvt_f32_f64_e32 v106, v[106:107]
	s_branch .LBB167_202
.LBB167_201:
	v_mov_b32_e32 v106, 0
.LBB167_202:
	v_add_f64 v[102:103], v[6:7], v[102:103]
	v_add_f64 v[100:101], v[4:5], v[100:101]
	;; [unrolled: 1-line block ×4, first 2 shown]
	v_cvt_f32_f64_e32 v100, v[100:101]
	v_cvt_f32_f64_e32 v101, v[102:103]
	;; [unrolled: 1-line block ×4, first 2 shown]
	v_min3_f32 v100, v100, v101, v216
	v_min_f32_e32 v96, v96, v97
	v_min3_f32 v96, v106, v96, v100
	v_cvt_f64_f32_e32 v[96:97], v96
	v_lshl_add_u64 v[98:99], v[166:167], 3, v[104:105]
	global_store_dwordx2 v[98:99], v[96:97], off
.LBB167_203:
	s_or_b64 exec, exec, s[10:11]
	v_add_u32_e32 v100, 64, v172
	v_mad_i64_i32 v[96:97], s[18:19], v100, s21, 0
	v_cmp_gt_i32_e64 s[10:11], s17, v100
	v_lshl_add_u64 v[98:99], v[96:97], 3, s[26:27]
	v_mad_i64_i32 v[96:97], s[18:19], v100, s20, 0
	v_lshl_add_u64 v[96:97], v[96:97], 3, s[12:13]
	s_and_b64 s[22:23], s[2:3], s[10:11]
	s_and_saveexec_b64 s[18:19], s[22:23]
	s_cbranch_execnz .LBB167_207
; %bb.204:
	s_or_b64 exec, exec, s[18:19]
	s_and_b64 s[22:23], s[4:5], s[10:11]
	s_and_saveexec_b64 s[18:19], s[22:23]
	s_cbranch_execnz .LBB167_211
.LBB167_205:
	s_or_b64 exec, exec, s[18:19]
	s_and_b64 s[22:23], s[6:7], s[10:11]
	s_and_saveexec_b64 s[18:19], s[22:23]
	s_cbranch_execnz .LBB167_215
.LBB167_206:
	s_or_b64 exec, exec, s[18:19]
	s_and_b64 s[18:19], s[8:9], s[10:11]
	s_and_saveexec_b64 s[10:11], s[18:19]
	s_cbranch_execnz .LBB167_219
	s_branch .LBB167_223
.LBB167_207:
	s_and_b64 vcc, exec, s[0:1]
	s_cbranch_vccnz .LBB167_209
; %bb.208:
	v_lshl_add_u64 v[100:101], v[160:161], 3, v[98:99]
	global_load_dwordx2 v[100:101], v[100:101], off
	s_waitcnt vmcnt(0)
	v_mul_f64 v[100:101], s[14:15], v[100:101]
	v_cvt_f32_f64_e32 v100, v[100:101]
	s_branch .LBB167_210
.LBB167_209:
	v_mov_b32_e32 v100, 0
.LBB167_210:
	v_add_f64 v[102:103], v[38:39], v[94:95]
	v_add_f64 v[104:105], v[36:37], v[92:93]
	v_cvt_f32_f64_e32 v101, v[104:105]
	v_cvt_f32_f64_e32 v102, v[102:103]
	v_min3_f32 v101, v101, v102, v215
	v_add_f64 v[102:103], v[34:35], v[90:91]
	v_add_f64 v[104:105], v[32:33], v[88:89]
	v_cvt_f32_f64_e32 v104, v[104:105]
	v_cvt_f32_f64_e32 v102, v[102:103]
	v_min_f32_e32 v102, v104, v102
	v_min3_f32 v100, v100, v102, v101
	v_cvt_f64_f32_e32 v[100:101], v100
	v_lshl_add_u64 v[102:103], v[160:161], 3, v[96:97]
	global_store_dwordx2 v[102:103], v[100:101], off
	s_or_b64 exec, exec, s[18:19]
	s_and_b64 s[22:23], s[4:5], s[10:11]
	s_and_saveexec_b64 s[18:19], s[22:23]
	s_cbranch_execz .LBB167_205
.LBB167_211:
	s_and_b64 vcc, exec, s[0:1]
	s_cbranch_vccnz .LBB167_213
; %bb.212:
	v_lshl_add_u64 v[100:101], v[162:163], 3, v[98:99]
	global_load_dwordx2 v[100:101], v[100:101], off
	s_waitcnt vmcnt(0)
	v_mul_f64 v[100:101], s[14:15], v[100:101]
	v_cvt_f32_f64_e32 v100, v[100:101]
	s_branch .LBB167_214
.LBB167_213:
	v_mov_b32_e32 v100, 0
.LBB167_214:
	v_add_f64 v[102:103], v[26:27], v[94:95]
	v_add_f64 v[104:105], v[24:25], v[92:93]
	v_cvt_f32_f64_e32 v101, v[104:105]
	v_cvt_f32_f64_e32 v102, v[102:103]
	v_min3_f32 v101, v101, v102, v214
	v_add_f64 v[102:103], v[30:31], v[90:91]
	v_add_f64 v[104:105], v[28:29], v[88:89]
	v_cvt_f32_f64_e32 v104, v[104:105]
	v_cvt_f32_f64_e32 v102, v[102:103]
	v_min_f32_e32 v102, v104, v102
	v_min3_f32 v100, v100, v102, v101
	v_cvt_f64_f32_e32 v[100:101], v100
	v_lshl_add_u64 v[102:103], v[162:163], 3, v[96:97]
	global_store_dwordx2 v[102:103], v[100:101], off
	s_or_b64 exec, exec, s[18:19]
	s_and_b64 s[22:23], s[6:7], s[10:11]
	s_and_saveexec_b64 s[18:19], s[22:23]
	s_cbranch_execz .LBB167_206
.LBB167_215:
	s_and_b64 vcc, exec, s[0:1]
	s_cbranch_vccnz .LBB167_217
; %bb.216:
	v_lshl_add_u64 v[100:101], v[164:165], 3, v[98:99]
	global_load_dwordx2 v[100:101], v[100:101], off
	s_waitcnt vmcnt(0)
	v_mul_f64 v[100:101], s[14:15], v[100:101]
	v_cvt_f32_f64_e32 v100, v[100:101]
	s_branch .LBB167_218
.LBB167_217:
	v_mov_b32_e32 v100, 0
.LBB167_218:
	v_add_f64 v[102:103], v[22:23], v[94:95]
	v_add_f64 v[104:105], v[20:21], v[92:93]
	v_cvt_f32_f64_e32 v101, v[104:105]
	v_cvt_f32_f64_e32 v102, v[102:103]
	v_min3_f32 v101, v101, v102, v213
	v_add_f64 v[102:103], v[14:15], v[90:91]
	v_add_f64 v[104:105], v[12:13], v[88:89]
	v_cvt_f32_f64_e32 v104, v[104:105]
	v_cvt_f32_f64_e32 v102, v[102:103]
	v_min_f32_e32 v102, v104, v102
	v_min3_f32 v100, v100, v102, v101
	v_cvt_f64_f32_e32 v[100:101], v100
	v_lshl_add_u64 v[102:103], v[164:165], 3, v[96:97]
	global_store_dwordx2 v[102:103], v[100:101], off
	s_or_b64 exec, exec, s[18:19]
	s_and_b64 s[18:19], s[8:9], s[10:11]
	s_and_saveexec_b64 s[10:11], s[18:19]
	s_cbranch_execz .LBB167_223
.LBB167_219:
	s_and_b64 vcc, exec, s[0:1]
	s_cbranch_vccnz .LBB167_221
; %bb.220:
	v_lshl_add_u64 v[98:99], v[166:167], 3, v[98:99]
	global_load_dwordx2 v[98:99], v[98:99], off
	s_waitcnt vmcnt(0)
	v_mul_f64 v[98:99], s[14:15], v[98:99]
	v_cvt_f32_f64_e32 v98, v[98:99]
	s_branch .LBB167_222
.LBB167_221:
	v_mov_b32_e32 v98, 0
.LBB167_222:
	v_add_f64 v[94:95], v[6:7], v[94:95]
	v_add_f64 v[92:93], v[4:5], v[92:93]
	v_add_f64 v[90:91], v[2:3], v[90:91]
	v_add_f64 v[88:89], v[0:1], v[88:89]
	v_cvt_f32_f64_e32 v92, v[92:93]
	v_cvt_f32_f64_e32 v93, v[94:95]
	;; [unrolled: 1-line block ×4, first 2 shown]
	v_min3_f32 v92, v92, v93, v212
	v_min_f32_e32 v88, v88, v89
	v_min3_f32 v88, v98, v88, v92
	v_cvt_f64_f32_e32 v[88:89], v88
	v_lshl_add_u64 v[90:91], v[166:167], 3, v[96:97]
	global_store_dwordx2 v[90:91], v[88:89], off
.LBB167_223:
	s_or_b64 exec, exec, s[10:11]
	v_add_u32_e32 v92, 0x48, v172
	v_mad_i64_i32 v[88:89], s[18:19], v92, s21, 0
	v_cmp_gt_i32_e64 s[10:11], s17, v92
	v_lshl_add_u64 v[90:91], v[88:89], 3, s[26:27]
	v_mad_i64_i32 v[88:89], s[18:19], v92, s20, 0
	v_lshl_add_u64 v[88:89], v[88:89], 3, s[12:13]
	s_and_b64 s[22:23], s[2:3], s[10:11]
	s_and_saveexec_b64 s[18:19], s[22:23]
	s_cbranch_execnz .LBB167_227
; %bb.224:
	s_or_b64 exec, exec, s[18:19]
	s_and_b64 s[22:23], s[4:5], s[10:11]
	s_and_saveexec_b64 s[18:19], s[22:23]
	s_cbranch_execnz .LBB167_231
.LBB167_225:
	s_or_b64 exec, exec, s[18:19]
	s_and_b64 s[22:23], s[6:7], s[10:11]
	s_and_saveexec_b64 s[18:19], s[22:23]
	s_cbranch_execnz .LBB167_235
.LBB167_226:
	s_or_b64 exec, exec, s[18:19]
	s_and_b64 s[18:19], s[8:9], s[10:11]
	s_and_saveexec_b64 s[10:11], s[18:19]
	s_cbranch_execnz .LBB167_239
	s_branch .LBB167_243
.LBB167_227:
	s_and_b64 vcc, exec, s[0:1]
	s_cbranch_vccnz .LBB167_229
; %bb.228:
	v_lshl_add_u64 v[92:93], v[160:161], 3, v[90:91]
	global_load_dwordx2 v[92:93], v[92:93], off
	s_waitcnt vmcnt(0)
	v_mul_f64 v[92:93], s[14:15], v[92:93]
	v_cvt_f32_f64_e32 v92, v[92:93]
	s_branch .LBB167_230
.LBB167_229:
	v_mov_b32_e32 v92, 0
.LBB167_230:
	v_add_f64 v[94:95], v[38:39], v[86:87]
	v_add_f64 v[96:97], v[36:37], v[84:85]
	v_cvt_f32_f64_e32 v93, v[96:97]
	v_cvt_f32_f64_e32 v94, v[94:95]
	v_min3_f32 v93, v93, v94, v211
	v_add_f64 v[94:95], v[34:35], v[82:83]
	v_add_f64 v[96:97], v[32:33], v[80:81]
	v_cvt_f32_f64_e32 v96, v[96:97]
	v_cvt_f32_f64_e32 v94, v[94:95]
	v_min_f32_e32 v94, v96, v94
	v_min3_f32 v92, v92, v94, v93
	v_cvt_f64_f32_e32 v[92:93], v92
	v_lshl_add_u64 v[94:95], v[160:161], 3, v[88:89]
	global_store_dwordx2 v[94:95], v[92:93], off
	s_or_b64 exec, exec, s[18:19]
	s_and_b64 s[22:23], s[4:5], s[10:11]
	s_and_saveexec_b64 s[18:19], s[22:23]
	s_cbranch_execz .LBB167_225
.LBB167_231:
	s_and_b64 vcc, exec, s[0:1]
	s_cbranch_vccnz .LBB167_233
; %bb.232:
	v_lshl_add_u64 v[92:93], v[162:163], 3, v[90:91]
	global_load_dwordx2 v[92:93], v[92:93], off
	s_waitcnt vmcnt(0)
	v_mul_f64 v[92:93], s[14:15], v[92:93]
	v_cvt_f32_f64_e32 v92, v[92:93]
	s_branch .LBB167_234
.LBB167_233:
	v_mov_b32_e32 v92, 0
.LBB167_234:
	v_add_f64 v[94:95], v[26:27], v[86:87]
	v_add_f64 v[96:97], v[24:25], v[84:85]
	v_cvt_f32_f64_e32 v93, v[96:97]
	v_cvt_f32_f64_e32 v94, v[94:95]
	v_min3_f32 v93, v93, v94, v210
	v_add_f64 v[94:95], v[30:31], v[82:83]
	v_add_f64 v[96:97], v[28:29], v[80:81]
	v_cvt_f32_f64_e32 v96, v[96:97]
	v_cvt_f32_f64_e32 v94, v[94:95]
	v_min_f32_e32 v94, v96, v94
	v_min3_f32 v92, v92, v94, v93
	v_cvt_f64_f32_e32 v[92:93], v92
	v_lshl_add_u64 v[94:95], v[162:163], 3, v[88:89]
	global_store_dwordx2 v[94:95], v[92:93], off
	s_or_b64 exec, exec, s[18:19]
	s_and_b64 s[22:23], s[6:7], s[10:11]
	s_and_saveexec_b64 s[18:19], s[22:23]
	s_cbranch_execz .LBB167_226
.LBB167_235:
	s_and_b64 vcc, exec, s[0:1]
	s_cbranch_vccnz .LBB167_237
; %bb.236:
	v_lshl_add_u64 v[92:93], v[164:165], 3, v[90:91]
	global_load_dwordx2 v[92:93], v[92:93], off
	s_waitcnt vmcnt(0)
	v_mul_f64 v[92:93], s[14:15], v[92:93]
	v_cvt_f32_f64_e32 v92, v[92:93]
	s_branch .LBB167_238
.LBB167_237:
	v_mov_b32_e32 v92, 0
.LBB167_238:
	v_add_f64 v[94:95], v[22:23], v[86:87]
	v_add_f64 v[96:97], v[20:21], v[84:85]
	v_cvt_f32_f64_e32 v93, v[96:97]
	v_cvt_f32_f64_e32 v94, v[94:95]
	v_min3_f32 v93, v93, v94, v209
	v_add_f64 v[94:95], v[14:15], v[82:83]
	v_add_f64 v[96:97], v[12:13], v[80:81]
	v_cvt_f32_f64_e32 v96, v[96:97]
	v_cvt_f32_f64_e32 v94, v[94:95]
	v_min_f32_e32 v94, v96, v94
	v_min3_f32 v92, v92, v94, v93
	v_cvt_f64_f32_e32 v[92:93], v92
	v_lshl_add_u64 v[94:95], v[164:165], 3, v[88:89]
	global_store_dwordx2 v[94:95], v[92:93], off
	s_or_b64 exec, exec, s[18:19]
	s_and_b64 s[18:19], s[8:9], s[10:11]
	s_and_saveexec_b64 s[10:11], s[18:19]
	s_cbranch_execz .LBB167_243
.LBB167_239:
	s_and_b64 vcc, exec, s[0:1]
	s_cbranch_vccnz .LBB167_241
; %bb.240:
	v_lshl_add_u64 v[90:91], v[166:167], 3, v[90:91]
	global_load_dwordx2 v[90:91], v[90:91], off
	s_waitcnt vmcnt(0)
	v_mul_f64 v[90:91], s[14:15], v[90:91]
	v_cvt_f32_f64_e32 v90, v[90:91]
	s_branch .LBB167_242
.LBB167_241:
	v_mov_b32_e32 v90, 0
.LBB167_242:
	v_add_f64 v[86:87], v[6:7], v[86:87]
	v_add_f64 v[84:85], v[4:5], v[84:85]
	;; [unrolled: 1-line block ×4, first 2 shown]
	v_cvt_f32_f64_e32 v84, v[84:85]
	v_cvt_f32_f64_e32 v85, v[86:87]
	;; [unrolled: 1-line block ×4, first 2 shown]
	v_min3_f32 v84, v84, v85, v208
	v_min_f32_e32 v80, v80, v81
	v_min3_f32 v80, v90, v80, v84
	v_cvt_f64_f32_e32 v[80:81], v80
	v_lshl_add_u64 v[82:83], v[166:167], 3, v[88:89]
	global_store_dwordx2 v[82:83], v[80:81], off
.LBB167_243:
	s_or_b64 exec, exec, s[10:11]
	v_add_u32_e32 v84, 0x50, v172
	v_mad_i64_i32 v[80:81], s[18:19], v84, s21, 0
	v_cmp_gt_i32_e64 s[10:11], s17, v84
	v_lshl_add_u64 v[82:83], v[80:81], 3, s[26:27]
	v_mad_i64_i32 v[80:81], s[18:19], v84, s20, 0
	v_lshl_add_u64 v[80:81], v[80:81], 3, s[12:13]
	s_and_b64 s[22:23], s[2:3], s[10:11]
	s_and_saveexec_b64 s[18:19], s[22:23]
	s_cbranch_execnz .LBB167_247
; %bb.244:
	s_or_b64 exec, exec, s[18:19]
	s_and_b64 s[22:23], s[4:5], s[10:11]
	s_and_saveexec_b64 s[18:19], s[22:23]
	s_cbranch_execnz .LBB167_251
.LBB167_245:
	s_or_b64 exec, exec, s[18:19]
	s_and_b64 s[22:23], s[6:7], s[10:11]
	s_and_saveexec_b64 s[18:19], s[22:23]
	s_cbranch_execnz .LBB167_255
.LBB167_246:
	s_or_b64 exec, exec, s[18:19]
	s_and_b64 s[18:19], s[8:9], s[10:11]
	s_and_saveexec_b64 s[10:11], s[18:19]
	s_cbranch_execnz .LBB167_259
	s_branch .LBB167_263
.LBB167_247:
	s_and_b64 vcc, exec, s[0:1]
	s_cbranch_vccnz .LBB167_249
; %bb.248:
	v_lshl_add_u64 v[84:85], v[160:161], 3, v[82:83]
	global_load_dwordx2 v[84:85], v[84:85], off
	s_waitcnt vmcnt(0)
	v_mul_f64 v[84:85], s[14:15], v[84:85]
	v_cvt_f32_f64_e32 v84, v[84:85]
	s_branch .LBB167_250
.LBB167_249:
	v_mov_b32_e32 v84, 0
.LBB167_250:
	v_add_f64 v[86:87], v[38:39], v[78:79]
	v_add_f64 v[88:89], v[36:37], v[76:77]
	v_cvt_f32_f64_e32 v85, v[88:89]
	v_cvt_f32_f64_e32 v86, v[86:87]
	v_min3_f32 v85, v85, v86, v207
	v_add_f64 v[86:87], v[34:35], v[74:75]
	v_add_f64 v[88:89], v[32:33], v[72:73]
	v_cvt_f32_f64_e32 v88, v[88:89]
	v_cvt_f32_f64_e32 v86, v[86:87]
	v_min_f32_e32 v86, v88, v86
	v_min3_f32 v84, v84, v86, v85
	v_cvt_f64_f32_e32 v[84:85], v84
	v_lshl_add_u64 v[86:87], v[160:161], 3, v[80:81]
	global_store_dwordx2 v[86:87], v[84:85], off
	s_or_b64 exec, exec, s[18:19]
	s_and_b64 s[22:23], s[4:5], s[10:11]
	s_and_saveexec_b64 s[18:19], s[22:23]
	s_cbranch_execz .LBB167_245
.LBB167_251:
	s_and_b64 vcc, exec, s[0:1]
	s_cbranch_vccnz .LBB167_253
; %bb.252:
	v_lshl_add_u64 v[84:85], v[162:163], 3, v[82:83]
	global_load_dwordx2 v[84:85], v[84:85], off
	s_waitcnt vmcnt(0)
	v_mul_f64 v[84:85], s[14:15], v[84:85]
	v_cvt_f32_f64_e32 v84, v[84:85]
	s_branch .LBB167_254
.LBB167_253:
	v_mov_b32_e32 v84, 0
.LBB167_254:
	v_add_f64 v[86:87], v[26:27], v[78:79]
	v_add_f64 v[88:89], v[24:25], v[76:77]
	v_cvt_f32_f64_e32 v85, v[88:89]
	v_cvt_f32_f64_e32 v86, v[86:87]
	v_min3_f32 v85, v85, v86, v206
	v_add_f64 v[86:87], v[30:31], v[74:75]
	v_add_f64 v[88:89], v[28:29], v[72:73]
	v_cvt_f32_f64_e32 v88, v[88:89]
	v_cvt_f32_f64_e32 v86, v[86:87]
	v_min_f32_e32 v86, v88, v86
	v_min3_f32 v84, v84, v86, v85
	v_cvt_f64_f32_e32 v[84:85], v84
	v_lshl_add_u64 v[86:87], v[162:163], 3, v[80:81]
	global_store_dwordx2 v[86:87], v[84:85], off
	s_or_b64 exec, exec, s[18:19]
	s_and_b64 s[22:23], s[6:7], s[10:11]
	s_and_saveexec_b64 s[18:19], s[22:23]
	s_cbranch_execz .LBB167_246
.LBB167_255:
	s_and_b64 vcc, exec, s[0:1]
	s_cbranch_vccnz .LBB167_257
; %bb.256:
	v_lshl_add_u64 v[84:85], v[164:165], 3, v[82:83]
	global_load_dwordx2 v[84:85], v[84:85], off
	s_waitcnt vmcnt(0)
	v_mul_f64 v[84:85], s[14:15], v[84:85]
	v_cvt_f32_f64_e32 v84, v[84:85]
	s_branch .LBB167_258
.LBB167_257:
	v_mov_b32_e32 v84, 0
.LBB167_258:
	v_add_f64 v[86:87], v[22:23], v[78:79]
	v_add_f64 v[88:89], v[20:21], v[76:77]
	v_cvt_f32_f64_e32 v85, v[88:89]
	v_cvt_f32_f64_e32 v86, v[86:87]
	v_min3_f32 v85, v85, v86, v205
	v_add_f64 v[86:87], v[14:15], v[74:75]
	v_add_f64 v[88:89], v[12:13], v[72:73]
	v_cvt_f32_f64_e32 v88, v[88:89]
	v_cvt_f32_f64_e32 v86, v[86:87]
	v_min_f32_e32 v86, v88, v86
	v_min3_f32 v84, v84, v86, v85
	v_cvt_f64_f32_e32 v[84:85], v84
	v_lshl_add_u64 v[86:87], v[164:165], 3, v[80:81]
	global_store_dwordx2 v[86:87], v[84:85], off
	s_or_b64 exec, exec, s[18:19]
	s_and_b64 s[18:19], s[8:9], s[10:11]
	s_and_saveexec_b64 s[10:11], s[18:19]
	s_cbranch_execz .LBB167_263
.LBB167_259:
	s_and_b64 vcc, exec, s[0:1]
	s_cbranch_vccnz .LBB167_261
; %bb.260:
	v_lshl_add_u64 v[82:83], v[166:167], 3, v[82:83]
	global_load_dwordx2 v[82:83], v[82:83], off
	s_waitcnt vmcnt(0)
	v_mul_f64 v[82:83], s[14:15], v[82:83]
	v_cvt_f32_f64_e32 v82, v[82:83]
	s_branch .LBB167_262
.LBB167_261:
	v_mov_b32_e32 v82, 0
.LBB167_262:
	v_add_f64 v[78:79], v[6:7], v[78:79]
	v_add_f64 v[76:77], v[4:5], v[76:77]
	;; [unrolled: 1-line block ×4, first 2 shown]
	v_cvt_f32_f64_e32 v76, v[76:77]
	v_cvt_f32_f64_e32 v77, v[78:79]
	;; [unrolled: 1-line block ×4, first 2 shown]
	v_min3_f32 v76, v76, v77, v204
	v_min_f32_e32 v72, v72, v73
	v_min3_f32 v72, v82, v72, v76
	v_cvt_f64_f32_e32 v[72:73], v72
	v_lshl_add_u64 v[74:75], v[166:167], 3, v[80:81]
	global_store_dwordx2 v[74:75], v[72:73], off
.LBB167_263:
	s_or_b64 exec, exec, s[10:11]
	v_add_u32_e32 v76, 0x58, v172
	v_mad_i64_i32 v[72:73], s[18:19], v76, s21, 0
	v_cmp_gt_i32_e64 s[10:11], s17, v76
	v_lshl_add_u64 v[74:75], v[72:73], 3, s[26:27]
	v_mad_i64_i32 v[72:73], s[18:19], v76, s20, 0
	v_lshl_add_u64 v[72:73], v[72:73], 3, s[12:13]
	s_and_b64 s[22:23], s[2:3], s[10:11]
	s_and_saveexec_b64 s[18:19], s[22:23]
	s_cbranch_execnz .LBB167_267
; %bb.264:
	s_or_b64 exec, exec, s[18:19]
	s_and_b64 s[22:23], s[4:5], s[10:11]
	s_and_saveexec_b64 s[18:19], s[22:23]
	s_cbranch_execnz .LBB167_271
.LBB167_265:
	s_or_b64 exec, exec, s[18:19]
	s_and_b64 s[22:23], s[6:7], s[10:11]
	s_and_saveexec_b64 s[18:19], s[22:23]
	s_cbranch_execnz .LBB167_275
.LBB167_266:
	s_or_b64 exec, exec, s[18:19]
	s_and_b64 s[18:19], s[8:9], s[10:11]
	s_and_saveexec_b64 s[10:11], s[18:19]
	s_cbranch_execnz .LBB167_279
	s_branch .LBB167_283
.LBB167_267:
	s_and_b64 vcc, exec, s[0:1]
	s_cbranch_vccnz .LBB167_269
; %bb.268:
	v_lshl_add_u64 v[76:77], v[160:161], 3, v[74:75]
	global_load_dwordx2 v[76:77], v[76:77], off
	s_waitcnt vmcnt(0)
	v_mul_f64 v[76:77], s[14:15], v[76:77]
	v_cvt_f32_f64_e32 v76, v[76:77]
	s_branch .LBB167_270
.LBB167_269:
	v_mov_b32_e32 v76, 0
.LBB167_270:
	v_add_f64 v[78:79], v[38:39], v[70:71]
	v_add_f64 v[80:81], v[36:37], v[68:69]
	v_cvt_f32_f64_e32 v77, v[80:81]
	v_cvt_f32_f64_e32 v78, v[78:79]
	v_min3_f32 v77, v77, v78, v203
	v_add_f64 v[78:79], v[34:35], v[66:67]
	v_add_f64 v[80:81], v[32:33], v[64:65]
	v_cvt_f32_f64_e32 v80, v[80:81]
	v_cvt_f32_f64_e32 v78, v[78:79]
	v_min_f32_e32 v78, v80, v78
	v_min3_f32 v76, v76, v78, v77
	v_cvt_f64_f32_e32 v[76:77], v76
	v_lshl_add_u64 v[78:79], v[160:161], 3, v[72:73]
	global_store_dwordx2 v[78:79], v[76:77], off
	s_or_b64 exec, exec, s[18:19]
	s_and_b64 s[22:23], s[4:5], s[10:11]
	s_and_saveexec_b64 s[18:19], s[22:23]
	s_cbranch_execz .LBB167_265
.LBB167_271:
	s_and_b64 vcc, exec, s[0:1]
	s_cbranch_vccnz .LBB167_273
; %bb.272:
	v_lshl_add_u64 v[76:77], v[162:163], 3, v[74:75]
	global_load_dwordx2 v[76:77], v[76:77], off
	s_waitcnt vmcnt(0)
	v_mul_f64 v[76:77], s[14:15], v[76:77]
	v_cvt_f32_f64_e32 v76, v[76:77]
	s_branch .LBB167_274
.LBB167_273:
	v_mov_b32_e32 v76, 0
.LBB167_274:
	v_add_f64 v[78:79], v[26:27], v[70:71]
	v_add_f64 v[80:81], v[24:25], v[68:69]
	v_cvt_f32_f64_e32 v77, v[80:81]
	v_cvt_f32_f64_e32 v78, v[78:79]
	v_min3_f32 v77, v77, v78, v202
	v_add_f64 v[78:79], v[30:31], v[66:67]
	v_add_f64 v[80:81], v[28:29], v[64:65]
	v_cvt_f32_f64_e32 v80, v[80:81]
	v_cvt_f32_f64_e32 v78, v[78:79]
	v_min_f32_e32 v78, v80, v78
	v_min3_f32 v76, v76, v78, v77
	v_cvt_f64_f32_e32 v[76:77], v76
	v_lshl_add_u64 v[78:79], v[162:163], 3, v[72:73]
	global_store_dwordx2 v[78:79], v[76:77], off
	s_or_b64 exec, exec, s[18:19]
	s_and_b64 s[22:23], s[6:7], s[10:11]
	s_and_saveexec_b64 s[18:19], s[22:23]
	s_cbranch_execz .LBB167_266
.LBB167_275:
	s_and_b64 vcc, exec, s[0:1]
	s_cbranch_vccnz .LBB167_277
; %bb.276:
	v_lshl_add_u64 v[76:77], v[164:165], 3, v[74:75]
	global_load_dwordx2 v[76:77], v[76:77], off
	s_waitcnt vmcnt(0)
	v_mul_f64 v[76:77], s[14:15], v[76:77]
	v_cvt_f32_f64_e32 v76, v[76:77]
	s_branch .LBB167_278
.LBB167_277:
	v_mov_b32_e32 v76, 0
.LBB167_278:
	v_add_f64 v[78:79], v[22:23], v[70:71]
	v_add_f64 v[80:81], v[20:21], v[68:69]
	v_cvt_f32_f64_e32 v77, v[80:81]
	v_cvt_f32_f64_e32 v78, v[78:79]
	v_min3_f32 v77, v77, v78, v201
	v_add_f64 v[78:79], v[14:15], v[66:67]
	v_add_f64 v[80:81], v[12:13], v[64:65]
	v_cvt_f32_f64_e32 v80, v[80:81]
	v_cvt_f32_f64_e32 v78, v[78:79]
	v_min_f32_e32 v78, v80, v78
	v_min3_f32 v76, v76, v78, v77
	v_cvt_f64_f32_e32 v[76:77], v76
	v_lshl_add_u64 v[78:79], v[164:165], 3, v[72:73]
	global_store_dwordx2 v[78:79], v[76:77], off
	s_or_b64 exec, exec, s[18:19]
	s_and_b64 s[18:19], s[8:9], s[10:11]
	s_and_saveexec_b64 s[10:11], s[18:19]
	s_cbranch_execz .LBB167_283
.LBB167_279:
	s_and_b64 vcc, exec, s[0:1]
	s_cbranch_vccnz .LBB167_281
; %bb.280:
	v_lshl_add_u64 v[74:75], v[166:167], 3, v[74:75]
	global_load_dwordx2 v[74:75], v[74:75], off
	s_waitcnt vmcnt(0)
	v_mul_f64 v[74:75], s[14:15], v[74:75]
	v_cvt_f32_f64_e32 v74, v[74:75]
	s_branch .LBB167_282
.LBB167_281:
	v_mov_b32_e32 v74, 0
.LBB167_282:
	v_add_f64 v[70:71], v[6:7], v[70:71]
	v_add_f64 v[68:69], v[4:5], v[68:69]
	;; [unrolled: 1-line block ×4, first 2 shown]
	v_cvt_f32_f64_e32 v68, v[68:69]
	v_cvt_f32_f64_e32 v69, v[70:71]
	;; [unrolled: 1-line block ×4, first 2 shown]
	v_min3_f32 v68, v68, v69, v200
	v_min_f32_e32 v64, v64, v65
	v_min3_f32 v64, v74, v64, v68
	v_cvt_f64_f32_e32 v[64:65], v64
	v_lshl_add_u64 v[66:67], v[166:167], 3, v[72:73]
	global_store_dwordx2 v[66:67], v[64:65], off
.LBB167_283:
	s_or_b64 exec, exec, s[10:11]
	v_add_u32_e32 v68, 0x60, v172
	v_mad_i64_i32 v[64:65], s[18:19], v68, s21, 0
	v_cmp_gt_i32_e64 s[10:11], s17, v68
	v_lshl_add_u64 v[66:67], v[64:65], 3, s[26:27]
	v_mad_i64_i32 v[64:65], s[18:19], v68, s20, 0
	v_lshl_add_u64 v[64:65], v[64:65], 3, s[12:13]
	s_and_b64 s[22:23], s[2:3], s[10:11]
	s_and_saveexec_b64 s[18:19], s[22:23]
	s_cbranch_execnz .LBB167_287
; %bb.284:
	s_or_b64 exec, exec, s[18:19]
	s_and_b64 s[22:23], s[4:5], s[10:11]
	s_and_saveexec_b64 s[18:19], s[22:23]
	s_cbranch_execnz .LBB167_291
.LBB167_285:
	s_or_b64 exec, exec, s[18:19]
	s_and_b64 s[22:23], s[6:7], s[10:11]
	s_and_saveexec_b64 s[18:19], s[22:23]
	s_cbranch_execnz .LBB167_295
.LBB167_286:
	s_or_b64 exec, exec, s[18:19]
	s_and_b64 s[18:19], s[8:9], s[10:11]
	s_and_saveexec_b64 s[10:11], s[18:19]
	s_cbranch_execnz .LBB167_299
	s_branch .LBB167_303
.LBB167_287:
	s_and_b64 vcc, exec, s[0:1]
	s_cbranch_vccnz .LBB167_289
; %bb.288:
	v_lshl_add_u64 v[68:69], v[160:161], 3, v[66:67]
	global_load_dwordx2 v[68:69], v[68:69], off
	s_waitcnt vmcnt(0)
	v_mul_f64 v[68:69], s[14:15], v[68:69]
	v_cvt_f32_f64_e32 v68, v[68:69]
	s_branch .LBB167_290
.LBB167_289:
	v_mov_b32_e32 v68, 0
.LBB167_290:
	v_add_f64 v[70:71], v[38:39], v[62:63]
	v_add_f64 v[72:73], v[36:37], v[60:61]
	v_cvt_f32_f64_e32 v69, v[72:73]
	v_cvt_f32_f64_e32 v70, v[70:71]
	v_min3_f32 v69, v69, v70, v199
	v_add_f64 v[70:71], v[34:35], v[58:59]
	v_add_f64 v[72:73], v[32:33], v[56:57]
	v_cvt_f32_f64_e32 v72, v[72:73]
	v_cvt_f32_f64_e32 v70, v[70:71]
	v_min_f32_e32 v70, v72, v70
	v_min3_f32 v68, v68, v70, v69
	v_cvt_f64_f32_e32 v[68:69], v68
	v_lshl_add_u64 v[70:71], v[160:161], 3, v[64:65]
	global_store_dwordx2 v[70:71], v[68:69], off
	s_or_b64 exec, exec, s[18:19]
	s_and_b64 s[22:23], s[4:5], s[10:11]
	s_and_saveexec_b64 s[18:19], s[22:23]
	s_cbranch_execz .LBB167_285
.LBB167_291:
	s_and_b64 vcc, exec, s[0:1]
	s_cbranch_vccnz .LBB167_293
; %bb.292:
	v_lshl_add_u64 v[68:69], v[162:163], 3, v[66:67]
	global_load_dwordx2 v[68:69], v[68:69], off
	s_waitcnt vmcnt(0)
	v_mul_f64 v[68:69], s[14:15], v[68:69]
	v_cvt_f32_f64_e32 v68, v[68:69]
	s_branch .LBB167_294
.LBB167_293:
	v_mov_b32_e32 v68, 0
.LBB167_294:
	v_add_f64 v[70:71], v[26:27], v[62:63]
	v_add_f64 v[72:73], v[24:25], v[60:61]
	v_cvt_f32_f64_e32 v69, v[72:73]
	v_cvt_f32_f64_e32 v70, v[70:71]
	v_min3_f32 v69, v69, v70, v198
	v_add_f64 v[70:71], v[30:31], v[58:59]
	v_add_f64 v[72:73], v[28:29], v[56:57]
	v_cvt_f32_f64_e32 v72, v[72:73]
	v_cvt_f32_f64_e32 v70, v[70:71]
	v_min_f32_e32 v70, v72, v70
	v_min3_f32 v68, v68, v70, v69
	v_cvt_f64_f32_e32 v[68:69], v68
	v_lshl_add_u64 v[70:71], v[162:163], 3, v[64:65]
	global_store_dwordx2 v[70:71], v[68:69], off
	s_or_b64 exec, exec, s[18:19]
	s_and_b64 s[22:23], s[6:7], s[10:11]
	s_and_saveexec_b64 s[18:19], s[22:23]
	s_cbranch_execz .LBB167_286
.LBB167_295:
	s_and_b64 vcc, exec, s[0:1]
	s_cbranch_vccnz .LBB167_297
; %bb.296:
	v_lshl_add_u64 v[68:69], v[164:165], 3, v[66:67]
	global_load_dwordx2 v[68:69], v[68:69], off
	s_waitcnt vmcnt(0)
	v_mul_f64 v[68:69], s[14:15], v[68:69]
	v_cvt_f32_f64_e32 v68, v[68:69]
	s_branch .LBB167_298
.LBB167_297:
	v_mov_b32_e32 v68, 0
.LBB167_298:
	v_add_f64 v[70:71], v[22:23], v[62:63]
	v_add_f64 v[72:73], v[20:21], v[60:61]
	v_cvt_f32_f64_e32 v69, v[72:73]
	v_cvt_f32_f64_e32 v70, v[70:71]
	v_min3_f32 v69, v69, v70, v196
	v_add_f64 v[70:71], v[14:15], v[58:59]
	v_add_f64 v[72:73], v[12:13], v[56:57]
	v_cvt_f32_f64_e32 v72, v[72:73]
	v_cvt_f32_f64_e32 v70, v[70:71]
	v_min_f32_e32 v70, v72, v70
	v_min3_f32 v68, v68, v70, v69
	v_cvt_f64_f32_e32 v[68:69], v68
	v_lshl_add_u64 v[70:71], v[164:165], 3, v[64:65]
	global_store_dwordx2 v[70:71], v[68:69], off
	s_or_b64 exec, exec, s[18:19]
	s_and_b64 s[18:19], s[8:9], s[10:11]
	s_and_saveexec_b64 s[10:11], s[18:19]
	s_cbranch_execz .LBB167_303
.LBB167_299:
	s_and_b64 vcc, exec, s[0:1]
	s_cbranch_vccnz .LBB167_301
; %bb.300:
	v_lshl_add_u64 v[66:67], v[166:167], 3, v[66:67]
	global_load_dwordx2 v[66:67], v[66:67], off
	s_waitcnt vmcnt(0)
	v_mul_f64 v[66:67], s[14:15], v[66:67]
	v_cvt_f32_f64_e32 v66, v[66:67]
	s_branch .LBB167_302
.LBB167_301:
	v_mov_b32_e32 v66, 0
.LBB167_302:
	v_add_f64 v[62:63], v[6:7], v[62:63]
	v_add_f64 v[60:61], v[4:5], v[60:61]
	;; [unrolled: 1-line block ×4, first 2 shown]
	v_cvt_f32_f64_e32 v60, v[60:61]
	v_cvt_f32_f64_e32 v61, v[62:63]
	;; [unrolled: 1-line block ×4, first 2 shown]
	v_min3_f32 v60, v60, v61, v195
	v_min_f32_e32 v56, v56, v57
	v_min3_f32 v56, v66, v56, v60
	v_cvt_f64_f32_e32 v[56:57], v56
	v_lshl_add_u64 v[58:59], v[166:167], 3, v[64:65]
	global_store_dwordx2 v[58:59], v[56:57], off
.LBB167_303:
	s_or_b64 exec, exec, s[10:11]
	v_add_u32_e32 v60, 0x68, v172
	v_mad_i64_i32 v[56:57], s[18:19], v60, s21, 0
	v_cmp_gt_i32_e64 s[10:11], s17, v60
	v_lshl_add_u64 v[58:59], v[56:57], 3, s[26:27]
	v_mad_i64_i32 v[56:57], s[18:19], v60, s20, 0
	v_lshl_add_u64 v[56:57], v[56:57], 3, s[12:13]
	s_and_b64 s[22:23], s[2:3], s[10:11]
	s_and_saveexec_b64 s[18:19], s[22:23]
	s_cbranch_execnz .LBB167_307
; %bb.304:
	s_or_b64 exec, exec, s[18:19]
	s_and_b64 s[22:23], s[4:5], s[10:11]
	s_and_saveexec_b64 s[18:19], s[22:23]
	s_cbranch_execnz .LBB167_311
.LBB167_305:
	s_or_b64 exec, exec, s[18:19]
	s_and_b64 s[22:23], s[6:7], s[10:11]
	s_and_saveexec_b64 s[18:19], s[22:23]
	s_cbranch_execnz .LBB167_315
.LBB167_306:
	s_or_b64 exec, exec, s[18:19]
	s_and_b64 s[18:19], s[8:9], s[10:11]
	s_and_saveexec_b64 s[10:11], s[18:19]
	s_cbranch_execnz .LBB167_319
	s_branch .LBB167_323
.LBB167_307:
	s_and_b64 vcc, exec, s[0:1]
	s_cbranch_vccnz .LBB167_309
; %bb.308:
	v_lshl_add_u64 v[60:61], v[160:161], 3, v[58:59]
	global_load_dwordx2 v[60:61], v[60:61], off
	s_waitcnt vmcnt(0)
	v_mul_f64 v[60:61], s[14:15], v[60:61]
	v_cvt_f32_f64_e32 v60, v[60:61]
	s_branch .LBB167_310
.LBB167_309:
	v_mov_b32_e32 v60, 0
.LBB167_310:
	v_add_f64 v[62:63], v[38:39], v[54:55]
	v_add_f64 v[64:65], v[36:37], v[52:53]
	v_cvt_f32_f64_e32 v61, v[64:65]
	v_cvt_f32_f64_e32 v62, v[62:63]
	v_min3_f32 v61, v61, v62, v194
	v_add_f64 v[62:63], v[34:35], v[50:51]
	v_add_f64 v[64:65], v[32:33], v[48:49]
	v_cvt_f32_f64_e32 v64, v[64:65]
	v_cvt_f32_f64_e32 v62, v[62:63]
	v_min_f32_e32 v62, v64, v62
	v_min3_f32 v60, v60, v62, v61
	v_cvt_f64_f32_e32 v[60:61], v60
	v_lshl_add_u64 v[62:63], v[160:161], 3, v[56:57]
	global_store_dwordx2 v[62:63], v[60:61], off
	s_or_b64 exec, exec, s[18:19]
	s_and_b64 s[22:23], s[4:5], s[10:11]
	s_and_saveexec_b64 s[18:19], s[22:23]
	s_cbranch_execz .LBB167_305
.LBB167_311:
	s_and_b64 vcc, exec, s[0:1]
	s_cbranch_vccnz .LBB167_313
; %bb.312:
	v_lshl_add_u64 v[60:61], v[162:163], 3, v[58:59]
	global_load_dwordx2 v[60:61], v[60:61], off
	s_waitcnt vmcnt(0)
	v_mul_f64 v[60:61], s[14:15], v[60:61]
	v_cvt_f32_f64_e32 v60, v[60:61]
	s_branch .LBB167_314
.LBB167_313:
	v_mov_b32_e32 v60, 0
.LBB167_314:
	v_add_f64 v[62:63], v[26:27], v[54:55]
	v_add_f64 v[64:65], v[24:25], v[52:53]
	v_cvt_f32_f64_e32 v61, v[64:65]
	v_cvt_f32_f64_e32 v62, v[62:63]
	v_min3_f32 v61, v61, v62, v193
	v_add_f64 v[62:63], v[30:31], v[50:51]
	v_add_f64 v[64:65], v[28:29], v[48:49]
	v_cvt_f32_f64_e32 v64, v[64:65]
	v_cvt_f32_f64_e32 v62, v[62:63]
	v_min_f32_e32 v62, v64, v62
	v_min3_f32 v60, v60, v62, v61
	v_cvt_f64_f32_e32 v[60:61], v60
	v_lshl_add_u64 v[62:63], v[162:163], 3, v[56:57]
	global_store_dwordx2 v[62:63], v[60:61], off
	s_or_b64 exec, exec, s[18:19]
	s_and_b64 s[22:23], s[6:7], s[10:11]
	s_and_saveexec_b64 s[18:19], s[22:23]
	s_cbranch_execz .LBB167_306
.LBB167_315:
	s_and_b64 vcc, exec, s[0:1]
	s_cbranch_vccnz .LBB167_317
; %bb.316:
	v_lshl_add_u64 v[60:61], v[164:165], 3, v[58:59]
	global_load_dwordx2 v[60:61], v[60:61], off
	s_waitcnt vmcnt(0)
	v_mul_f64 v[60:61], s[14:15], v[60:61]
	v_cvt_f32_f64_e32 v60, v[60:61]
	s_branch .LBB167_318
.LBB167_317:
	v_mov_b32_e32 v60, 0
.LBB167_318:
	v_add_f64 v[62:63], v[22:23], v[54:55]
	v_add_f64 v[64:65], v[20:21], v[52:53]
	v_cvt_f32_f64_e32 v61, v[64:65]
	v_cvt_f32_f64_e32 v62, v[62:63]
	v_min3_f32 v61, v61, v62, v191
	v_add_f64 v[62:63], v[14:15], v[50:51]
	v_add_f64 v[64:65], v[12:13], v[48:49]
	v_cvt_f32_f64_e32 v64, v[64:65]
	v_cvt_f32_f64_e32 v62, v[62:63]
	v_min_f32_e32 v62, v64, v62
	v_min3_f32 v60, v60, v62, v61
	v_cvt_f64_f32_e32 v[60:61], v60
	v_lshl_add_u64 v[62:63], v[164:165], 3, v[56:57]
	global_store_dwordx2 v[62:63], v[60:61], off
	s_or_b64 exec, exec, s[18:19]
	s_and_b64 s[18:19], s[8:9], s[10:11]
	s_and_saveexec_b64 s[10:11], s[18:19]
	s_cbranch_execz .LBB167_323
.LBB167_319:
	s_and_b64 vcc, exec, s[0:1]
	s_cbranch_vccnz .LBB167_321
; %bb.320:
	v_lshl_add_u64 v[58:59], v[166:167], 3, v[58:59]
	global_load_dwordx2 v[58:59], v[58:59], off
	s_waitcnt vmcnt(0)
	v_mul_f64 v[58:59], s[14:15], v[58:59]
	v_cvt_f32_f64_e32 v58, v[58:59]
	s_branch .LBB167_322
.LBB167_321:
	v_mov_b32_e32 v58, 0
.LBB167_322:
	v_add_f64 v[54:55], v[6:7], v[54:55]
	v_add_f64 v[52:53], v[4:5], v[52:53]
	;; [unrolled: 1-line block ×4, first 2 shown]
	v_cvt_f32_f64_e32 v52, v[52:53]
	v_cvt_f32_f64_e32 v53, v[54:55]
	;; [unrolled: 1-line block ×4, first 2 shown]
	v_min3_f32 v52, v52, v53, v188
	v_min_f32_e32 v48, v48, v49
	v_min3_f32 v48, v58, v48, v52
	v_cvt_f64_f32_e32 v[48:49], v48
	v_lshl_add_u64 v[50:51], v[166:167], 3, v[56:57]
	global_store_dwordx2 v[50:51], v[48:49], off
.LBB167_323:
	s_or_b64 exec, exec, s[10:11]
	v_add_u32_e32 v52, 0x70, v172
	v_mad_i64_i32 v[48:49], s[18:19], v52, s21, 0
	v_cmp_gt_i32_e64 s[10:11], s17, v52
	v_lshl_add_u64 v[50:51], v[48:49], 3, s[26:27]
	v_mad_i64_i32 v[48:49], s[18:19], v52, s20, 0
	v_lshl_add_u64 v[48:49], v[48:49], 3, s[12:13]
	s_and_b64 s[22:23], s[2:3], s[10:11]
	s_and_saveexec_b64 s[18:19], s[22:23]
	s_cbranch_execnz .LBB167_327
; %bb.324:
	s_or_b64 exec, exec, s[18:19]
	s_and_b64 s[22:23], s[4:5], s[10:11]
	s_and_saveexec_b64 s[18:19], s[22:23]
	s_cbranch_execnz .LBB167_331
.LBB167_325:
	s_or_b64 exec, exec, s[18:19]
	s_and_b64 s[22:23], s[6:7], s[10:11]
	s_and_saveexec_b64 s[18:19], s[22:23]
	s_cbranch_execnz .LBB167_335
.LBB167_326:
	s_or_b64 exec, exec, s[18:19]
	s_and_b64 s[18:19], s[8:9], s[10:11]
	s_and_saveexec_b64 s[10:11], s[18:19]
	s_cbranch_execnz .LBB167_339
	s_branch .LBB167_343
.LBB167_327:
	s_and_b64 vcc, exec, s[0:1]
	s_cbranch_vccnz .LBB167_329
; %bb.328:
	v_lshl_add_u64 v[52:53], v[160:161], 3, v[50:51]
	global_load_dwordx2 v[52:53], v[52:53], off
	s_waitcnt vmcnt(0)
	v_mul_f64 v[52:53], s[14:15], v[52:53]
	v_cvt_f32_f64_e32 v52, v[52:53]
	s_branch .LBB167_330
.LBB167_329:
	v_mov_b32_e32 v52, 0
.LBB167_330:
	v_add_f64 v[54:55], v[38:39], v[46:47]
	v_add_f64 v[56:57], v[36:37], v[44:45]
	v_cvt_f32_f64_e32 v53, v[56:57]
	v_cvt_f32_f64_e32 v54, v[54:55]
	v_min3_f32 v53, v53, v54, v187
	v_add_f64 v[54:55], v[34:35], v[42:43]
	v_add_f64 v[56:57], v[32:33], v[40:41]
	v_cvt_f32_f64_e32 v56, v[56:57]
	v_cvt_f32_f64_e32 v54, v[54:55]
	v_min_f32_e32 v54, v56, v54
	v_min3_f32 v52, v52, v54, v53
	v_cvt_f64_f32_e32 v[52:53], v52
	v_lshl_add_u64 v[54:55], v[160:161], 3, v[48:49]
	global_store_dwordx2 v[54:55], v[52:53], off
	s_or_b64 exec, exec, s[18:19]
	s_and_b64 s[22:23], s[4:5], s[10:11]
	s_and_saveexec_b64 s[18:19], s[22:23]
	s_cbranch_execz .LBB167_325
.LBB167_331:
	s_and_b64 vcc, exec, s[0:1]
	s_cbranch_vccnz .LBB167_333
; %bb.332:
	v_lshl_add_u64 v[52:53], v[162:163], 3, v[50:51]
	global_load_dwordx2 v[52:53], v[52:53], off
	s_waitcnt vmcnt(0)
	v_mul_f64 v[52:53], s[14:15], v[52:53]
	v_cvt_f32_f64_e32 v52, v[52:53]
	s_branch .LBB167_334
.LBB167_333:
	v_mov_b32_e32 v52, 0
.LBB167_334:
	v_add_f64 v[54:55], v[26:27], v[46:47]
	v_add_f64 v[56:57], v[24:25], v[44:45]
	v_cvt_f32_f64_e32 v53, v[56:57]
	v_cvt_f32_f64_e32 v54, v[54:55]
	v_min3_f32 v53, v53, v54, v186
	v_add_f64 v[54:55], v[30:31], v[42:43]
	v_add_f64 v[56:57], v[28:29], v[40:41]
	v_cvt_f32_f64_e32 v56, v[56:57]
	v_cvt_f32_f64_e32 v54, v[54:55]
	v_min_f32_e32 v54, v56, v54
	v_min3_f32 v52, v52, v54, v53
	v_cvt_f64_f32_e32 v[52:53], v52
	v_lshl_add_u64 v[54:55], v[162:163], 3, v[48:49]
	global_store_dwordx2 v[54:55], v[52:53], off
	s_or_b64 exec, exec, s[18:19]
	s_and_b64 s[22:23], s[6:7], s[10:11]
	s_and_saveexec_b64 s[18:19], s[22:23]
	s_cbranch_execz .LBB167_326
.LBB167_335:
	s_and_b64 vcc, exec, s[0:1]
	s_cbranch_vccnz .LBB167_337
; %bb.336:
	v_lshl_add_u64 v[52:53], v[164:165], 3, v[50:51]
	global_load_dwordx2 v[52:53], v[52:53], off
	s_waitcnt vmcnt(0)
	v_mul_f64 v[52:53], s[14:15], v[52:53]
	v_cvt_f32_f64_e32 v52, v[52:53]
	s_branch .LBB167_338
.LBB167_337:
	v_mov_b32_e32 v52, 0
.LBB167_338:
	v_add_f64 v[54:55], v[22:23], v[46:47]
	v_add_f64 v[56:57], v[20:21], v[44:45]
	v_cvt_f32_f64_e32 v53, v[56:57]
	v_cvt_f32_f64_e32 v54, v[54:55]
	v_min3_f32 v53, v53, v54, v185
	v_add_f64 v[54:55], v[14:15], v[42:43]
	v_add_f64 v[56:57], v[12:13], v[40:41]
	v_cvt_f32_f64_e32 v56, v[56:57]
	v_cvt_f32_f64_e32 v54, v[54:55]
	v_min_f32_e32 v54, v56, v54
	v_min3_f32 v52, v52, v54, v53
	v_cvt_f64_f32_e32 v[52:53], v52
	v_lshl_add_u64 v[54:55], v[164:165], 3, v[48:49]
	global_store_dwordx2 v[54:55], v[52:53], off
	s_or_b64 exec, exec, s[18:19]
	s_and_b64 s[18:19], s[8:9], s[10:11]
	s_and_saveexec_b64 s[10:11], s[18:19]
	s_cbranch_execz .LBB167_343
.LBB167_339:
	s_and_b64 vcc, exec, s[0:1]
	s_cbranch_vccnz .LBB167_341
; %bb.340:
	v_lshl_add_u64 v[50:51], v[166:167], 3, v[50:51]
	global_load_dwordx2 v[50:51], v[50:51], off
	s_waitcnt vmcnt(0)
	v_mul_f64 v[50:51], s[14:15], v[50:51]
	v_cvt_f32_f64_e32 v50, v[50:51]
	s_branch .LBB167_342
.LBB167_341:
	v_mov_b32_e32 v50, 0
.LBB167_342:
	v_add_f64 v[46:47], v[6:7], v[46:47]
	v_add_f64 v[44:45], v[4:5], v[44:45]
	v_add_f64 v[42:43], v[2:3], v[42:43]
	v_add_f64 v[40:41], v[0:1], v[40:41]
	v_cvt_f32_f64_e32 v44, v[44:45]
	v_cvt_f32_f64_e32 v45, v[46:47]
	;; [unrolled: 1-line block ×4, first 2 shown]
	v_min3_f32 v44, v44, v45, v184
	v_min_f32_e32 v40, v40, v41
	v_min3_f32 v40, v50, v40, v44
	v_cvt_f64_f32_e32 v[40:41], v40
	v_lshl_add_u64 v[42:43], v[166:167], 3, v[48:49]
	global_store_dwordx2 v[42:43], v[40:41], off
.LBB167_343:
	s_or_b64 exec, exec, s[10:11]
	v_add_u32_e32 v44, 0x78, v172
	v_cmp_gt_i32_e64 s[10:11], s17, v44
	v_mad_i64_i32 v[40:41], s[16:17], v44, s21, 0
	v_lshl_add_u64 v[42:43], v[40:41], 3, s[26:27]
	v_mad_i64_i32 v[40:41], s[16:17], v44, s20, 0
	v_lshl_add_u64 v[40:41], v[40:41], 3, s[12:13]
	s_and_b64 s[12:13], s[2:3], s[10:11]
	s_and_saveexec_b64 s[2:3], s[12:13]
	s_cbranch_execnz .LBB167_348
; %bb.344:
	s_or_b64 exec, exec, s[2:3]
	s_and_b64 s[4:5], s[4:5], s[10:11]
	s_and_saveexec_b64 s[2:3], s[4:5]
	s_cbranch_execnz .LBB167_352
.LBB167_345:
	s_or_b64 exec, exec, s[2:3]
	s_and_b64 s[4:5], s[6:7], s[10:11]
	s_and_saveexec_b64 s[2:3], s[4:5]
	s_cbranch_execnz .LBB167_356
.LBB167_346:
	s_or_b64 exec, exec, s[2:3]
	s_and_b64 s[2:3], s[8:9], s[10:11]
	s_and_saveexec_b64 s[4:5], s[2:3]
	s_cbranch_execnz .LBB167_360
.LBB167_347:
	s_endpgm
.LBB167_348:
	s_and_b64 vcc, exec, s[0:1]
	s_cbranch_vccnz .LBB167_350
; %bb.349:
	v_lshl_add_u64 v[44:45], v[160:161], 3, v[42:43]
	global_load_dwordx2 v[44:45], v[44:45], off
	s_waitcnt vmcnt(0)
	v_mul_f64 v[44:45], s[14:15], v[44:45]
	v_cvt_f32_f64_e32 v44, v[44:45]
	s_branch .LBB167_351
.LBB167_350:
	v_mov_b32_e32 v44, 0
.LBB167_351:
	s_waitcnt lgkmcnt(1)
	v_add_f64 v[38:39], v[38:39], v[18:19]
	v_add_f64 v[36:37], v[36:37], v[16:17]
	s_waitcnt lgkmcnt(0)
	v_add_f64 v[34:35], v[34:35], v[10:11]
	v_add_f64 v[32:33], v[32:33], v[8:9]
	v_cvt_f32_f64_e32 v36, v[36:37]
	v_cvt_f32_f64_e32 v37, v[38:39]
	;; [unrolled: 1-line block ×4, first 2 shown]
	v_min3_f32 v36, v36, v37, v181
	v_min_f32_e32 v32, v32, v33
	v_min3_f32 v32, v44, v32, v36
	v_cvt_f64_f32_e32 v[32:33], v32
	v_lshl_add_u64 v[34:35], v[160:161], 3, v[40:41]
	global_store_dwordx2 v[34:35], v[32:33], off
	s_or_b64 exec, exec, s[2:3]
	s_and_b64 s[4:5], s[4:5], s[10:11]
	s_and_saveexec_b64 s[2:3], s[4:5]
	s_cbranch_execz .LBB167_345
.LBB167_352:
	s_and_b64 vcc, exec, s[0:1]
	s_cbranch_vccnz .LBB167_354
; %bb.353:
	v_lshl_add_u64 v[32:33], v[162:163], 3, v[42:43]
	global_load_dwordx2 v[32:33], v[32:33], off
	s_waitcnt vmcnt(0)
	v_mul_f64 v[32:33], s[14:15], v[32:33]
	v_cvt_f32_f64_e32 v32, v[32:33]
	s_branch .LBB167_355
.LBB167_354:
	v_mov_b32_e32 v32, 0
.LBB167_355:
	s_waitcnt lgkmcnt(1)
	v_add_f64 v[26:27], v[26:27], v[18:19]
	v_add_f64 v[24:25], v[24:25], v[16:17]
	v_cvt_f32_f64_e32 v24, v[24:25]
	v_cvt_f32_f64_e32 v25, v[26:27]
	v_min3_f32 v33, v24, v25, v180
	s_waitcnt lgkmcnt(0)
	v_add_f64 v[24:25], v[30:31], v[10:11]
	v_add_f64 v[26:27], v[28:29], v[8:9]
	v_cvt_f32_f64_e32 v26, v[26:27]
	v_cvt_f32_f64_e32 v24, v[24:25]
	v_min_f32_e32 v24, v26, v24
	v_min3_f32 v24, v32, v24, v33
	v_cvt_f64_f32_e32 v[24:25], v24
	v_lshl_add_u64 v[26:27], v[162:163], 3, v[40:41]
	global_store_dwordx2 v[26:27], v[24:25], off
	s_or_b64 exec, exec, s[2:3]
	s_and_b64 s[4:5], s[6:7], s[10:11]
	s_and_saveexec_b64 s[2:3], s[4:5]
	s_cbranch_execz .LBB167_346
.LBB167_356:
	s_and_b64 vcc, exec, s[0:1]
	s_cbranch_vccnz .LBB167_358
; %bb.357:
	v_lshl_add_u64 v[24:25], v[164:165], 3, v[42:43]
	global_load_dwordx2 v[24:25], v[24:25], off
	s_waitcnt vmcnt(0)
	v_mul_f64 v[24:25], s[14:15], v[24:25]
	v_cvt_f32_f64_e32 v24, v[24:25]
	s_branch .LBB167_359
.LBB167_358:
	v_mov_b32_e32 v24, 0
.LBB167_359:
	s_waitcnt lgkmcnt(1)
	v_add_f64 v[22:23], v[22:23], v[18:19]
	v_add_f64 v[20:21], v[20:21], v[16:17]
	s_waitcnt lgkmcnt(0)
	v_add_f64 v[14:15], v[14:15], v[10:11]
	v_add_f64 v[12:13], v[12:13], v[8:9]
	v_cvt_f32_f64_e32 v20, v[20:21]
	v_cvt_f32_f64_e32 v21, v[22:23]
	;; [unrolled: 1-line block ×4, first 2 shown]
	v_min3_f32 v20, v20, v21, v179
	v_min_f32_e32 v12, v12, v13
	v_min3_f32 v12, v24, v12, v20
	v_cvt_f64_f32_e32 v[12:13], v12
	v_lshl_add_u64 v[14:15], v[164:165], 3, v[40:41]
	global_store_dwordx2 v[14:15], v[12:13], off
	s_or_b64 exec, exec, s[2:3]
	s_and_b64 s[2:3], s[8:9], s[10:11]
	s_and_saveexec_b64 s[4:5], s[2:3]
	s_cbranch_execz .LBB167_347
.LBB167_360:
	s_and_b64 vcc, exec, s[0:1]
	s_cbranch_vccnz .LBB167_362
; %bb.361:
	v_lshl_add_u64 v[12:13], v[166:167], 3, v[42:43]
	global_load_dwordx2 v[12:13], v[12:13], off
	s_waitcnt vmcnt(0)
	v_mul_f64 v[12:13], s[14:15], v[12:13]
	v_cvt_f32_f64_e32 v12, v[12:13]
	s_branch .LBB167_363
.LBB167_362:
	v_mov_b32_e32 v12, 0
.LBB167_363:
	s_waitcnt lgkmcnt(1)
	v_add_f64 v[6:7], v[6:7], v[18:19]
	v_add_f64 v[4:5], v[4:5], v[16:17]
	s_waitcnt lgkmcnt(0)
	v_add_f64 v[2:3], v[2:3], v[10:11]
	v_add_f64 v[0:1], v[0:1], v[8:9]
	v_cvt_f32_f64_e32 v4, v[4:5]
	v_cvt_f32_f64_e32 v5, v[6:7]
	;; [unrolled: 1-line block ×4, first 2 shown]
	v_min3_f32 v4, v4, v5, v178
	v_min_f32_e32 v0, v0, v1
	v_min3_f32 v0, v12, v0, v4
	v_cvt_f64_f32_e32 v[0:1], v0
	v_lshl_add_u64 v[2:3], v[166:167], 3, v[40:41]
	global_store_dwordx2 v[2:3], v[0:1], off
	s_endpgm
	.section	.rodata,"a",@progbits
	.p2align	6, 0x0
	.amdhsa_kernel _ZN12_GLOBAL__N_120geam_min_plus_kernelId15HIP_vector_typeIdLj2EEdLi32ELi8ELi128ELi128ELi4ELi4ELi64ELi4ELi64ELc84ELc78ELb0ELb1ELb1EdKddEEviiiT16_PT17_ilS6_ilS4_S6_ilPT18_ili26rocblas_geam_ex_operation_
		.amdhsa_group_segment_fixed_size 16384
		.amdhsa_private_segment_fixed_size 0
		.amdhsa_kernarg_size 136
		.amdhsa_user_sgpr_count 2
		.amdhsa_user_sgpr_dispatch_ptr 0
		.amdhsa_user_sgpr_queue_ptr 0
		.amdhsa_user_sgpr_kernarg_segment_ptr 1
		.amdhsa_user_sgpr_dispatch_id 0
		.amdhsa_user_sgpr_kernarg_preload_length 0
		.amdhsa_user_sgpr_kernarg_preload_offset 0
		.amdhsa_user_sgpr_private_segment_size 0
		.amdhsa_uses_dynamic_stack 0
		.amdhsa_enable_private_segment 0
		.amdhsa_system_sgpr_workgroup_id_x 1
		.amdhsa_system_sgpr_workgroup_id_y 0
		.amdhsa_system_sgpr_workgroup_id_z 1
		.amdhsa_system_sgpr_workgroup_info 0
		.amdhsa_system_vgpr_workitem_id 1
		.amdhsa_next_free_vgpr 256
		.amdhsa_next_free_sgpr 42
		.amdhsa_accum_offset 256
		.amdhsa_reserve_vcc 1
		.amdhsa_float_round_mode_32 0
		.amdhsa_float_round_mode_16_64 0
		.amdhsa_float_denorm_mode_32 3
		.amdhsa_float_denorm_mode_16_64 3
		.amdhsa_dx10_clamp 1
		.amdhsa_ieee_mode 1
		.amdhsa_fp16_overflow 0
		.amdhsa_tg_split 0
		.amdhsa_exception_fp_ieee_invalid_op 0
		.amdhsa_exception_fp_denorm_src 0
		.amdhsa_exception_fp_ieee_div_zero 0
		.amdhsa_exception_fp_ieee_overflow 0
		.amdhsa_exception_fp_ieee_underflow 0
		.amdhsa_exception_fp_ieee_inexact 0
		.amdhsa_exception_int_div_zero 0
	.end_amdhsa_kernel
	.section	.text._ZN12_GLOBAL__N_120geam_min_plus_kernelId15HIP_vector_typeIdLj2EEdLi32ELi8ELi128ELi128ELi4ELi4ELi64ELi4ELi64ELc84ELc78ELb0ELb1ELb1EdKddEEviiiT16_PT17_ilS6_ilS4_S6_ilPT18_ili26rocblas_geam_ex_operation_,"axG",@progbits,_ZN12_GLOBAL__N_120geam_min_plus_kernelId15HIP_vector_typeIdLj2EEdLi32ELi8ELi128ELi128ELi4ELi4ELi64ELi4ELi64ELc84ELc78ELb0ELb1ELb1EdKddEEviiiT16_PT17_ilS6_ilS4_S6_ilPT18_ili26rocblas_geam_ex_operation_,comdat
.Lfunc_end167:
	.size	_ZN12_GLOBAL__N_120geam_min_plus_kernelId15HIP_vector_typeIdLj2EEdLi32ELi8ELi128ELi128ELi4ELi4ELi64ELi4ELi64ELc84ELc78ELb0ELb1ELb1EdKddEEviiiT16_PT17_ilS6_ilS4_S6_ilPT18_ili26rocblas_geam_ex_operation_, .Lfunc_end167-_ZN12_GLOBAL__N_120geam_min_plus_kernelId15HIP_vector_typeIdLj2EEdLi32ELi8ELi128ELi128ELi4ELi4ELi64ELi4ELi64ELc84ELc78ELb0ELb1ELb1EdKddEEviiiT16_PT17_ilS6_ilS4_S6_ilPT18_ili26rocblas_geam_ex_operation_
                                        ; -- End function
	.set _ZN12_GLOBAL__N_120geam_min_plus_kernelId15HIP_vector_typeIdLj2EEdLi32ELi8ELi128ELi128ELi4ELi4ELi64ELi4ELi64ELc84ELc78ELb0ELb1ELb1EdKddEEviiiT16_PT17_ilS6_ilS4_S6_ilPT18_ili26rocblas_geam_ex_operation_.num_vgpr, 256
	.set _ZN12_GLOBAL__N_120geam_min_plus_kernelId15HIP_vector_typeIdLj2EEdLi32ELi8ELi128ELi128ELi4ELi4ELi64ELi4ELi64ELc84ELc78ELb0ELb1ELb1EdKddEEviiiT16_PT17_ilS6_ilS4_S6_ilPT18_ili26rocblas_geam_ex_operation_.num_agpr, 0
	.set _ZN12_GLOBAL__N_120geam_min_plus_kernelId15HIP_vector_typeIdLj2EEdLi32ELi8ELi128ELi128ELi4ELi4ELi64ELi4ELi64ELc84ELc78ELb0ELb1ELb1EdKddEEviiiT16_PT17_ilS6_ilS4_S6_ilPT18_ili26rocblas_geam_ex_operation_.numbered_sgpr, 42
	.set _ZN12_GLOBAL__N_120geam_min_plus_kernelId15HIP_vector_typeIdLj2EEdLi32ELi8ELi128ELi128ELi4ELi4ELi64ELi4ELi64ELc84ELc78ELb0ELb1ELb1EdKddEEviiiT16_PT17_ilS6_ilS4_S6_ilPT18_ili26rocblas_geam_ex_operation_.num_named_barrier, 0
	.set _ZN12_GLOBAL__N_120geam_min_plus_kernelId15HIP_vector_typeIdLj2EEdLi32ELi8ELi128ELi128ELi4ELi4ELi64ELi4ELi64ELc84ELc78ELb0ELb1ELb1EdKddEEviiiT16_PT17_ilS6_ilS4_S6_ilPT18_ili26rocblas_geam_ex_operation_.private_seg_size, 0
	.set _ZN12_GLOBAL__N_120geam_min_plus_kernelId15HIP_vector_typeIdLj2EEdLi32ELi8ELi128ELi128ELi4ELi4ELi64ELi4ELi64ELc84ELc78ELb0ELb1ELb1EdKddEEviiiT16_PT17_ilS6_ilS4_S6_ilPT18_ili26rocblas_geam_ex_operation_.uses_vcc, 1
	.set _ZN12_GLOBAL__N_120geam_min_plus_kernelId15HIP_vector_typeIdLj2EEdLi32ELi8ELi128ELi128ELi4ELi4ELi64ELi4ELi64ELc84ELc78ELb0ELb1ELb1EdKddEEviiiT16_PT17_ilS6_ilS4_S6_ilPT18_ili26rocblas_geam_ex_operation_.uses_flat_scratch, 0
	.set _ZN12_GLOBAL__N_120geam_min_plus_kernelId15HIP_vector_typeIdLj2EEdLi32ELi8ELi128ELi128ELi4ELi4ELi64ELi4ELi64ELc84ELc78ELb0ELb1ELb1EdKddEEviiiT16_PT17_ilS6_ilS4_S6_ilPT18_ili26rocblas_geam_ex_operation_.has_dyn_sized_stack, 0
	.set _ZN12_GLOBAL__N_120geam_min_plus_kernelId15HIP_vector_typeIdLj2EEdLi32ELi8ELi128ELi128ELi4ELi4ELi64ELi4ELi64ELc84ELc78ELb0ELb1ELb1EdKddEEviiiT16_PT17_ilS6_ilS4_S6_ilPT18_ili26rocblas_geam_ex_operation_.has_recursion, 0
	.set _ZN12_GLOBAL__N_120geam_min_plus_kernelId15HIP_vector_typeIdLj2EEdLi32ELi8ELi128ELi128ELi4ELi4ELi64ELi4ELi64ELc84ELc78ELb0ELb1ELb1EdKddEEviiiT16_PT17_ilS6_ilS4_S6_ilPT18_ili26rocblas_geam_ex_operation_.has_indirect_call, 0
	.section	.AMDGPU.csdata,"",@progbits
; Kernel info:
; codeLenInByte = 27160
; TotalNumSgprs: 48
; NumVgprs: 256
; NumAgprs: 0
; TotalNumVgprs: 256
; ScratchSize: 0
; MemoryBound: 0
; FloatMode: 240
; IeeeMode: 1
; LDSByteSize: 16384 bytes/workgroup (compile time only)
; SGPRBlocks: 5
; VGPRBlocks: 31
; NumSGPRsForWavesPerEU: 48
; NumVGPRsForWavesPerEU: 256
; AccumOffset: 256
; Occupancy: 2
; WaveLimiterHint : 0
; COMPUTE_PGM_RSRC2:SCRATCH_EN: 0
; COMPUTE_PGM_RSRC2:USER_SGPR: 2
; COMPUTE_PGM_RSRC2:TRAP_HANDLER: 0
; COMPUTE_PGM_RSRC2:TGID_X_EN: 1
; COMPUTE_PGM_RSRC2:TGID_Y_EN: 0
; COMPUTE_PGM_RSRC2:TGID_Z_EN: 1
; COMPUTE_PGM_RSRC2:TIDIG_COMP_CNT: 1
; COMPUTE_PGM_RSRC3_GFX90A:ACCUM_OFFSET: 63
; COMPUTE_PGM_RSRC3_GFX90A:TG_SPLIT: 0
	.section	.text._ZN12_GLOBAL__N_120geam_min_plus_kernelId15HIP_vector_typeIdLj2EEdLi8ELi32ELi64ELi256ELi4ELi64ELi4ELi64ELi4ELc78ELc84ELb0ELb0ELb1EPKdS3_dEEviiiT16_PT17_ilS7_ilS5_S7_ilPT18_ili26rocblas_geam_ex_operation_,"axG",@progbits,_ZN12_GLOBAL__N_120geam_min_plus_kernelId15HIP_vector_typeIdLj2EEdLi8ELi32ELi64ELi256ELi4ELi64ELi4ELi64ELi4ELc78ELc84ELb0ELb0ELb1EPKdS3_dEEviiiT16_PT17_ilS7_ilS5_S7_ilPT18_ili26rocblas_geam_ex_operation_,comdat
	.globl	_ZN12_GLOBAL__N_120geam_min_plus_kernelId15HIP_vector_typeIdLj2EEdLi8ELi32ELi64ELi256ELi4ELi64ELi4ELi64ELi4ELc78ELc84ELb0ELb0ELb1EPKdS3_dEEviiiT16_PT17_ilS7_ilS5_S7_ilPT18_ili26rocblas_geam_ex_operation_ ; -- Begin function _ZN12_GLOBAL__N_120geam_min_plus_kernelId15HIP_vector_typeIdLj2EEdLi8ELi32ELi64ELi256ELi4ELi64ELi4ELi64ELi4ELc78ELc84ELb0ELb0ELb1EPKdS3_dEEviiiT16_PT17_ilS7_ilS5_S7_ilPT18_ili26rocblas_geam_ex_operation_
	.p2align	8
	.type	_ZN12_GLOBAL__N_120geam_min_plus_kernelId15HIP_vector_typeIdLj2EEdLi8ELi32ELi64ELi256ELi4ELi64ELi4ELi64ELi4ELc78ELc84ELb0ELb0ELb1EPKdS3_dEEviiiT16_PT17_ilS7_ilS5_S7_ilPT18_ili26rocblas_geam_ex_operation_,@function
_ZN12_GLOBAL__N_120geam_min_plus_kernelId15HIP_vector_typeIdLj2EEdLi8ELi32ELi64ELi256ELi4ELi64ELi4ELi64ELi4ELc78ELc84ELb0ELb0ELb1EPKdS3_dEEviiiT16_PT17_ilS7_ilS5_S7_ilPT18_ili26rocblas_geam_ex_operation_: ; @_ZN12_GLOBAL__N_120geam_min_plus_kernelId15HIP_vector_typeIdLj2EEdLi8ELi32ELi64ELi256ELi4ELi64ELi4ELi64ELi4ELc78ELc84ELb0ELb0ELb1EPKdS3_dEEviiiT16_PT17_ilS7_ilS5_S7_ilPT18_ili26rocblas_geam_ex_operation_
; %bb.0:
	s_load_dwordx4 s[4:7], s[0:1], 0x10
	s_load_dwordx4 s[8:11], s[0:1], 0x28
	;; [unrolled: 1-line block ×3, first 2 shown]
	s_mov_b32 s18, s3
	s_mov_b32 s19, 0
	s_lshl_b64 s[16:17], s[18:19], 3
	s_waitcnt lgkmcnt(0)
	s_add_u32 s4, s4, s16
	s_addc_u32 s5, s5, s17
	s_load_dwordx2 s[20:21], s[4:5], 0x0
	s_load_dwordx2 s[26:27], s[0:1], 0x50
	s_add_u32 s14, s14, s16
	s_addc_u32 s15, s15, s17
	s_mov_b64 s[22:23], 0
	s_waitcnt lgkmcnt(0)
	v_cmp_eq_f64_e64 s[4:5], s[20:21], 0
	s_and_b64 s[4:5], exec, s[4:5]
	v_cmp_neq_f64_e64 s[28:29], s[20:21], 0
	s_mov_b64 s[24:25], 0
	s_mov_b64 vcc, s[4:5]
	s_cbranch_vccnz .LBB168_2
; %bb.1:
	s_mul_i32 s3, s9, s18
	s_mul_hi_u32 s9, s8, s18
	s_add_i32 s9, s9, s3
	s_mul_i32 s8, s8, s18
	s_lshl_b64 s[8:9], s[8:9], 3
	s_add_u32 s24, s6, s8
	s_addc_u32 s25, s7, s9
.LBB168_2:
	s_load_dwordx2 s[16:17], s[14:15], 0x0
	v_cndmask_b32_e64 v1, 0, 1, s[28:29]
	v_cmp_ne_u32_e64 s[6:7], 1, v1
	s_andn2_b64 vcc, exec, s[28:29]
	s_cbranch_vccnz .LBB168_4
; %bb.3:
	s_mul_i32 s3, s13, s18
	s_mul_hi_u32 s8, s12, s18
	s_add_i32 s9, s8, s3
	s_mul_i32 s8, s12, s18
	s_lshl_b64 s[8:9], s[8:9], 3
	s_add_u32 s22, s10, s8
	s_addc_u32 s23, s11, s9
.LBB168_4:
	s_load_dwordx4 s[12:15], s[0:1], 0x60
	s_waitcnt lgkmcnt(0)
	v_cmp_eq_f64_e64 s[8:9], s[16:17], 0
	s_and_b64 s[8:9], exec, s[8:9]
	s_mov_b64 s[10:11], 0
	s_mov_b64 vcc, s[8:9]
	s_cbranch_vccnz .LBB168_6
; %bb.5:
	s_mul_i32 s3, s13, s18
	s_mul_hi_u32 s10, s12, s18
	s_add_i32 s11, s10, s3
	s_mul_i32 s10, s12, s18
	s_lshl_b64 s[10:11], s[10:11], 3
	s_add_u32 s10, s26, s10
	s_addc_u32 s11, s27, s11
.LBB168_6:
	s_load_dword s3, s[0:1], 0x0
	s_load_dword s12, s[0:1], 0x20
	v_and_b32_e32 v156, 0x3ff, v0
	v_bfe_u32 v157, v0, 10, 10
	v_lshl_add_u32 v3, v157, 3, v156
	s_waitcnt lgkmcnt(0)
	s_add_i32 s3, s3, -1
	s_ashr_i32 s13, s3, 31
	s_lshr_b32 s13, s13, 26
	s_add_i32 s3, s3, s13
	s_ashr_i32 s3, s3, 6
	s_add_i32 s19, s3, 1
	v_cvt_f32_u32_e32 v1, s19
	s_not_b32 s3, s3
	s_ashr_i32 s13, s12, 31
	v_and_b32_e32 v111, 63, v3
	v_rcp_iflag_f32_e32 v2, v1
	v_mov_b64_e32 v[0:1], 0
	v_lshrrev_b32_e32 v110, 6, v3
	v_mul_f32_e32 v2, 0x4f7ffffe, v2
	v_cvt_u32_f32_e32 v2, v2
	s_nop 0
	v_readfirstlane_b32 s26, v2
	s_mul_i32 s3, s3, s26
	s_mul_hi_u32 s3, s26, s3
	s_add_i32 s26, s26, s3
	s_mul_hi_u32 s3, s2, s26
	s_mul_i32 s26, s3, s19
	s_sub_i32 s26, s2, s26
	s_add_i32 s27, s3, 1
	s_sub_i32 s28, s26, s19
	s_cmp_ge_u32 s26, s19
	s_cselect_b32 s3, s27, s3
	s_cselect_b32 s26, s28, s26
	s_add_i32 s27, s3, 1
	s_cmp_ge_u32 s26, s19
	s_cselect_b32 s27, s27, s3
	s_mul_i32 s3, s27, s19
	s_sub_i32 s19, s2, s3
	s_lshl_b32 s19, s19, 6
	v_or_b32_e32 v12, s19, v111
	s_and_b64 vcc, exec, s[6:7]
	v_ashrrev_i32_e32 v13, 31, v12
	v_mov_b64_e32 v[2:3], 0
	s_cbranch_vccnz .LBB168_8
; %bb.7:
	v_mad_i64_i32 v[2:3], s[28:29], s12, v110, 0
	v_lshl_add_u64 v[2:3], v[2:3], 3, s[24:25]
	v_lshl_add_u64 v[2:3], v[12:13], 3, v[2:3]
	global_load_dwordx2 v[2:3], v[2:3], off
	s_waitcnt vmcnt(0)
	v_mul_f64 v[2:3], s[20:21], v[2:3]
.LBB168_8:
	s_load_dword s26, s[0:1], 0x38
	s_lshl_b32 s30, s27, 8
	v_or_b32_e32 v6, s30, v111
	s_and_b64 vcc, exec, s[6:7]
	v_ashrrev_i32_e32 v7, 31, v6
	s_waitcnt lgkmcnt(0)
	v_mad_i64_i32 v[4:5], s[28:29], v110, s26, 0
	v_lshl_add_u64 v[14:15], v[4:5], 3, s[22:23]
	v_mov_b64_e32 v[4:5], 0
	s_cbranch_vccnz .LBB168_10
; %bb.9:
	v_lshl_add_u64 v[0:1], v[6:7], 3, v[14:15]
	global_load_dwordx2 v[4:5], v[0:1], off
	global_load_dwordx2 v[8:9], v[0:1], off offset:512
	s_waitcnt vmcnt(1)
	v_mul_f64 v[4:5], s[20:21], v[4:5]
	s_waitcnt vmcnt(0)
	v_mul_f64 v[0:1], s[20:21], v[8:9]
.LBB168_10:
	s_ashr_i32 s27, s26, 31
	s_mov_b64 vcc, s[4:5]
	s_cbranch_vccz .LBB168_12
; %bb.11:
	s_mov_b32 s28, 0
	v_mov_b32_e32 v8, s28
	v_mov_b32_e32 v9, s28
	v_mov_b64_e32 v[100:101], 0
	v_mov_b64_e32 v[10:11], 0
	s_cbranch_execz .LBB168_13
	s_branch .LBB168_14
.LBB168_12:
                                        ; implicit-def: $vgpr8_vgpr9
	v_mov_b64_e32 v[100:101], 0
	v_mov_b64_e32 v[10:11], 0
.LBB168_13:
	v_lshl_add_u64 v[8:9], v[6:7], 3, v[14:15]
	global_load_dwordx2 v[10:11], v[8:9], off offset:1024
	global_load_dwordx2 v[14:15], v[8:9], off offset:1536
	s_waitcnt vmcnt(1)
	v_mul_f64 v[8:9], s[20:21], v[10:11]
	s_waitcnt vmcnt(0)
	v_mul_f64 v[10:11], s[20:21], v[14:15]
.LBB168_14:
	s_and_b64 vcc, exec, s[6:7]
	v_add_u32_e32 v14, 4, v110
	s_cbranch_vccnz .LBB168_16
; %bb.15:
	v_mad_i64_i32 v[16:17], s[28:29], s12, v14, 0
	v_lshl_add_u64 v[16:17], v[16:17], 3, s[24:25]
	v_lshl_add_u64 v[12:13], v[12:13], 3, v[16:17]
	global_load_dwordx2 v[12:13], v[12:13], off
	s_waitcnt vmcnt(0)
	v_mul_f64 v[100:101], s[20:21], v[12:13]
.LBB168_16:
	v_mad_i64_i32 v[12:13], s[28:29], v14, s26, 0
	s_and_b64 vcc, exec, s[6:7]
	v_lshl_add_u64 v[12:13], v[12:13], 3, s[22:23]
	s_cbranch_vccnz .LBB168_19
; %bb.17:
	v_lshl_add_u64 v[14:15], v[6:7], 3, v[12:13]
	global_load_dwordx2 v[16:17], v[14:15], off
	global_load_dwordx2 v[18:19], v[14:15], off offset:512
	s_waitcnt vmcnt(1)
	v_mul_f64 v[104:105], s[20:21], v[16:17]
	s_waitcnt vmcnt(0)
	v_mul_f64 v[102:103], s[20:21], v[18:19]
	s_mov_b64 vcc, s[4:5]
	s_cbranch_vccz .LBB168_20
.LBB168_18:
	s_mov_b32 s28, 0
	v_mov_b32_e32 v106, s28
	v_mov_b32_e32 v107, s28
	v_mov_b64_e32 v[108:109], 0
	s_cbranch_execz .LBB168_21
	s_branch .LBB168_22
.LBB168_19:
	v_mov_b64_e32 v[102:103], 0
	v_mov_b64_e32 v[104:105], v[102:103]
	s_mov_b64 vcc, s[4:5]
	s_cbranch_vccnz .LBB168_18
.LBB168_20:
                                        ; implicit-def: $vgpr106_vgpr107
	v_mov_b64_e32 v[108:109], 0
.LBB168_21:
	v_lshl_add_u64 v[6:7], v[6:7], 3, v[12:13]
	global_load_dwordx2 v[12:13], v[6:7], off offset:1024
	global_load_dwordx2 v[14:15], v[6:7], off offset:1536
	s_waitcnt vmcnt(1)
	v_mul_f64 v[106:107], s[20:21], v[12:13]
	s_waitcnt vmcnt(0)
	v_mul_f64 v[108:109], s[20:21], v[14:15]
.LBB168_22:
	v_lshlrev_b32_e32 v6, 5, v111
	v_lshl_add_u32 v163, v110, 3, v6
	v_lshlrev_b32_e32 v159, 5, v156
	ds_write_b64 v163, v[2:3] offset:16384
	ds_write2st64_b64 v163, v[4:5], v[0:1] offset1:4
	ds_write2st64_b64 v163, v[8:9], v[10:11] offset0:8 offset1:12
	s_waitcnt lgkmcnt(0)
	s_barrier
	v_lshlrev_b32_e32 v158, 5, v157
	ds_read_b128 v[32:35], v159 offset:16640
	ds_read_b128 v[28:31], v159 offset:16896
	;; [unrolled: 1-line block ×13, first 2 shown]
	ds_read_b128 v[96:99], v158
	ds_read_b128 v[44:47], v158 offset:6144
	ds_read_b128 v[36:39], v158 offset:7168
	;; [unrolled: 1-line block ×4, first 2 shown]
	s_waitcnt lgkmcnt(5)
	v_add_f64 v[114:115], v[42:43], v[94:95]
	v_add_f64 v[116:117], v[40:41], v[92:93]
	s_mov_b32 s29, 0x7f800000
	v_cvt_f32_f64_e32 v113, v[116:117]
	v_cvt_f32_f64_e32 v114, v[114:115]
	v_min3_f32 v175, v113, v114, s29
	v_add_f64 v[114:115], v[34:35], v[94:95]
	v_add_f64 v[116:117], v[32:33], v[92:93]
	v_cvt_f32_f64_e32 v113, v[116:117]
	v_cvt_f32_f64_e32 v114, v[114:115]
	v_min3_f32 v176, v113, v114, s29
	v_add_f64 v[114:115], v[30:31], v[94:95]
	v_add_f64 v[116:117], v[28:29], v[92:93]
	;; [unrolled: 5-line block ×34, first 2 shown]
	v_cvt_f32_f64_e32 v113, v[116:117]
	v_cvt_f32_f64_e32 v114, v[114:115]
	v_min3_f32 v119, v113, v114, s29
	s_waitcnt lgkmcnt(3)
	v_add_f64 v[114:115], v[42:43], v[46:47]
	v_add_f64 v[164:165], v[40:41], v[44:45]
	v_cvt_f32_f64_e32 v113, v[164:165]
	v_cvt_f32_f64_e32 v114, v[114:115]
	v_min3_f32 v125, v113, v114, s29
	v_add_f64 v[114:115], v[34:35], v[46:47]
	v_add_f64 v[164:165], v[32:33], v[44:45]
	v_cvt_f32_f64_e32 v113, v[164:165]
	v_cvt_f32_f64_e32 v114, v[114:115]
	v_min3_f32 v122, v113, v114, s29
	v_add_f64 v[114:115], v[30:31], v[46:47]
	v_add_f64 v[164:165], v[28:29], v[44:45]
	v_cvt_f32_f64_e32 v113, v[164:165]
	v_cvt_f32_f64_e32 v114, v[114:115]
	v_add_f64 v[56:57], v[42:43], v[98:99]
	v_add_f64 v[58:59], v[40:41], v[96:97]
	v_min3_f32 v120, v113, v114, s29
	v_add_f64 v[114:115], v[26:27], v[46:47]
	v_add_f64 v[164:165], v[24:25], v[44:45]
	v_cvt_f32_f64_e32 v58, v[58:59]
	v_cvt_f32_f64_e32 v56, v[56:57]
	;; [unrolled: 1-line block ×4, first 2 shown]
	v_min3_f32 v112, v58, v56, s29
	ds_read_b128 v[56:59], v159 offset:16656
	v_add_f64 v[60:61], v[34:35], v[98:99]
	v_add_f64 v[62:63], v[32:33], v[96:97]
	v_min3_f32 v118, v113, v114, s29
	v_add_f64 v[114:115], v[22:23], v[46:47]
	v_add_f64 v[164:165], v[20:21], v[44:45]
	v_cvt_f32_f64_e32 v62, v[62:63]
	v_cvt_f32_f64_e32 v60, v[60:61]
	;; [unrolled: 1-line block ×4, first 2 shown]
	v_add_f64 v[164:165], v[16:17], v[44:45]
	v_min3_f32 v168, v62, v60, s29
	ds_read_b128 v[60:63], v159 offset:16912
	v_add_f64 v[64:65], v[30:31], v[98:99]
	v_add_f64 v[66:67], v[28:29], v[96:97]
	;; [unrolled: 1-line block ×22, first 2 shown]
	v_min3_f32 v116, v113, v114, s29
	v_add_f64 v[114:115], v[18:19], v[46:47]
	v_cvt_f32_f64_e32 v113, v[164:165]
	v_add_f64 v[164:165], v[14:15], v[46:47]
	v_add_f64 v[166:167], v[12:13], v[44:45]
	;; [unrolled: 1-line block ×4, first 2 shown]
	s_waitcnt lgkmcnt(4)
	v_add_f64 v[14:15], v[14:15], v[38:39]
	v_add_f64 v[12:13], v[12:13], v[36:37]
	;; [unrolled: 1-line block ×4, first 2 shown]
	v_cvt_f32_f64_e32 v66, v[66:67]
	v_cvt_f32_f64_e32 v64, v[64:65]
	;; [unrolled: 1-line block ×7, first 2 shown]
	s_waitcnt lgkmcnt(2)
	v_add_f64 v[10:11], v[2:3], v[6:7]
	v_add_f64 v[14:15], v[0:1], v[4:5]
	v_min3_f32 v169, v66, v64, s29
	ds_read_b128 v[64:67], v159 offset:17168
	v_min3_f32 v115, v113, v114, s29
	v_cvt_f32_f64_e32 v113, v[166:167]
	v_cvt_f32_f64_e32 v114, v[164:165]
	;; [unrolled: 1-line block ×4, first 2 shown]
	v_min3_f32 v8, v8, v9, s29
	v_cvt_f32_f64_e32 v9, v[14:15]
	v_cvt_f32_f64_e32 v10, v[10:11]
	;; [unrolled: 1-line block ×4, first 2 shown]
	v_min3_f32 v114, v113, v114, s29
	v_min3_f32 v113, v44, v45, s29
	ds_read_b128 v[44:47], v158 offset:7184
	v_min3_f32 v230, v9, v10, v112
	s_waitcnt lgkmcnt(3)
	v_add_f64 v[10:11], v[58:59], v[6:7]
	v_add_f64 v[14:15], v[56:57], v[4:5]
	v_min3_f32 v170, v70, v68, s29
	ds_read_b128 v[68:71], v159 offset:17424
	v_cvt_f32_f64_e32 v9, v[14:15]
	v_cvt_f32_f64_e32 v10, v[10:11]
	v_cvt_f32_f64_e32 v74, v[74:75]
	v_cvt_f32_f64_e32 v72, v[72:73]
	v_min3_f32 v228, v9, v10, v168
	s_waitcnt lgkmcnt(3)
	v_add_f64 v[10:11], v[62:63], v[6:7]
	v_add_f64 v[14:15], v[60:61], v[4:5]
	v_min3_f32 v171, v74, v72, s29
	ds_read_b128 v[72:75], v159 offset:17680
	v_cvt_f32_f64_e32 v9, v[14:15]
	v_cvt_f32_f64_e32 v10, v[10:11]
	;; [unrolled: 1-line block ×6, first 2 shown]
	v_min3_f32 v229, v9, v10, v169
	s_waitcnt lgkmcnt(3)
	v_add_f64 v[10:11], v[66:67], v[6:7]
	v_add_f64 v[14:15], v[64:65], v[4:5]
	v_min3_f32 v172, v78, v76, s29
	ds_read_b128 v[76:79], v159 offset:17936
	v_min3_f32 v173, v82, v80, s29
	ds_read_b128 v[80:83], v159 offset:18192
	v_cvt_f32_f64_e32 v9, v[14:15]
	v_cvt_f32_f64_e32 v10, v[10:11]
	v_cvt_f32_f64_e32 v96, v[96:97]
	v_cvt_f32_f64_e32 v97, v[98:99]
	v_min3_f32 v226, v9, v10, v170
	s_waitcnt lgkmcnt(3)
	v_add_f64 v[10:11], v[70:71], v[6:7]
	v_add_f64 v[14:15], v[68:69], v[4:5]
	v_min3_f32 v174, v96, v97, s29
	ds_read_b128 v[96:99], v158 offset:1040
	v_cvt_f32_f64_e32 v9, v[14:15]
	v_cvt_f32_f64_e32 v10, v[10:11]
	v_min3_f32 v227, v9, v10, v171
	s_waitcnt lgkmcnt(3)
	v_add_f64 v[10:11], v[74:75], v[6:7]
	v_add_f64 v[14:15], v[72:73], v[4:5]
	v_cvt_f32_f64_e32 v9, v[14:15]
	v_cvt_f32_f64_e32 v10, v[10:11]
	v_min3_f32 v224, v9, v10, v172
	s_waitcnt lgkmcnt(2)
	v_add_f64 v[10:11], v[78:79], v[6:7]
	v_add_f64 v[14:15], v[76:77], v[4:5]
	s_waitcnt lgkmcnt(1)
	v_add_f64 v[6:7], v[82:83], v[6:7]
	v_add_f64 v[4:5], v[80:81], v[4:5]
	v_cvt_f32_f64_e32 v92, v[92:93]
	v_cvt_f32_f64_e32 v93, v[94:95]
	;; [unrolled: 1-line block ×4, first 2 shown]
	v_min3_f32 v148, v92, v93, s29
	ds_read_b128 v[92:95], v158 offset:2064
	v_min3_f32 v217, v4, v5, v174
	s_waitcnt lgkmcnt(1)
	v_add_f64 v[4:5], v[2:3], v[98:99]
	v_add_f64 v[6:7], v[0:1], v[96:97]
	v_cvt_f32_f64_e32 v6, v[6:7]
	v_cvt_f32_f64_e32 v4, v[4:5]
	v_min3_f32 v216, v6, v4, v175
	v_add_f64 v[4:5], v[58:59], v[98:99]
	v_add_f64 v[6:7], v[56:57], v[96:97]
	v_cvt_f32_f64_e32 v6, v[6:7]
	v_cvt_f32_f64_e32 v4, v[4:5]
	v_min3_f32 v215, v6, v4, v176
	;; [unrolled: 5-line block ×8, first 2 shown]
	s_waitcnt lgkmcnt(0)
	v_add_f64 v[4:5], v[2:3], v[94:95]
	v_add_f64 v[6:7], v[0:1], v[92:93]
	v_cvt_f32_f64_e32 v6, v[6:7]
	v_cvt_f32_f64_e32 v4, v[4:5]
	v_min3_f32 v208, v6, v4, v160
	v_add_f64 v[4:5], v[58:59], v[94:95]
	v_add_f64 v[6:7], v[56:57], v[92:93]
	v_cvt_f32_f64_e32 v6, v[6:7]
	v_cvt_f32_f64_e32 v4, v[4:5]
	v_min3_f32 v207, v6, v4, v154
	;; [unrolled: 5-line block ×4, first 2 shown]
	v_add_f64 v[4:5], v[70:71], v[94:95]
	v_add_f64 v[6:7], v[68:69], v[92:93]
	v_cvt_f32_f64_e32 v6, v[6:7]
	v_cvt_f32_f64_e32 v4, v[4:5]
	;; [unrolled: 1-line block ×4, first 2 shown]
	v_min3_f32 v204, v6, v4, v147
	v_add_f64 v[4:5], v[74:75], v[94:95]
	v_add_f64 v[6:7], v[72:73], v[92:93]
	v_min3_f32 v140, v88, v89, s29
	ds_read_b128 v[88:91], v158 offset:3088
	v_cvt_f32_f64_e32 v6, v[6:7]
	v_cvt_f32_f64_e32 v4, v[4:5]
	v_min3_f32 v203, v6, v4, v145
	v_add_f64 v[4:5], v[78:79], v[94:95]
	v_add_f64 v[6:7], v[76:77], v[92:93]
	v_cvt_f32_f64_e32 v6, v[6:7]
	v_cvt_f32_f64_e32 v4, v[4:5]
	v_min3_f32 v202, v6, v4, v143
	v_add_f64 v[4:5], v[82:83], v[94:95]
	v_add_f64 v[6:7], v[80:81], v[92:93]
	v_cvt_f32_f64_e32 v84, v[84:85]
	v_cvt_f32_f64_e32 v85, v[86:87]
	;; [unrolled: 1-line block ×4, first 2 shown]
	v_min3_f32 v132, v84, v85, s29
	ds_read_b128 v[84:87], v158 offset:4112
	v_min3_f32 v201, v6, v4, v140
	s_waitcnt lgkmcnt(1)
	v_add_f64 v[4:5], v[2:3], v[90:91]
	v_add_f64 v[6:7], v[0:1], v[88:89]
	v_cvt_f32_f64_e32 v6, v[6:7]
	v_cvt_f32_f64_e32 v4, v[4:5]
	v_min3_f32 v200, v6, v4, v149
	v_add_f64 v[4:5], v[58:59], v[90:91]
	v_add_f64 v[6:7], v[56:57], v[88:89]
	v_cvt_f32_f64_e32 v6, v[6:7]
	v_cvt_f32_f64_e32 v4, v[4:5]
	v_min3_f32 v199, v6, v4, v146
	;; [unrolled: 5-line block ×8, first 2 shown]
	s_waitcnt lgkmcnt(0)
	v_add_f64 v[4:5], v[2:3], v[86:87]
	v_add_f64 v[6:7], v[0:1], v[84:85]
	v_cvt_f32_f64_e32 v6, v[6:7]
	v_cvt_f32_f64_e32 v4, v[4:5]
	v_min3_f32 v192, v6, v4, v141
	v_add_f64 v[4:5], v[58:59], v[86:87]
	v_add_f64 v[6:7], v[56:57], v[84:85]
	v_cvt_f32_f64_e32 v6, v[6:7]
	v_cvt_f32_f64_e32 v4, v[4:5]
	v_min3_f32 v191, v6, v4, v138
	;; [unrolled: 5-line block ×4, first 2 shown]
	v_add_f64 v[4:5], v[70:71], v[86:87]
	v_add_f64 v[6:7], v[68:69], v[84:85]
	v_cvt_f32_f64_e32 v6, v[6:7]
	v_cvt_f32_f64_e32 v4, v[4:5]
	;; [unrolled: 1-line block ×4, first 2 shown]
	v_min3_f32 v188, v6, v4, v131
	v_add_f64 v[4:5], v[74:75], v[86:87]
	v_add_f64 v[6:7], v[72:73], v[84:85]
	v_min3_f32 v124, v52, v53, s29
	ds_read_b128 v[52:55], v158 offset:5136
	v_cvt_f32_f64_e32 v6, v[6:7]
	v_cvt_f32_f64_e32 v4, v[4:5]
	v_min3_f32 v187, v6, v4, v129
	v_add_f64 v[4:5], v[78:79], v[86:87]
	v_add_f64 v[6:7], v[76:77], v[84:85]
	v_cvt_f32_f64_e32 v6, v[6:7]
	v_cvt_f32_f64_e32 v4, v[4:5]
	v_min3_f32 v186, v6, v4, v127
	v_add_f64 v[4:5], v[82:83], v[86:87]
	v_add_f64 v[6:7], v[80:81], v[84:85]
	v_cvt_f32_f64_e32 v48, v[48:49]
	v_cvt_f32_f64_e32 v49, v[50:51]
	;; [unrolled: 1-line block ×4, first 2 shown]
	v_min3_f32 v117, v48, v49, s29
	ds_read_b128 v[48:51], v158 offset:6160
	v_min3_f32 v185, v6, v4, v124
	s_waitcnt lgkmcnt(1)
	v_add_f64 v[4:5], v[2:3], v[54:55]
	v_add_f64 v[6:7], v[0:1], v[52:53]
	v_cvt_f32_f64_e32 v6, v[6:7]
	v_cvt_f32_f64_e32 v4, v[4:5]
	v_min3_f32 v184, v6, v4, v133
	v_add_f64 v[4:5], v[58:59], v[54:55]
	v_add_f64 v[6:7], v[56:57], v[52:53]
	v_cvt_f32_f64_e32 v6, v[6:7]
	v_cvt_f32_f64_e32 v4, v[4:5]
	v_min3_f32 v183, v6, v4, v130
	;; [unrolled: 5-line block ×7, first 2 shown]
	v_add_f64 v[4:5], v[82:83], v[54:55]
	v_add_f64 v[6:7], v[80:81], v[52:53]
	;; [unrolled: 1-line block ×4, first 2 shown]
	v_cvt_f32_f64_e32 v6, v[6:7]
	v_cvt_f32_f64_e32 v4, v[4:5]
	;; [unrolled: 1-line block ×4, first 2 shown]
	v_min3_f32 v177, v6, v4, v117
	s_waitcnt lgkmcnt(0)
	v_add_f64 v[4:5], v[2:3], v[50:51]
	v_add_f64 v[6:7], v[0:1], v[48:49]
	;; [unrolled: 1-line block ×4, first 2 shown]
	v_min3_f32 v40, v40, v41, s29
	v_add_f64 v[34:35], v[34:35], v[38:39]
	v_add_f64 v[32:33], v[32:33], v[36:37]
	v_cvt_f32_f64_e32 v6, v[6:7]
	v_cvt_f32_f64_e32 v4, v[4:5]
	v_cvt_f32_f64_e32 v0, v[0:1]
	v_cvt_f32_f64_e32 v1, v[2:3]
	v_cvt_f32_f64_e32 v32, v[32:33]
	v_cvt_f32_f64_e32 v33, v[34:35]
	v_min3_f32 v176, v6, v4, v125
	v_add_f64 v[4:5], v[58:59], v[50:51]
	v_add_f64 v[6:7], v[56:57], v[48:49]
	v_min3_f32 v168, v0, v1, v40
	v_add_f64 v[0:1], v[58:59], v[46:47]
	v_add_f64 v[2:3], v[56:57], v[44:45]
	v_min3_f32 v32, v32, v33, s29
	v_add_f64 v[30:31], v[30:31], v[38:39]
	v_add_f64 v[28:29], v[28:29], v[36:37]
	v_cvt_f32_f64_e32 v6, v[6:7]
	v_cvt_f32_f64_e32 v4, v[4:5]
	v_cvt_f32_f64_e32 v2, v[2:3]
	v_cvt_f32_f64_e32 v0, v[0:1]
	v_cvt_f32_f64_e32 v28, v[28:29]
	v_cvt_f32_f64_e32 v29, v[30:31]
	v_min3_f32 v175, v6, v4, v122
	v_add_f64 v[4:5], v[62:63], v[50:51]
	v_add_f64 v[6:7], v[60:61], v[48:49]
	v_min3_f32 v167, v2, v0, v32
	v_add_f64 v[0:1], v[62:63], v[46:47]
	v_add_f64 v[2:3], v[60:61], v[44:45]
	;; [unrolled: 15-line block ×3, first 2 shown]
	v_min3_f32 v24, v24, v25, s29
	v_add_f64 v[22:23], v[22:23], v[38:39]
	v_add_f64 v[20:21], v[20:21], v[36:37]
	v_cvt_f32_f64_e32 v9, v[14:15]
	v_cvt_f32_f64_e32 v10, v[10:11]
	;; [unrolled: 1-line block ×8, first 2 shown]
	v_min3_f32 v225, v9, v10, v173
	v_min3_f32 v173, v6, v4, v118
	v_add_f64 v[4:5], v[70:71], v[50:51]
	v_add_f64 v[6:7], v[68:69], v[48:49]
	v_min3_f32 v165, v2, v0, v24
	v_add_f64 v[0:1], v[70:71], v[46:47]
	v_add_f64 v[2:3], v[68:69], v[44:45]
	;; [unrolled: 3-line block ×3, first 2 shown]
	v_cvt_f32_f64_e32 v6, v[6:7]
	v_cvt_f32_f64_e32 v4, v[4:5]
	v_cvt_f32_f64_e32 v2, v[2:3]
	v_cvt_f32_f64_e32 v0, v[0:1]
	v_cvt_f32_f64_e32 v16, v[16:17]
	v_cvt_f32_f64_e32 v17, v[18:19]
	v_min3_f32 v172, v6, v4, v116
	v_add_f64 v[4:5], v[74:75], v[50:51]
	v_add_f64 v[6:7], v[72:73], v[48:49]
	v_min3_f32 v164, v2, v0, v20
	v_add_f64 v[0:1], v[74:75], v[46:47]
	v_add_f64 v[2:3], v[72:73], v[44:45]
	s_load_dword s28, s[0:1], 0x8
	v_min3_f32 v16, v16, v17, s29
	v_cvt_f32_f64_e32 v6, v[6:7]
	v_cvt_f32_f64_e32 v4, v[4:5]
	;; [unrolled: 1-line block ×4, first 2 shown]
	v_min3_f32 v171, v6, v4, v115
	v_add_f64 v[4:5], v[78:79], v[50:51]
	v_add_f64 v[6:7], v[76:77], v[48:49]
	v_min3_f32 v162, v2, v0, v16
	v_add_f64 v[0:1], v[78:79], v[46:47]
	v_add_f64 v[2:3], v[76:77], v[44:45]
	v_min3_f32 v12, v12, v13, s29
	v_cvt_f32_f64_e32 v6, v[6:7]
	v_cvt_f32_f64_e32 v4, v[4:5]
	;; [unrolled: 1-line block ×4, first 2 shown]
	v_min3_f32 v170, v6, v4, v114
	v_add_f64 v[4:5], v[82:83], v[50:51]
	v_add_f64 v[6:7], v[80:81], v[48:49]
	v_min3_f32 v161, v2, v0, v12
	v_add_f64 v[0:1], v[82:83], v[46:47]
	v_add_f64 v[2:3], v[80:81], v[44:45]
	v_cvt_f32_f64_e32 v6, v[6:7]
	v_cvt_f32_f64_e32 v4, v[4:5]
	;; [unrolled: 1-line block ×4, first 2 shown]
	v_min3_f32 v169, v6, v4, v113
	v_min3_f32 v160, v2, v0, v8
	s_waitcnt lgkmcnt(0)
	s_cmp_lt_i32 s28, 9
	ds_write_b64 v163, v[100:101] offset:18432
	ds_write2st64_b64 v163, v[104:105], v[102:103] offset0:16 offset1:20
	ds_write2st64_b64 v163, v[106:107], v[108:109] offset0:24 offset1:28
	s_waitcnt lgkmcnt(0)
	s_barrier
	s_cbranch_scc1 .LBB168_45
; %bb.23:
	v_mov_b32_e32 v0, 0x4800
	v_lshl_add_u32 v222, v156, 5, v0
	v_mov_b32_e32 v0, 0x2000
	v_add_u32_e32 v2, 12, v110
	v_lshl_add_u32 v223, v157, 5, v0
	v_mad_i64_i32 v[0:1], s[34:35], v2, s12, 0
	v_lshlrev_b64 v[136:137], 3, v[0:1]
	v_lshl_or_b32 v0, s2, 6, v111
	s_lshl_b32 s2, s3, 6
	v_subrev_u32_e32 v0, s2, v0
	v_ashrrev_i32_e32 v1, 31, v0
	v_lshl_add_u64 v[138:139], v[0:1], 3, s[24:25]
	v_add_u32_e32 v0, s30, v111
	v_ashrrev_i32_e32 v1, 31, v0
	v_lshlrev_b64 v[140:141], 3, v[0:1]
	v_mad_i64_i32 v[0:1], s[24:25], v2, s26, 0
	v_add_u32_e32 v2, 8, v110
	v_lshl_add_u64 v[142:143], v[0:1], 3, s[22:23]
	s_lshl_b64 s[24:25], s[26:27], 6
	v_mad_i64_i32 v[0:1], s[26:27], v2, s26, 0
	s_lshl_b64 s[2:3], s[12:13], 6
	v_lshl_add_u64 v[144:145], v[0:1], 3, s[22:23]
	v_mad_i64_i32 v[0:1], s[12:13], v2, s12, 0
	v_or_b32_e32 v218, 0x4000, v163
	v_add_u32_e32 v219, 0x4000, v159
	v_add_u32_e32 v220, 0x4800, v163
	v_or_b32_e32 v221, 0x2000, v163
	s_add_i32 s28, s28, -8
	v_lshlrev_b64 v[146:147], 3, v[0:1]
	s_mov_b32 s22, 0
	s_mov_b32 s23, 0
	s_branch .LBB168_25
.LBB168_24:                             ;   in Loop: Header=BB168_25 Depth=1
	v_add_f64 v[2:3], v[106:107], v[134:135]
	v_add_f64 v[4:5], v[104:105], v[132:133]
	v_cvt_f32_f64_e32 v4, v[4:5]
	v_cvt_f32_f64_e32 v2, v[2:3]
	v_min3_f32 v6, v4, v2, v230
	v_add_f64 v[2:3], v[102:103], v[134:135]
	v_add_f64 v[4:5], v[100:101], v[132:133]
	v_cvt_f32_f64_e32 v4, v[4:5]
	v_cvt_f32_f64_e32 v2, v[2:3]
	v_min3_f32 v7, v4, v2, v228
	;; [unrolled: 5-line block ×128, first 2 shown]
	ds_read_b128 v[38:41], v219 offset:256
	ds_read_b128 v[34:37], v219 offset:512
	;; [unrolled: 1-line block ×12, first 2 shown]
	ds_read_b128 v[98:101], v158
	ds_read_b128 v[50:53], v219
	ds_read_b128 v[74:77], v158 offset:6144
	ds_read_b128 v[26:29], v158 offset:7168
	ds_read_b128 v[6:9], v158 offset:16
	ds_read_b128 v[2:5], v219 offset:16
	s_waitcnt lgkmcnt(5)
	v_add_f64 v[46:47], v[40:41], v[100:101]
	v_add_f64 v[48:49], v[38:39], v[98:99]
	v_add_f64 v[54:55], v[36:37], v[100:101]
	v_add_f64 v[56:57], v[34:35], v[98:99]
	v_cvt_f32_f64_e32 v48, v[48:49]
	v_cvt_f32_f64_e32 v46, v[46:47]
	;; [unrolled: 1-line block ×4, first 2 shown]
	v_min3_f32 v189, v48, v46, v72
	v_min3_f32 v190, v56, v54, v73
	v_add_f64 v[58:59], v[32:33], v[100:101]
	v_add_f64 v[60:61], v[30:31], v[98:99]
	;; [unrolled: 1-line block ×8, first 2 shown]
	v_cvt_f32_f64_e32 v60, v[60:61]
	v_cvt_f32_f64_e32 v58, v[58:59]
	;; [unrolled: 1-line block ×8, first 2 shown]
	v_min3_f32 v191, v60, v58, v102
	v_min3_f32 v192, v64, v62, v103
	;; [unrolled: 1-line block ×4, first 2 shown]
	s_waitcnt lgkmcnt(4)
	v_add_f64 v[102:103], v[52:53], v[96:97]
	v_add_f64 v[104:105], v[50:51], v[94:95]
	v_cvt_f32_f64_e32 v104, v[104:105]
	v_cvt_f32_f64_e32 v102, v[102:103]
	v_min3_f32 v107, v104, v102, v107
	v_add_f64 v[102:103], v[40:41], v[96:97]
	v_add_f64 v[104:105], v[38:39], v[94:95]
	v_cvt_f32_f64_e32 v104, v[104:105]
	v_cvt_f32_f64_e32 v102, v[102:103]
	v_min3_f32 v108, v104, v102, v108
	v_add_f64 v[102:103], v[36:37], v[96:97]
	v_add_f64 v[104:105], v[34:35], v[94:95]
	v_cvt_f32_f64_e32 v104, v[104:105]
	v_cvt_f32_f64_e32 v102, v[102:103]
	v_min3_f32 v109, v104, v102, v109
	v_add_f64 v[102:103], v[32:33], v[96:97]
	v_add_f64 v[104:105], v[30:31], v[94:95]
	v_cvt_f32_f64_e32 v104, v[104:105]
	v_cvt_f32_f64_e32 v102, v[102:103]
	v_min3_f32 v110, v104, v102, v110
	v_add_f64 v[102:103], v[24:25], v[96:97]
	v_add_f64 v[104:105], v[22:23], v[94:95]
	v_cvt_f32_f64_e32 v104, v[104:105]
	v_cvt_f32_f64_e32 v102, v[102:103]
	v_min3_f32 v111, v104, v102, v111
	v_add_f64 v[102:103], v[20:21], v[96:97]
	v_add_f64 v[104:105], v[18:19], v[94:95]
	v_cvt_f32_f64_e32 v104, v[104:105]
	v_cvt_f32_f64_e32 v102, v[102:103]
	v_min3_f32 v112, v104, v102, v112
	v_add_f64 v[102:103], v[16:17], v[96:97]
	v_add_f64 v[104:105], v[14:15], v[94:95]
	v_cvt_f32_f64_e32 v104, v[104:105]
	v_cvt_f32_f64_e32 v102, v[102:103]
	v_min3_f32 v113, v104, v102, v113
	v_add_f64 v[102:103], v[52:53], v[92:93]
	v_add_f64 v[104:105], v[50:51], v[90:91]
	v_cvt_f32_f64_e32 v104, v[104:105]
	v_cvt_f32_f64_e32 v102, v[102:103]
	v_min3_f32 v115, v104, v102, v115
	v_add_f64 v[102:103], v[40:41], v[92:93]
	v_add_f64 v[104:105], v[38:39], v[90:91]
	v_cvt_f32_f64_e32 v104, v[104:105]
	v_cvt_f32_f64_e32 v102, v[102:103]
	v_min3_f32 v116, v104, v102, v116
	v_add_f64 v[102:103], v[36:37], v[92:93]
	v_add_f64 v[104:105], v[34:35], v[90:91]
	v_cvt_f32_f64_e32 v104, v[104:105]
	v_cvt_f32_f64_e32 v102, v[102:103]
	v_min3_f32 v117, v104, v102, v117
	v_add_f64 v[102:103], v[32:33], v[92:93]
	v_add_f64 v[104:105], v[30:31], v[90:91]
	v_cvt_f32_f64_e32 v104, v[104:105]
	v_cvt_f32_f64_e32 v102, v[102:103]
	v_min3_f32 v118, v104, v102, v118
	v_add_f64 v[102:103], v[24:25], v[92:93]
	v_add_f64 v[104:105], v[22:23], v[90:91]
	v_cvt_f32_f64_e32 v104, v[104:105]
	v_cvt_f32_f64_e32 v102, v[102:103]
	v_min3_f32 v119, v104, v102, v119
	v_add_f64 v[102:103], v[20:21], v[92:93]
	v_add_f64 v[104:105], v[18:19], v[90:91]
	v_cvt_f32_f64_e32 v104, v[104:105]
	v_cvt_f32_f64_e32 v102, v[102:103]
	v_min3_f32 v120, v104, v102, v120
	v_add_f64 v[102:103], v[16:17], v[92:93]
	v_add_f64 v[104:105], v[14:15], v[90:91]
	v_cvt_f32_f64_e32 v104, v[104:105]
	v_cvt_f32_f64_e32 v102, v[102:103]
	v_min3_f32 v121, v104, v102, v121
	v_add_f64 v[102:103], v[52:53], v[88:89]
	v_add_f64 v[104:105], v[50:51], v[86:87]
	v_cvt_f32_f64_e32 v104, v[104:105]
	v_cvt_f32_f64_e32 v102, v[102:103]
	v_min3_f32 v123, v104, v102, v123
	v_add_f64 v[102:103], v[40:41], v[88:89]
	v_add_f64 v[104:105], v[38:39], v[86:87]
	v_cvt_f32_f64_e32 v104, v[104:105]
	v_cvt_f32_f64_e32 v102, v[102:103]
	v_min3_f32 v124, v104, v102, v124
	v_add_f64 v[102:103], v[36:37], v[88:89]
	v_add_f64 v[104:105], v[34:35], v[86:87]
	v_cvt_f32_f64_e32 v104, v[104:105]
	v_cvt_f32_f64_e32 v102, v[102:103]
	v_min3_f32 v125, v104, v102, v125
	v_add_f64 v[102:103], v[32:33], v[88:89]
	v_add_f64 v[104:105], v[30:31], v[86:87]
	v_cvt_f32_f64_e32 v104, v[104:105]
	v_cvt_f32_f64_e32 v102, v[102:103]
	v_min3_f32 v126, v104, v102, v126
	v_add_f64 v[102:103], v[24:25], v[88:89]
	v_add_f64 v[104:105], v[22:23], v[86:87]
	v_cvt_f32_f64_e32 v104, v[104:105]
	v_cvt_f32_f64_e32 v102, v[102:103]
	v_min3_f32 v127, v104, v102, v127
	v_add_f64 v[102:103], v[20:21], v[88:89]
	v_add_f64 v[104:105], v[18:19], v[86:87]
	v_cvt_f32_f64_e32 v104, v[104:105]
	v_cvt_f32_f64_e32 v102, v[102:103]
	v_min3_f32 v128, v104, v102, v128
	v_add_f64 v[102:103], v[16:17], v[88:89]
	v_add_f64 v[104:105], v[14:15], v[86:87]
	v_cvt_f32_f64_e32 v104, v[104:105]
	v_cvt_f32_f64_e32 v102, v[102:103]
	v_min3_f32 v129, v104, v102, v129
	v_add_f64 v[102:103], v[52:53], v[84:85]
	v_add_f64 v[104:105], v[50:51], v[82:83]
	v_cvt_f32_f64_e32 v104, v[104:105]
	v_cvt_f32_f64_e32 v102, v[102:103]
	v_min3_f32 v131, v104, v102, v131
	v_add_f64 v[102:103], v[40:41], v[84:85]
	v_add_f64 v[104:105], v[38:39], v[82:83]
	v_cvt_f32_f64_e32 v104, v[104:105]
	v_cvt_f32_f64_e32 v102, v[102:103]
	v_min3_f32 v132, v104, v102, v132
	v_add_f64 v[102:103], v[36:37], v[84:85]
	v_add_f64 v[104:105], v[34:35], v[82:83]
	v_cvt_f32_f64_e32 v104, v[104:105]
	v_cvt_f32_f64_e32 v102, v[102:103]
	v_min3_f32 v133, v104, v102, v133
	v_add_f64 v[102:103], v[32:33], v[84:85]
	v_add_f64 v[104:105], v[30:31], v[82:83]
	v_cvt_f32_f64_e32 v104, v[104:105]
	v_cvt_f32_f64_e32 v102, v[102:103]
	v_min3_f32 v134, v104, v102, v134
	v_add_f64 v[102:103], v[24:25], v[84:85]
	v_add_f64 v[104:105], v[22:23], v[82:83]
	v_cvt_f32_f64_e32 v104, v[104:105]
	v_cvt_f32_f64_e32 v102, v[102:103]
	v_min3_f32 v135, v104, v102, v135
	v_add_f64 v[102:103], v[20:21], v[84:85]
	v_add_f64 v[104:105], v[18:19], v[82:83]
	v_cvt_f32_f64_e32 v104, v[104:105]
	v_cvt_f32_f64_e32 v102, v[102:103]
	v_min3_f32 v160, v104, v102, v160
	v_add_f64 v[102:103], v[16:17], v[84:85]
	v_add_f64 v[104:105], v[14:15], v[82:83]
	v_cvt_f32_f64_e32 v104, v[104:105]
	v_cvt_f32_f64_e32 v102, v[102:103]
	v_min3_f32 v161, v104, v102, v161
	v_add_f64 v[102:103], v[52:53], v[80:81]
	v_add_f64 v[104:105], v[50:51], v[78:79]
	v_cvt_f32_f64_e32 v104, v[104:105]
	v_cvt_f32_f64_e32 v102, v[102:103]
	v_min3_f32 v164, v104, v102, v164
	v_add_f64 v[102:103], v[40:41], v[80:81]
	v_add_f64 v[104:105], v[38:39], v[78:79]
	v_cvt_f32_f64_e32 v104, v[104:105]
	v_cvt_f32_f64_e32 v102, v[102:103]
	v_min3_f32 v165, v104, v102, v165
	v_add_f64 v[102:103], v[36:37], v[80:81]
	v_add_f64 v[104:105], v[34:35], v[78:79]
	v_cvt_f32_f64_e32 v104, v[104:105]
	v_cvt_f32_f64_e32 v102, v[102:103]
	v_min3_f32 v166, v104, v102, v166
	v_add_f64 v[102:103], v[32:33], v[80:81]
	v_add_f64 v[104:105], v[30:31], v[78:79]
	v_cvt_f32_f64_e32 v104, v[104:105]
	v_cvt_f32_f64_e32 v102, v[102:103]
	v_min3_f32 v167, v104, v102, v167
	v_add_f64 v[102:103], v[24:25], v[80:81]
	v_add_f64 v[104:105], v[22:23], v[78:79]
	v_cvt_f32_f64_e32 v104, v[104:105]
	v_cvt_f32_f64_e32 v102, v[102:103]
	v_min3_f32 v168, v104, v102, v168
	v_add_f64 v[102:103], v[20:21], v[80:81]
	v_add_f64 v[104:105], v[18:19], v[78:79]
	v_cvt_f32_f64_e32 v104, v[104:105]
	v_cvt_f32_f64_e32 v102, v[102:103]
	v_min3_f32 v169, v104, v102, v169
	v_add_f64 v[102:103], v[16:17], v[80:81]
	v_add_f64 v[104:105], v[14:15], v[78:79]
	v_cvt_f32_f64_e32 v104, v[104:105]
	v_cvt_f32_f64_e32 v102, v[102:103]
	v_min3_f32 v170, v104, v102, v170
	s_waitcnt lgkmcnt(3)
	v_add_f64 v[102:103], v[52:53], v[76:77]
	v_add_f64 v[104:105], v[50:51], v[74:75]
	v_cvt_f32_f64_e32 v104, v[104:105]
	v_cvt_f32_f64_e32 v102, v[102:103]
	v_min3_f32 v172, v104, v102, v172
	v_add_f64 v[102:103], v[40:41], v[76:77]
	v_add_f64 v[104:105], v[38:39], v[74:75]
	v_cvt_f32_f64_e32 v104, v[104:105]
	v_cvt_f32_f64_e32 v102, v[102:103]
	v_min3_f32 v173, v104, v102, v173
	;; [unrolled: 5-line block ×4, first 2 shown]
	v_add_f64 v[102:103], v[24:25], v[76:77]
	v_add_f64 v[104:105], v[22:23], v[74:75]
	;; [unrolled: 1-line block ×4, first 2 shown]
	v_cvt_f32_f64_e32 v104, v[104:105]
	v_cvt_f32_f64_e32 v102, v[102:103]
	;; [unrolled: 1-line block ×4, first 2 shown]
	v_min3_f32 v232, v104, v102, v176
	v_add_f64 v[102:103], v[20:21], v[76:77]
	v_add_f64 v[104:105], v[18:19], v[74:75]
	v_min3_f32 v188, v44, v42, v208
	ds_read_b128 v[42:45], v219 offset:272
	v_cvt_f32_f64_e32 v104, v[104:105]
	v_cvt_f32_f64_e32 v102, v[102:103]
	v_add_f64 v[100:101], v[12:13], v[100:101]
	v_add_f64 v[98:99], v[10:11], v[98:99]
	;; [unrolled: 1-line block ×12, first 2 shown]
	v_min3_f32 v233, v104, v102, v177
	v_add_f64 v[102:103], v[16:17], v[76:77]
	v_add_f64 v[104:105], v[14:15], v[74:75]
	;; [unrolled: 1-line block ×4, first 2 shown]
	s_waitcnt lgkmcnt(3)
	v_add_f64 v[16:17], v[16:17], v[28:29]
	v_add_f64 v[14:15], v[14:15], v[26:27]
	;; [unrolled: 1-line block ×4, first 2 shown]
	ds_read_b128 v[46:49], v219 offset:528
	ds_read_b128 v[54:57], v219 offset:784
	v_cvt_f32_f64_e32 v14, v[14:15]
	v_cvt_f32_f64_e32 v15, v[16:17]
	;; [unrolled: 1-line block ×4, first 2 shown]
	v_min3_f32 v14, v14, v15, v186
	v_min3_f32 v15, v10, v11, v187
	s_waitcnt lgkmcnt(3)
	v_add_f64 v[10:11], v[4:5], v[8:9]
	v_add_f64 v[12:13], v[2:3], v[6:7]
	v_cvt_f32_f64_e32 v74, v[74:75]
	v_cvt_f32_f64_e32 v75, v[76:77]
	;; [unrolled: 1-line block ×5, first 2 shown]
	v_min3_f32 v103, v74, v75, v179
	ds_read_b128 v[74:77], v158 offset:7184
	v_min3_f32 v230, v12, v10, v188
	s_waitcnt lgkmcnt(3)
	v_add_f64 v[10:11], v[44:45], v[8:9]
	v_add_f64 v[12:13], v[42:43], v[6:7]
	ds_read_b128 v[58:61], v219 offset:1040
	ds_read_b128 v[62:65], v219 offset:1296
	v_cvt_f32_f64_e32 v12, v[12:13]
	v_cvt_f32_f64_e32 v10, v[10:11]
	v_min3_f32 v228, v12, v10, v189
	s_waitcnt lgkmcnt(4)
	v_add_f64 v[10:11], v[48:49], v[8:9]
	v_add_f64 v[12:13], v[46:47], v[6:7]
	v_cvt_f32_f64_e32 v12, v[12:13]
	v_cvt_f32_f64_e32 v10, v[10:11]
	v_min3_f32 v229, v12, v10, v190
	s_waitcnt lgkmcnt(3)
	v_add_f64 v[10:11], v[56:57], v[8:9]
	v_add_f64 v[12:13], v[54:55], v[6:7]
	ds_read_b128 v[66:69], v219 offset:1552
	ds_read_b128 v[70:73], v219 offset:1808
	v_cvt_f32_f64_e32 v12, v[12:13]
	v_cvt_f32_f64_e32 v10, v[10:11]
	;; [unrolled: 1-line block ×4, first 2 shown]
	v_min3_f32 v226, v12, v10, v191
	s_waitcnt lgkmcnt(3)
	v_add_f64 v[10:11], v[60:61], v[8:9]
	v_add_f64 v[12:13], v[58:59], v[6:7]
	v_min3_f32 v106, v98, v99, v106
	ds_read_b128 v[98:101], v158 offset:1040
	v_cvt_f32_f64_e32 v12, v[12:13]
	v_cvt_f32_f64_e32 v10, v[10:11]
	v_min3_f32 v227, v12, v10, v192
	s_waitcnt lgkmcnt(3)
	v_add_f64 v[10:11], v[64:65], v[8:9]
	v_add_f64 v[12:13], v[62:63], v[6:7]
	v_cvt_f32_f64_e32 v12, v[12:13]
	v_cvt_f32_f64_e32 v10, v[10:11]
	v_min3_f32 v224, v12, v10, v193
	s_waitcnt lgkmcnt(2)
	v_add_f64 v[10:11], v[68:69], v[8:9]
	v_add_f64 v[12:13], v[66:67], v[6:7]
	s_waitcnt lgkmcnt(1)
	v_add_f64 v[8:9], v[72:73], v[8:9]
	v_add_f64 v[6:7], v[70:71], v[6:7]
	v_cvt_f32_f64_e32 v94, v[94:95]
	v_cvt_f32_f64_e32 v95, v[96:97]
	;; [unrolled: 1-line block ×4, first 2 shown]
	v_min3_f32 v114, v94, v95, v114
	ds_read_b128 v[94:97], v158 offset:2064
	v_min3_f32 v217, v6, v7, v106
	s_waitcnt lgkmcnt(1)
	v_add_f64 v[6:7], v[4:5], v[100:101]
	v_add_f64 v[8:9], v[2:3], v[98:99]
	v_cvt_f32_f64_e32 v8, v[8:9]
	v_cvt_f32_f64_e32 v6, v[6:7]
	v_min3_f32 v216, v8, v6, v107
	v_add_f64 v[6:7], v[44:45], v[100:101]
	v_add_f64 v[8:9], v[42:43], v[98:99]
	v_cvt_f32_f64_e32 v8, v[8:9]
	v_cvt_f32_f64_e32 v6, v[6:7]
	v_min3_f32 v215, v8, v6, v108
	;; [unrolled: 5-line block ×8, first 2 shown]
	s_waitcnt lgkmcnt(0)
	v_add_f64 v[6:7], v[4:5], v[96:97]
	v_add_f64 v[8:9], v[2:3], v[94:95]
	v_cvt_f32_f64_e32 v8, v[8:9]
	v_cvt_f32_f64_e32 v6, v[6:7]
	v_min3_f32 v208, v8, v6, v115
	v_add_f64 v[6:7], v[44:45], v[96:97]
	v_add_f64 v[8:9], v[42:43], v[94:95]
	v_cvt_f32_f64_e32 v8, v[8:9]
	v_cvt_f32_f64_e32 v6, v[6:7]
	v_min3_f32 v207, v8, v6, v116
	v_add_f64 v[6:7], v[48:49], v[96:97]
	v_add_f64 v[8:9], v[46:47], v[94:95]
	v_cvt_f32_f64_e32 v8, v[8:9]
	v_cvt_f32_f64_e32 v6, v[6:7]
	v_min3_f32 v206, v8, v6, v117
	v_add_f64 v[6:7], v[56:57], v[96:97]
	v_add_f64 v[8:9], v[54:55], v[94:95]
	v_cvt_f32_f64_e32 v8, v[8:9]
	v_cvt_f32_f64_e32 v6, v[6:7]
	v_min3_f32 v205, v8, v6, v118
	v_add_f64 v[6:7], v[60:61], v[96:97]
	v_add_f64 v[8:9], v[58:59], v[94:95]
	v_cvt_f32_f64_e32 v8, v[8:9]
	v_cvt_f32_f64_e32 v6, v[6:7]
	;; [unrolled: 1-line block ×4, first 2 shown]
	v_min3_f32 v204, v8, v6, v119
	v_add_f64 v[6:7], v[64:65], v[96:97]
	v_add_f64 v[8:9], v[62:63], v[94:95]
	v_min3_f32 v122, v90, v91, v122
	ds_read_b128 v[90:93], v158 offset:3088
	v_cvt_f32_f64_e32 v8, v[8:9]
	v_cvt_f32_f64_e32 v6, v[6:7]
	v_min3_f32 v203, v8, v6, v120
	v_add_f64 v[6:7], v[68:69], v[96:97]
	v_add_f64 v[8:9], v[66:67], v[94:95]
	v_cvt_f32_f64_e32 v8, v[8:9]
	v_cvt_f32_f64_e32 v6, v[6:7]
	v_min3_f32 v202, v8, v6, v121
	v_add_f64 v[6:7], v[72:73], v[96:97]
	v_add_f64 v[8:9], v[70:71], v[94:95]
	v_cvt_f32_f64_e32 v86, v[86:87]
	v_cvt_f32_f64_e32 v87, v[88:89]
	;; [unrolled: 1-line block ×4, first 2 shown]
	v_min3_f32 v130, v86, v87, v130
	ds_read_b128 v[86:89], v158 offset:4112
	v_min3_f32 v201, v8, v6, v122
	s_waitcnt lgkmcnt(1)
	v_add_f64 v[6:7], v[4:5], v[92:93]
	v_add_f64 v[8:9], v[2:3], v[90:91]
	v_cvt_f32_f64_e32 v8, v[8:9]
	v_cvt_f32_f64_e32 v6, v[6:7]
	v_min3_f32 v200, v8, v6, v123
	v_add_f64 v[6:7], v[44:45], v[92:93]
	v_add_f64 v[8:9], v[42:43], v[90:91]
	v_cvt_f32_f64_e32 v8, v[8:9]
	v_cvt_f32_f64_e32 v6, v[6:7]
	v_min3_f32 v199, v8, v6, v124
	;; [unrolled: 5-line block ×6, first 2 shown]
	v_add_f64 v[6:7], v[68:69], v[92:93]
	v_add_f64 v[8:9], v[66:67], v[90:91]
	v_cvt_f32_f64_e32 v12, v[12:13]
	v_cvt_f32_f64_e32 v10, v[10:11]
	;; [unrolled: 1-line block ×4, first 2 shown]
	v_min3_f32 v225, v12, v10, v194
	v_min3_f32 v194, v8, v6, v129
	v_add_f64 v[6:7], v[72:73], v[92:93]
	v_add_f64 v[8:9], v[70:71], v[90:91]
	v_cvt_f32_f64_e32 v8, v[8:9]
	v_cvt_f32_f64_e32 v6, v[6:7]
	v_min3_f32 v193, v8, v6, v130
	s_waitcnt lgkmcnt(0)
	v_add_f64 v[6:7], v[4:5], v[88:89]
	v_add_f64 v[8:9], v[2:3], v[86:87]
	v_cvt_f32_f64_e32 v8, v[8:9]
	v_cvt_f32_f64_e32 v6, v[6:7]
	v_min3_f32 v192, v8, v6, v131
	v_add_f64 v[6:7], v[44:45], v[88:89]
	v_add_f64 v[8:9], v[42:43], v[86:87]
	v_cvt_f32_f64_e32 v8, v[8:9]
	v_cvt_f32_f64_e32 v6, v[6:7]
	v_min3_f32 v191, v8, v6, v132
	;; [unrolled: 5-line block ×4, first 2 shown]
	v_add_f64 v[6:7], v[60:61], v[88:89]
	v_add_f64 v[8:9], v[58:59], v[86:87]
	v_cvt_f32_f64_e32 v8, v[8:9]
	v_cvt_f32_f64_e32 v6, v[6:7]
	;; [unrolled: 1-line block ×4, first 2 shown]
	v_min3_f32 v188, v8, v6, v135
	v_add_f64 v[6:7], v[64:65], v[88:89]
	v_add_f64 v[8:9], v[62:63], v[86:87]
	v_min3_f32 v162, v82, v83, v162
	ds_read_b128 v[82:85], v158 offset:5136
	v_cvt_f32_f64_e32 v8, v[8:9]
	v_cvt_f32_f64_e32 v6, v[6:7]
	v_min3_f32 v187, v8, v6, v160
	v_add_f64 v[6:7], v[68:69], v[88:89]
	v_add_f64 v[8:9], v[66:67], v[86:87]
	v_cvt_f32_f64_e32 v8, v[8:9]
	v_cvt_f32_f64_e32 v6, v[6:7]
	v_add_f64 v[20:21], v[20:21], v[28:29]
	v_add_f64 v[18:19], v[18:19], v[26:27]
	v_min3_f32 v186, v8, v6, v161
	v_add_f64 v[6:7], v[72:73], v[88:89]
	v_add_f64 v[8:9], v[70:71], v[86:87]
	v_cvt_f32_f64_e32 v78, v[78:79]
	v_cvt_f32_f64_e32 v79, v[80:81]
	;; [unrolled: 1-line block ×6, first 2 shown]
	v_min3_f32 v171, v78, v79, v171
	ds_read_b128 v[78:81], v158 offset:6160
	v_add_f64 v[24:25], v[24:25], v[28:29]
	v_add_f64 v[22:23], v[22:23], v[26:27]
	v_min3_f32 v18, v18, v19, v185
	v_min3_f32 v185, v8, v6, v162
	s_waitcnt lgkmcnt(1)
	v_add_f64 v[6:7], v[4:5], v[84:85]
	v_add_f64 v[8:9], v[2:3], v[82:83]
	v_cvt_f32_f64_e32 v22, v[22:23]
	v_cvt_f32_f64_e32 v23, v[24:25]
	v_cvt_f32_f64_e32 v8, v[8:9]
	v_cvt_f32_f64_e32 v6, v[6:7]
	v_add_f64 v[32:33], v[32:33], v[28:29]
	v_add_f64 v[30:31], v[30:31], v[26:27]
	v_min3_f32 v22, v22, v23, v184
	v_min3_f32 v184, v8, v6, v164
	v_add_f64 v[6:7], v[44:45], v[84:85]
	v_add_f64 v[8:9], v[42:43], v[82:83]
	v_cvt_f32_f64_e32 v30, v[30:31]
	v_cvt_f32_f64_e32 v31, v[32:33]
	v_cvt_f32_f64_e32 v8, v[8:9]
	v_cvt_f32_f64_e32 v6, v[6:7]
	v_add_f64 v[36:37], v[36:37], v[28:29]
	v_add_f64 v[34:35], v[34:35], v[26:27]
	v_min3_f32 v30, v30, v31, v183
	v_min3_f32 v183, v8, v6, v165
	;; [unrolled: 10-line block ×4, first 2 shown]
	v_add_f64 v[6:7], v[60:61], v[84:85]
	v_add_f64 v[8:9], v[58:59], v[82:83]
	v_cvt_f32_f64_e32 v50, v[50:51]
	v_cvt_f32_f64_e32 v51, v[52:53]
	;; [unrolled: 1-line block ×4, first 2 shown]
	v_min3_f32 v50, v50, v51, v180
	v_min3_f32 v180, v8, v6, v168
	v_add_f64 v[6:7], v[64:65], v[84:85]
	v_add_f64 v[8:9], v[62:63], v[82:83]
	v_cvt_f32_f64_e32 v8, v[8:9]
	v_cvt_f32_f64_e32 v6, v[6:7]
	v_min3_f32 v179, v8, v6, v169
	v_add_f64 v[6:7], v[68:69], v[84:85]
	v_add_f64 v[8:9], v[66:67], v[82:83]
	v_cvt_f32_f64_e32 v104, v[104:105]
	v_cvt_f32_f64_e32 v8, v[8:9]
	v_cvt_f32_f64_e32 v6, v[6:7]
	v_min3_f32 v102, v104, v102, v178
	v_min3_f32 v178, v8, v6, v170
	v_add_f64 v[6:7], v[72:73], v[84:85]
	v_add_f64 v[8:9], v[70:71], v[82:83]
	v_cvt_f32_f64_e32 v8, v[8:9]
	v_cvt_f32_f64_e32 v6, v[6:7]
	v_min3_f32 v177, v8, v6, v171
	s_waitcnt lgkmcnt(0)
	v_add_f64 v[6:7], v[4:5], v[80:81]
	v_add_f64 v[8:9], v[2:3], v[78:79]
	v_add_f64 v[4:5], v[4:5], v[76:77]
	v_add_f64 v[2:3], v[2:3], v[74:75]
	v_cvt_f32_f64_e32 v8, v[8:9]
	v_cvt_f32_f64_e32 v6, v[6:7]
	v_cvt_f32_f64_e32 v2, v[2:3]
	v_cvt_f32_f64_e32 v3, v[4:5]
	v_min3_f32 v176, v8, v6, v172
	v_add_f64 v[6:7], v[44:45], v[80:81]
	v_add_f64 v[8:9], v[42:43], v[78:79]
	v_min3_f32 v168, v2, v3, v50
	v_add_f64 v[2:3], v[44:45], v[76:77]
	v_add_f64 v[4:5], v[42:43], v[74:75]
	v_cvt_f32_f64_e32 v8, v[8:9]
	v_cvt_f32_f64_e32 v6, v[6:7]
	v_cvt_f32_f64_e32 v4, v[4:5]
	v_cvt_f32_f64_e32 v2, v[2:3]
	v_min3_f32 v175, v8, v6, v173
	v_add_f64 v[6:7], v[48:49], v[80:81]
	v_add_f64 v[8:9], v[46:47], v[78:79]
	v_min3_f32 v167, v4, v2, v38
	v_add_f64 v[2:3], v[48:49], v[76:77]
	v_add_f64 v[4:5], v[46:47], v[74:75]
	;; [unrolled: 10-line block ×7, first 2 shown]
	v_cvt_f32_f64_e32 v8, v[8:9]
	v_cvt_f32_f64_e32 v6, v[6:7]
	;; [unrolled: 1-line block ×4, first 2 shown]
	s_add_i32 s23, s23, 8
	v_min3_f32 v169, v8, v6, v103
	v_min3_f32 v160, v4, v2, v15
	v_lshl_add_u64 v[138:139], v[138:139], 0, s[2:3]
	v_lshl_add_u64 v[142:143], v[142:143], 0, s[24:25]
	s_cmp_ge_i32 s23, s28
	v_lshl_add_u64 v[144:145], v[144:145], 0, s[24:25]
	ds_write_b64 v220, v[148:149]
	ds_write2st64_b64 v221, v[0:1], v[150:151] offset1:4
	ds_write2st64_b64 v221, v[152:153], v[154:155] offset0:8 offset1:12
	s_waitcnt lgkmcnt(0)
	s_barrier
	s_cbranch_scc1 .LBB168_45
.LBB168_25:                             ; =>This Inner Loop Header: Depth=1
	s_and_b64 vcc, exec, s[6:7]
	s_cbranch_vccnz .LBB168_44
; %bb.26:                               ;   in Loop: Header=BB168_25 Depth=1
	v_lshl_add_u64 v[0:1], v[138:139], 0, v[146:147]
	global_load_dwordx2 v[0:1], v[0:1], off
	s_waitcnt vmcnt(0)
	v_mul_f64 v[150:151], s[20:21], v[0:1]
	s_mov_b64 s[12:13], -1
	s_mov_b64 vcc, s[4:5]
                                        ; implicit-def: $vgpr0_vgpr1_vgpr2_vgpr3_vgpr4_vgpr5_vgpr6_vgpr7
	s_cbranch_vccz .LBB168_28
.LBB168_27:                             ;   in Loop: Header=BB168_25 Depth=1
	v_mov_b32_e32 v0, s22
	v_mov_b32_e32 v1, s22
	s_mov_b64 s[12:13], 0
.LBB168_28:                             ;   in Loop: Header=BB168_25 Depth=1
	v_mov_b64_e32 v[2:3], 0
	s_andn2_b64 vcc, exec, s[12:13]
	v_lshl_add_u64 v[8:9], v[144:145], 0, v[140:141]
	s_cbranch_vccz .LBB168_38
; %bb.29:                               ;   in Loop: Header=BB168_25 Depth=1
	s_mov_b64 s[12:13], -1
	s_mov_b64 vcc, s[4:5]
                                        ; implicit-def: $vgpr4_vgpr5
	s_cbranch_vccnz .LBB168_39
.LBB168_30:                             ;   in Loop: Header=BB168_25 Depth=1
	v_mov_b64_e32 v[148:149], 0
	s_andn2_b64 vcc, exec, s[12:13]
	v_mov_b64_e32 v[6:7], 0
	s_cbranch_vccnz .LBB168_32
.LBB168_31:                             ;   in Loop: Header=BB168_25 Depth=1
	global_load_dwordx2 v[4:5], v[8:9], off offset:1024
	global_load_dwordx2 v[6:7], v[8:9], off offset:1536
	s_waitcnt vmcnt(1)
	v_mul_f64 v[4:5], s[20:21], v[4:5]
	s_waitcnt vmcnt(0)
	v_mul_f64 v[6:7], s[20:21], v[6:7]
.LBB168_32:                             ;   in Loop: Header=BB168_25 Depth=1
	ds_read_b128 v[132:135], v223
	ds_read_b128 v[68:71], v223 offset:16
	ds_read_b128 v[104:107], v222
	ds_read_b128 v[40:43], v222 offset:16
	ds_read_b128 v[100:103], v222 offset:256
	;; [unrolled: 1-line block ×29, first 2 shown]
	s_and_b64 vcc, exec, s[6:7]
	ds_write_b64 v218, v[150:151]
	ds_write2st64_b64 v163, v[0:1], v[2:3] offset1:4
	ds_write2st64_b64 v163, v[4:5], v[6:7] offset0:8 offset1:12
	s_waitcnt lgkmcnt(0)
	s_barrier
	s_cbranch_vccnz .LBB168_34
; %bb.33:                               ;   in Loop: Header=BB168_25 Depth=1
	v_lshl_add_u64 v[0:1], v[138:139], 0, v[136:137]
	global_load_dwordx2 v[0:1], v[0:1], off
	s_waitcnt vmcnt(0)
	v_mul_f64 v[148:149], s[20:21], v[0:1]
.LBB168_34:                             ;   in Loop: Header=BB168_25 Depth=1
	s_mov_b64 s[12:13], -1
	s_mov_b64 vcc, s[4:5]
                                        ; implicit-def: $vgpr0_vgpr1_vgpr2_vgpr3_vgpr4_vgpr5_vgpr6_vgpr7
	s_cbranch_vccnz .LBB168_40
; %bb.35:                               ;   in Loop: Header=BB168_25 Depth=1
	v_mov_b64_e32 v[150:151], 0
	s_andn2_b64 vcc, exec, s[12:13]
	v_lshl_add_u64 v[2:3], v[142:143], 0, v[140:141]
	s_cbranch_vccz .LBB168_41
.LBB168_36:                             ;   in Loop: Header=BB168_25 Depth=1
	s_mov_b64 s[12:13], -1
	s_mov_b64 vcc, s[4:5]
                                        ; implicit-def: $vgpr152_vgpr153
	s_cbranch_vccnz .LBB168_42
.LBB168_37:                             ;   in Loop: Header=BB168_25 Depth=1
	s_andn2_b64 vcc, exec, s[12:13]
	v_mov_b64_e32 v[154:155], 0
	s_cbranch_vccnz .LBB168_24
	s_branch .LBB168_43
.LBB168_38:                             ;   in Loop: Header=BB168_25 Depth=1
	global_load_dwordx2 v[0:1], v[8:9], off
	global_load_dwordx2 v[2:3], v[8:9], off offset:512
	s_waitcnt vmcnt(1)
	v_mul_f64 v[0:1], s[20:21], v[0:1]
	s_waitcnt vmcnt(0)
	v_mul_f64 v[2:3], s[20:21], v[2:3]
	s_mov_b64 s[12:13], -1
	s_mov_b64 vcc, s[4:5]
                                        ; implicit-def: $vgpr4_vgpr5
	s_cbranch_vccz .LBB168_30
.LBB168_39:                             ;   in Loop: Header=BB168_25 Depth=1
	v_mov_b32_e32 v4, s22
	v_mov_b32_e32 v5, s22
	v_mov_b64_e32 v[148:149], 0
	v_mov_b64_e32 v[6:7], 0
	s_cbranch_execz .LBB168_31
	s_branch .LBB168_32
.LBB168_40:                             ;   in Loop: Header=BB168_25 Depth=1
	v_mov_b32_e32 v0, s22
	v_mov_b32_e32 v1, s22
	v_mov_b64_e32 v[150:151], 0
	v_lshl_add_u64 v[2:3], v[142:143], 0, v[140:141]
	s_cbranch_execnz .LBB168_36
.LBB168_41:                             ;   in Loop: Header=BB168_25 Depth=1
	global_load_dwordx2 v[0:1], v[2:3], off
	global_load_dwordx2 v[4:5], v[2:3], off offset:512
	s_waitcnt vmcnt(1)
	v_mul_f64 v[0:1], s[20:21], v[0:1]
	s_waitcnt vmcnt(0)
	v_mul_f64 v[150:151], s[20:21], v[4:5]
	s_mov_b64 s[12:13], -1
	s_mov_b64 vcc, s[4:5]
                                        ; implicit-def: $vgpr152_vgpr153
	s_cbranch_vccz .LBB168_37
.LBB168_42:                             ;   in Loop: Header=BB168_25 Depth=1
	v_mov_b32_e32 v152, s22
	v_mov_b32_e32 v153, s22
	v_mov_b64_e32 v[154:155], 0
	s_cbranch_execnz .LBB168_24
.LBB168_43:                             ;   in Loop: Header=BB168_25 Depth=1
	global_load_dwordx2 v[4:5], v[2:3], off offset:1024
	s_nop 0
	global_load_dwordx2 v[2:3], v[2:3], off offset:1536
	s_waitcnt vmcnt(1)
	v_mul_f64 v[152:153], s[20:21], v[4:5]
	s_waitcnt vmcnt(0)
	v_mul_f64 v[154:155], s[20:21], v[2:3]
	s_branch .LBB168_24
.LBB168_44:                             ;   in Loop: Header=BB168_25 Depth=1
	v_mov_b64_e32 v[150:151], 0
	s_mov_b64 s[12:13], -1
	s_mov_b64 vcc, s[4:5]
                                        ; implicit-def: $vgpr0_vgpr1_vgpr2_vgpr3_vgpr4_vgpr5_vgpr6_vgpr7
	s_cbranch_vccnz .LBB168_27
	s_branch .LBB168_28
.LBB168_45:
	s_load_dwordx2 s[2:3], s[0:1], 0x78
	s_load_dword s4, s[0:1], 0x58
	s_load_dword s5, s[0:1], 0x70
	ds_read_b128 v[68:71], v159 offset:18432
	ds_read_b128 v[124:127], v158 offset:8192
	;; [unrolled: 1-line block ×4, first 2 shown]
	s_waitcnt lgkmcnt(0)
	s_mul_i32 s1, s3, s18
	s_mul_hi_u32 s3, s2, s18
	s_mul_i32 s0, s2, s18
	v_add_f64 v[0:1], v[70:71], v[126:127]
	v_add_f64 v[2:3], v[68:69], v[124:125]
	s_add_i32 s1, s3, s1
	v_cvt_f32_f64_e32 v2, v[2:3]
	v_cvt_f32_f64_e32 v0, v[0:1]
	s_lshl_b64 s[0:1], s[0:1], 3
	v_min3_f32 v4, v2, v0, v230
	v_add_f64 v[0:1], v[66:67], v[122:123]
	v_add_f64 v[2:3], v[64:65], v[120:121]
	s_add_u32 s0, s14, s0
	v_cvt_f32_f64_e32 v2, v[2:3]
	v_cvt_f32_f64_e32 v0, v[0:1]
	v_add_u32_e32 v134, s19, v156
	v_add_u32_e32 v156, s30, v157
	s_addc_u32 s1, s15, s1
	v_min3_f32 v2, v2, v0, v4
	v_mad_i64_i32 v[0:1], s[2:3], v156, s5, 0
	v_add_u32_e32 v128, 8, v134
	v_lshl_add_u64 v[152:153], v[0:1], 3, s[0:1]
	v_mad_i64_i32 v[0:1], s[2:3], v156, s4, 0
	v_ashrrev_i32_e32 v135, 31, v134
	v_ashrrev_i32_e32 v129, 31, v128
	s_mov_b64 s[2:3], -1
	v_max_f32_e32 v2, v2, v2
	s_mov_b64 vcc, s[8:9]
	s_cbranch_vccz .LBB168_47
; %bb.46:
	v_min_f32_e32 v3, 0, v2
	v_cvt_f64_f32_e32 v[4:5], v3
	v_lshl_add_u64 v[6:7], v[134:135], 3, v[152:153]
	global_store_dwordx2 v[6:7], v[4:5], off
	s_mov_b64 s[2:3], 0
.LBB168_47:
	ds_read_b128 v[60:63], v159 offset:18688
	ds_read_b128 v[52:55], v159 offset:18704
	;; [unrolled: 1-line block ×4, first 2 shown]
	v_lshl_add_u64 v[154:155], v[0:1], 3, s[10:11]
	v_mov_b32_e32 v132, 0
	s_andn2_b64 vcc, exec, s[2:3]
	v_lshlrev_b64 v[138:139], 3, v[134:135]
	s_cbranch_vccnz .LBB168_49
; %bb.48:
	v_lshl_add_u64 v[0:1], v[154:155], 0, v[138:139]
	global_load_dwordx2 v[0:1], v[0:1], off
	v_lshl_add_u64 v[4:5], v[152:153], 0, v[138:139]
	s_waitcnt vmcnt(0)
	v_mul_f64 v[0:1], s[16:17], v[0:1]
	v_cvt_f32_f64_e32 v0, v[0:1]
	v_min_f32_e32 v0, v0, v2
	v_cvt_f64_f32_e32 v[0:1], v0
	global_store_dwordx2 v[4:5], v[0:1], off
	v_lshl_add_u64 v[0:1], v[128:129], 3, v[154:155]
	global_load_dwordx2 v[0:1], v[0:1], off
	s_waitcnt vmcnt(0)
	v_mul_f64 v[0:1], s[16:17], v[0:1]
	v_cvt_f32_f64_e32 v132, v[0:1]
.LBB168_49:
	ds_read_b128 v[40:43], v159 offset:19200
	ds_read_b128 v[36:39], v159 offset:19216
	;; [unrolled: 1-line block ×24, first 2 shown]
	s_waitcnt lgkmcnt(14)
	v_add_f64 v[130:131], v[62:63], v[126:127]
	v_add_f64 v[136:137], v[60:61], v[124:125]
	v_cvt_f32_f64_e32 v133, v[136:137]
	v_cvt_f32_f64_e32 v130, v[130:131]
	v_min3_f32 v133, v133, v130, v228
	v_add_f64 v[130:131], v[58:59], v[126:127]
	v_add_f64 v[136:137], v[56:57], v[124:125]
	v_cvt_f32_f64_e32 v136, v[136:137]
	v_cvt_f32_f64_e32 v130, v[130:131]
	v_min3_f32 v140, v136, v130, v229
	v_add_f64 v[130:131], v[54:55], v[122:123]
	v_add_f64 v[136:137], v[52:53], v[120:121]
	v_cvt_f32_f64_e32 v136, v[136:137]
	v_cvt_f32_f64_e32 v130, v[130:131]
	v_min_f32_e32 v142, v136, v130
	v_add_f64 v[130:131], v[50:51], v[122:123]
	v_add_f64 v[136:137], v[48:49], v[120:121]
	v_cvt_f32_f64_e32 v136, v[136:137]
	v_cvt_f32_f64_e32 v130, v[130:131]
	v_min3_f32 v132, v132, v142, v133
	v_min3_f32 v143, v136, v130, v140
	v_add_u32_e32 v140, 16, v134
	v_add_u32_e32 v130, 24, v134
	v_cvt_f64_f32_e32 v[132:133], v132
	v_lshl_add_u64 v[136:137], v[128:129], 3, v[152:153]
	v_ashrrev_i32_e32 v141, 31, v140
	v_ashrrev_i32_e32 v131, 31, v130
	global_store_dwordx2 v[136:137], v[132:133], off
	s_mov_b64 s[2:3], -1
	v_max_f32_e32 v132, v143, v143
	s_mov_b64 vcc, s[8:9]
	s_cbranch_vccz .LBB168_51
; %bb.50:
	v_min_f32_e32 v133, 0, v132
	v_cvt_f64_f32_e32 v[136:137], v133
	v_lshl_add_u64 v[142:143], v[140:141], 3, v[152:153]
	global_store_dwordx2 v[142:143], v[136:137], off
	s_mov_b64 s[2:3], 0
.LBB168_51:
	v_mov_b32_e32 v136, 0
	s_andn2_b64 vcc, exec, s[2:3]
	v_lshlrev_b64 v[144:145], 3, v[140:141]
	s_cbranch_vccnz .LBB168_53
; %bb.52:
	v_lshl_add_u64 v[136:137], v[154:155], 0, v[144:145]
	global_load_dwordx2 v[136:137], v[136:137], off
	v_lshl_add_u64 v[142:143], v[152:153], 0, v[144:145]
	s_waitcnt vmcnt(0)
	v_mul_f64 v[136:137], s[16:17], v[136:137]
	v_cvt_f32_f64_e32 v133, v[136:137]
	v_min_f32_e32 v132, v133, v132
	v_cvt_f64_f32_e32 v[132:133], v132
	global_store_dwordx2 v[142:143], v[132:133], off
	v_lshl_add_u64 v[132:133], v[130:131], 3, v[154:155]
	global_load_dwordx2 v[132:133], v[132:133], off
	s_waitcnt vmcnt(0)
	v_mul_f64 v[132:133], s[16:17], v[132:133]
	v_cvt_f32_f64_e32 v136, v[132:133]
.LBB168_53:
	v_add_f64 v[132:133], v[42:43], v[126:127]
	v_add_f64 v[142:143], v[40:41], v[124:125]
	v_cvt_f32_f64_e32 v137, v[142:143]
	v_cvt_f32_f64_e32 v132, v[132:133]
	v_min3_f32 v137, v137, v132, v226
	v_add_f64 v[132:133], v[46:47], v[126:127]
	v_add_f64 v[142:143], v[44:45], v[124:125]
	v_cvt_f32_f64_e32 v142, v[142:143]
	v_cvt_f32_f64_e32 v132, v[132:133]
	v_min3_f32 v146, v142, v132, v227
	v_add_f64 v[132:133], v[38:39], v[122:123]
	v_add_f64 v[142:143], v[36:37], v[120:121]
	v_cvt_f32_f64_e32 v142, v[142:143]
	v_cvt_f32_f64_e32 v132, v[132:133]
	v_min_f32_e32 v147, v142, v132
	v_add_f64 v[132:133], v[34:35], v[122:123]
	v_add_f64 v[142:143], v[32:33], v[120:121]
	v_cvt_f32_f64_e32 v142, v[142:143]
	v_cvt_f32_f64_e32 v132, v[132:133]
	v_min3_f32 v136, v136, v147, v137
	v_min3_f32 v148, v142, v132, v146
	v_add_u32_e32 v142, 32, v134
	v_add_u32_e32 v132, 40, v134
	v_cvt_f64_f32_e32 v[136:137], v136
	v_lshl_add_u64 v[146:147], v[130:131], 3, v[152:153]
	v_ashrrev_i32_e32 v143, 31, v142
	v_ashrrev_i32_e32 v133, 31, v132
	global_store_dwordx2 v[146:147], v[136:137], off
	s_mov_b64 s[2:3], -1
	v_max_f32_e32 v136, v148, v148
	s_mov_b64 vcc, s[8:9]
	s_cbranch_vccz .LBB168_55
; %bb.54:
	v_min_f32_e32 v137, 0, v136
	v_cvt_f64_f32_e32 v[146:147], v137
	v_lshl_add_u64 v[148:149], v[142:143], 3, v[152:153]
	global_store_dwordx2 v[148:149], v[146:147], off
	s_mov_b64 s[2:3], 0
.LBB168_55:
	v_mov_b32_e32 v150, 0
	s_andn2_b64 vcc, exec, s[2:3]
	v_lshlrev_b64 v[148:149], 3, v[142:143]
	s_cbranch_vccnz .LBB168_57
; %bb.56:
	v_lshl_add_u64 v[146:147], v[154:155], 0, v[148:149]
	global_load_dwordx2 v[146:147], v[146:147], off
	v_lshl_add_u64 v[150:151], v[152:153], 0, v[148:149]
	s_waitcnt vmcnt(0)
	v_mul_f64 v[146:147], s[16:17], v[146:147]
	v_cvt_f32_f64_e32 v137, v[146:147]
	v_min_f32_e32 v136, v137, v136
	v_cvt_f64_f32_e32 v[136:137], v136
	global_store_dwordx2 v[150:151], v[136:137], off
	v_lshl_add_u64 v[136:137], v[132:133], 3, v[154:155]
	global_load_dwordx2 v[136:137], v[136:137], off
	s_waitcnt vmcnt(0)
	v_mul_f64 v[136:137], s[16:17], v[136:137]
	v_cvt_f32_f64_e32 v150, v[136:137]
.LBB168_57:
	v_add_f64 v[136:137], v[30:31], v[126:127]
	v_add_f64 v[146:147], v[28:29], v[124:125]
	v_cvt_f32_f64_e32 v146, v[146:147]
	v_cvt_f32_f64_e32 v136, v[136:137]
	v_min3_f32 v151, v146, v136, v224
	v_add_f64 v[136:137], v[26:27], v[126:127]
	v_add_f64 v[146:147], v[24:25], v[124:125]
	v_cvt_f32_f64_e32 v146, v[146:147]
	v_cvt_f32_f64_e32 v136, v[136:137]
	v_min3_f32 v157, v146, v136, v225
	v_add_f64 v[136:137], v[22:23], v[122:123]
	v_add_f64 v[146:147], v[20:21], v[120:121]
	v_cvt_f32_f64_e32 v146, v[146:147]
	v_cvt_f32_f64_e32 v136, v[136:137]
	v_min_f32_e32 v158, v146, v136
	v_add_f64 v[136:137], v[18:19], v[122:123]
	v_add_f64 v[146:147], v[16:17], v[120:121]
	v_cvt_f32_f64_e32 v146, v[146:147]
	v_cvt_f32_f64_e32 v136, v[136:137]
	v_min3_f32 v150, v150, v158, v151
	v_min3_f32 v157, v146, v136, v157
	v_add_u32_e32 v146, 48, v134
	v_add_u32_e32 v136, 56, v134
	v_cvt_f64_f32_e32 v[150:151], v150
	v_lshl_add_u64 v[158:159], v[132:133], 3, v[152:153]
	v_ashrrev_i32_e32 v147, 31, v146
	v_ashrrev_i32_e32 v137, 31, v136
	global_store_dwordx2 v[158:159], v[150:151], off
	s_mov_b64 s[2:3], -1
	v_max_f32_e32 v158, v157, v157
	s_mov_b64 vcc, s[8:9]
	s_cbranch_vccz .LBB168_59
; %bb.58:
	v_min_f32_e32 v150, 0, v158
	v_cvt_f64_f32_e32 v[150:151], v150
	v_lshl_add_u64 v[218:219], v[146:147], 3, v[152:153]
	global_store_dwordx2 v[218:219], v[150:151], off
	s_mov_b64 s[2:3], 0
.LBB168_59:
	v_mov_b32_e32 v157, 0
	s_andn2_b64 vcc, exec, s[2:3]
	v_lshlrev_b64 v[150:151], 3, v[146:147]
	s_cbranch_vccnz .LBB168_61
; %bb.60:
	v_lshl_add_u64 v[218:219], v[154:155], 0, v[150:151]
	global_load_dwordx2 v[218:219], v[218:219], off
	v_lshl_add_u64 v[220:221], v[152:153], 0, v[150:151]
	v_lshl_add_u64 v[154:155], v[136:137], 3, v[154:155]
	s_waitcnt vmcnt(0)
	v_mul_f64 v[218:219], s[16:17], v[218:219]
	v_cvt_f32_f64_e32 v157, v[218:219]
	v_min_f32_e32 v157, v157, v158
	v_cvt_f64_f32_e32 v[158:159], v157
	global_store_dwordx2 v[220:221], v[158:159], off
	global_load_dwordx2 v[154:155], v[154:155], off
	s_waitcnt vmcnt(0)
	v_mul_f64 v[154:155], s[16:17], v[154:155]
	v_cvt_f32_f64_e32 v157, v[154:155]
.LBB168_61:
	v_add_f64 v[126:127], v[2:3], v[126:127]
	v_add_f64 v[124:125], v[0:1], v[124:125]
	v_cvt_f32_f64_e32 v124, v[124:125]
	v_cvt_f32_f64_e32 v125, v[126:127]
	v_add_f64 v[122:123], v[10:11], v[122:123]
	v_add_f64 v[120:121], v[8:9], v[120:121]
	v_min3_f32 v154, v124, v125, v217
	s_waitcnt lgkmcnt(13)
	v_add_f64 v[124:125], v[70:71], v[118:119]
	v_add_f64 v[126:127], v[68:69], v[116:117]
	v_cvt_f32_f64_e32 v120, v[120:121]
	v_cvt_f32_f64_e32 v121, v[122:123]
	;; [unrolled: 1-line block ×4, first 2 shown]
	v_min_f32_e32 v125, v120, v121
	s_waitcnt lgkmcnt(12)
	v_add_f64 v[120:121], v[66:67], v[114:115]
	v_add_f64 v[122:123], v[64:65], v[112:113]
	v_min3_f32 v124, v126, v124, v216
	v_cvt_f32_f64_e32 v122, v[122:123]
	v_cvt_f32_f64_e32 v120, v[120:121]
	v_min3_f32 v124, v122, v120, v124
	v_min3_f32 v120, v157, v125, v154
	v_cvt_f64_f32_e32 v[120:121], v120
	v_lshl_add_u64 v[122:123], v[136:137], 3, v[152:153]
	global_store_dwordx2 v[122:123], v[120:121], off
	v_add_u32_e32 v122, 32, v156
	v_mad_i64_i32 v[120:121], s[2:3], v122, s5, 0
	v_mad_i64_i32 v[122:123], s[2:3], v122, s4, 0
	v_lshl_add_u64 v[120:121], v[120:121], 3, s[0:1]
	s_mov_b64 s[2:3], -1
	v_max_f32_e32 v125, v124, v124
	s_mov_b64 vcc, s[8:9]
	s_cbranch_vccz .LBB168_63
; %bb.62:
	v_min_f32_e32 v124, 0, v125
	v_cvt_f64_f32_e32 v[126:127], v124
	v_lshl_add_u64 v[152:153], v[134:135], 3, v[120:121]
	global_store_dwordx2 v[152:153], v[126:127], off
	s_mov_b64 s[2:3], 0
.LBB168_63:
	v_lshl_add_u64 v[122:123], v[122:123], 3, s[10:11]
	s_andn2_b64 vcc, exec, s[2:3]
	v_mov_b32_e32 v124, 0
	s_cbranch_vccnz .LBB168_65
; %bb.64:
	v_lshl_add_u64 v[126:127], v[122:123], 0, v[138:139]
	global_load_dwordx2 v[126:127], v[126:127], off
	v_lshl_add_u64 v[152:153], v[120:121], 0, v[138:139]
	s_waitcnt vmcnt(0)
	v_mul_f64 v[126:127], s[16:17], v[126:127]
	v_cvt_f32_f64_e32 v124, v[126:127]
	v_min_f32_e32 v124, v124, v125
	v_cvt_f64_f32_e32 v[124:125], v124
	global_store_dwordx2 v[152:153], v[124:125], off
	v_lshl_add_u64 v[124:125], v[128:129], 3, v[122:123]
	global_load_dwordx2 v[124:125], v[124:125], off
	s_waitcnt vmcnt(0)
	v_mul_f64 v[124:125], s[16:17], v[124:125]
	v_cvt_f32_f64_e32 v124, v[124:125]
.LBB168_65:
	v_add_f64 v[126:127], v[62:63], v[118:119]
	v_add_f64 v[152:153], v[60:61], v[116:117]
	v_cvt_f32_f64_e32 v125, v[152:153]
	v_cvt_f32_f64_e32 v126, v[126:127]
	v_min3_f32 v125, v125, v126, v215
	v_add_f64 v[126:127], v[58:59], v[118:119]
	v_add_f64 v[152:153], v[56:57], v[116:117]
	v_cvt_f32_f64_e32 v152, v[152:153]
	v_cvt_f32_f64_e32 v126, v[126:127]
	v_min3_f32 v154, v152, v126, v214
	v_add_f64 v[126:127], v[54:55], v[114:115]
	v_add_f64 v[152:153], v[52:53], v[112:113]
	v_cvt_f32_f64_e32 v152, v[152:153]
	v_cvt_f32_f64_e32 v126, v[126:127]
	v_min_f32_e32 v155, v152, v126
	v_add_f64 v[126:127], v[50:51], v[114:115]
	v_add_f64 v[152:153], v[48:49], v[112:113]
	v_cvt_f32_f64_e32 v152, v[152:153]
	v_cvt_f32_f64_e32 v126, v[126:127]
	v_min3_f32 v124, v124, v155, v125
	v_min3_f32 v152, v152, v126, v154
	v_cvt_f64_f32_e32 v[124:125], v124
	v_lshl_add_u64 v[126:127], v[128:129], 3, v[120:121]
	global_store_dwordx2 v[126:127], v[124:125], off
	s_mov_b64 s[2:3], -1
	v_max_f32_e32 v125, v152, v152
	s_mov_b64 vcc, s[8:9]
	s_cbranch_vccz .LBB168_67
; %bb.66:
	v_min_f32_e32 v124, 0, v125
	v_cvt_f64_f32_e32 v[126:127], v124
	v_lshl_add_u64 v[152:153], v[140:141], 3, v[120:121]
	global_store_dwordx2 v[152:153], v[126:127], off
	s_mov_b64 s[2:3], 0
.LBB168_67:
	s_andn2_b64 vcc, exec, s[2:3]
	v_mov_b32_e32 v124, 0
	s_cbranch_vccnz .LBB168_69
; %bb.68:
	v_lshl_add_u64 v[126:127], v[122:123], 0, v[144:145]
	global_load_dwordx2 v[126:127], v[126:127], off
	v_lshl_add_u64 v[152:153], v[120:121], 0, v[144:145]
	s_waitcnt vmcnt(0)
	v_mul_f64 v[126:127], s[16:17], v[126:127]
	v_cvt_f32_f64_e32 v124, v[126:127]
	v_min_f32_e32 v124, v124, v125
	v_cvt_f64_f32_e32 v[124:125], v124
	global_store_dwordx2 v[152:153], v[124:125], off
	v_lshl_add_u64 v[124:125], v[130:131], 3, v[122:123]
	global_load_dwordx2 v[124:125], v[124:125], off
	s_waitcnt vmcnt(0)
	v_mul_f64 v[124:125], s[16:17], v[124:125]
	v_cvt_f32_f64_e32 v124, v[124:125]
.LBB168_69:
	v_add_f64 v[126:127], v[42:43], v[118:119]
	v_add_f64 v[152:153], v[40:41], v[116:117]
	v_cvt_f32_f64_e32 v125, v[152:153]
	v_cvt_f32_f64_e32 v126, v[126:127]
	v_min3_f32 v125, v125, v126, v213
	v_add_f64 v[126:127], v[46:47], v[118:119]
	v_add_f64 v[152:153], v[44:45], v[116:117]
	v_cvt_f32_f64_e32 v152, v[152:153]
	v_cvt_f32_f64_e32 v126, v[126:127]
	v_min3_f32 v154, v152, v126, v212
	v_add_f64 v[126:127], v[38:39], v[114:115]
	v_add_f64 v[152:153], v[36:37], v[112:113]
	v_cvt_f32_f64_e32 v152, v[152:153]
	v_cvt_f32_f64_e32 v126, v[126:127]
	v_min_f32_e32 v155, v152, v126
	v_add_f64 v[126:127], v[34:35], v[114:115]
	v_add_f64 v[152:153], v[32:33], v[112:113]
	v_cvt_f32_f64_e32 v152, v[152:153]
	v_cvt_f32_f64_e32 v126, v[126:127]
	v_min3_f32 v124, v124, v155, v125
	v_min3_f32 v152, v152, v126, v154
	v_cvt_f64_f32_e32 v[124:125], v124
	v_lshl_add_u64 v[126:127], v[130:131], 3, v[120:121]
	global_store_dwordx2 v[126:127], v[124:125], off
	s_mov_b64 s[2:3], -1
	v_max_f32_e32 v125, v152, v152
	s_mov_b64 vcc, s[8:9]
	s_cbranch_vccz .LBB168_71
; %bb.70:
	v_min_f32_e32 v124, 0, v125
	v_cvt_f64_f32_e32 v[126:127], v124
	v_lshl_add_u64 v[152:153], v[142:143], 3, v[120:121]
	global_store_dwordx2 v[152:153], v[126:127], off
	s_mov_b64 s[2:3], 0
.LBB168_71:
	;; [unrolled: 54-line block ×3, first 2 shown]
	s_andn2_b64 vcc, exec, s[2:3]
	v_mov_b32_e32 v124, 0
	s_cbranch_vccnz .LBB168_77
; %bb.76:
	v_lshl_add_u64 v[126:127], v[122:123], 0, v[150:151]
	global_load_dwordx2 v[126:127], v[126:127], off
	v_lshl_add_u64 v[152:153], v[120:121], 0, v[150:151]
	v_lshl_add_u64 v[122:123], v[136:137], 3, v[122:123]
	s_waitcnt vmcnt(0)
	v_mul_f64 v[126:127], s[16:17], v[126:127]
	v_cvt_f32_f64_e32 v124, v[126:127]
	v_min_f32_e32 v124, v124, v125
	v_cvt_f64_f32_e32 v[124:125], v124
	global_store_dwordx2 v[152:153], v[124:125], off
	global_load_dwordx2 v[122:123], v[122:123], off
	s_waitcnt vmcnt(0)
	v_mul_f64 v[122:123], s[16:17], v[122:123]
	v_cvt_f32_f64_e32 v124, v[122:123]
.LBB168_77:
	v_add_f64 v[118:119], v[2:3], v[118:119]
	v_add_f64 v[116:117], v[0:1], v[116:117]
	v_cvt_f32_f64_e32 v116, v[116:117]
	v_cvt_f32_f64_e32 v117, v[118:119]
	v_add_f64 v[114:115], v[10:11], v[114:115]
	v_add_f64 v[112:113], v[8:9], v[112:113]
	v_min3_f32 v122, v116, v117, v209
	s_waitcnt lgkmcnt(11)
	v_add_f64 v[116:117], v[70:71], v[110:111]
	v_add_f64 v[118:119], v[68:69], v[108:109]
	v_cvt_f32_f64_e32 v112, v[112:113]
	v_cvt_f32_f64_e32 v113, v[114:115]
	v_cvt_f32_f64_e32 v118, v[118:119]
	v_cvt_f32_f64_e32 v116, v[116:117]
	v_min_f32_e32 v117, v112, v113
	s_waitcnt lgkmcnt(10)
	v_add_f64 v[112:113], v[66:67], v[106:107]
	v_add_f64 v[114:115], v[64:65], v[104:105]
	v_min3_f32 v116, v118, v116, v208
	v_cvt_f32_f64_e32 v114, v[114:115]
	v_cvt_f32_f64_e32 v112, v[112:113]
	v_min3_f32 v116, v114, v112, v116
	v_min3_f32 v112, v124, v117, v122
	v_cvt_f64_f32_e32 v[112:113], v112
	v_lshl_add_u64 v[114:115], v[136:137], 3, v[120:121]
	global_store_dwordx2 v[114:115], v[112:113], off
	v_add_u32_e32 v114, 64, v156
	v_mad_i64_i32 v[112:113], s[2:3], v114, s5, 0
	v_mad_i64_i32 v[114:115], s[2:3], v114, s4, 0
	v_lshl_add_u64 v[112:113], v[112:113], 3, s[0:1]
	s_mov_b64 s[2:3], -1
	v_max_f32_e32 v117, v116, v116
	s_mov_b64 vcc, s[8:9]
	s_cbranch_vccz .LBB168_79
; %bb.78:
	v_min_f32_e32 v116, 0, v117
	v_cvt_f64_f32_e32 v[118:119], v116
	v_lshl_add_u64 v[120:121], v[134:135], 3, v[112:113]
	global_store_dwordx2 v[120:121], v[118:119], off
	s_mov_b64 s[2:3], 0
.LBB168_79:
	v_lshl_add_u64 v[114:115], v[114:115], 3, s[10:11]
	s_andn2_b64 vcc, exec, s[2:3]
	v_mov_b32_e32 v116, 0
	s_cbranch_vccnz .LBB168_81
; %bb.80:
	v_lshl_add_u64 v[118:119], v[114:115], 0, v[138:139]
	global_load_dwordx2 v[118:119], v[118:119], off
	v_lshl_add_u64 v[120:121], v[112:113], 0, v[138:139]
	s_waitcnt vmcnt(0)
	v_mul_f64 v[118:119], s[16:17], v[118:119]
	v_cvt_f32_f64_e32 v116, v[118:119]
	v_min_f32_e32 v116, v116, v117
	v_cvt_f64_f32_e32 v[116:117], v116
	global_store_dwordx2 v[120:121], v[116:117], off
	v_lshl_add_u64 v[116:117], v[128:129], 3, v[114:115]
	global_load_dwordx2 v[116:117], v[116:117], off
	s_waitcnt vmcnt(0)
	v_mul_f64 v[116:117], s[16:17], v[116:117]
	v_cvt_f32_f64_e32 v116, v[116:117]
.LBB168_81:
	v_add_f64 v[118:119], v[62:63], v[110:111]
	v_add_f64 v[120:121], v[60:61], v[108:109]
	v_cvt_f32_f64_e32 v117, v[120:121]
	v_cvt_f32_f64_e32 v118, v[118:119]
	v_min3_f32 v117, v117, v118, v207
	v_add_f64 v[118:119], v[58:59], v[110:111]
	v_add_f64 v[120:121], v[56:57], v[108:109]
	v_cvt_f32_f64_e32 v120, v[120:121]
	v_cvt_f32_f64_e32 v118, v[118:119]
	v_min3_f32 v122, v120, v118, v206
	v_add_f64 v[118:119], v[54:55], v[106:107]
	v_add_f64 v[120:121], v[52:53], v[104:105]
	v_cvt_f32_f64_e32 v120, v[120:121]
	v_cvt_f32_f64_e32 v118, v[118:119]
	v_min_f32_e32 v123, v120, v118
	v_add_f64 v[118:119], v[50:51], v[106:107]
	v_add_f64 v[120:121], v[48:49], v[104:105]
	v_cvt_f32_f64_e32 v120, v[120:121]
	v_cvt_f32_f64_e32 v118, v[118:119]
	v_min3_f32 v116, v116, v123, v117
	v_min3_f32 v120, v120, v118, v122
	v_cvt_f64_f32_e32 v[116:117], v116
	v_lshl_add_u64 v[118:119], v[128:129], 3, v[112:113]
	global_store_dwordx2 v[118:119], v[116:117], off
	s_mov_b64 s[2:3], -1
	v_max_f32_e32 v117, v120, v120
	s_mov_b64 vcc, s[8:9]
	s_cbranch_vccz .LBB168_83
; %bb.82:
	v_min_f32_e32 v116, 0, v117
	v_cvt_f64_f32_e32 v[118:119], v116
	v_lshl_add_u64 v[120:121], v[140:141], 3, v[112:113]
	global_store_dwordx2 v[120:121], v[118:119], off
	s_mov_b64 s[2:3], 0
.LBB168_83:
	s_andn2_b64 vcc, exec, s[2:3]
	v_mov_b32_e32 v116, 0
	s_cbranch_vccnz .LBB168_85
; %bb.84:
	v_lshl_add_u64 v[118:119], v[114:115], 0, v[144:145]
	global_load_dwordx2 v[118:119], v[118:119], off
	v_lshl_add_u64 v[120:121], v[112:113], 0, v[144:145]
	s_waitcnt vmcnt(0)
	v_mul_f64 v[118:119], s[16:17], v[118:119]
	v_cvt_f32_f64_e32 v116, v[118:119]
	v_min_f32_e32 v116, v116, v117
	v_cvt_f64_f32_e32 v[116:117], v116
	global_store_dwordx2 v[120:121], v[116:117], off
	v_lshl_add_u64 v[116:117], v[130:131], 3, v[114:115]
	global_load_dwordx2 v[116:117], v[116:117], off
	s_waitcnt vmcnt(0)
	v_mul_f64 v[116:117], s[16:17], v[116:117]
	v_cvt_f32_f64_e32 v116, v[116:117]
.LBB168_85:
	v_add_f64 v[118:119], v[42:43], v[110:111]
	v_add_f64 v[120:121], v[40:41], v[108:109]
	v_cvt_f32_f64_e32 v117, v[120:121]
	v_cvt_f32_f64_e32 v118, v[118:119]
	v_min3_f32 v117, v117, v118, v205
	v_add_f64 v[118:119], v[46:47], v[110:111]
	v_add_f64 v[120:121], v[44:45], v[108:109]
	v_cvt_f32_f64_e32 v120, v[120:121]
	v_cvt_f32_f64_e32 v118, v[118:119]
	v_min3_f32 v122, v120, v118, v204
	v_add_f64 v[118:119], v[38:39], v[106:107]
	v_add_f64 v[120:121], v[36:37], v[104:105]
	v_cvt_f32_f64_e32 v120, v[120:121]
	v_cvt_f32_f64_e32 v118, v[118:119]
	v_min_f32_e32 v123, v120, v118
	v_add_f64 v[118:119], v[34:35], v[106:107]
	v_add_f64 v[120:121], v[32:33], v[104:105]
	v_cvt_f32_f64_e32 v120, v[120:121]
	v_cvt_f32_f64_e32 v118, v[118:119]
	v_min3_f32 v116, v116, v123, v117
	v_min3_f32 v120, v120, v118, v122
	v_cvt_f64_f32_e32 v[116:117], v116
	v_lshl_add_u64 v[118:119], v[130:131], 3, v[112:113]
	global_store_dwordx2 v[118:119], v[116:117], off
	s_mov_b64 s[2:3], -1
	v_max_f32_e32 v117, v120, v120
	s_mov_b64 vcc, s[8:9]
	s_cbranch_vccz .LBB168_87
; %bb.86:
	v_min_f32_e32 v116, 0, v117
	v_cvt_f64_f32_e32 v[118:119], v116
	v_lshl_add_u64 v[120:121], v[142:143], 3, v[112:113]
	global_store_dwordx2 v[120:121], v[118:119], off
	s_mov_b64 s[2:3], 0
.LBB168_87:
	;; [unrolled: 54-line block ×3, first 2 shown]
	s_andn2_b64 vcc, exec, s[2:3]
	v_mov_b32_e32 v116, 0
	s_cbranch_vccnz .LBB168_93
; %bb.92:
	v_lshl_add_u64 v[118:119], v[114:115], 0, v[150:151]
	global_load_dwordx2 v[118:119], v[118:119], off
	v_lshl_add_u64 v[120:121], v[112:113], 0, v[150:151]
	v_lshl_add_u64 v[114:115], v[136:137], 3, v[114:115]
	s_waitcnt vmcnt(0)
	v_mul_f64 v[118:119], s[16:17], v[118:119]
	v_cvt_f32_f64_e32 v116, v[118:119]
	v_min_f32_e32 v116, v116, v117
	v_cvt_f64_f32_e32 v[116:117], v116
	global_store_dwordx2 v[120:121], v[116:117], off
	global_load_dwordx2 v[114:115], v[114:115], off
	s_waitcnt vmcnt(0)
	v_mul_f64 v[114:115], s[16:17], v[114:115]
	v_cvt_f32_f64_e32 v116, v[114:115]
.LBB168_93:
	v_add_f64 v[110:111], v[2:3], v[110:111]
	v_add_f64 v[108:109], v[0:1], v[108:109]
	v_cvt_f32_f64_e32 v108, v[108:109]
	v_cvt_f32_f64_e32 v109, v[110:111]
	v_add_f64 v[106:107], v[10:11], v[106:107]
	v_add_f64 v[104:105], v[8:9], v[104:105]
	v_min3_f32 v114, v108, v109, v201
	s_waitcnt lgkmcnt(9)
	v_add_f64 v[108:109], v[70:71], v[102:103]
	v_add_f64 v[110:111], v[68:69], v[100:101]
	v_cvt_f32_f64_e32 v104, v[104:105]
	v_cvt_f32_f64_e32 v105, v[106:107]
	;; [unrolled: 1-line block ×4, first 2 shown]
	v_min_f32_e32 v109, v104, v105
	s_waitcnt lgkmcnt(8)
	v_add_f64 v[104:105], v[66:67], v[98:99]
	v_add_f64 v[106:107], v[64:65], v[96:97]
	v_min3_f32 v108, v110, v108, v200
	v_cvt_f32_f64_e32 v106, v[106:107]
	v_cvt_f32_f64_e32 v104, v[104:105]
	v_min3_f32 v108, v106, v104, v108
	v_min3_f32 v104, v116, v109, v114
	v_cvt_f64_f32_e32 v[104:105], v104
	v_lshl_add_u64 v[106:107], v[136:137], 3, v[112:113]
	global_store_dwordx2 v[106:107], v[104:105], off
	v_add_u32_e32 v106, 0x60, v156
	v_mad_i64_i32 v[104:105], s[2:3], v106, s5, 0
	v_mad_i64_i32 v[106:107], s[2:3], v106, s4, 0
	v_lshl_add_u64 v[104:105], v[104:105], 3, s[0:1]
	s_mov_b64 s[2:3], -1
	v_max_f32_e32 v109, v108, v108
	s_mov_b64 vcc, s[8:9]
	s_cbranch_vccz .LBB168_95
; %bb.94:
	v_min_f32_e32 v108, 0, v109
	v_cvt_f64_f32_e32 v[110:111], v108
	v_lshl_add_u64 v[112:113], v[134:135], 3, v[104:105]
	global_store_dwordx2 v[112:113], v[110:111], off
	s_mov_b64 s[2:3], 0
.LBB168_95:
	v_lshl_add_u64 v[106:107], v[106:107], 3, s[10:11]
	s_andn2_b64 vcc, exec, s[2:3]
	v_mov_b32_e32 v108, 0
	s_cbranch_vccnz .LBB168_97
; %bb.96:
	v_lshl_add_u64 v[110:111], v[106:107], 0, v[138:139]
	global_load_dwordx2 v[110:111], v[110:111], off
	v_lshl_add_u64 v[112:113], v[104:105], 0, v[138:139]
	s_waitcnt vmcnt(0)
	v_mul_f64 v[110:111], s[16:17], v[110:111]
	v_cvt_f32_f64_e32 v108, v[110:111]
	v_min_f32_e32 v108, v108, v109
	v_cvt_f64_f32_e32 v[108:109], v108
	global_store_dwordx2 v[112:113], v[108:109], off
	v_lshl_add_u64 v[108:109], v[128:129], 3, v[106:107]
	global_load_dwordx2 v[108:109], v[108:109], off
	s_waitcnt vmcnt(0)
	v_mul_f64 v[108:109], s[16:17], v[108:109]
	v_cvt_f32_f64_e32 v108, v[108:109]
.LBB168_97:
	v_add_f64 v[110:111], v[62:63], v[102:103]
	v_add_f64 v[112:113], v[60:61], v[100:101]
	v_cvt_f32_f64_e32 v109, v[112:113]
	v_cvt_f32_f64_e32 v110, v[110:111]
	v_min3_f32 v109, v109, v110, v199
	v_add_f64 v[110:111], v[58:59], v[102:103]
	v_add_f64 v[112:113], v[56:57], v[100:101]
	v_cvt_f32_f64_e32 v112, v[112:113]
	v_cvt_f32_f64_e32 v110, v[110:111]
	v_min3_f32 v114, v112, v110, v198
	v_add_f64 v[110:111], v[54:55], v[98:99]
	v_add_f64 v[112:113], v[52:53], v[96:97]
	v_cvt_f32_f64_e32 v112, v[112:113]
	v_cvt_f32_f64_e32 v110, v[110:111]
	v_min_f32_e32 v115, v112, v110
	v_add_f64 v[110:111], v[50:51], v[98:99]
	v_add_f64 v[112:113], v[48:49], v[96:97]
	v_cvt_f32_f64_e32 v112, v[112:113]
	v_cvt_f32_f64_e32 v110, v[110:111]
	v_min3_f32 v108, v108, v115, v109
	v_min3_f32 v112, v112, v110, v114
	v_cvt_f64_f32_e32 v[108:109], v108
	v_lshl_add_u64 v[110:111], v[128:129], 3, v[104:105]
	global_store_dwordx2 v[110:111], v[108:109], off
	s_mov_b64 s[2:3], -1
	v_max_f32_e32 v109, v112, v112
	s_mov_b64 vcc, s[8:9]
	s_cbranch_vccz .LBB168_99
; %bb.98:
	v_min_f32_e32 v108, 0, v109
	v_cvt_f64_f32_e32 v[110:111], v108
	v_lshl_add_u64 v[112:113], v[140:141], 3, v[104:105]
	global_store_dwordx2 v[112:113], v[110:111], off
	s_mov_b64 s[2:3], 0
.LBB168_99:
	s_andn2_b64 vcc, exec, s[2:3]
	v_mov_b32_e32 v108, 0
	s_cbranch_vccnz .LBB168_101
; %bb.100:
	v_lshl_add_u64 v[110:111], v[106:107], 0, v[144:145]
	global_load_dwordx2 v[110:111], v[110:111], off
	v_lshl_add_u64 v[112:113], v[104:105], 0, v[144:145]
	s_waitcnt vmcnt(0)
	v_mul_f64 v[110:111], s[16:17], v[110:111]
	v_cvt_f32_f64_e32 v108, v[110:111]
	v_min_f32_e32 v108, v108, v109
	v_cvt_f64_f32_e32 v[108:109], v108
	global_store_dwordx2 v[112:113], v[108:109], off
	v_lshl_add_u64 v[108:109], v[130:131], 3, v[106:107]
	global_load_dwordx2 v[108:109], v[108:109], off
	s_waitcnt vmcnt(0)
	v_mul_f64 v[108:109], s[16:17], v[108:109]
	v_cvt_f32_f64_e32 v108, v[108:109]
.LBB168_101:
	v_add_f64 v[110:111], v[42:43], v[102:103]
	v_add_f64 v[112:113], v[40:41], v[100:101]
	v_cvt_f32_f64_e32 v109, v[112:113]
	v_cvt_f32_f64_e32 v110, v[110:111]
	v_min3_f32 v109, v109, v110, v197
	v_add_f64 v[110:111], v[46:47], v[102:103]
	v_add_f64 v[112:113], v[44:45], v[100:101]
	v_cvt_f32_f64_e32 v112, v[112:113]
	v_cvt_f32_f64_e32 v110, v[110:111]
	v_min3_f32 v114, v112, v110, v196
	v_add_f64 v[110:111], v[38:39], v[98:99]
	v_add_f64 v[112:113], v[36:37], v[96:97]
	v_cvt_f32_f64_e32 v112, v[112:113]
	v_cvt_f32_f64_e32 v110, v[110:111]
	v_min_f32_e32 v115, v112, v110
	v_add_f64 v[110:111], v[34:35], v[98:99]
	v_add_f64 v[112:113], v[32:33], v[96:97]
	v_cvt_f32_f64_e32 v112, v[112:113]
	v_cvt_f32_f64_e32 v110, v[110:111]
	v_min3_f32 v108, v108, v115, v109
	v_min3_f32 v112, v112, v110, v114
	v_cvt_f64_f32_e32 v[108:109], v108
	v_lshl_add_u64 v[110:111], v[130:131], 3, v[104:105]
	global_store_dwordx2 v[110:111], v[108:109], off
	s_mov_b64 s[2:3], -1
	v_max_f32_e32 v109, v112, v112
	s_mov_b64 vcc, s[8:9]
	s_cbranch_vccz .LBB168_103
; %bb.102:
	v_min_f32_e32 v108, 0, v109
	v_cvt_f64_f32_e32 v[110:111], v108
	v_lshl_add_u64 v[112:113], v[142:143], 3, v[104:105]
	global_store_dwordx2 v[112:113], v[110:111], off
	s_mov_b64 s[2:3], 0
.LBB168_103:
	;; [unrolled: 54-line block ×3, first 2 shown]
	s_andn2_b64 vcc, exec, s[2:3]
	v_mov_b32_e32 v108, 0
	s_cbranch_vccnz .LBB168_109
; %bb.108:
	v_lshl_add_u64 v[110:111], v[106:107], 0, v[150:151]
	global_load_dwordx2 v[110:111], v[110:111], off
	v_lshl_add_u64 v[112:113], v[104:105], 0, v[150:151]
	v_lshl_add_u64 v[106:107], v[136:137], 3, v[106:107]
	s_waitcnt vmcnt(0)
	v_mul_f64 v[110:111], s[16:17], v[110:111]
	v_cvt_f32_f64_e32 v108, v[110:111]
	v_min_f32_e32 v108, v108, v109
	v_cvt_f64_f32_e32 v[108:109], v108
	global_store_dwordx2 v[112:113], v[108:109], off
	global_load_dwordx2 v[106:107], v[106:107], off
	s_waitcnt vmcnt(0)
	v_mul_f64 v[106:107], s[16:17], v[106:107]
	v_cvt_f32_f64_e32 v108, v[106:107]
.LBB168_109:
	v_add_f64 v[102:103], v[2:3], v[102:103]
	v_add_f64 v[100:101], v[0:1], v[100:101]
	v_cvt_f32_f64_e32 v100, v[100:101]
	v_cvt_f32_f64_e32 v101, v[102:103]
	v_add_f64 v[98:99], v[10:11], v[98:99]
	v_add_f64 v[96:97], v[8:9], v[96:97]
	v_min3_f32 v106, v100, v101, v193
	s_waitcnt lgkmcnt(7)
	v_add_f64 v[100:101], v[70:71], v[94:95]
	v_add_f64 v[102:103], v[68:69], v[92:93]
	v_cvt_f32_f64_e32 v96, v[96:97]
	v_cvt_f32_f64_e32 v97, v[98:99]
	;; [unrolled: 1-line block ×4, first 2 shown]
	v_min_f32_e32 v101, v96, v97
	s_waitcnt lgkmcnt(6)
	v_add_f64 v[96:97], v[66:67], v[90:91]
	v_add_f64 v[98:99], v[64:65], v[88:89]
	v_min3_f32 v100, v102, v100, v192
	v_cvt_f32_f64_e32 v98, v[98:99]
	v_cvt_f32_f64_e32 v96, v[96:97]
	v_min3_f32 v100, v98, v96, v100
	v_min3_f32 v96, v108, v101, v106
	v_cvt_f64_f32_e32 v[96:97], v96
	v_lshl_add_u64 v[98:99], v[136:137], 3, v[104:105]
	global_store_dwordx2 v[98:99], v[96:97], off
	v_add_u32_e32 v98, 0x80, v156
	v_mad_i64_i32 v[96:97], s[2:3], v98, s5, 0
	v_mad_i64_i32 v[98:99], s[2:3], v98, s4, 0
	v_lshl_add_u64 v[96:97], v[96:97], 3, s[0:1]
	s_mov_b64 s[2:3], -1
	v_max_f32_e32 v101, v100, v100
	s_mov_b64 vcc, s[8:9]
	s_cbranch_vccz .LBB168_111
; %bb.110:
	v_min_f32_e32 v100, 0, v101
	v_cvt_f64_f32_e32 v[102:103], v100
	v_lshl_add_u64 v[104:105], v[134:135], 3, v[96:97]
	global_store_dwordx2 v[104:105], v[102:103], off
	s_mov_b64 s[2:3], 0
.LBB168_111:
	v_lshl_add_u64 v[98:99], v[98:99], 3, s[10:11]
	s_andn2_b64 vcc, exec, s[2:3]
	v_mov_b32_e32 v100, 0
	s_cbranch_vccnz .LBB168_113
; %bb.112:
	v_lshl_add_u64 v[102:103], v[98:99], 0, v[138:139]
	global_load_dwordx2 v[102:103], v[102:103], off
	v_lshl_add_u64 v[104:105], v[96:97], 0, v[138:139]
	s_waitcnt vmcnt(0)
	v_mul_f64 v[102:103], s[16:17], v[102:103]
	v_cvt_f32_f64_e32 v100, v[102:103]
	v_min_f32_e32 v100, v100, v101
	v_cvt_f64_f32_e32 v[100:101], v100
	global_store_dwordx2 v[104:105], v[100:101], off
	v_lshl_add_u64 v[100:101], v[128:129], 3, v[98:99]
	global_load_dwordx2 v[100:101], v[100:101], off
	s_waitcnt vmcnt(0)
	v_mul_f64 v[100:101], s[16:17], v[100:101]
	v_cvt_f32_f64_e32 v100, v[100:101]
.LBB168_113:
	v_add_f64 v[102:103], v[62:63], v[94:95]
	v_add_f64 v[104:105], v[60:61], v[92:93]
	v_cvt_f32_f64_e32 v101, v[104:105]
	v_cvt_f32_f64_e32 v102, v[102:103]
	v_min3_f32 v101, v101, v102, v191
	v_add_f64 v[102:103], v[58:59], v[94:95]
	v_add_f64 v[104:105], v[56:57], v[92:93]
	v_cvt_f32_f64_e32 v104, v[104:105]
	v_cvt_f32_f64_e32 v102, v[102:103]
	v_min3_f32 v106, v104, v102, v190
	v_add_f64 v[102:103], v[54:55], v[90:91]
	v_add_f64 v[104:105], v[52:53], v[88:89]
	v_cvt_f32_f64_e32 v104, v[104:105]
	v_cvt_f32_f64_e32 v102, v[102:103]
	v_min_f32_e32 v107, v104, v102
	v_add_f64 v[102:103], v[50:51], v[90:91]
	v_add_f64 v[104:105], v[48:49], v[88:89]
	v_cvt_f32_f64_e32 v104, v[104:105]
	v_cvt_f32_f64_e32 v102, v[102:103]
	v_min3_f32 v100, v100, v107, v101
	v_min3_f32 v104, v104, v102, v106
	v_cvt_f64_f32_e32 v[100:101], v100
	v_lshl_add_u64 v[102:103], v[128:129], 3, v[96:97]
	global_store_dwordx2 v[102:103], v[100:101], off
	s_mov_b64 s[2:3], -1
	v_max_f32_e32 v101, v104, v104
	s_mov_b64 vcc, s[8:9]
	s_cbranch_vccz .LBB168_115
; %bb.114:
	v_min_f32_e32 v100, 0, v101
	v_cvt_f64_f32_e32 v[102:103], v100
	v_lshl_add_u64 v[104:105], v[140:141], 3, v[96:97]
	global_store_dwordx2 v[104:105], v[102:103], off
	s_mov_b64 s[2:3], 0
.LBB168_115:
	s_andn2_b64 vcc, exec, s[2:3]
	v_mov_b32_e32 v100, 0
	s_cbranch_vccnz .LBB168_117
; %bb.116:
	v_lshl_add_u64 v[102:103], v[98:99], 0, v[144:145]
	global_load_dwordx2 v[102:103], v[102:103], off
	v_lshl_add_u64 v[104:105], v[96:97], 0, v[144:145]
	s_waitcnt vmcnt(0)
	v_mul_f64 v[102:103], s[16:17], v[102:103]
	v_cvt_f32_f64_e32 v100, v[102:103]
	v_min_f32_e32 v100, v100, v101
	v_cvt_f64_f32_e32 v[100:101], v100
	global_store_dwordx2 v[104:105], v[100:101], off
	v_lshl_add_u64 v[100:101], v[130:131], 3, v[98:99]
	global_load_dwordx2 v[100:101], v[100:101], off
	s_waitcnt vmcnt(0)
	v_mul_f64 v[100:101], s[16:17], v[100:101]
	v_cvt_f32_f64_e32 v100, v[100:101]
.LBB168_117:
	v_add_f64 v[102:103], v[42:43], v[94:95]
	v_add_f64 v[104:105], v[40:41], v[92:93]
	v_cvt_f32_f64_e32 v101, v[104:105]
	v_cvt_f32_f64_e32 v102, v[102:103]
	v_min3_f32 v101, v101, v102, v189
	v_add_f64 v[102:103], v[46:47], v[94:95]
	v_add_f64 v[104:105], v[44:45], v[92:93]
	v_cvt_f32_f64_e32 v104, v[104:105]
	v_cvt_f32_f64_e32 v102, v[102:103]
	v_min3_f32 v106, v104, v102, v188
	v_add_f64 v[102:103], v[38:39], v[90:91]
	v_add_f64 v[104:105], v[36:37], v[88:89]
	v_cvt_f32_f64_e32 v104, v[104:105]
	v_cvt_f32_f64_e32 v102, v[102:103]
	v_min_f32_e32 v107, v104, v102
	v_add_f64 v[102:103], v[34:35], v[90:91]
	v_add_f64 v[104:105], v[32:33], v[88:89]
	v_cvt_f32_f64_e32 v104, v[104:105]
	v_cvt_f32_f64_e32 v102, v[102:103]
	v_min3_f32 v100, v100, v107, v101
	v_min3_f32 v104, v104, v102, v106
	v_cvt_f64_f32_e32 v[100:101], v100
	v_lshl_add_u64 v[102:103], v[130:131], 3, v[96:97]
	global_store_dwordx2 v[102:103], v[100:101], off
	s_mov_b64 s[2:3], -1
	v_max_f32_e32 v101, v104, v104
	s_mov_b64 vcc, s[8:9]
	s_cbranch_vccz .LBB168_119
; %bb.118:
	v_min_f32_e32 v100, 0, v101
	v_cvt_f64_f32_e32 v[102:103], v100
	v_lshl_add_u64 v[104:105], v[142:143], 3, v[96:97]
	global_store_dwordx2 v[104:105], v[102:103], off
	s_mov_b64 s[2:3], 0
.LBB168_119:
	;; [unrolled: 54-line block ×3, first 2 shown]
	s_andn2_b64 vcc, exec, s[2:3]
	v_mov_b32_e32 v100, 0
	s_cbranch_vccnz .LBB168_125
; %bb.124:
	v_lshl_add_u64 v[102:103], v[98:99], 0, v[150:151]
	global_load_dwordx2 v[102:103], v[102:103], off
	v_lshl_add_u64 v[104:105], v[96:97], 0, v[150:151]
	v_lshl_add_u64 v[98:99], v[136:137], 3, v[98:99]
	s_waitcnt vmcnt(0)
	v_mul_f64 v[102:103], s[16:17], v[102:103]
	v_cvt_f32_f64_e32 v100, v[102:103]
	v_min_f32_e32 v100, v100, v101
	v_cvt_f64_f32_e32 v[100:101], v100
	global_store_dwordx2 v[104:105], v[100:101], off
	global_load_dwordx2 v[98:99], v[98:99], off
	s_waitcnt vmcnt(0)
	v_mul_f64 v[98:99], s[16:17], v[98:99]
	v_cvt_f32_f64_e32 v100, v[98:99]
.LBB168_125:
	v_add_f64 v[94:95], v[2:3], v[94:95]
	v_add_f64 v[92:93], v[0:1], v[92:93]
	v_cvt_f32_f64_e32 v92, v[92:93]
	v_cvt_f32_f64_e32 v93, v[94:95]
	v_add_f64 v[90:91], v[10:11], v[90:91]
	v_add_f64 v[88:89], v[8:9], v[88:89]
	v_min3_f32 v98, v92, v93, v185
	s_waitcnt lgkmcnt(5)
	v_add_f64 v[92:93], v[70:71], v[86:87]
	v_add_f64 v[94:95], v[68:69], v[84:85]
	v_cvt_f32_f64_e32 v88, v[88:89]
	v_cvt_f32_f64_e32 v89, v[90:91]
	;; [unrolled: 1-line block ×4, first 2 shown]
	v_min_f32_e32 v93, v88, v89
	s_waitcnt lgkmcnt(4)
	v_add_f64 v[88:89], v[66:67], v[82:83]
	v_add_f64 v[90:91], v[64:65], v[80:81]
	v_min3_f32 v92, v94, v92, v184
	v_cvt_f32_f64_e32 v90, v[90:91]
	v_cvt_f32_f64_e32 v88, v[88:89]
	v_min3_f32 v92, v90, v88, v92
	v_min3_f32 v88, v100, v93, v98
	v_cvt_f64_f32_e32 v[88:89], v88
	v_lshl_add_u64 v[90:91], v[136:137], 3, v[96:97]
	global_store_dwordx2 v[90:91], v[88:89], off
	v_add_u32_e32 v90, 0xa0, v156
	v_mad_i64_i32 v[88:89], s[2:3], v90, s5, 0
	v_mad_i64_i32 v[90:91], s[2:3], v90, s4, 0
	v_lshl_add_u64 v[88:89], v[88:89], 3, s[0:1]
	s_mov_b64 s[2:3], -1
	v_max_f32_e32 v93, v92, v92
	s_mov_b64 vcc, s[8:9]
	s_cbranch_vccz .LBB168_127
; %bb.126:
	v_min_f32_e32 v92, 0, v93
	v_cvt_f64_f32_e32 v[94:95], v92
	v_lshl_add_u64 v[96:97], v[134:135], 3, v[88:89]
	global_store_dwordx2 v[96:97], v[94:95], off
	s_mov_b64 s[2:3], 0
.LBB168_127:
	v_lshl_add_u64 v[90:91], v[90:91], 3, s[10:11]
	s_andn2_b64 vcc, exec, s[2:3]
	v_mov_b32_e32 v92, 0
	s_cbranch_vccnz .LBB168_129
; %bb.128:
	v_lshl_add_u64 v[94:95], v[90:91], 0, v[138:139]
	global_load_dwordx2 v[94:95], v[94:95], off
	v_lshl_add_u64 v[96:97], v[88:89], 0, v[138:139]
	s_waitcnt vmcnt(0)
	v_mul_f64 v[94:95], s[16:17], v[94:95]
	v_cvt_f32_f64_e32 v92, v[94:95]
	v_min_f32_e32 v92, v92, v93
	v_cvt_f64_f32_e32 v[92:93], v92
	global_store_dwordx2 v[96:97], v[92:93], off
	v_lshl_add_u64 v[92:93], v[128:129], 3, v[90:91]
	global_load_dwordx2 v[92:93], v[92:93], off
	s_waitcnt vmcnt(0)
	v_mul_f64 v[92:93], s[16:17], v[92:93]
	v_cvt_f32_f64_e32 v92, v[92:93]
.LBB168_129:
	v_add_f64 v[94:95], v[62:63], v[86:87]
	v_add_f64 v[96:97], v[60:61], v[84:85]
	v_cvt_f32_f64_e32 v93, v[96:97]
	v_cvt_f32_f64_e32 v94, v[94:95]
	v_min3_f32 v93, v93, v94, v183
	v_add_f64 v[94:95], v[58:59], v[86:87]
	v_add_f64 v[96:97], v[56:57], v[84:85]
	v_cvt_f32_f64_e32 v96, v[96:97]
	v_cvt_f32_f64_e32 v94, v[94:95]
	v_min3_f32 v98, v96, v94, v182
	v_add_f64 v[94:95], v[54:55], v[82:83]
	v_add_f64 v[96:97], v[52:53], v[80:81]
	v_cvt_f32_f64_e32 v96, v[96:97]
	v_cvt_f32_f64_e32 v94, v[94:95]
	v_min_f32_e32 v99, v96, v94
	v_add_f64 v[94:95], v[50:51], v[82:83]
	v_add_f64 v[96:97], v[48:49], v[80:81]
	v_cvt_f32_f64_e32 v96, v[96:97]
	v_cvt_f32_f64_e32 v94, v[94:95]
	v_min3_f32 v92, v92, v99, v93
	v_min3_f32 v96, v96, v94, v98
	v_cvt_f64_f32_e32 v[92:93], v92
	v_lshl_add_u64 v[94:95], v[128:129], 3, v[88:89]
	global_store_dwordx2 v[94:95], v[92:93], off
	s_mov_b64 s[2:3], -1
	v_max_f32_e32 v93, v96, v96
	s_mov_b64 vcc, s[8:9]
	s_cbranch_vccz .LBB168_131
; %bb.130:
	v_min_f32_e32 v92, 0, v93
	v_cvt_f64_f32_e32 v[94:95], v92
	v_lshl_add_u64 v[96:97], v[140:141], 3, v[88:89]
	global_store_dwordx2 v[96:97], v[94:95], off
	s_mov_b64 s[2:3], 0
.LBB168_131:
	s_andn2_b64 vcc, exec, s[2:3]
	v_mov_b32_e32 v92, 0
	s_cbranch_vccnz .LBB168_133
; %bb.132:
	v_lshl_add_u64 v[94:95], v[90:91], 0, v[144:145]
	global_load_dwordx2 v[94:95], v[94:95], off
	v_lshl_add_u64 v[96:97], v[88:89], 0, v[144:145]
	s_waitcnt vmcnt(0)
	v_mul_f64 v[94:95], s[16:17], v[94:95]
	v_cvt_f32_f64_e32 v92, v[94:95]
	v_min_f32_e32 v92, v92, v93
	v_cvt_f64_f32_e32 v[92:93], v92
	global_store_dwordx2 v[96:97], v[92:93], off
	v_lshl_add_u64 v[92:93], v[130:131], 3, v[90:91]
	global_load_dwordx2 v[92:93], v[92:93], off
	s_waitcnt vmcnt(0)
	v_mul_f64 v[92:93], s[16:17], v[92:93]
	v_cvt_f32_f64_e32 v92, v[92:93]
.LBB168_133:
	v_add_f64 v[94:95], v[42:43], v[86:87]
	v_add_f64 v[96:97], v[40:41], v[84:85]
	v_cvt_f32_f64_e32 v93, v[96:97]
	v_cvt_f32_f64_e32 v94, v[94:95]
	v_min3_f32 v93, v93, v94, v181
	v_add_f64 v[94:95], v[46:47], v[86:87]
	v_add_f64 v[96:97], v[44:45], v[84:85]
	v_cvt_f32_f64_e32 v96, v[96:97]
	v_cvt_f32_f64_e32 v94, v[94:95]
	v_min3_f32 v98, v96, v94, v180
	v_add_f64 v[94:95], v[38:39], v[82:83]
	v_add_f64 v[96:97], v[36:37], v[80:81]
	v_cvt_f32_f64_e32 v96, v[96:97]
	v_cvt_f32_f64_e32 v94, v[94:95]
	v_min_f32_e32 v99, v96, v94
	v_add_f64 v[94:95], v[34:35], v[82:83]
	v_add_f64 v[96:97], v[32:33], v[80:81]
	v_cvt_f32_f64_e32 v96, v[96:97]
	v_cvt_f32_f64_e32 v94, v[94:95]
	v_min3_f32 v92, v92, v99, v93
	v_min3_f32 v96, v96, v94, v98
	v_cvt_f64_f32_e32 v[92:93], v92
	v_lshl_add_u64 v[94:95], v[130:131], 3, v[88:89]
	global_store_dwordx2 v[94:95], v[92:93], off
	s_mov_b64 s[2:3], -1
	v_max_f32_e32 v93, v96, v96
	s_mov_b64 vcc, s[8:9]
	s_cbranch_vccz .LBB168_135
; %bb.134:
	v_min_f32_e32 v92, 0, v93
	v_cvt_f64_f32_e32 v[94:95], v92
	v_lshl_add_u64 v[96:97], v[142:143], 3, v[88:89]
	global_store_dwordx2 v[96:97], v[94:95], off
	s_mov_b64 s[2:3], 0
.LBB168_135:
	;; [unrolled: 54-line block ×3, first 2 shown]
	s_andn2_b64 vcc, exec, s[2:3]
	v_mov_b32_e32 v92, 0
	s_cbranch_vccnz .LBB168_141
; %bb.140:
	v_lshl_add_u64 v[94:95], v[90:91], 0, v[150:151]
	global_load_dwordx2 v[94:95], v[94:95], off
	v_lshl_add_u64 v[96:97], v[88:89], 0, v[150:151]
	v_lshl_add_u64 v[90:91], v[136:137], 3, v[90:91]
	s_waitcnt vmcnt(0)
	v_mul_f64 v[94:95], s[16:17], v[94:95]
	v_cvt_f32_f64_e32 v92, v[94:95]
	v_min_f32_e32 v92, v92, v93
	v_cvt_f64_f32_e32 v[92:93], v92
	global_store_dwordx2 v[96:97], v[92:93], off
	global_load_dwordx2 v[90:91], v[90:91], off
	s_waitcnt vmcnt(0)
	v_mul_f64 v[90:91], s[16:17], v[90:91]
	v_cvt_f32_f64_e32 v92, v[90:91]
.LBB168_141:
	v_add_f64 v[86:87], v[2:3], v[86:87]
	v_add_f64 v[84:85], v[0:1], v[84:85]
	v_cvt_f32_f64_e32 v84, v[84:85]
	v_cvt_f32_f64_e32 v85, v[86:87]
	v_add_f64 v[82:83], v[10:11], v[82:83]
	v_add_f64 v[80:81], v[8:9], v[80:81]
	v_min3_f32 v90, v84, v85, v177
	s_waitcnt lgkmcnt(3)
	v_add_f64 v[84:85], v[70:71], v[78:79]
	v_add_f64 v[86:87], v[68:69], v[76:77]
	v_cvt_f32_f64_e32 v80, v[80:81]
	v_cvt_f32_f64_e32 v81, v[82:83]
	;; [unrolled: 1-line block ×4, first 2 shown]
	v_min_f32_e32 v85, v80, v81
	s_waitcnt lgkmcnt(2)
	v_add_f64 v[80:81], v[66:67], v[74:75]
	v_add_f64 v[82:83], v[64:65], v[72:73]
	v_min3_f32 v84, v86, v84, v176
	v_cvt_f32_f64_e32 v82, v[82:83]
	v_cvt_f32_f64_e32 v80, v[80:81]
	v_min3_f32 v84, v82, v80, v84
	v_min3_f32 v80, v92, v85, v90
	v_cvt_f64_f32_e32 v[80:81], v80
	v_lshl_add_u64 v[82:83], v[136:137], 3, v[88:89]
	global_store_dwordx2 v[82:83], v[80:81], off
	v_add_u32_e32 v82, 0xc0, v156
	v_mad_i64_i32 v[80:81], s[2:3], v82, s5, 0
	v_mad_i64_i32 v[82:83], s[2:3], v82, s4, 0
	v_lshl_add_u64 v[80:81], v[80:81], 3, s[0:1]
	s_mov_b64 s[2:3], -1
	v_max_f32_e32 v85, v84, v84
	s_mov_b64 vcc, s[8:9]
	s_cbranch_vccz .LBB168_143
; %bb.142:
	v_min_f32_e32 v84, 0, v85
	v_cvt_f64_f32_e32 v[86:87], v84
	v_lshl_add_u64 v[88:89], v[134:135], 3, v[80:81]
	global_store_dwordx2 v[88:89], v[86:87], off
	s_mov_b64 s[2:3], 0
.LBB168_143:
	v_lshl_add_u64 v[82:83], v[82:83], 3, s[10:11]
	s_andn2_b64 vcc, exec, s[2:3]
	v_mov_b32_e32 v84, 0
	s_cbranch_vccnz .LBB168_145
; %bb.144:
	v_lshl_add_u64 v[86:87], v[82:83], 0, v[138:139]
	global_load_dwordx2 v[86:87], v[86:87], off
	v_lshl_add_u64 v[88:89], v[80:81], 0, v[138:139]
	s_waitcnt vmcnt(0)
	v_mul_f64 v[86:87], s[16:17], v[86:87]
	v_cvt_f32_f64_e32 v84, v[86:87]
	v_min_f32_e32 v84, v84, v85
	v_cvt_f64_f32_e32 v[84:85], v84
	global_store_dwordx2 v[88:89], v[84:85], off
	v_lshl_add_u64 v[84:85], v[128:129], 3, v[82:83]
	global_load_dwordx2 v[84:85], v[84:85], off
	s_waitcnt vmcnt(0)
	v_mul_f64 v[84:85], s[16:17], v[84:85]
	v_cvt_f32_f64_e32 v84, v[84:85]
.LBB168_145:
	v_add_f64 v[86:87], v[62:63], v[78:79]
	v_add_f64 v[88:89], v[60:61], v[76:77]
	v_cvt_f32_f64_e32 v85, v[88:89]
	v_cvt_f32_f64_e32 v86, v[86:87]
	v_min3_f32 v85, v85, v86, v175
	v_add_f64 v[86:87], v[58:59], v[78:79]
	v_add_f64 v[88:89], v[56:57], v[76:77]
	v_cvt_f32_f64_e32 v88, v[88:89]
	v_cvt_f32_f64_e32 v86, v[86:87]
	v_min3_f32 v90, v88, v86, v174
	v_add_f64 v[86:87], v[54:55], v[74:75]
	v_add_f64 v[88:89], v[52:53], v[72:73]
	v_cvt_f32_f64_e32 v88, v[88:89]
	v_cvt_f32_f64_e32 v86, v[86:87]
	v_min_f32_e32 v91, v88, v86
	v_add_f64 v[86:87], v[50:51], v[74:75]
	v_add_f64 v[88:89], v[48:49], v[72:73]
	v_cvt_f32_f64_e32 v88, v[88:89]
	v_cvt_f32_f64_e32 v86, v[86:87]
	v_min3_f32 v84, v84, v91, v85
	v_min3_f32 v88, v88, v86, v90
	v_cvt_f64_f32_e32 v[84:85], v84
	v_lshl_add_u64 v[86:87], v[128:129], 3, v[80:81]
	global_store_dwordx2 v[86:87], v[84:85], off
	s_mov_b64 s[2:3], -1
	v_max_f32_e32 v85, v88, v88
	s_mov_b64 vcc, s[8:9]
	s_cbranch_vccz .LBB168_147
; %bb.146:
	v_min_f32_e32 v84, 0, v85
	v_cvt_f64_f32_e32 v[86:87], v84
	v_lshl_add_u64 v[88:89], v[140:141], 3, v[80:81]
	global_store_dwordx2 v[88:89], v[86:87], off
	s_mov_b64 s[2:3], 0
.LBB168_147:
	s_andn2_b64 vcc, exec, s[2:3]
	v_mov_b32_e32 v84, 0
	s_cbranch_vccnz .LBB168_149
; %bb.148:
	v_lshl_add_u64 v[86:87], v[82:83], 0, v[144:145]
	global_load_dwordx2 v[86:87], v[86:87], off
	v_lshl_add_u64 v[88:89], v[80:81], 0, v[144:145]
	s_waitcnt vmcnt(0)
	v_mul_f64 v[86:87], s[16:17], v[86:87]
	v_cvt_f32_f64_e32 v84, v[86:87]
	v_min_f32_e32 v84, v84, v85
	v_cvt_f64_f32_e32 v[84:85], v84
	global_store_dwordx2 v[88:89], v[84:85], off
	v_lshl_add_u64 v[84:85], v[130:131], 3, v[82:83]
	global_load_dwordx2 v[84:85], v[84:85], off
	s_waitcnt vmcnt(0)
	v_mul_f64 v[84:85], s[16:17], v[84:85]
	v_cvt_f32_f64_e32 v84, v[84:85]
.LBB168_149:
	v_add_f64 v[86:87], v[42:43], v[78:79]
	v_add_f64 v[88:89], v[40:41], v[76:77]
	v_cvt_f32_f64_e32 v85, v[88:89]
	v_cvt_f32_f64_e32 v86, v[86:87]
	v_min3_f32 v85, v85, v86, v173
	v_add_f64 v[86:87], v[46:47], v[78:79]
	v_add_f64 v[88:89], v[44:45], v[76:77]
	v_cvt_f32_f64_e32 v88, v[88:89]
	v_cvt_f32_f64_e32 v86, v[86:87]
	v_min3_f32 v90, v88, v86, v172
	v_add_f64 v[86:87], v[38:39], v[74:75]
	v_add_f64 v[88:89], v[36:37], v[72:73]
	v_cvt_f32_f64_e32 v88, v[88:89]
	v_cvt_f32_f64_e32 v86, v[86:87]
	v_min_f32_e32 v91, v88, v86
	v_add_f64 v[86:87], v[34:35], v[74:75]
	v_add_f64 v[88:89], v[32:33], v[72:73]
	v_cvt_f32_f64_e32 v88, v[88:89]
	v_cvt_f32_f64_e32 v86, v[86:87]
	v_min3_f32 v84, v84, v91, v85
	v_min3_f32 v88, v88, v86, v90
	v_cvt_f64_f32_e32 v[84:85], v84
	v_lshl_add_u64 v[86:87], v[130:131], 3, v[80:81]
	global_store_dwordx2 v[86:87], v[84:85], off
	s_mov_b64 s[2:3], -1
	v_max_f32_e32 v85, v88, v88
	s_mov_b64 vcc, s[8:9]
	s_cbranch_vccz .LBB168_151
; %bb.150:
	v_min_f32_e32 v84, 0, v85
	v_cvt_f64_f32_e32 v[86:87], v84
	v_lshl_add_u64 v[88:89], v[142:143], 3, v[80:81]
	global_store_dwordx2 v[88:89], v[86:87], off
	s_mov_b64 s[2:3], 0
.LBB168_151:
	;; [unrolled: 54-line block ×3, first 2 shown]
	s_andn2_b64 vcc, exec, s[2:3]
	v_mov_b32_e32 v84, 0
	s_cbranch_vccnz .LBB168_157
; %bb.156:
	v_lshl_add_u64 v[86:87], v[82:83], 0, v[150:151]
	global_load_dwordx2 v[86:87], v[86:87], off
	v_lshl_add_u64 v[88:89], v[80:81], 0, v[150:151]
	v_lshl_add_u64 v[82:83], v[136:137], 3, v[82:83]
	s_waitcnt vmcnt(0)
	v_mul_f64 v[86:87], s[16:17], v[86:87]
	v_cvt_f32_f64_e32 v84, v[86:87]
	v_min_f32_e32 v84, v84, v85
	v_cvt_f64_f32_e32 v[84:85], v84
	global_store_dwordx2 v[88:89], v[84:85], off
	global_load_dwordx2 v[82:83], v[82:83], off
	s_waitcnt vmcnt(0)
	v_mul_f64 v[82:83], s[16:17], v[82:83]
	v_cvt_f32_f64_e32 v84, v[82:83]
.LBB168_157:
	v_add_f64 v[78:79], v[2:3], v[78:79]
	v_add_f64 v[76:77], v[0:1], v[76:77]
	s_waitcnt lgkmcnt(1)
	v_add_f64 v[70:71], v[70:71], v[6:7]
	v_add_f64 v[68:69], v[68:69], v[4:5]
	v_cvt_f32_f64_e32 v76, v[76:77]
	v_cvt_f32_f64_e32 v77, v[78:79]
	;; [unrolled: 1-line block ×4, first 2 shown]
	v_min3_f32 v76, v76, v77, v169
	v_min3_f32 v77, v68, v69, v168
	v_add_f64 v[68:69], v[10:11], v[74:75]
	v_add_f64 v[70:71], v[8:9], v[72:73]
	v_cvt_f32_f64_e32 v70, v[70:71]
	v_cvt_f32_f64_e32 v68, v[68:69]
	s_waitcnt lgkmcnt(0)
	v_add_f64 v[66:67], v[66:67], v[14:15]
	v_add_f64 v[64:65], v[64:65], v[12:13]
	v_min_f32_e32 v68, v70, v68
	v_cvt_f32_f64_e32 v64, v[64:65]
	v_cvt_f32_f64_e32 v65, v[66:67]
	v_min3_f32 v69, v64, v65, v77
	v_min3_f32 v64, v84, v68, v76
	v_cvt_f64_f32_e32 v[64:65], v64
	v_lshl_add_u64 v[66:67], v[136:137], 3, v[80:81]
	global_store_dwordx2 v[66:67], v[64:65], off
	v_add_u32_e32 v66, 0xe0, v156
	v_mad_i64_i32 v[64:65], s[2:3], v66, s5, 0
	v_lshl_add_u64 v[64:65], v[64:65], 3, s[0:1]
	v_mad_i64_i32 v[66:67], s[0:1], v66, s4, 0
	s_mov_b64 s[0:1], -1
	v_max_f32_e32 v69, v69, v69
	s_mov_b64 vcc, s[8:9]
	s_cbranch_vccz .LBB168_159
; %bb.158:
	v_min_f32_e32 v68, 0, v69
	v_cvt_f64_f32_e32 v[70:71], v68
	v_lshl_add_u64 v[72:73], v[134:135], 3, v[64:65]
	global_store_dwordx2 v[72:73], v[70:71], off
	s_mov_b64 s[0:1], 0
.LBB168_159:
	v_lshl_add_u64 v[66:67], v[66:67], 3, s[10:11]
	s_andn2_b64 vcc, exec, s[0:1]
	v_mov_b32_e32 v68, 0
	s_cbranch_vccnz .LBB168_161
; %bb.160:
	v_lshl_add_u64 v[70:71], v[66:67], 0, v[138:139]
	global_load_dwordx2 v[70:71], v[70:71], off
	v_lshl_add_u64 v[72:73], v[64:65], 0, v[138:139]
	s_waitcnt vmcnt(0)
	v_mul_f64 v[70:71], s[16:17], v[70:71]
	v_cvt_f32_f64_e32 v68, v[70:71]
	v_min_f32_e32 v68, v68, v69
	v_cvt_f64_f32_e32 v[68:69], v68
	global_store_dwordx2 v[72:73], v[68:69], off
	v_lshl_add_u64 v[68:69], v[128:129], 3, v[66:67]
	global_load_dwordx2 v[68:69], v[68:69], off
	s_waitcnt vmcnt(0)
	v_mul_f64 v[68:69], s[16:17], v[68:69]
	v_cvt_f32_f64_e32 v68, v[68:69]
.LBB168_161:
	v_add_f64 v[62:63], v[62:63], v[6:7]
	v_add_f64 v[60:61], v[60:61], v[4:5]
	;; [unrolled: 1-line block ×6, first 2 shown]
	v_cvt_f32_f64_e32 v60, v[60:61]
	v_cvt_f32_f64_e32 v61, v[62:63]
	;; [unrolled: 1-line block ×6, first 2 shown]
	v_add_f64 v[50:51], v[50:51], v[14:15]
	v_add_f64 v[48:49], v[48:49], v[12:13]
	v_min3_f32 v60, v60, v61, v167
	v_min3_f32 v56, v56, v57, v166
	v_min_f32_e32 v52, v52, v53
	v_cvt_f32_f64_e32 v48, v[48:49]
	v_cvt_f32_f64_e32 v49, v[50:51]
	v_min3_f32 v53, v48, v49, v56
	v_min3_f32 v48, v68, v52, v60
	v_cvt_f64_f32_e32 v[48:49], v48
	v_lshl_add_u64 v[50:51], v[128:129], 3, v[64:65]
	global_store_dwordx2 v[50:51], v[48:49], off
	s_mov_b64 s[0:1], -1
	v_max_f32_e32 v49, v53, v53
	s_mov_b64 vcc, s[8:9]
	s_cbranch_vccz .LBB168_163
; %bb.162:
	v_min_f32_e32 v48, 0, v49
	v_cvt_f64_f32_e32 v[50:51], v48
	v_lshl_add_u64 v[52:53], v[140:141], 3, v[64:65]
	global_store_dwordx2 v[52:53], v[50:51], off
	s_mov_b64 s[0:1], 0
.LBB168_163:
	s_andn2_b64 vcc, exec, s[0:1]
	v_mov_b32_e32 v48, 0
	s_cbranch_vccnz .LBB168_165
; %bb.164:
	v_lshl_add_u64 v[50:51], v[66:67], 0, v[144:145]
	global_load_dwordx2 v[50:51], v[50:51], off
	v_lshl_add_u64 v[52:53], v[64:65], 0, v[144:145]
	s_waitcnt vmcnt(0)
	v_mul_f64 v[50:51], s[16:17], v[50:51]
	v_cvt_f32_f64_e32 v48, v[50:51]
	v_min_f32_e32 v48, v48, v49
	v_cvt_f64_f32_e32 v[48:49], v48
	global_store_dwordx2 v[52:53], v[48:49], off
	v_lshl_add_u64 v[48:49], v[130:131], 3, v[66:67]
	global_load_dwordx2 v[48:49], v[48:49], off
	s_waitcnt vmcnt(0)
	v_mul_f64 v[48:49], s[16:17], v[48:49]
	v_cvt_f32_f64_e32 v48, v[48:49]
.LBB168_165:
	v_add_f64 v[42:43], v[42:43], v[6:7]
	v_add_f64 v[40:41], v[40:41], v[4:5]
	v_cvt_f32_f64_e32 v40, v[40:41]
	v_cvt_f32_f64_e32 v41, v[42:43]
	v_min3_f32 v49, v40, v41, v165
	v_add_f64 v[40:41], v[46:47], v[6:7]
	v_add_f64 v[42:43], v[44:45], v[4:5]
	;; [unrolled: 1-line block ×4, first 2 shown]
	v_cvt_f32_f64_e32 v42, v[42:43]
	v_cvt_f32_f64_e32 v40, v[40:41]
	v_cvt_f32_f64_e32 v36, v[36:37]
	v_cvt_f32_f64_e32 v37, v[38:39]
	v_add_f64 v[34:35], v[34:35], v[14:15]
	v_add_f64 v[32:33], v[32:33], v[12:13]
	v_min3_f32 v40, v42, v40, v164
	v_min_f32_e32 v36, v36, v37
	v_cvt_f32_f64_e32 v32, v[32:33]
	v_cvt_f32_f64_e32 v33, v[34:35]
	v_min3_f32 v37, v32, v33, v40
	v_min3_f32 v32, v48, v36, v49
	v_cvt_f64_f32_e32 v[32:33], v32
	v_lshl_add_u64 v[34:35], v[130:131], 3, v[64:65]
	global_store_dwordx2 v[34:35], v[32:33], off
	s_mov_b64 s[0:1], -1
	v_max_f32_e32 v33, v37, v37
	s_mov_b64 vcc, s[8:9]
	s_cbranch_vccz .LBB168_167
; %bb.166:
	v_min_f32_e32 v32, 0, v33
	v_cvt_f64_f32_e32 v[34:35], v32
	v_lshl_add_u64 v[36:37], v[142:143], 3, v[64:65]
	global_store_dwordx2 v[36:37], v[34:35], off
	s_mov_b64 s[0:1], 0
.LBB168_167:
	s_andn2_b64 vcc, exec, s[0:1]
	v_mov_b32_e32 v32, 0
	s_cbranch_vccnz .LBB168_169
; %bb.168:
	v_lshl_add_u64 v[34:35], v[66:67], 0, v[148:149]
	global_load_dwordx2 v[34:35], v[34:35], off
	v_lshl_add_u64 v[36:37], v[64:65], 0, v[148:149]
	s_waitcnt vmcnt(0)
	v_mul_f64 v[34:35], s[16:17], v[34:35]
	v_cvt_f32_f64_e32 v32, v[34:35]
	v_min_f32_e32 v32, v32, v33
	v_cvt_f64_f32_e32 v[32:33], v32
	global_store_dwordx2 v[36:37], v[32:33], off
	v_lshl_add_u64 v[32:33], v[132:133], 3, v[66:67]
	global_load_dwordx2 v[32:33], v[32:33], off
	s_waitcnt vmcnt(0)
	v_mul_f64 v[32:33], s[16:17], v[32:33]
	v_cvt_f32_f64_e32 v32, v[32:33]
.LBB168_169:
	v_add_f64 v[30:31], v[30:31], v[6:7]
	v_add_f64 v[28:29], v[28:29], v[4:5]
	;; [unrolled: 1-line block ×6, first 2 shown]
	v_cvt_f32_f64_e32 v28, v[28:29]
	v_cvt_f32_f64_e32 v29, v[30:31]
	;; [unrolled: 1-line block ×6, first 2 shown]
	v_add_f64 v[18:19], v[18:19], v[14:15]
	v_add_f64 v[16:17], v[16:17], v[12:13]
	v_min3_f32 v28, v28, v29, v162
	v_min3_f32 v24, v24, v25, v161
	v_min_f32_e32 v20, v20, v21
	v_cvt_f32_f64_e32 v16, v[16:17]
	v_cvt_f32_f64_e32 v17, v[18:19]
	v_min3_f32 v21, v16, v17, v24
	v_min3_f32 v16, v32, v20, v28
	v_cvt_f64_f32_e32 v[16:17], v16
	v_lshl_add_u64 v[18:19], v[132:133], 3, v[64:65]
	global_store_dwordx2 v[18:19], v[16:17], off
	s_mov_b64 s[0:1], -1
	v_max_f32_e32 v17, v21, v21
	s_mov_b64 vcc, s[8:9]
	s_cbranch_vccz .LBB168_171
; %bb.170:
	v_min_f32_e32 v16, 0, v17
	v_cvt_f64_f32_e32 v[18:19], v16
	v_lshl_add_u64 v[20:21], v[146:147], 3, v[64:65]
	global_store_dwordx2 v[20:21], v[18:19], off
	s_mov_b64 s[0:1], 0
.LBB168_171:
	s_andn2_b64 vcc, exec, s[0:1]
	v_mov_b32_e32 v16, 0
	s_cbranch_vccnz .LBB168_173
; %bb.172:
	v_lshl_add_u64 v[18:19], v[66:67], 0, v[150:151]
	global_load_dwordx2 v[18:19], v[18:19], off
	v_lshl_add_u64 v[20:21], v[64:65], 0, v[150:151]
	s_waitcnt vmcnt(0)
	v_mul_f64 v[18:19], s[16:17], v[18:19]
	v_cvt_f32_f64_e32 v16, v[18:19]
	v_min_f32_e32 v16, v16, v17
	v_cvt_f64_f32_e32 v[16:17], v16
	global_store_dwordx2 v[20:21], v[16:17], off
	v_lshl_add_u64 v[16:17], v[136:137], 3, v[66:67]
	global_load_dwordx2 v[16:17], v[16:17], off
	s_waitcnt vmcnt(0)
	v_mul_f64 v[16:17], s[16:17], v[16:17]
	v_cvt_f32_f64_e32 v16, v[16:17]
.LBB168_173:
	v_add_f64 v[10:11], v[10:11], v[14:15]
	v_add_f64 v[8:9], v[8:9], v[12:13]
	;; [unrolled: 1-line block ×4, first 2 shown]
	v_cvt_f32_f64_e32 v8, v[8:9]
	v_cvt_f32_f64_e32 v9, v[10:11]
	;; [unrolled: 1-line block ×4, first 2 shown]
	v_min_f32_e32 v8, v8, v9
	v_min3_f32 v0, v0, v1, v160
	v_min3_f32 v0, v16, v8, v0
	v_cvt_f64_f32_e32 v[0:1], v0
	v_lshl_add_u64 v[2:3], v[136:137], 3, v[64:65]
	global_store_dwordx2 v[2:3], v[0:1], off
	s_endpgm
	.section	.rodata,"a",@progbits
	.p2align	6, 0x0
	.amdhsa_kernel _ZN12_GLOBAL__N_120geam_min_plus_kernelId15HIP_vector_typeIdLj2EEdLi8ELi32ELi64ELi256ELi4ELi64ELi4ELi64ELi4ELc78ELc84ELb0ELb0ELb1EPKdS3_dEEviiiT16_PT17_ilS7_ilS5_S7_ilPT18_ili26rocblas_geam_ex_operation_
		.amdhsa_group_segment_fixed_size 20480
		.amdhsa_private_segment_fixed_size 0
		.amdhsa_kernarg_size 136
		.amdhsa_user_sgpr_count 2
		.amdhsa_user_sgpr_dispatch_ptr 0
		.amdhsa_user_sgpr_queue_ptr 0
		.amdhsa_user_sgpr_kernarg_segment_ptr 1
		.amdhsa_user_sgpr_dispatch_id 0
		.amdhsa_user_sgpr_kernarg_preload_length 0
		.amdhsa_user_sgpr_kernarg_preload_offset 0
		.amdhsa_user_sgpr_private_segment_size 0
		.amdhsa_uses_dynamic_stack 0
		.amdhsa_enable_private_segment 0
		.amdhsa_system_sgpr_workgroup_id_x 1
		.amdhsa_system_sgpr_workgroup_id_y 0
		.amdhsa_system_sgpr_workgroup_id_z 1
		.amdhsa_system_sgpr_workgroup_info 0
		.amdhsa_system_vgpr_workitem_id 1
		.amdhsa_next_free_vgpr 234
		.amdhsa_next_free_sgpr 36
		.amdhsa_accum_offset 236
		.amdhsa_reserve_vcc 1
		.amdhsa_float_round_mode_32 0
		.amdhsa_float_round_mode_16_64 0
		.amdhsa_float_denorm_mode_32 3
		.amdhsa_float_denorm_mode_16_64 3
		.amdhsa_dx10_clamp 1
		.amdhsa_ieee_mode 1
		.amdhsa_fp16_overflow 0
		.amdhsa_tg_split 0
		.amdhsa_exception_fp_ieee_invalid_op 0
		.amdhsa_exception_fp_denorm_src 0
		.amdhsa_exception_fp_ieee_div_zero 0
		.amdhsa_exception_fp_ieee_overflow 0
		.amdhsa_exception_fp_ieee_underflow 0
		.amdhsa_exception_fp_ieee_inexact 0
		.amdhsa_exception_int_div_zero 0
	.end_amdhsa_kernel
	.section	.text._ZN12_GLOBAL__N_120geam_min_plus_kernelId15HIP_vector_typeIdLj2EEdLi8ELi32ELi64ELi256ELi4ELi64ELi4ELi64ELi4ELc78ELc84ELb0ELb0ELb1EPKdS3_dEEviiiT16_PT17_ilS7_ilS5_S7_ilPT18_ili26rocblas_geam_ex_operation_,"axG",@progbits,_ZN12_GLOBAL__N_120geam_min_plus_kernelId15HIP_vector_typeIdLj2EEdLi8ELi32ELi64ELi256ELi4ELi64ELi4ELi64ELi4ELc78ELc84ELb0ELb0ELb1EPKdS3_dEEviiiT16_PT17_ilS7_ilS5_S7_ilPT18_ili26rocblas_geam_ex_operation_,comdat
.Lfunc_end168:
	.size	_ZN12_GLOBAL__N_120geam_min_plus_kernelId15HIP_vector_typeIdLj2EEdLi8ELi32ELi64ELi256ELi4ELi64ELi4ELi64ELi4ELc78ELc84ELb0ELb0ELb1EPKdS3_dEEviiiT16_PT17_ilS7_ilS5_S7_ilPT18_ili26rocblas_geam_ex_operation_, .Lfunc_end168-_ZN12_GLOBAL__N_120geam_min_plus_kernelId15HIP_vector_typeIdLj2EEdLi8ELi32ELi64ELi256ELi4ELi64ELi4ELi64ELi4ELc78ELc84ELb0ELb0ELb1EPKdS3_dEEviiiT16_PT17_ilS7_ilS5_S7_ilPT18_ili26rocblas_geam_ex_operation_
                                        ; -- End function
	.set _ZN12_GLOBAL__N_120geam_min_plus_kernelId15HIP_vector_typeIdLj2EEdLi8ELi32ELi64ELi256ELi4ELi64ELi4ELi64ELi4ELc78ELc84ELb0ELb0ELb1EPKdS3_dEEviiiT16_PT17_ilS7_ilS5_S7_ilPT18_ili26rocblas_geam_ex_operation_.num_vgpr, 234
	.set _ZN12_GLOBAL__N_120geam_min_plus_kernelId15HIP_vector_typeIdLj2EEdLi8ELi32ELi64ELi256ELi4ELi64ELi4ELi64ELi4ELc78ELc84ELb0ELb0ELb1EPKdS3_dEEviiiT16_PT17_ilS7_ilS5_S7_ilPT18_ili26rocblas_geam_ex_operation_.num_agpr, 0
	.set _ZN12_GLOBAL__N_120geam_min_plus_kernelId15HIP_vector_typeIdLj2EEdLi8ELi32ELi64ELi256ELi4ELi64ELi4ELi64ELi4ELc78ELc84ELb0ELb0ELb1EPKdS3_dEEviiiT16_PT17_ilS7_ilS5_S7_ilPT18_ili26rocblas_geam_ex_operation_.numbered_sgpr, 36
	.set _ZN12_GLOBAL__N_120geam_min_plus_kernelId15HIP_vector_typeIdLj2EEdLi8ELi32ELi64ELi256ELi4ELi64ELi4ELi64ELi4ELc78ELc84ELb0ELb0ELb1EPKdS3_dEEviiiT16_PT17_ilS7_ilS5_S7_ilPT18_ili26rocblas_geam_ex_operation_.num_named_barrier, 0
	.set _ZN12_GLOBAL__N_120geam_min_plus_kernelId15HIP_vector_typeIdLj2EEdLi8ELi32ELi64ELi256ELi4ELi64ELi4ELi64ELi4ELc78ELc84ELb0ELb0ELb1EPKdS3_dEEviiiT16_PT17_ilS7_ilS5_S7_ilPT18_ili26rocblas_geam_ex_operation_.private_seg_size, 0
	.set _ZN12_GLOBAL__N_120geam_min_plus_kernelId15HIP_vector_typeIdLj2EEdLi8ELi32ELi64ELi256ELi4ELi64ELi4ELi64ELi4ELc78ELc84ELb0ELb0ELb1EPKdS3_dEEviiiT16_PT17_ilS7_ilS5_S7_ilPT18_ili26rocblas_geam_ex_operation_.uses_vcc, 1
	.set _ZN12_GLOBAL__N_120geam_min_plus_kernelId15HIP_vector_typeIdLj2EEdLi8ELi32ELi64ELi256ELi4ELi64ELi4ELi64ELi4ELc78ELc84ELb0ELb0ELb1EPKdS3_dEEviiiT16_PT17_ilS7_ilS5_S7_ilPT18_ili26rocblas_geam_ex_operation_.uses_flat_scratch, 0
	.set _ZN12_GLOBAL__N_120geam_min_plus_kernelId15HIP_vector_typeIdLj2EEdLi8ELi32ELi64ELi256ELi4ELi64ELi4ELi64ELi4ELc78ELc84ELb0ELb0ELb1EPKdS3_dEEviiiT16_PT17_ilS7_ilS5_S7_ilPT18_ili26rocblas_geam_ex_operation_.has_dyn_sized_stack, 0
	.set _ZN12_GLOBAL__N_120geam_min_plus_kernelId15HIP_vector_typeIdLj2EEdLi8ELi32ELi64ELi256ELi4ELi64ELi4ELi64ELi4ELc78ELc84ELb0ELb0ELb1EPKdS3_dEEviiiT16_PT17_ilS7_ilS5_S7_ilPT18_ili26rocblas_geam_ex_operation_.has_recursion, 0
	.set _ZN12_GLOBAL__N_120geam_min_plus_kernelId15HIP_vector_typeIdLj2EEdLi8ELi32ELi64ELi256ELi4ELi64ELi4ELi64ELi4ELc78ELc84ELb0ELb0ELb1EPKdS3_dEEviiiT16_PT17_ilS7_ilS5_S7_ilPT18_ili26rocblas_geam_ex_operation_.has_indirect_call, 0
	.section	.AMDGPU.csdata,"",@progbits
; Kernel info:
; codeLenInByte = 25280
; TotalNumSgprs: 42
; NumVgprs: 234
; NumAgprs: 0
; TotalNumVgprs: 234
; ScratchSize: 0
; MemoryBound: 0
; FloatMode: 240
; IeeeMode: 1
; LDSByteSize: 20480 bytes/workgroup (compile time only)
; SGPRBlocks: 5
; VGPRBlocks: 29
; NumSGPRsForWavesPerEU: 42
; NumVGPRsForWavesPerEU: 234
; AccumOffset: 236
; Occupancy: 2
; WaveLimiterHint : 1
; COMPUTE_PGM_RSRC2:SCRATCH_EN: 0
; COMPUTE_PGM_RSRC2:USER_SGPR: 2
; COMPUTE_PGM_RSRC2:TRAP_HANDLER: 0
; COMPUTE_PGM_RSRC2:TGID_X_EN: 1
; COMPUTE_PGM_RSRC2:TGID_Y_EN: 0
; COMPUTE_PGM_RSRC2:TGID_Z_EN: 1
; COMPUTE_PGM_RSRC2:TIDIG_COMP_CNT: 1
; COMPUTE_PGM_RSRC3_GFX90A:ACCUM_OFFSET: 58
; COMPUTE_PGM_RSRC3_GFX90A:TG_SPLIT: 0
	.section	.text._ZN12_GLOBAL__N_120geam_min_plus_kernelId15HIP_vector_typeIdLj2EEdLi8ELi32ELi64ELi256ELi4ELi64ELi4ELi64ELi4ELc78ELc84ELb1ELb0ELb1EdKddEEviiiT16_PT17_ilS6_ilS4_S6_ilPT18_ili26rocblas_geam_ex_operation_,"axG",@progbits,_ZN12_GLOBAL__N_120geam_min_plus_kernelId15HIP_vector_typeIdLj2EEdLi8ELi32ELi64ELi256ELi4ELi64ELi4ELi64ELi4ELc78ELc84ELb1ELb0ELb1EdKddEEviiiT16_PT17_ilS6_ilS4_S6_ilPT18_ili26rocblas_geam_ex_operation_,comdat
	.globl	_ZN12_GLOBAL__N_120geam_min_plus_kernelId15HIP_vector_typeIdLj2EEdLi8ELi32ELi64ELi256ELi4ELi64ELi4ELi64ELi4ELc78ELc84ELb1ELb0ELb1EdKddEEviiiT16_PT17_ilS6_ilS4_S6_ilPT18_ili26rocblas_geam_ex_operation_ ; -- Begin function _ZN12_GLOBAL__N_120geam_min_plus_kernelId15HIP_vector_typeIdLj2EEdLi8ELi32ELi64ELi256ELi4ELi64ELi4ELi64ELi4ELc78ELc84ELb1ELb0ELb1EdKddEEviiiT16_PT17_ilS6_ilS4_S6_ilPT18_ili26rocblas_geam_ex_operation_
	.p2align	8
	.type	_ZN12_GLOBAL__N_120geam_min_plus_kernelId15HIP_vector_typeIdLj2EEdLi8ELi32ELi64ELi256ELi4ELi64ELi4ELi64ELi4ELc78ELc84ELb1ELb0ELb1EdKddEEviiiT16_PT17_ilS6_ilS4_S6_ilPT18_ili26rocblas_geam_ex_operation_,@function
_ZN12_GLOBAL__N_120geam_min_plus_kernelId15HIP_vector_typeIdLj2EEdLi8ELi32ELi64ELi256ELi4ELi64ELi4ELi64ELi4ELc78ELc84ELb1ELb0ELb1EdKddEEviiiT16_PT17_ilS6_ilS4_S6_ilPT18_ili26rocblas_geam_ex_operation_: ; @_ZN12_GLOBAL__N_120geam_min_plus_kernelId15HIP_vector_typeIdLj2EEdLi8ELi32ELi64ELi256ELi4ELi64ELi4ELi64ELi4ELc78ELc84ELb1ELb0ELb1EdKddEEviiiT16_PT17_ilS6_ilS4_S6_ilPT18_ili26rocblas_geam_ex_operation_
; %bb.0:
	s_load_dwordx4 s[4:7], s[0:1], 0x10
	s_load_dwordx4 s[8:11], s[0:1], 0x28
	s_mov_b64 s[14:15], 0
	s_waitcnt lgkmcnt(0)
	v_cmp_eq_f64_e64 s[12:13], s[4:5], 0
	s_and_b64 vcc, exec, s[12:13]
	s_cbranch_vccnz .LBB169_2
; %bb.1:
	s_mul_i32 s4, s9, s3
	s_mul_hi_u32 s5, s8, s3
	s_add_i32 s5, s5, s4
	s_mul_i32 s4, s8, s3
	s_lshl_b64 s[4:5], s[4:5], 3
	s_add_u32 s14, s6, s4
	s_addc_u32 s15, s7, s5
.LBB169_2:
	s_load_dwordx4 s[4:7], s[0:1], 0x40
	s_load_dwordx2 s[18:19], s[0:1], 0x50
	s_andn2_b64 vcc, exec, s[12:13]
	s_mov_b64 s[8:9], -1
	s_cbranch_vccnz .LBB169_4
; %bb.3:
	s_mov_b64 s[8:9], 0
.LBB169_4:
	s_mov_b64 s[12:13], 0
	s_andn2_b64 vcc, exec, s[8:9]
	s_mov_b64 s[16:17], 0
	s_cbranch_vccnz .LBB169_6
; %bb.5:
	s_waitcnt lgkmcnt(0)
	s_mul_i32 s5, s5, s3
	s_mul_hi_u32 s8, s4, s3
	s_add_i32 s5, s8, s5
	s_mul_i32 s4, s4, s3
	s_lshl_b64 s[4:5], s[4:5], 3
	s_add_u32 s16, s10, s4
	s_addc_u32 s17, s11, s5
.LBB169_6:
	s_load_dwordx4 s[8:11], s[0:1], 0x60
	s_waitcnt lgkmcnt(0)
	v_cmp_eq_f64_e64 s[4:5], s[6:7], 0
	s_and_b64 s[4:5], exec, s[4:5]
	s_mov_b64 vcc, s[4:5]
	s_cbranch_vccnz .LBB169_8
; %bb.7:
	s_mul_i32 s9, s9, s3
	s_mul_hi_u32 s12, s8, s3
	s_add_i32 s9, s12, s9
	s_mul_i32 s8, s8, s3
	s_lshl_b64 s[8:9], s[8:9], 3
	s_add_u32 s12, s18, s8
	s_addc_u32 s13, s19, s9
.LBB169_8:
	s_load_dword s8, s[0:1], 0x0
	s_load_dword s18, s[0:1], 0x38
	;; [unrolled: 1-line block ×3, first 2 shown]
	v_and_b32_e32 v114, 0x3ff, v0
	v_bfe_u32 v115, v0, 10, 10
	s_waitcnt lgkmcnt(0)
	s_add_i32 s8, s8, -1
	s_ashr_i32 s9, s8, 31
	s_lshr_b32 s9, s9, 26
	s_add_i32 s8, s8, s9
	s_ashr_i32 s19, s8, 6
	s_add_i32 s21, s19, 1
	v_cvt_f32_u32_e32 v1, s21
	s_load_dword s20, s[0:1], 0x20
	v_lshlrev_b32_e32 v116, 5, v114
	v_lshlrev_b32_e32 v130, 5, v115
	v_rcp_iflag_f32_e32 v0, v1
	v_lshl_add_u32 v1, v115, 3, v114
	v_lshrrev_b32_e32 v118, 6, v1
	v_and_b32_e32 v16, 63, v1
	v_mul_f32_e32 v0, 0x4f7ffffe, v0
	v_cvt_u32_f32_e32 v2, v0
	s_waitcnt lgkmcnt(0)
	v_mad_i64_i32 v[0:1], s[8:9], s20, v118, 0
	s_not_b32 s8, s19
	v_readfirstlane_b32 s9, v2
	s_mul_i32 s8, s8, s9
	s_mul_hi_u32 s8, s9, s8
	s_add_i32 s9, s9, s8
	s_mul_hi_u32 s8, s2, s9
	s_mul_i32 s9, s8, s21
	s_sub_i32 s9, s2, s9
	s_add_i32 s19, s8, 1
	s_sub_i32 s22, s9, s21
	s_cmp_ge_u32 s9, s21
	s_cselect_b32 s8, s19, s8
	s_cselect_b32 s9, s22, s9
	s_add_i32 s19, s8, 1
	s_cmp_ge_u32 s9, s21
	s_cselect_b32 s8, s19, s8
	s_mul_i32 s9, s8, s21
	s_lshl_b32 s22, s8, 8
	s_sub_i32 s2, s2, s9
	s_lshl_b32 s2, s2, 6
	v_or_b32_e32 v4, s22, v16
	v_or_b32_e32 v102, s2, v16
	v_mad_i64_i32 v[6:7], s[8:9], s18, v118, 0
	v_ashrrev_i32_e32 v5, 31, v4
	v_ashrrev_i32_e32 v103, 31, v102
	v_lshl_add_u64 v[6:7], v[6:7], 3, s[16:17]
	v_lshlrev_b64 v[100:101], 3, v[4:5]
	v_lshl_add_u64 v[0:1], v[0:1], 3, s[14:15]
	v_lshlrev_b64 v[2:3], 3, v[102:103]
	v_lshl_add_u64 v[4:5], v[6:7], 0, v[100:101]
	v_lshl_add_u64 v[0:1], v[0:1], 0, v[2:3]
	global_load_dwordx2 v[6:7], v[4:5], off
	global_load_dwordx2 v[8:9], v[4:5], off offset:512
	global_load_dwordx2 v[10:11], v[4:5], off offset:1024
	;; [unrolled: 1-line block ×3, first 2 shown]
	global_load_dwordx2 v[14:15], v[0:1], off
	v_add_u32_e32 v4, 4, v118
	v_lshlrev_b32_e32 v0, 5, v16
	v_lshl_add_u32 v117, v118, 3, v0
	v_mad_i64_i32 v[0:1], s[24:25], s20, v4, 0
	v_mad_i64_i32 v[4:5], s[24:25], s18, v4, 0
	v_lshl_add_u64 v[0:1], v[0:1], 3, s[14:15]
	v_lshl_add_u64 v[4:5], v[4:5], 3, s[16:17]
	;; [unrolled: 1-line block ×4, first 2 shown]
	global_load_dwordx2 v[104:105], v[4:5], off
	global_load_dwordx2 v[108:109], v[4:5], off offset:512
	global_load_dwordx2 v[106:107], v[4:5], off offset:1024
	;; [unrolled: 1-line block ×3, first 2 shown]
	global_load_dwordx2 v[112:113], v[0:1], off
	s_mov_b32 s8, 0x7f800000
	s_cmp_lt_i32 s23, 9
	s_waitcnt vmcnt(8)
	ds_write2st64_b64 v117, v[6:7], v[8:9] offset1:4
	s_waitcnt vmcnt(6)
	ds_write2st64_b64 v117, v[10:11], v[12:13] offset0:8 offset1:12
	s_waitcnt vmcnt(5)
	ds_write_b64 v117, v[14:15] offset:16384
	s_waitcnt lgkmcnt(0)
	s_barrier
	ds_read_b128 v[8:11], v116 offset:18176
	ds_read_b128 v[72:75], v130 offset:1024
	;; [unrolled: 1-line block ×10, first 2 shown]
	ds_read_b128 v[76:79], v130
	ds_read_b128 v[4:7], v130 offset:16
	ds_read_b128 v[16:19], v116 offset:16640
	;; [unrolled: 1-line block ×13, first 2 shown]
	s_waitcnt lgkmcnt(13)
	v_add_f64 v[60:61], v[22:23], v[78:79]
	v_add_f64 v[62:63], v[20:21], v[76:77]
	s_waitcnt lgkmcnt(11)
	v_add_f64 v[120:121], v[18:19], v[78:79]
	v_add_f64 v[122:123], v[16:17], v[76:77]
	;; [unrolled: 3-line block ×5, first 2 shown]
	v_cvt_f32_f64_e32 v62, v[62:63]
	v_cvt_f32_f64_e32 v60, v[60:61]
	;; [unrolled: 1-line block ×10, first 2 shown]
	v_min3_f32 v172, v119, v120, s8
	v_min3_f32 v173, v121, v122, s8
	;; [unrolled: 1-line block ×3, first 2 shown]
	v_add_f64 v[120:121], v[22:23], v[74:75]
	v_add_f64 v[122:123], v[20:21], v[72:73]
	v_cvt_f32_f64_e32 v119, v[122:123]
	v_cvt_f32_f64_e32 v120, v[120:121]
	v_min3_f32 v178, v119, v120, s8
	v_add_f64 v[120:121], v[18:19], v[74:75]
	v_add_f64 v[122:123], v[16:17], v[72:73]
	v_cvt_f32_f64_e32 v119, v[122:123]
	v_cvt_f32_f64_e32 v120, v[120:121]
	v_min3_f32 v179, v119, v120, s8
	;; [unrolled: 5-line block ×5, first 2 shown]
	s_waitcnt lgkmcnt(3)
	v_add_f64 v[120:121], v[94:95], v[74:75]
	v_add_f64 v[122:123], v[92:93], v[72:73]
	v_cvt_f32_f64_e32 v119, v[122:123]
	v_cvt_f32_f64_e32 v120, v[120:121]
	v_min3_f32 v166, v119, v120, s8
	s_waitcnt lgkmcnt(1)
	v_add_f64 v[120:121], v[98:99], v[74:75]
	v_add_f64 v[122:123], v[96:97], v[72:73]
	v_cvt_f32_f64_e32 v119, v[122:123]
	v_cvt_f32_f64_e32 v120, v[120:121]
	v_min3_f32 v164, v119, v120, s8
	v_add_f64 v[120:121], v[22:23], v[70:71]
	v_add_f64 v[122:123], v[20:21], v[68:69]
	v_cvt_f32_f64_e32 v119, v[122:123]
	v_cvt_f32_f64_e32 v120, v[120:121]
	v_min3_f32 v169, v119, v120, s8
	v_add_f64 v[120:121], v[18:19], v[70:71]
	v_add_f64 v[122:123], v[16:17], v[68:69]
	v_cvt_f32_f64_e32 v119, v[122:123]
	v_cvt_f32_f64_e32 v120, v[120:121]
	v_min3_f32 v167, v119, v120, s8
	v_add_f64 v[120:121], v[86:87], v[70:71]
	v_add_f64 v[122:123], v[84:85], v[68:69]
	v_cvt_f32_f64_e32 v119, v[122:123]
	v_cvt_f32_f64_e32 v120, v[120:121]
	v_min3_f32 v165, v119, v120, s8
	v_add_f64 v[120:121], v[82:83], v[70:71]
	v_add_f64 v[122:123], v[80:81], v[68:69]
	v_cvt_f32_f64_e32 v119, v[122:123]
	v_cvt_f32_f64_e32 v120, v[120:121]
	v_min3_f32 v163, v119, v120, s8
	v_add_f64 v[120:121], v[90:91], v[70:71]
	v_add_f64 v[122:123], v[88:89], v[68:69]
	v_cvt_f32_f64_e32 v119, v[122:123]
	v_cvt_f32_f64_e32 v120, v[120:121]
	v_min3_f32 v160, v119, v120, s8
	v_add_f64 v[120:121], v[94:95], v[70:71]
	v_add_f64 v[122:123], v[92:93], v[68:69]
	v_cvt_f32_f64_e32 v119, v[122:123]
	v_cvt_f32_f64_e32 v120, v[120:121]
	v_min3_f32 v158, v119, v120, s8
	v_add_f64 v[120:121], v[98:99], v[70:71]
	v_add_f64 v[122:123], v[96:97], v[68:69]
	v_cvt_f32_f64_e32 v119, v[122:123]
	v_cvt_f32_f64_e32 v120, v[120:121]
	v_min3_f32 v156, v119, v120, s8
	v_add_f64 v[120:121], v[22:23], v[66:67]
	v_add_f64 v[122:123], v[20:21], v[64:65]
	v_cvt_f32_f64_e32 v119, v[122:123]
	v_cvt_f32_f64_e32 v120, v[120:121]
	v_min3_f32 v162, v119, v120, s8
	v_add_f64 v[120:121], v[18:19], v[66:67]
	v_add_f64 v[122:123], v[16:17], v[64:65]
	v_cvt_f32_f64_e32 v119, v[122:123]
	v_cvt_f32_f64_e32 v120, v[120:121]
	v_min3_f32 v159, v119, v120, s8
	v_add_f64 v[120:121], v[86:87], v[66:67]
	v_add_f64 v[122:123], v[84:85], v[64:65]
	v_cvt_f32_f64_e32 v119, v[122:123]
	v_cvt_f32_f64_e32 v120, v[120:121]
	v_min3_f32 v157, v119, v120, s8
	v_add_f64 v[120:121], v[82:83], v[66:67]
	v_add_f64 v[122:123], v[80:81], v[64:65]
	v_cvt_f32_f64_e32 v119, v[122:123]
	v_cvt_f32_f64_e32 v120, v[120:121]
	v_min3_f32 v155, v119, v120, s8
	v_add_f64 v[120:121], v[90:91], v[66:67]
	v_add_f64 v[122:123], v[88:89], v[64:65]
	v_cvt_f32_f64_e32 v119, v[122:123]
	v_cvt_f32_f64_e32 v120, v[120:121]
	v_min3_f32 v152, v119, v120, s8
	v_add_f64 v[120:121], v[94:95], v[66:67]
	v_add_f64 v[122:123], v[92:93], v[64:65]
	v_cvt_f32_f64_e32 v119, v[122:123]
	v_cvt_f32_f64_e32 v120, v[120:121]
	v_min3_f32 v150, v119, v120, s8
	v_add_f64 v[120:121], v[98:99], v[66:67]
	v_add_f64 v[122:123], v[96:97], v[64:65]
	v_cvt_f32_f64_e32 v119, v[122:123]
	v_cvt_f32_f64_e32 v120, v[120:121]
	v_min3_f32 v148, v119, v120, s8
	v_add_f64 v[120:121], v[22:23], v[34:35]
	v_add_f64 v[122:123], v[20:21], v[32:33]
	v_cvt_f32_f64_e32 v119, v[122:123]
	v_cvt_f32_f64_e32 v120, v[120:121]
	v_min3_f32 v154, v119, v120, s8
	v_add_f64 v[120:121], v[18:19], v[34:35]
	v_add_f64 v[122:123], v[16:17], v[32:33]
	v_cvt_f32_f64_e32 v119, v[122:123]
	v_cvt_f32_f64_e32 v120, v[120:121]
	v_min3_f32 v151, v119, v120, s8
	v_add_f64 v[120:121], v[86:87], v[34:35]
	v_add_f64 v[122:123], v[84:85], v[32:33]
	v_cvt_f32_f64_e32 v119, v[122:123]
	v_cvt_f32_f64_e32 v120, v[120:121]
	v_min3_f32 v149, v119, v120, s8
	v_add_f64 v[120:121], v[82:83], v[34:35]
	v_add_f64 v[122:123], v[80:81], v[32:33]
	v_cvt_f32_f64_e32 v119, v[122:123]
	v_cvt_f32_f64_e32 v120, v[120:121]
	v_min3_f32 v147, v119, v120, s8
	v_add_f64 v[120:121], v[90:91], v[34:35]
	v_add_f64 v[122:123], v[88:89], v[32:33]
	v_cvt_f32_f64_e32 v119, v[122:123]
	v_cvt_f32_f64_e32 v120, v[120:121]
	v_add_f64 v[140:141], v[92:93], v[76:77]
	v_min3_f32 v144, v119, v120, s8
	v_add_f64 v[120:121], v[94:95], v[34:35]
	v_add_f64 v[122:123], v[92:93], v[32:33]
	;; [unrolled: 1-line block ×3, first 2 shown]
	v_cvt_f32_f64_e32 v125, v[140:141]
	v_min3_f32 v131, v62, v60, s8
	v_min3_f32 v140, v61, v63, s8
	v_add_f64 v[60:61], v[96:97], v[76:77]
	v_cvt_f32_f64_e32 v119, v[122:123]
	v_cvt_f32_f64_e32 v120, v[120:121]
	;; [unrolled: 1-line block ×4, first 2 shown]
	v_min3_f32 v142, v119, v120, s8
	v_add_f64 v[120:121], v[98:99], v[34:35]
	v_add_f64 v[122:123], v[96:97], v[32:33]
	;; [unrolled: 1-line block ×3, first 2 shown]
	v_cvt_f32_f64_e32 v119, v[122:123]
	v_cvt_f32_f64_e32 v120, v[120:121]
	;; [unrolled: 1-line block ×3, first 2 shown]
	v_min3_f32 v139, v119, v120, s8
	v_add_f64 v[120:121], v[22:23], v[30:31]
	v_add_f64 v[122:123], v[20:21], v[28:29]
	v_cvt_f32_f64_e32 v119, v[122:123]
	v_cvt_f32_f64_e32 v120, v[120:121]
	v_min3_f32 v146, v119, v120, s8
	v_add_f64 v[120:121], v[18:19], v[30:31]
	v_add_f64 v[122:123], v[16:17], v[28:29]
	v_cvt_f32_f64_e32 v119, v[122:123]
	v_cvt_f32_f64_e32 v120, v[120:121]
	;; [unrolled: 5-line block ×7, first 2 shown]
	v_min3_f32 v175, v125, v126, s8
	v_min3_f32 v125, v119, v120, s8
	v_add_f64 v[120:121], v[22:23], v[26:27]
	v_add_f64 v[132:133], v[20:21], v[24:25]
	v_cvt_f32_f64_e32 v119, v[132:133]
	v_cvt_f32_f64_e32 v120, v[120:121]
	v_min3_f32 v135, v119, v120, s8
	v_add_f64 v[120:121], v[18:19], v[26:27]
	v_add_f64 v[132:133], v[16:17], v[24:25]
	v_cvt_f32_f64_e32 v119, v[132:133]
	v_cvt_f32_f64_e32 v120, v[120:121]
	;; [unrolled: 5-line block ×3, first 2 shown]
	v_add_f64 v[22:23], v[22:23], v[14:15]
	v_add_f64 v[20:21], v[20:21], v[12:13]
	;; [unrolled: 1-line block ×4, first 2 shown]
	v_min3_f32 v126, v119, v120, s8
	v_add_f64 v[120:121], v[82:83], v[26:27]
	v_add_f64 v[132:133], v[80:81], v[24:25]
	v_cvt_f32_f64_e32 v20, v[20:21]
	v_cvt_f32_f64_e32 v21, v[22:23]
	v_cvt_f32_f64_e32 v16, v[16:17]
	v_cvt_f32_f64_e32 v17, v[18:19]
	v_cvt_f32_f64_e32 v119, v[132:133]
	v_cvt_f32_f64_e32 v120, v[120:121]
	v_min3_f32 v22, v20, v21, s8
	v_min3_f32 v21, v16, v17, s8
	v_add_f64 v[16:17], v[86:87], v[14:15]
	v_add_f64 v[18:19], v[84:85], v[12:13]
	v_min3_f32 v124, v119, v120, s8
	v_add_f64 v[120:121], v[90:91], v[26:27]
	v_add_f64 v[132:133], v[88:89], v[24:25]
	v_cvt_f32_f64_e32 v18, v[18:19]
	v_cvt_f32_f64_e32 v16, v[16:17]
	;; [unrolled: 1-line block ×4, first 2 shown]
	v_add_f64 v[132:133], v[92:93], v[24:25]
	v_min3_f32 v20, v18, v16, s8
	v_add_f64 v[16:17], v[82:83], v[14:15]
	v_add_f64 v[18:19], v[80:81], v[12:13]
	;; [unrolled: 1-line block ×14, first 2 shown]
	v_min3_f32 v122, v119, v120, s8
	v_add_f64 v[120:121], v[94:95], v[26:27]
	v_cvt_f32_f64_e32 v119, v[132:133]
	v_add_f64 v[132:133], v[98:99], v[26:27]
	v_add_f64 v[136:137], v[96:97], v[24:25]
	;; [unrolled: 1-line block ×4, first 2 shown]
	v_cvt_f32_f64_e32 v18, v[18:19]
	v_cvt_f32_f64_e32 v16, v[16:17]
	v_add_f64 v[80:81], v[88:89], v[12:13]
	v_add_f64 v[10:11], v[10:11], v[14:15]
	;; [unrolled: 1-line block ×3, first 2 shown]
	v_min3_f32 v19, v18, v16, s8
	v_cvt_f32_f64_e32 v18, v[80:81]
	v_add_f64 v[80:81], v[92:93], v[12:13]
	v_add_f64 v[82:83], v[96:97], v[12:13]
	v_cvt_f32_f64_e32 v8, v[8:9]
	v_cvt_f32_f64_e32 v9, v[10:11]
	v_add_f64 v[10:11], v[2:3], v[6:7]
	v_add_f64 v[12:13], v[0:1], v[4:5]
	v_min3_f32 v8, v8, v9, s8
	v_cvt_f32_f64_e32 v9, v[12:13]
	v_cvt_f32_f64_e32 v10, v[10:11]
	v_add_f64 v[16:17], v[90:91], v[14:15]
	v_min3_f32 v90, v9, v10, v131
	v_add_f64 v[10:11], v[58:59], v[6:7]
	v_add_f64 v[12:13], v[56:57], v[4:5]
	v_cvt_f32_f64_e32 v9, v[12:13]
	v_cvt_f32_f64_e32 v10, v[10:11]
	v_min3_f32 v131, v9, v10, v140
	v_add_f64 v[10:11], v[50:51], v[6:7]
	v_add_f64 v[12:13], v[48:49], v[4:5]
	v_cvt_f32_f64_e32 v9, v[12:13]
	v_cvt_f32_f64_e32 v10, v[10:11]
	v_min3_f32 v140, v9, v10, v172
	v_add_f64 v[10:11], v[54:55], v[6:7]
	v_add_f64 v[12:13], v[52:53], v[4:5]
	v_min3_f32 v176, v60, v61, s8
	ds_read_b128 v[60:63], v116 offset:18192
	v_cvt_f32_f64_e32 v120, v[120:121]
	v_cvt_f32_f64_e32 v9, v[12:13]
	;; [unrolled: 1-line block ×5, first 2 shown]
	v_min3_f32 v121, v119, v120, s8
	v_cvt_f32_f64_e32 v120, v[132:133]
	v_min3_f32 v132, v9, v10, v173
	v_add_f64 v[10:11], v[46:47], v[6:7]
	v_add_f64 v[12:13], v[44:45], v[4:5]
	v_min3_f32 v177, v76, v77, s8
	ds_read_b128 v[76:79], v130 offset:1040
	v_cvt_f32_f64_e32 v9, v[12:13]
	v_cvt_f32_f64_e32 v10, v[10:11]
	v_min3_f32 v133, v9, v10, v174
	v_add_f64 v[10:11], v[42:43], v[6:7]
	v_add_f64 v[12:13], v[40:41], v[4:5]
	v_cvt_f32_f64_e32 v9, v[12:13]
	v_cvt_f32_f64_e32 v10, v[10:11]
	;; [unrolled: 1-line block ×3, first 2 shown]
	v_min3_f32 v136, v9, v10, v175
	s_waitcnt lgkmcnt(2)
	v_add_f64 v[10:11], v[38:39], v[6:7]
	v_add_f64 v[12:13], v[36:37], v[4:5]
	s_waitcnt lgkmcnt(1)
	v_add_f64 v[6:7], v[62:63], v[6:7]
	v_add_f64 v[4:5], v[60:61], v[4:5]
	v_cvt_f32_f64_e32 v4, v[4:5]
	v_cvt_f32_f64_e32 v5, v[6:7]
	v_min3_f32 v211, v4, v5, v177
	s_waitcnt lgkmcnt(0)
	v_add_f64 v[4:5], v[2:3], v[78:79]
	v_add_f64 v[6:7], v[0:1], v[76:77]
	v_cvt_f32_f64_e32 v6, v[6:7]
	v_cvt_f32_f64_e32 v4, v[4:5]
	v_min3_f32 v212, v6, v4, v178
	v_add_f64 v[4:5], v[58:59], v[78:79]
	v_add_f64 v[6:7], v[56:57], v[76:77]
	v_cvt_f32_f64_e32 v6, v[6:7]
	v_cvt_f32_f64_e32 v4, v[4:5]
	v_min3_f32 v209, v6, v4, v179
	;; [unrolled: 5-line block ×4, first 2 shown]
	v_add_f64 v[4:5], v[46:47], v[78:79]
	v_add_f64 v[6:7], v[44:45], v[76:77]
	v_cvt_f32_f64_e32 v6, v[6:7]
	v_cvt_f32_f64_e32 v4, v[4:5]
	;; [unrolled: 1-line block ×4, first 2 shown]
	v_min3_f32 v208, v6, v4, v168
	v_add_f64 v[4:5], v[42:43], v[78:79]
	v_add_f64 v[6:7], v[40:41], v[76:77]
	v_min3_f32 v161, v72, v73, s8
	ds_read_b128 v[72:75], v130 offset:2064
	v_cvt_f32_f64_e32 v6, v[6:7]
	v_cvt_f32_f64_e32 v4, v[4:5]
	v_min3_f32 v204, v6, v4, v166
	v_add_f64 v[4:5], v[38:39], v[78:79]
	v_add_f64 v[6:7], v[36:37], v[76:77]
	v_cvt_f32_f64_e32 v6, v[6:7]
	v_cvt_f32_f64_e32 v4, v[4:5]
	v_min3_f32 v206, v6, v4, v164
	v_add_f64 v[4:5], v[62:63], v[78:79]
	v_add_f64 v[6:7], v[60:61], v[76:77]
	v_cvt_f32_f64_e32 v68, v[68:69]
	v_cvt_f32_f64_e32 v69, v[70:71]
	;; [unrolled: 1-line block ×4, first 2 shown]
	v_min3_f32 v153, v68, v69, s8
	ds_read_b128 v[68:71], v130 offset:3088
	v_min3_f32 v203, v6, v4, v161
	s_waitcnt lgkmcnt(1)
	v_add_f64 v[4:5], v[2:3], v[74:75]
	v_add_f64 v[6:7], v[0:1], v[72:73]
	v_cvt_f32_f64_e32 v6, v[6:7]
	v_cvt_f32_f64_e32 v4, v[4:5]
	v_min3_f32 v205, v6, v4, v169
	v_add_f64 v[4:5], v[58:59], v[74:75]
	v_add_f64 v[6:7], v[56:57], v[72:73]
	v_cvt_f32_f64_e32 v6, v[6:7]
	v_cvt_f32_f64_e32 v4, v[4:5]
	v_min3_f32 v201, v6, v4, v167
	;; [unrolled: 5-line block ×8, first 2 shown]
	s_waitcnt lgkmcnt(0)
	v_add_f64 v[4:5], v[2:3], v[70:71]
	v_add_f64 v[6:7], v[0:1], v[68:69]
	v_cvt_f32_f64_e32 v6, v[6:7]
	v_cvt_f32_f64_e32 v4, v[4:5]
	v_min3_f32 v196, v6, v4, v162
	v_add_f64 v[4:5], v[58:59], v[70:71]
	v_add_f64 v[6:7], v[56:57], v[68:69]
	v_cvt_f32_f64_e32 v6, v[6:7]
	v_cvt_f32_f64_e32 v4, v[4:5]
	v_min3_f32 v192, v6, v4, v159
	v_add_f64 v[4:5], v[50:51], v[70:71]
	v_add_f64 v[6:7], v[48:49], v[68:69]
	v_cvt_f32_f64_e32 v6, v[6:7]
	v_cvt_f32_f64_e32 v4, v[4:5]
	v_min3_f32 v193, v6, v4, v157
	v_add_f64 v[4:5], v[54:55], v[70:71]
	v_add_f64 v[6:7], v[52:53], v[68:69]
	v_cvt_f32_f64_e32 v6, v[6:7]
	v_cvt_f32_f64_e32 v4, v[4:5]
	v_min3_f32 v190, v6, v4, v155
	v_add_f64 v[4:5], v[46:47], v[70:71]
	v_add_f64 v[6:7], v[44:45], v[68:69]
	v_cvt_f32_f64_e32 v6, v[6:7]
	v_cvt_f32_f64_e32 v4, v[4:5]
	;; [unrolled: 1-line block ×4, first 2 shown]
	v_min3_f32 v191, v6, v4, v152
	v_add_f64 v[4:5], v[42:43], v[70:71]
	v_add_f64 v[6:7], v[40:41], v[68:69]
	v_min3_f32 v145, v64, v65, s8
	ds_read_b128 v[64:67], v130 offset:4112
	v_cvt_f32_f64_e32 v6, v[6:7]
	v_cvt_f32_f64_e32 v4, v[4:5]
	v_min3_f32 v187, v6, v4, v150
	v_add_f64 v[4:5], v[38:39], v[70:71]
	v_add_f64 v[6:7], v[36:37], v[68:69]
	v_cvt_f32_f64_e32 v6, v[6:7]
	v_cvt_f32_f64_e32 v4, v[4:5]
	v_min3_f32 v189, v6, v4, v148
	v_add_f64 v[4:5], v[62:63], v[70:71]
	v_add_f64 v[6:7], v[60:61], v[68:69]
	v_cvt_f32_f64_e32 v32, v[32:33]
	v_cvt_f32_f64_e32 v33, v[34:35]
	;; [unrolled: 1-line block ×4, first 2 shown]
	v_min3_f32 v134, v32, v33, s8
	ds_read_b128 v[32:35], v130 offset:5136
	v_min3_f32 v186, v6, v4, v145
	s_waitcnt lgkmcnt(1)
	v_add_f64 v[4:5], v[2:3], v[66:67]
	v_add_f64 v[6:7], v[0:1], v[64:65]
	v_cvt_f32_f64_e32 v6, v[6:7]
	v_cvt_f32_f64_e32 v4, v[4:5]
	v_min3_f32 v188, v6, v4, v154
	v_add_f64 v[4:5], v[58:59], v[66:67]
	v_add_f64 v[6:7], v[56:57], v[64:65]
	v_cvt_f32_f64_e32 v6, v[6:7]
	v_cvt_f32_f64_e32 v4, v[4:5]
	v_min3_f32 v184, v6, v4, v151
	;; [unrolled: 5-line block ×8, first 2 shown]
	s_waitcnt lgkmcnt(0)
	v_add_f64 v[4:5], v[2:3], v[34:35]
	v_add_f64 v[6:7], v[0:1], v[32:33]
	v_cvt_f32_f64_e32 v6, v[6:7]
	v_cvt_f32_f64_e32 v4, v[4:5]
	v_min3_f32 v180, v6, v4, v146
	v_add_f64 v[4:5], v[58:59], v[34:35]
	v_add_f64 v[6:7], v[56:57], v[32:33]
	v_cvt_f32_f64_e32 v9, v[12:13]
	v_cvt_f32_f64_e32 v10, v[10:11]
	;; [unrolled: 1-line block ×4, first 2 shown]
	v_min3_f32 v137, v9, v10, v176
	v_min3_f32 v176, v6, v4, v143
	v_add_f64 v[4:5], v[50:51], v[34:35]
	v_add_f64 v[6:7], v[48:49], v[32:33]
	v_cvt_f32_f64_e32 v6, v[6:7]
	v_cvt_f32_f64_e32 v4, v[4:5]
	v_min3_f32 v177, v6, v4, v141
	v_add_f64 v[4:5], v[54:55], v[34:35]
	v_add_f64 v[6:7], v[52:53], v[32:33]
	v_cvt_f32_f64_e32 v6, v[6:7]
	v_cvt_f32_f64_e32 v4, v[4:5]
	;; [unrolled: 5-line block ×3, first 2 shown]
	v_cvt_f32_f64_e32 v28, v[28:29]
	v_cvt_f32_f64_e32 v29, v[30:31]
	;; [unrolled: 1-line block ×4, first 2 shown]
	v_min3_f32 v175, v6, v4, v129
	v_add_f64 v[4:5], v[42:43], v[34:35]
	v_add_f64 v[6:7], v[40:41], v[32:33]
	v_min3_f32 v123, v28, v29, s8
	ds_read_b128 v[28:31], v130 offset:6160
	v_min3_f32 v120, v119, v120, s8
	v_min3_f32 v119, v24, v25, s8
	ds_read_b128 v[24:27], v130 offset:7184
	v_cvt_f32_f64_e32 v6, v[6:7]
	v_cvt_f32_f64_e32 v4, v[4:5]
	v_min3_f32 v171, v6, v4, v127
	v_add_f64 v[4:5], v[38:39], v[34:35]
	v_add_f64 v[6:7], v[36:37], v[32:33]
	v_cvt_f32_f64_e32 v6, v[6:7]
	v_cvt_f32_f64_e32 v4, v[4:5]
	v_min3_f32 v173, v6, v4, v125
	v_add_f64 v[4:5], v[62:63], v[34:35]
	v_add_f64 v[6:7], v[60:61], v[32:33]
	v_cvt_f32_f64_e32 v6, v[6:7]
	v_cvt_f32_f64_e32 v4, v[4:5]
	v_min3_f32 v170, v6, v4, v123
	s_waitcnt lgkmcnt(1)
	v_add_f64 v[4:5], v[2:3], v[30:31]
	v_add_f64 v[6:7], v[0:1], v[28:29]
	s_waitcnt lgkmcnt(0)
	v_add_f64 v[2:3], v[2:3], v[26:27]
	v_add_f64 v[0:1], v[0:1], v[24:25]
	v_cvt_f32_f64_e32 v6, v[6:7]
	v_cvt_f32_f64_e32 v4, v[4:5]
	v_cvt_f32_f64_e32 v0, v[0:1]
	v_cvt_f32_f64_e32 v1, v[2:3]
	v_min3_f32 v172, v6, v4, v135
	v_add_f64 v[4:5], v[58:59], v[30:31]
	v_add_f64 v[6:7], v[56:57], v[28:29]
	v_min3_f32 v163, v0, v1, v22
	v_add_f64 v[0:1], v[58:59], v[26:27]
	v_add_f64 v[2:3], v[56:57], v[24:25]
	v_cvt_f32_f64_e32 v6, v[6:7]
	v_cvt_f32_f64_e32 v4, v[4:5]
	v_cvt_f32_f64_e32 v2, v[2:3]
	v_cvt_f32_f64_e32 v0, v[0:1]
	v_min3_f32 v168, v6, v4, v128
	v_add_f64 v[4:5], v[50:51], v[30:31]
	v_add_f64 v[6:7], v[48:49], v[28:29]
	v_min3_f32 v160, v2, v0, v21
	;; [unrolled: 10-line block ×3, first 2 shown]
	v_add_f64 v[0:1], v[54:55], v[26:27]
	v_add_f64 v[2:3], v[52:53], v[24:25]
	v_cvt_f32_f64_e32 v6, v[6:7]
	v_cvt_f32_f64_e32 v4, v[4:5]
	;; [unrolled: 1-line block ×5, first 2 shown]
	v_min3_f32 v166, v6, v4, v124
	v_add_f64 v[4:5], v[46:47], v[30:31]
	v_add_f64 v[6:7], v[44:45], v[28:29]
	v_min3_f32 v158, v2, v0, v19
	v_add_f64 v[0:1], v[46:47], v[26:27]
	v_add_f64 v[2:3], v[44:45], v[24:25]
	v_min3_f32 v18, v18, v16, s8
	v_add_f64 v[16:17], v[94:95], v[14:15]
	v_cvt_f32_f64_e32 v6, v[6:7]
	v_cvt_f32_f64_e32 v4, v[4:5]
	;; [unrolled: 1-line block ×6, first 2 shown]
	v_min3_f32 v167, v6, v4, v122
	v_add_f64 v[4:5], v[42:43], v[30:31]
	v_add_f64 v[6:7], v[40:41], v[28:29]
	v_min3_f32 v159, v2, v0, v18
	v_add_f64 v[0:1], v[42:43], v[26:27]
	v_add_f64 v[2:3], v[40:41], v[24:25]
	v_min3_f32 v17, v23, v16, s8
	v_add_f64 v[80:81], v[98:99], v[14:15]
	v_cvt_f32_f64_e32 v6, v[6:7]
	v_cvt_f32_f64_e32 v4, v[4:5]
	;; [unrolled: 1-line block ×6, first 2 shown]
	v_min3_f32 v164, v6, v4, v121
	v_add_f64 v[4:5], v[38:39], v[30:31]
	v_add_f64 v[6:7], v[36:37], v[28:29]
	v_min3_f32 v156, v2, v0, v17
	v_add_f64 v[0:1], v[38:39], v[26:27]
	v_add_f64 v[2:3], v[36:37], v[24:25]
	v_min3_f32 v16, v16, v23, s8
	v_cvt_f32_f64_e32 v6, v[6:7]
	v_cvt_f32_f64_e32 v4, v[4:5]
	;; [unrolled: 1-line block ×4, first 2 shown]
	v_min3_f32 v165, v6, v4, v120
	v_add_f64 v[4:5], v[62:63], v[30:31]
	v_add_f64 v[6:7], v[60:61], v[28:29]
	v_min3_f32 v157, v2, v0, v16
	v_add_f64 v[0:1], v[62:63], v[26:27]
	v_add_f64 v[2:3], v[60:61], v[24:25]
	v_cvt_f32_f64_e32 v6, v[6:7]
	v_cvt_f32_f64_e32 v4, v[4:5]
	;; [unrolled: 1-line block ×4, first 2 shown]
	v_min3_f32 v162, v6, v4, v119
	v_min3_f32 v200, v2, v0, v8
	s_waitcnt vmcnt(0)
	ds_write_b64 v117, v[112:113] offset:18432
	ds_write2st64_b64 v117, v[104:105], v[108:109] offset0:16 offset1:20
	ds_write2st64_b64 v117, v[106:107], v[110:111] offset0:24 offset1:28
	s_waitcnt lgkmcnt(0)
	s_barrier
	s_cbranch_scc1 .LBB169_11
; %bb.9:
	v_mov_b32_e32 v0, 0x4800
	v_lshl_add_u32 v88, v114, 5, v0
	v_mov_b32_e32 v0, 0x2000
	v_add_u32_e32 v2, 12, v118
	v_lshl_add_u32 v89, v115, 5, v0
	v_mad_i64_i32 v[0:1], s[8:9], v2, s20, 0
	v_add_u32_e32 v3, 8, v118
	s_ashr_i32 s21, s20, 31
	v_lshl_add_u64 v[64:65], v[102:103], 3, s[14:15]
	v_lshlrev_b64 v[66:67], 3, v[0:1]
	v_mad_i64_i32 v[0:1], s[14:15], v3, s18, 0
	s_ashr_i32 s19, s18, 31
	s_lshl_b64 s[8:9], s[20:21], 6
	v_lshl_add_u64 v[68:69], v[0:1], 3, s[16:17]
	v_mad_i64_i32 v[0:1], s[20:21], v3, s20, 0
	s_lshl_b64 s[14:15], s[18:19], 6
	v_lshlrev_b64 v[70:71], 3, v[0:1]
	v_mad_i64_i32 v[0:1], s[18:19], v2, s18, 0
	v_or_b32_e32 v84, 0x4000, v117
	v_add_u32_e32 v85, 0x4000, v116
	v_add_u32_e32 v86, 0x4800, v117
	v_or_b32_e32 v87, 0x2000, v117
	s_add_i32 s23, s23, -8
	v_lshl_add_u64 v[72:73], v[0:1], 3, s[16:17]
	s_mov_b32 s16, 0
.LBB169_10:                             ; =>This Inner Loop Header: Depth=1
	v_lshl_add_u64 v[0:1], v[64:65], 0, v[70:71]
	global_load_dwordx2 v[82:83], v[0:1], off
	v_lshl_add_u64 v[0:1], v[68:69], 0, v[100:101]
	global_load_dwordx2 v[78:79], v[0:1], off
	global_load_dwordx2 v[80:81], v[0:1], off offset:512
	global_load_dwordx2 v[74:75], v[0:1], off offset:1024
	global_load_dwordx2 v[76:77], v[0:1], off offset:1536
	ds_read_b128 v[36:39], v88 offset:256
	ds_read_b128 v[32:35], v88 offset:512
	;; [unrolled: 1-line block ×14, first 2 shown]
	ds_read_b128 v[96:99], v89
	ds_read_b128 v[4:7], v89 offset:16
	ds_read_b128 v[56:59], v88
	ds_read_b128 v[0:3], v88 offset:16
	s_add_i32 s16, s16, 8
	v_lshl_add_u64 v[68:69], v[68:69], 0, s[14:15]
	s_cmp_ge_i32 s16, s23
	s_waitcnt lgkmcnt(1)
	v_add_f64 v[102:103], v[58:59], v[98:99]
	v_add_f64 v[104:105], v[56:57], v[96:97]
	v_cvt_f32_f64_e32 v91, v[104:105]
	v_cvt_f32_f64_e32 v102, v[102:103]
	v_min3_f32 v217, v91, v102, v90
	v_add_f64 v[90:91], v[38:39], v[98:99]
	v_add_f64 v[102:103], v[36:37], v[96:97]
	v_cvt_f32_f64_e32 v102, v[102:103]
	v_cvt_f32_f64_e32 v90, v[90:91]
	v_min3_f32 v216, v102, v90, v131
	;; [unrolled: 5-line block ×22, first 2 shown]
	v_add_f64 v[90:91], v[14:15], v[62:63]
	v_add_f64 v[92:93], v[12:13], v[60:61]
	v_add_f64 v[62:63], v[10:11], v[62:63]
	v_add_f64 v[60:61], v[8:9], v[60:61]
	v_cvt_f32_f64_e32 v60, v[60:61]
	v_cvt_f32_f64_e32 v61, v[62:63]
	v_min3_f32 v137, v60, v61, v194
	v_add_f64 v[60:61], v[58:59], v[54:55]
	v_add_f64 v[62:63], v[56:57], v[52:53]
	v_cvt_f32_f64_e32 v62, v[62:63]
	v_cvt_f32_f64_e32 v60, v[60:61]
	v_min3_f32 v136, v62, v60, v196
	v_add_f64 v[60:61], v[38:39], v[54:55]
	v_add_f64 v[62:63], v[36:37], v[52:53]
	v_cvt_f32_f64_e32 v62, v[62:63]
	v_cvt_f32_f64_e32 v60, v[60:61]
	v_min3_f32 v135, v62, v60, v192
	v_add_f64 v[60:61], v[34:35], v[54:55]
	v_add_f64 v[62:63], v[32:33], v[52:53]
	v_cvt_f32_f64_e32 v62, v[62:63]
	v_cvt_f32_f64_e32 v60, v[60:61]
	v_min3_f32 v134, v62, v60, v193
	v_add_f64 v[60:61], v[30:31], v[54:55]
	v_add_f64 v[62:63], v[28:29], v[52:53]
	v_cvt_f32_f64_e32 v62, v[62:63]
	v_cvt_f32_f64_e32 v60, v[60:61]
	v_min3_f32 v133, v62, v60, v190
	v_add_f64 v[60:61], v[26:27], v[54:55]
	v_add_f64 v[62:63], v[24:25], v[52:53]
	v_cvt_f32_f64_e32 v62, v[62:63]
	v_cvt_f32_f64_e32 v60, v[60:61]
	v_min3_f32 v132, v62, v60, v191
	v_add_f64 v[60:61], v[22:23], v[54:55]
	v_add_f64 v[62:63], v[20:21], v[52:53]
	v_cvt_f32_f64_e32 v62, v[62:63]
	v_cvt_f32_f64_e32 v60, v[60:61]
	v_min3_f32 v131, v62, v60, v187
	v_add_f64 v[60:61], v[14:15], v[54:55]
	v_add_f64 v[62:63], v[12:13], v[52:53]
	v_add_f64 v[54:55], v[10:11], v[54:55]
	v_add_f64 v[52:53], v[8:9], v[52:53]
	v_cvt_f32_f64_e32 v52, v[52:53]
	v_cvt_f32_f64_e32 v53, v[54:55]
	v_min3_f32 v128, v52, v53, v186
	v_add_f64 v[52:53], v[58:59], v[50:51]
	v_add_f64 v[54:55], v[56:57], v[48:49]
	v_cvt_f32_f64_e32 v54, v[54:55]
	v_cvt_f32_f64_e32 v52, v[52:53]
	v_min3_f32 v127, v54, v52, v188
	v_add_f64 v[52:53], v[38:39], v[50:51]
	v_add_f64 v[54:55], v[36:37], v[48:49]
	v_cvt_f32_f64_e32 v54, v[54:55]
	v_cvt_f32_f64_e32 v52, v[52:53]
	v_min3_f32 v126, v54, v52, v184
	v_add_f64 v[52:53], v[34:35], v[50:51]
	v_add_f64 v[54:55], v[32:33], v[48:49]
	v_cvt_f32_f64_e32 v54, v[54:55]
	v_cvt_f32_f64_e32 v52, v[52:53]
	v_min3_f32 v125, v54, v52, v185
	v_add_f64 v[52:53], v[30:31], v[50:51]
	v_add_f64 v[54:55], v[28:29], v[48:49]
	v_cvt_f32_f64_e32 v54, v[54:55]
	v_cvt_f32_f64_e32 v52, v[52:53]
	v_min3_f32 v124, v54, v52, v182
	v_add_f64 v[52:53], v[26:27], v[50:51]
	v_add_f64 v[54:55], v[24:25], v[48:49]
	v_cvt_f32_f64_e32 v54, v[54:55]
	v_cvt_f32_f64_e32 v52, v[52:53]
	v_min3_f32 v123, v54, v52, v183
	v_add_f64 v[52:53], v[22:23], v[50:51]
	v_add_f64 v[54:55], v[20:21], v[48:49]
	v_cvt_f32_f64_e32 v54, v[54:55]
	v_cvt_f32_f64_e32 v52, v[52:53]
	v_min3_f32 v122, v54, v52, v179
	;; [unrolled: 37-line block ×4, first 2 shown]
	v_add_f64 v[44:45], v[14:15], v[42:43]
	v_add_f64 v[46:47], v[12:13], v[40:41]
	;; [unrolled: 1-line block ×12, first 2 shown]
	v_cvt_f32_f64_e32 v92, v[92:93]
	v_cvt_f32_f64_e32 v90, v[90:91]
	;; [unrolled: 1-line block ×12, first 2 shown]
	v_min3_f32 v138, v92, v90, v197
	v_min3_f32 v98, v40, v41, v162
	v_add_f64 v[40:41], v[58:59], v[18:19]
	v_add_f64 v[42:43], v[56:57], v[16:17]
	;; [unrolled: 1-line block ×6, first 2 shown]
	v_min3_f32 v94, v28, v29, v158
	v_min3_f32 v93, v24, v25, v159
	;; [unrolled: 1-line block ×4, first 2 shown]
	v_add_f64 v[10:11], v[10:11], v[18:19]
	v_add_f64 v[8:9], v[8:9], v[16:17]
	s_waitcnt lgkmcnt(0)
	v_add_f64 v[156:157], v[2:3], v[6:7]
	v_add_f64 v[158:159], v[0:1], v[4:5]
	v_cvt_f32_f64_e32 v62, v[62:63]
	v_cvt_f32_f64_e32 v60, v[60:61]
	;; [unrolled: 1-line block ×18, first 2 shown]
	v_min3_f32 v129, v62, v60, v189
	v_min3_f32 v121, v54, v52, v181
	v_min3_f32 v109, v50, v48, v173
	v_min3_f32 v99, v46, v44, v165
	v_min3_f32 v97, v42, v40, v163
	v_min3_f32 v96, v36, v37, v160
	v_min3_f32 v95, v32, v33, v161
	v_min3_f32 v90, v8, v9, v200
	ds_read_b128 v[32:35], v88 offset:272
	ds_read_b128 v[28:31], v88 offset:528
	;; [unrolled: 1-line block ×14, first 2 shown]
	v_min3_f32 v156, v158, v156, v217
	s_waitcnt lgkmcnt(13)
	v_add_f64 v[158:159], v[34:35], v[6:7]
	v_add_f64 v[160:161], v[32:33], v[4:5]
	v_cvt_f32_f64_e32 v157, v[160:161]
	v_cvt_f32_f64_e32 v158, v[158:159]
	v_min3_f32 v157, v157, v158, v216
	s_waitcnt lgkmcnt(12)
	v_add_f64 v[158:159], v[30:31], v[6:7]
	v_add_f64 v[160:161], v[28:29], v[4:5]
	v_cvt_f32_f64_e32 v160, v[160:161]
	v_cvt_f32_f64_e32 v158, v[158:159]
	;; [unrolled: 6-line block ×5, first 2 shown]
	v_min3_f32 v155, v161, v162, v155
	s_waitcnt lgkmcnt(8)
	v_add_f64 v[162:163], v[14:15], v[6:7]
	v_add_f64 v[164:165], v[12:13], v[4:5]
	s_waitcnt lgkmcnt(7)
	v_add_f64 v[6:7], v[10:11], v[6:7]
	v_add_f64 v[4:5], v[8:9], v[4:5]
	v_cvt_f32_f64_e32 v4, v[4:5]
	v_cvt_f32_f64_e32 v5, v[6:7]
	v_min3_f32 v153, v4, v5, v153
	s_waitcnt lgkmcnt(6)
	v_add_f64 v[4:5], v[2:3], v[62:63]
	v_add_f64 v[6:7], v[0:1], v[60:61]
	v_cvt_f32_f64_e32 v6, v[6:7]
	v_cvt_f32_f64_e32 v4, v[4:5]
	v_min3_f32 v152, v6, v4, v152
	v_add_f64 v[4:5], v[34:35], v[62:63]
	v_add_f64 v[6:7], v[32:33], v[60:61]
	v_cvt_f32_f64_e32 v6, v[6:7]
	v_cvt_f32_f64_e32 v4, v[4:5]
	v_min3_f32 v151, v6, v4, v151
	;; [unrolled: 5-line block ×8, first 2 shown]
	s_waitcnt lgkmcnt(5)
	v_add_f64 v[4:5], v[2:3], v[58:59]
	v_add_f64 v[6:7], v[0:1], v[56:57]
	v_cvt_f32_f64_e32 v6, v[6:7]
	v_cvt_f32_f64_e32 v4, v[4:5]
	v_min3_f32 v61, v6, v4, v144
	v_add_f64 v[4:5], v[34:35], v[58:59]
	v_add_f64 v[6:7], v[32:33], v[56:57]
	v_cvt_f32_f64_e32 v6, v[6:7]
	v_cvt_f32_f64_e32 v4, v[4:5]
	v_min3_f32 v62, v6, v4, v143
	;; [unrolled: 5-line block ×8, first 2 shown]
	s_waitcnt lgkmcnt(4)
	v_add_f64 v[4:5], v[2:3], v[54:55]
	v_add_f64 v[6:7], v[0:1], v[52:53]
	v_cvt_f32_f64_e32 v6, v[6:7]
	v_cvt_f32_f64_e32 v4, v[4:5]
	v_min3_f32 v57, v6, v4, v136
	v_add_f64 v[4:5], v[34:35], v[54:55]
	v_add_f64 v[6:7], v[32:33], v[52:53]
	v_cvt_f32_f64_e32 v6, v[6:7]
	v_cvt_f32_f64_e32 v4, v[4:5]
	v_min3_f32 v58, v6, v4, v135
	;; [unrolled: 5-line block ×5, first 2 shown]
	v_add_f64 v[4:5], v[18:19], v[54:55]
	v_add_f64 v[6:7], v[16:17], v[52:53]
	v_cvt_f32_f64_e32 v161, v[164:165]
	v_cvt_f32_f64_e32 v162, v[162:163]
	;; [unrolled: 1-line block ×4, first 2 shown]
	v_min3_f32 v154, v161, v162, v154
	v_min3_f32 v161, v6, v4, v131
	v_add_f64 v[4:5], v[14:15], v[54:55]
	v_add_f64 v[6:7], v[12:13], v[52:53]
	v_cvt_f32_f64_e32 v6, v[6:7]
	v_cvt_f32_f64_e32 v4, v[4:5]
	v_min3_f32 v129, v6, v4, v129
	v_add_f64 v[4:5], v[10:11], v[54:55]
	v_add_f64 v[6:7], v[8:9], v[52:53]
	v_cvt_f32_f64_e32 v6, v[6:7]
	v_cvt_f32_f64_e32 v4, v[4:5]
	v_min3_f32 v128, v6, v4, v128
	s_waitcnt lgkmcnt(3)
	v_add_f64 v[4:5], v[2:3], v[50:51]
	v_add_f64 v[6:7], v[0:1], v[48:49]
	v_cvt_f32_f64_e32 v6, v[6:7]
	v_cvt_f32_f64_e32 v4, v[4:5]
	v_min3_f32 v127, v6, v4, v127
	v_add_f64 v[4:5], v[34:35], v[50:51]
	v_add_f64 v[6:7], v[32:33], v[48:49]
	v_cvt_f32_f64_e32 v6, v[6:7]
	v_cvt_f32_f64_e32 v4, v[4:5]
	v_min3_f32 v126, v6, v4, v126
	;; [unrolled: 5-line block ×8, first 2 shown]
	s_waitcnt lgkmcnt(2)
	v_add_f64 v[4:5], v[2:3], v[46:47]
	v_add_f64 v[6:7], v[0:1], v[44:45]
	v_cvt_f32_f64_e32 v6, v[6:7]
	v_cvt_f32_f64_e32 v4, v[4:5]
	v_min3_f32 v119, v6, v4, v119
	v_add_f64 v[4:5], v[34:35], v[46:47]
	v_add_f64 v[6:7], v[32:33], v[44:45]
	v_cvt_f32_f64_e32 v6, v[6:7]
	v_cvt_f32_f64_e32 v4, v[4:5]
	v_min3_f32 v118, v6, v4, v118
	;; [unrolled: 5-line block ×8, first 2 shown]
	s_waitcnt lgkmcnt(1)
	v_add_f64 v[4:5], v[2:3], v[42:43]
	v_add_f64 v[6:7], v[0:1], v[40:41]
	s_waitcnt lgkmcnt(0)
	v_add_f64 v[2:3], v[2:3], v[38:39]
	v_add_f64 v[0:1], v[0:1], v[36:37]
	v_cvt_f32_f64_e32 v0, v[0:1]
	v_cvt_f32_f64_e32 v1, v[2:3]
	v_min3_f32 v97, v0, v1, v97
	v_add_f64 v[0:1], v[34:35], v[38:39]
	v_add_f64 v[2:3], v[32:33], v[36:37]
	v_cvt_f32_f64_e32 v6, v[6:7]
	v_cvt_f32_f64_e32 v4, v[4:5]
	v_cvt_f32_f64_e32 v2, v[2:3]
	v_cvt_f32_f64_e32 v0, v[0:1]
	v_min3_f32 v107, v6, v4, v107
	v_add_f64 v[4:5], v[34:35], v[42:43]
	v_add_f64 v[6:7], v[32:33], v[40:41]
	v_min3_f32 v96, v2, v0, v96
	v_add_f64 v[0:1], v[30:31], v[38:39]
	v_add_f64 v[2:3], v[28:29], v[36:37]
	v_cvt_f32_f64_e32 v6, v[6:7]
	v_cvt_f32_f64_e32 v4, v[4:5]
	v_cvt_f32_f64_e32 v2, v[2:3]
	v_cvt_f32_f64_e32 v0, v[0:1]
	v_min3_f32 v106, v6, v4, v106
	v_add_f64 v[4:5], v[30:31], v[42:43]
	v_add_f64 v[6:7], v[28:29], v[40:41]
	;; [unrolled: 10-line block ×7, first 2 shown]
	v_min3_f32 v162, v2, v0, v90
	v_lshl_add_u64 v[0:1], v[64:65], 0, v[66:67]
	v_cvt_f32_f64_e32 v6, v[6:7]
	v_cvt_f32_f64_e32 v4, v[4:5]
	s_waitcnt vmcnt(4)
	ds_write_b64 v84, v[82:83]
	s_waitcnt vmcnt(2)
	ds_write2st64_b64 v117, v[78:79], v[80:81] offset1:4
	s_waitcnt vmcnt(0)
	ds_write2st64_b64 v117, v[74:75], v[76:77] offset0:8 offset1:12
	s_waitcnt lgkmcnt(0)
	s_barrier
	global_load_dwordx2 v[74:75], v[0:1], off
	v_lshl_add_u64 v[0:1], v[72:73], 0, v[100:101]
	v_min3_f32 v98, v6, v4, v98
	global_load_dwordx2 v[76:77], v[0:1], off
	global_load_dwordx2 v[78:79], v[0:1], off offset:512
	global_load_dwordx2 v[80:81], v[0:1], off offset:1024
	;; [unrolled: 1-line block ×3, first 2 shown]
	ds_read_b128 v[32:35], v85 offset:256
	ds_read_b128 v[28:31], v85 offset:512
	;; [unrolled: 1-line block ×14, first 2 shown]
	ds_read_b128 v[40:43], v85
	ds_read_b128 v[0:3], v85 offset:16
	ds_read_b128 v[176:179], v130
	ds_read_b128 v[36:39], v130 offset:16
	v_lshl_add_u64 v[64:65], v[64:65], 0, s[8:9]
	v_lshl_add_u64 v[72:73], v[72:73], 0, s[14:15]
	s_waitcnt lgkmcnt(1)
	v_add_f64 v[132:133], v[42:43], v[178:179]
	v_add_f64 v[136:137], v[40:41], v[176:177]
	v_cvt_f32_f64_e32 v90, v[136:137]
	v_cvt_f32_f64_e32 v131, v[132:133]
	v_add_f64 v[132:133], v[34:35], v[178:179]
	v_add_f64 v[136:137], v[32:33], v[176:177]
	v_min3_f32 v90, v90, v131, v156
	v_cvt_f32_f64_e32 v131, v[136:137]
	v_cvt_f32_f64_e32 v132, v[132:133]
	v_min3_f32 v131, v131, v132, v157
	v_add_f64 v[132:133], v[30:31], v[178:179]
	v_add_f64 v[136:137], v[28:29], v[176:177]
	v_cvt_f32_f64_e32 v136, v[136:137]
	v_cvt_f32_f64_e32 v132, v[132:133]
	v_min3_f32 v140, v136, v132, v158
	v_add_f64 v[132:133], v[26:27], v[178:179]
	v_add_f64 v[136:137], v[24:25], v[176:177]
	;; [unrolled: 5-line block ×4, first 2 shown]
	v_cvt_f32_f64_e32 v143, v[144:145]
	v_cvt_f32_f64_e32 v136, v[136:137]
	v_add_f64 v[144:145], v[10:11], v[178:179]
	v_add_f64 v[156:157], v[8:9], v[176:177]
	v_min3_f32 v136, v143, v136, v155
	v_cvt_f32_f64_e32 v137, v[156:157]
	v_cvt_f32_f64_e32 v143, v[144:145]
	v_min3_f32 v137, v137, v143, v154
	v_add_f64 v[144:145], v[6:7], v[178:179]
	v_add_f64 v[154:155], v[4:5], v[176:177]
	v_cvt_f32_f64_e32 v143, v[154:155]
	v_cvt_f32_f64_e32 v144, v[144:145]
	v_min3_f32 v160, v143, v144, v153
	v_add_f64 v[144:145], v[42:43], v[166:167]
	v_add_f64 v[154:155], v[40:41], v[164:165]
	;; [unrolled: 5-line block ×32, first 2 shown]
	v_add_f64 v[54:55], v[6:7], v[54:55]
	v_add_f64 v[52:53], v[4:5], v[52:53]
	v_cvt_f32_f64_e32 v58, v[58:59]
	v_cvt_f32_f64_e32 v56, v[56:57]
	;; [unrolled: 1-line block ×4, first 2 shown]
	v_min3_f32 v122, v58, v56, v121
	v_min3_f32 v121, v52, v53, v120
	v_add_f64 v[52:53], v[42:43], v[50:51]
	v_add_f64 v[54:55], v[40:41], v[48:49]
	v_cvt_f32_f64_e32 v54, v[54:55]
	v_cvt_f32_f64_e32 v52, v[52:53]
	v_min3_f32 v120, v54, v52, v119
	v_add_f64 v[52:53], v[34:35], v[50:51]
	v_add_f64 v[54:55], v[32:33], v[48:49]
	v_cvt_f32_f64_e32 v54, v[54:55]
	v_cvt_f32_f64_e32 v52, v[52:53]
	;; [unrolled: 5-line block ×6, first 2 shown]
	v_min3_f32 v111, v54, v52, v110
	v_add_f64 v[52:53], v[10:11], v[50:51]
	v_add_f64 v[54:55], v[8:9], v[48:49]
	;; [unrolled: 1-line block ×4, first 2 shown]
	v_cvt_f32_f64_e32 v54, v[54:55]
	v_cvt_f32_f64_e32 v52, v[52:53]
	;; [unrolled: 1-line block ×4, first 2 shown]
	v_min3_f32 v110, v54, v52, v109
	v_min3_f32 v109, v48, v49, v108
	v_add_f64 v[48:49], v[42:43], v[46:47]
	v_add_f64 v[50:51], v[40:41], v[44:45]
	v_cvt_f32_f64_e32 v50, v[50:51]
	v_cvt_f32_f64_e32 v48, v[48:49]
	v_min3_f32 v108, v50, v48, v107
	v_add_f64 v[48:49], v[34:35], v[46:47]
	v_add_f64 v[50:51], v[32:33], v[44:45]
	v_cvt_f32_f64_e32 v50, v[50:51]
	v_cvt_f32_f64_e32 v48, v[48:49]
	;; [unrolled: 5-line block ×6, first 2 shown]
	v_min3_f32 v103, v50, v48, v102
	v_add_f64 v[48:49], v[10:11], v[46:47]
	v_add_f64 v[50:51], v[8:9], v[44:45]
	v_add_f64 v[46:47], v[6:7], v[46:47]
	v_add_f64 v[44:45], v[4:5], v[44:45]
	v_add_f64 v[42:43], v[42:43], v[14:15]
	v_add_f64 v[40:41], v[40:41], v[12:13]
	v_add_f64 v[34:35], v[34:35], v[14:15]
	v_add_f64 v[32:33], v[32:33], v[12:13]
	v_add_f64 v[30:31], v[30:31], v[14:15]
	v_add_f64 v[28:29], v[28:29], v[12:13]
	v_add_f64 v[26:27], v[26:27], v[14:15]
	v_add_f64 v[24:25], v[24:25], v[12:13]
	v_add_f64 v[22:23], v[22:23], v[14:15]
	v_add_f64 v[20:21], v[20:21], v[12:13]
	v_add_f64 v[18:19], v[18:19], v[14:15]
	v_add_f64 v[16:17], v[16:17], v[12:13]
	v_add_f64 v[10:11], v[10:11], v[14:15]
	v_add_f64 v[8:9], v[8:9], v[12:13]
	v_add_f64 v[6:7], v[6:7], v[14:15]
	v_add_f64 v[4:5], v[4:5], v[12:13]
	v_cvt_f32_f64_e32 v50, v[50:51]
	v_cvt_f32_f64_e32 v48, v[48:49]
	;; [unrolled: 1-line block ×20, first 2 shown]
	v_min3_f32 v102, v50, v48, v99
	v_min3_f32 v99, v44, v45, v98
	;; [unrolled: 1-line block ×10, first 2 shown]
	s_waitcnt lgkmcnt(0)
	v_add_f64 v[162:163], v[2:3], v[38:39]
	v_add_f64 v[164:165], v[0:1], v[36:37]
	v_cvt_f32_f64_e32 v161, v[164:165]
	v_cvt_f32_f64_e32 v162, v[162:163]
	ds_read_b128 v[28:31], v85 offset:272
	ds_read_b128 v[24:27], v85 offset:528
	;; [unrolled: 1-line block ×14, first 2 shown]
	v_min3_f32 v90, v161, v162, v90
	s_waitcnt lgkmcnt(13)
	v_add_f64 v[162:163], v[30:31], v[38:39]
	v_add_f64 v[164:165], v[28:29], v[36:37]
	v_cvt_f32_f64_e32 v161, v[164:165]
	v_cvt_f32_f64_e32 v162, v[162:163]
	v_min3_f32 v131, v161, v162, v131
	s_waitcnt lgkmcnt(12)
	v_add_f64 v[162:163], v[26:27], v[38:39]
	v_add_f64 v[164:165], v[24:25], v[36:37]
	v_cvt_f32_f64_e32 v161, v[164:165]
	v_cvt_f32_f64_e32 v162, v[162:163]
	;; [unrolled: 6-line block ×5, first 2 shown]
	v_min3_f32 v136, v161, v162, v136
	s_waitcnt lgkmcnt(8)
	v_add_f64 v[162:163], v[10:11], v[38:39]
	v_add_f64 v[164:165], v[8:9], v[36:37]
	s_waitcnt lgkmcnt(7)
	v_add_f64 v[38:39], v[6:7], v[38:39]
	v_add_f64 v[36:37], v[4:5], v[36:37]
	v_cvt_f32_f64_e32 v36, v[36:37]
	v_cvt_f32_f64_e32 v37, v[38:39]
	v_min3_f32 v211, v36, v37, v160
	s_waitcnt lgkmcnt(6)
	v_add_f64 v[36:37], v[2:3], v[62:63]
	v_add_f64 v[38:39], v[0:1], v[60:61]
	v_cvt_f32_f64_e32 v38, v[38:39]
	v_cvt_f32_f64_e32 v36, v[36:37]
	v_min3_f32 v212, v38, v36, v159
	v_add_f64 v[36:37], v[30:31], v[62:63]
	v_add_f64 v[38:39], v[28:29], v[60:61]
	v_cvt_f32_f64_e32 v38, v[38:39]
	v_cvt_f32_f64_e32 v36, v[36:37]
	v_min3_f32 v209, v38, v36, v158
	v_add_f64 v[36:37], v[26:27], v[62:63]
	v_add_f64 v[38:39], v[24:25], v[60:61]
	v_cvt_f32_f64_e32 v38, v[38:39]
	v_cvt_f32_f64_e32 v36, v[36:37]
	v_min3_f32 v210, v38, v36, v157
	v_add_f64 v[36:37], v[22:23], v[62:63]
	v_add_f64 v[38:39], v[20:21], v[60:61]
	v_cvt_f32_f64_e32 v38, v[38:39]
	v_cvt_f32_f64_e32 v36, v[36:37]
	v_min3_f32 v207, v38, v36, v156
	v_add_f64 v[36:37], v[18:19], v[62:63]
	v_add_f64 v[38:39], v[16:17], v[60:61]
	v_cvt_f32_f64_e32 v38, v[38:39]
	v_cvt_f32_f64_e32 v36, v[36:37]
	v_min3_f32 v208, v38, v36, v155
	v_add_f64 v[36:37], v[14:15], v[62:63]
	v_add_f64 v[38:39], v[12:13], v[60:61]
	v_cvt_f32_f64_e32 v38, v[38:39]
	v_cvt_f32_f64_e32 v36, v[36:37]
	v_min3_f32 v204, v38, v36, v154
	v_add_f64 v[36:37], v[10:11], v[62:63]
	v_add_f64 v[38:39], v[8:9], v[60:61]
	v_cvt_f32_f64_e32 v38, v[38:39]
	v_cvt_f32_f64_e32 v36, v[36:37]
	v_min3_f32 v206, v38, v36, v153
	v_add_f64 v[36:37], v[6:7], v[62:63]
	v_add_f64 v[38:39], v[4:5], v[60:61]
	v_cvt_f32_f64_e32 v38, v[38:39]
	v_cvt_f32_f64_e32 v36, v[36:37]
	v_min3_f32 v203, v38, v36, v152
	s_waitcnt lgkmcnt(5)
	v_add_f64 v[36:37], v[2:3], v[58:59]
	v_add_f64 v[38:39], v[0:1], v[56:57]
	v_cvt_f32_f64_e32 v38, v[38:39]
	v_cvt_f32_f64_e32 v36, v[36:37]
	v_min3_f32 v205, v38, v36, v151
	v_add_f64 v[36:37], v[30:31], v[58:59]
	v_add_f64 v[38:39], v[28:29], v[56:57]
	v_cvt_f32_f64_e32 v38, v[38:39]
	v_cvt_f32_f64_e32 v36, v[36:37]
	v_min3_f32 v201, v38, v36, v150
	v_add_f64 v[36:37], v[26:27], v[58:59]
	v_add_f64 v[38:39], v[24:25], v[56:57]
	v_cvt_f32_f64_e32 v38, v[38:39]
	v_cvt_f32_f64_e32 v36, v[36:37]
	v_min3_f32 v202, v38, v36, v149
	v_add_f64 v[36:37], v[22:23], v[58:59]
	v_add_f64 v[38:39], v[20:21], v[56:57]
	v_cvt_f32_f64_e32 v38, v[38:39]
	v_cvt_f32_f64_e32 v36, v[36:37]
	v_min3_f32 v198, v38, v36, v148
	v_add_f64 v[36:37], v[18:19], v[58:59]
	v_add_f64 v[38:39], v[16:17], v[56:57]
	v_cvt_f32_f64_e32 v38, v[38:39]
	v_cvt_f32_f64_e32 v36, v[36:37]
	v_min3_f32 v199, v38, v36, v147
	v_add_f64 v[36:37], v[14:15], v[58:59]
	v_add_f64 v[38:39], v[12:13], v[56:57]
	v_cvt_f32_f64_e32 v38, v[38:39]
	v_cvt_f32_f64_e32 v36, v[36:37]
	v_min3_f32 v195, v38, v36, v146
	v_add_f64 v[36:37], v[10:11], v[58:59]
	v_add_f64 v[38:39], v[8:9], v[56:57]
	v_cvt_f32_f64_e32 v38, v[38:39]
	v_cvt_f32_f64_e32 v36, v[36:37]
	v_min3_f32 v197, v38, v36, v145
	;; [unrolled: 41-line block ×5, first 2 shown]
	v_add_f64 v[36:37], v[6:7], v[46:47]
	v_add_f64 v[38:39], v[4:5], v[44:45]
	v_cvt_f32_f64_e32 v38, v[38:39]
	v_cvt_f32_f64_e32 v36, v[36:37]
	v_min3_f32 v170, v38, v36, v109
	s_waitcnt lgkmcnt(1)
	v_add_f64 v[36:37], v[2:3], v[42:43]
	v_add_f64 v[38:39], v[0:1], v[40:41]
	s_waitcnt lgkmcnt(0)
	v_add_f64 v[2:3], v[2:3], v[34:35]
	v_add_f64 v[0:1], v[0:1], v[32:33]
	v_cvt_f32_f64_e32 v38, v[38:39]
	v_cvt_f32_f64_e32 v36, v[36:37]
	;; [unrolled: 1-line block ×5, first 2 shown]
	v_min3_f32 v172, v38, v36, v108
	v_add_f64 v[36:37], v[30:31], v[42:43]
	v_add_f64 v[38:39], v[28:29], v[40:41]
	v_min3_f32 v163, v0, v1, v98
	v_add_f64 v[0:1], v[30:31], v[34:35]
	v_add_f64 v[2:3], v[28:29], v[32:33]
	v_cvt_f32_f64_e32 v38, v[38:39]
	v_cvt_f32_f64_e32 v36, v[36:37]
	;; [unrolled: 1-line block ×4, first 2 shown]
	v_min3_f32 v168, v38, v36, v107
	v_add_f64 v[36:37], v[26:27], v[42:43]
	v_add_f64 v[38:39], v[24:25], v[40:41]
	v_min3_f32 v160, v2, v0, v97
	v_add_f64 v[0:1], v[26:27], v[34:35]
	v_add_f64 v[2:3], v[24:25], v[32:33]
	v_cvt_f32_f64_e32 v161, v[164:165]
	v_cvt_f32_f64_e32 v38, v[38:39]
	;; [unrolled: 1-line block ×5, first 2 shown]
	v_min3_f32 v137, v161, v162, v137
	v_min3_f32 v169, v38, v36, v106
	v_add_f64 v[36:37], v[22:23], v[42:43]
	v_add_f64 v[38:39], v[20:21], v[40:41]
	v_min3_f32 v161, v2, v0, v96
	v_add_f64 v[0:1], v[22:23], v[34:35]
	v_add_f64 v[2:3], v[20:21], v[32:33]
	v_cvt_f32_f64_e32 v38, v[38:39]
	v_cvt_f32_f64_e32 v36, v[36:37]
	v_cvt_f32_f64_e32 v2, v[2:3]
	v_cvt_f32_f64_e32 v0, v[0:1]
	v_min3_f32 v166, v38, v36, v105
	v_add_f64 v[36:37], v[18:19], v[42:43]
	v_add_f64 v[38:39], v[16:17], v[40:41]
	v_min3_f32 v158, v2, v0, v95
	v_add_f64 v[0:1], v[18:19], v[34:35]
	v_add_f64 v[2:3], v[16:17], v[32:33]
	v_cvt_f32_f64_e32 v38, v[38:39]
	v_cvt_f32_f64_e32 v36, v[36:37]
	v_cvt_f32_f64_e32 v2, v[2:3]
	v_cvt_f32_f64_e32 v0, v[0:1]
	;; [unrolled: 10-line block ×5, first 2 shown]
	v_min3_f32 v162, v38, v36, v99
	v_min3_f32 v200, v2, v0, v91
	s_waitcnt vmcnt(4)
	ds_write_b64 v86, v[74:75]
	s_waitcnt vmcnt(2)
	ds_write2st64_b64 v87, v[76:77], v[78:79] offset1:4
	s_waitcnt vmcnt(0)
	ds_write2st64_b64 v87, v[80:81], v[82:83] offset0:8 offset1:12
	s_waitcnt lgkmcnt(0)
	s_barrier
	s_cbranch_scc0 .LBB169_10
.LBB169_11:
	s_load_dwordx2 s[14:15], s[0:1], 0x78
	s_load_dword s8, s[0:1], 0x58
	s_load_dword s9, s[0:1], 0x70
	ds_read_b128 v[68:71], v116 offset:18432
	ds_read_b128 v[124:127], v130 offset:8192
	;; [unrolled: 1-line block ×4, first 2 shown]
	s_waitcnt lgkmcnt(0)
	s_mul_i32 s1, s15, s3
	s_mul_hi_u32 s15, s14, s3
	s_mul_i32 s0, s14, s3
	v_add_f64 v[0:1], v[70:71], v[126:127]
	v_add_f64 v[2:3], v[68:69], v[124:125]
	s_add_i32 s1, s15, s1
	v_cvt_f32_f64_e32 v2, v[2:3]
	v_cvt_f32_f64_e32 v0, v[0:1]
	s_lshl_b64 s[0:1], s[0:1], 3
	v_min3_f32 v4, v2, v0, v90
	v_add_f64 v[0:1], v[66:67], v[122:123]
	v_add_f64 v[2:3], v[64:65], v[120:121]
	s_add_u32 s0, s10, s0
	v_cvt_f32_f64_e32 v2, v[2:3]
	v_cvt_f32_f64_e32 v0, v[0:1]
	v_add_u32_e32 v213, s22, v115
	s_addc_u32 s1, s11, s1
	v_min3_f32 v2, v2, v0, v4
	v_add_u32_e32 v134, s2, v114
	v_mad_i64_i32 v[0:1], s[2:3], v213, s9, 0
	v_add_u32_e32 v128, 8, v134
	v_lshl_add_u64 v[152:153], v[0:1], 3, s[0:1]
	v_mad_i64_i32 v[0:1], s[2:3], v213, s8, 0
	v_ashrrev_i32_e32 v135, 31, v134
	v_ashrrev_i32_e32 v129, 31, v128
	s_mov_b64 s[2:3], -1
	v_max_f32_e32 v2, v2, v2
	s_mov_b64 vcc, s[4:5]
	s_cbranch_vccz .LBB169_13
; %bb.12:
	v_min_f32_e32 v3, 0, v2
	v_cvt_f64_f32_e32 v[4:5], v3
	v_lshl_add_u64 v[6:7], v[134:135], 3, v[152:153]
	global_store_dwordx2 v[6:7], v[4:5], off
	s_mov_b64 s[2:3], 0
.LBB169_13:
	ds_read_b128 v[60:63], v116 offset:18688
	ds_read_b128 v[52:55], v116 offset:18704
	;; [unrolled: 1-line block ×4, first 2 shown]
	v_lshl_add_u64 v[154:155], v[0:1], 3, s[12:13]
	v_mov_b32_e32 v142, 0
	s_andn2_b64 vcc, exec, s[2:3]
	v_lshlrev_b64 v[138:139], 3, v[134:135]
	s_cbranch_vccnz .LBB169_15
; %bb.14:
	v_lshl_add_u64 v[0:1], v[154:155], 0, v[138:139]
	global_load_dwordx2 v[0:1], v[0:1], off
	v_lshl_add_u64 v[4:5], v[152:153], 0, v[138:139]
	s_waitcnt vmcnt(0)
	v_mul_f64 v[0:1], s[6:7], v[0:1]
	v_cvt_f32_f64_e32 v0, v[0:1]
	v_min_f32_e32 v0, v0, v2
	v_cvt_f64_f32_e32 v[0:1], v0
	global_store_dwordx2 v[4:5], v[0:1], off
	v_lshl_add_u64 v[0:1], v[128:129], 3, v[154:155]
	global_load_dwordx2 v[0:1], v[0:1], off
	s_waitcnt vmcnt(0)
	v_mul_f64 v[0:1], s[6:7], v[0:1]
	v_cvt_f32_f64_e32 v142, v[0:1]
.LBB169_15:
	ds_read_b128 v[40:43], v116 offset:19200
	ds_read_b128 v[36:39], v116 offset:19216
	;; [unrolled: 1-line block ×24, first 2 shown]
	s_waitcnt lgkmcnt(14)
	v_add_f64 v[144:145], v[62:63], v[126:127]
	v_add_f64 v[146:147], v[60:61], v[124:125]
	v_cvt_f32_f64_e32 v130, v[146:147]
	v_cvt_f32_f64_e32 v141, v[144:145]
	v_min3_f32 v143, v130, v141, v131
	v_add_f64 v[130:131], v[58:59], v[126:127]
	v_add_f64 v[144:145], v[56:57], v[124:125]
	v_cvt_f32_f64_e32 v141, v[144:145]
	v_cvt_f32_f64_e32 v130, v[130:131]
	v_min3_f32 v144, v141, v130, v140
	v_add_f64 v[130:131], v[54:55], v[122:123]
	v_add_f64 v[140:141], v[52:53], v[120:121]
	v_cvt_f32_f64_e32 v140, v[140:141]
	v_cvt_f32_f64_e32 v130, v[130:131]
	v_min_f32_e32 v145, v140, v130
	v_add_f64 v[130:131], v[50:51], v[122:123]
	v_add_f64 v[140:141], v[48:49], v[120:121]
	v_cvt_f32_f64_e32 v140, v[140:141]
	v_cvt_f32_f64_e32 v130, v[130:131]
	v_min3_f32 v142, v142, v145, v143
	v_min3_f32 v146, v140, v130, v144
	v_add_u32_e32 v140, 16, v134
	v_add_u32_e32 v130, 24, v134
	v_cvt_f64_f32_e32 v[142:143], v142
	v_lshl_add_u64 v[144:145], v[128:129], 3, v[152:153]
	v_ashrrev_i32_e32 v141, 31, v140
	v_ashrrev_i32_e32 v131, 31, v130
	global_store_dwordx2 v[144:145], v[142:143], off
	s_mov_b64 s[2:3], -1
	v_max_f32_e32 v142, v146, v146
	s_mov_b64 vcc, s[4:5]
	s_cbranch_vccz .LBB169_17
; %bb.16:
	v_min_f32_e32 v143, 0, v142
	v_cvt_f64_f32_e32 v[144:145], v143
	v_lshl_add_u64 v[146:147], v[140:141], 3, v[152:153]
	global_store_dwordx2 v[146:147], v[144:145], off
	s_mov_b64 s[2:3], 0
.LBB169_17:
	v_mov_b32_e32 v146, 0
	s_andn2_b64 vcc, exec, s[2:3]
	v_lshlrev_b64 v[144:145], 3, v[140:141]
	s_cbranch_vccnz .LBB169_19
; %bb.18:
	v_lshl_add_u64 v[146:147], v[154:155], 0, v[144:145]
	global_load_dwordx2 v[146:147], v[146:147], off
	v_lshl_add_u64 v[148:149], v[152:153], 0, v[144:145]
	s_waitcnt vmcnt(0)
	v_mul_f64 v[146:147], s[6:7], v[146:147]
	v_cvt_f32_f64_e32 v143, v[146:147]
	v_min_f32_e32 v142, v143, v142
	v_cvt_f64_f32_e32 v[142:143], v142
	global_store_dwordx2 v[148:149], v[142:143], off
	v_lshl_add_u64 v[142:143], v[130:131], 3, v[154:155]
	global_load_dwordx2 v[142:143], v[142:143], off
	s_waitcnt vmcnt(0)
	v_mul_f64 v[142:143], s[6:7], v[142:143]
	v_cvt_f32_f64_e32 v146, v[142:143]
.LBB169_19:
	v_add_f64 v[142:143], v[42:43], v[126:127]
	v_add_f64 v[148:149], v[40:41], v[124:125]
	v_cvt_f32_f64_e32 v147, v[148:149]
	v_cvt_f32_f64_e32 v142, v[142:143]
	v_min3_f32 v147, v147, v142, v132
	v_add_f64 v[142:143], v[46:47], v[126:127]
	v_add_f64 v[148:149], v[44:45], v[124:125]
	v_cvt_f32_f64_e32 v132, v[148:149]
	v_cvt_f32_f64_e32 v142, v[142:143]
	v_min3_f32 v148, v132, v142, v133
	v_add_f64 v[132:133], v[38:39], v[122:123]
	v_add_f64 v[142:143], v[36:37], v[120:121]
	v_cvt_f32_f64_e32 v142, v[142:143]
	v_cvt_f32_f64_e32 v132, v[132:133]
	v_min_f32_e32 v149, v142, v132
	v_add_f64 v[132:133], v[34:35], v[122:123]
	v_add_f64 v[142:143], v[32:33], v[120:121]
	v_cvt_f32_f64_e32 v142, v[142:143]
	v_cvt_f32_f64_e32 v132, v[132:133]
	v_min3_f32 v146, v146, v149, v147
	v_min3_f32 v150, v142, v132, v148
	v_add_u32_e32 v142, 32, v134
	v_add_u32_e32 v132, 40, v134
	v_cvt_f64_f32_e32 v[146:147], v146
	v_lshl_add_u64 v[148:149], v[130:131], 3, v[152:153]
	v_ashrrev_i32_e32 v143, 31, v142
	v_ashrrev_i32_e32 v133, 31, v132
	global_store_dwordx2 v[148:149], v[146:147], off
	s_mov_b64 s[2:3], -1
	v_max_f32_e32 v146, v150, v150
	s_mov_b64 vcc, s[4:5]
	s_cbranch_vccz .LBB169_21
; %bb.20:
	v_min_f32_e32 v147, 0, v146
	v_cvt_f64_f32_e32 v[148:149], v147
	v_lshl_add_u64 v[150:151], v[142:143], 3, v[152:153]
	global_store_dwordx2 v[150:151], v[148:149], off
	s_mov_b64 s[2:3], 0
.LBB169_21:
	v_mov_b32_e32 v150, 0
	s_andn2_b64 vcc, exec, s[2:3]
	v_lshlrev_b64 v[148:149], 3, v[142:143]
	s_cbranch_vccnz .LBB169_23
; %bb.22:
	v_lshl_add_u64 v[150:151], v[154:155], 0, v[148:149]
	global_load_dwordx2 v[150:151], v[150:151], off
	v_lshl_add_u64 v[214:215], v[152:153], 0, v[148:149]
	s_waitcnt vmcnt(0)
	v_mul_f64 v[150:151], s[6:7], v[150:151]
	v_cvt_f32_f64_e32 v147, v[150:151]
	v_min_f32_e32 v146, v147, v146
	v_cvt_f64_f32_e32 v[146:147], v146
	global_store_dwordx2 v[214:215], v[146:147], off
	v_lshl_add_u64 v[146:147], v[132:133], 3, v[154:155]
	global_load_dwordx2 v[146:147], v[146:147], off
	s_waitcnt vmcnt(0)
	v_mul_f64 v[146:147], s[6:7], v[146:147]
	v_cvt_f32_f64_e32 v150, v[146:147]
.LBB169_23:
	v_add_f64 v[146:147], v[30:31], v[126:127]
	v_add_f64 v[214:215], v[28:29], v[124:125]
	v_cvt_f32_f64_e32 v151, v[214:215]
	v_cvt_f32_f64_e32 v146, v[146:147]
	v_min3_f32 v151, v151, v146, v136
	v_add_f64 v[146:147], v[26:27], v[126:127]
	v_add_f64 v[214:215], v[24:25], v[124:125]
	v_cvt_f32_f64_e32 v136, v[214:215]
	v_cvt_f32_f64_e32 v146, v[146:147]
	v_min3_f32 v214, v136, v146, v137
	v_add_f64 v[136:137], v[22:23], v[122:123]
	v_add_f64 v[146:147], v[20:21], v[120:121]
	v_cvt_f32_f64_e32 v146, v[146:147]
	v_cvt_f32_f64_e32 v136, v[136:137]
	v_min_f32_e32 v215, v146, v136
	v_add_f64 v[136:137], v[18:19], v[122:123]
	v_add_f64 v[146:147], v[16:17], v[120:121]
	v_cvt_f32_f64_e32 v146, v[146:147]
	v_cvt_f32_f64_e32 v136, v[136:137]
	v_min3_f32 v150, v150, v215, v151
	v_min3_f32 v216, v146, v136, v214
	v_add_u32_e32 v146, 48, v134
	v_add_u32_e32 v136, 56, v134
	v_cvt_f64_f32_e32 v[150:151], v150
	v_lshl_add_u64 v[214:215], v[132:133], 3, v[152:153]
	v_ashrrev_i32_e32 v147, 31, v146
	v_ashrrev_i32_e32 v137, 31, v136
	global_store_dwordx2 v[214:215], v[150:151], off
	s_mov_b64 s[2:3], -1
	v_max_f32_e32 v215, v216, v216
	s_mov_b64 vcc, s[4:5]
	s_cbranch_vccz .LBB169_25
; %bb.24:
	v_min_f32_e32 v150, 0, v215
	v_cvt_f64_f32_e32 v[150:151], v150
	v_lshl_add_u64 v[216:217], v[146:147], 3, v[152:153]
	global_store_dwordx2 v[216:217], v[150:151], off
	s_mov_b64 s[2:3], 0
.LBB169_25:
	v_mov_b32_e32 v214, 0
	s_andn2_b64 vcc, exec, s[2:3]
	v_lshlrev_b64 v[150:151], 3, v[146:147]
	s_cbranch_vccnz .LBB169_27
; %bb.26:
	v_lshl_add_u64 v[216:217], v[154:155], 0, v[150:151]
	global_load_dwordx2 v[216:217], v[216:217], off
	v_lshl_add_u64 v[218:219], v[152:153], 0, v[150:151]
	v_lshl_add_u64 v[154:155], v[136:137], 3, v[154:155]
	s_waitcnt vmcnt(0)
	v_mul_f64 v[216:217], s[6:7], v[216:217]
	v_cvt_f32_f64_e32 v214, v[216:217]
	v_min_f32_e32 v214, v214, v215
	v_cvt_f64_f32_e32 v[214:215], v214
	global_store_dwordx2 v[218:219], v[214:215], off
	global_load_dwordx2 v[154:155], v[154:155], off
	s_waitcnt vmcnt(0)
	v_mul_f64 v[154:155], s[6:7], v[154:155]
	v_cvt_f32_f64_e32 v214, v[154:155]
.LBB169_27:
	v_add_f64 v[126:127], v[2:3], v[126:127]
	v_add_f64 v[124:125], v[0:1], v[124:125]
	v_cvt_f32_f64_e32 v124, v[124:125]
	v_cvt_f32_f64_e32 v125, v[126:127]
	v_add_f64 v[122:123], v[10:11], v[122:123]
	v_add_f64 v[120:121], v[8:9], v[120:121]
	v_min3_f32 v154, v124, v125, v211
	s_waitcnt lgkmcnt(13)
	v_add_f64 v[124:125], v[70:71], v[118:119]
	v_add_f64 v[126:127], v[68:69], v[116:117]
	v_cvt_f32_f64_e32 v120, v[120:121]
	v_cvt_f32_f64_e32 v121, v[122:123]
	;; [unrolled: 1-line block ×4, first 2 shown]
	v_min_f32_e32 v125, v120, v121
	s_waitcnt lgkmcnt(12)
	v_add_f64 v[120:121], v[66:67], v[114:115]
	v_add_f64 v[122:123], v[64:65], v[112:113]
	v_min3_f32 v124, v126, v124, v212
	v_cvt_f32_f64_e32 v122, v[122:123]
	v_cvt_f32_f64_e32 v120, v[120:121]
	v_min3_f32 v124, v122, v120, v124
	v_min3_f32 v120, v214, v125, v154
	v_cvt_f64_f32_e32 v[120:121], v120
	v_lshl_add_u64 v[122:123], v[136:137], 3, v[152:153]
	global_store_dwordx2 v[122:123], v[120:121], off
	v_add_u32_e32 v122, 32, v213
	v_mad_i64_i32 v[120:121], s[2:3], v122, s9, 0
	v_mad_i64_i32 v[122:123], s[2:3], v122, s8, 0
	v_lshl_add_u64 v[120:121], v[120:121], 3, s[0:1]
	s_mov_b64 s[2:3], -1
	v_max_f32_e32 v125, v124, v124
	s_mov_b64 vcc, s[4:5]
	s_cbranch_vccz .LBB169_29
; %bb.28:
	v_min_f32_e32 v124, 0, v125
	v_cvt_f64_f32_e32 v[126:127], v124
	v_lshl_add_u64 v[152:153], v[134:135], 3, v[120:121]
	global_store_dwordx2 v[152:153], v[126:127], off
	s_mov_b64 s[2:3], 0
.LBB169_29:
	v_lshl_add_u64 v[122:123], v[122:123], 3, s[12:13]
	s_andn2_b64 vcc, exec, s[2:3]
	v_mov_b32_e32 v124, 0
	s_cbranch_vccnz .LBB169_31
; %bb.30:
	v_lshl_add_u64 v[126:127], v[122:123], 0, v[138:139]
	global_load_dwordx2 v[126:127], v[126:127], off
	v_lshl_add_u64 v[152:153], v[120:121], 0, v[138:139]
	s_waitcnt vmcnt(0)
	v_mul_f64 v[126:127], s[6:7], v[126:127]
	v_cvt_f32_f64_e32 v124, v[126:127]
	v_min_f32_e32 v124, v124, v125
	v_cvt_f64_f32_e32 v[124:125], v124
	global_store_dwordx2 v[152:153], v[124:125], off
	v_lshl_add_u64 v[124:125], v[128:129], 3, v[122:123]
	global_load_dwordx2 v[124:125], v[124:125], off
	s_waitcnt vmcnt(0)
	v_mul_f64 v[124:125], s[6:7], v[124:125]
	v_cvt_f32_f64_e32 v124, v[124:125]
.LBB169_31:
	v_add_f64 v[126:127], v[62:63], v[118:119]
	v_add_f64 v[152:153], v[60:61], v[116:117]
	v_cvt_f32_f64_e32 v125, v[152:153]
	v_cvt_f32_f64_e32 v126, v[126:127]
	v_min3_f32 v125, v125, v126, v209
	v_add_f64 v[126:127], v[58:59], v[118:119]
	v_add_f64 v[152:153], v[56:57], v[116:117]
	v_cvt_f32_f64_e32 v152, v[152:153]
	v_cvt_f32_f64_e32 v126, v[126:127]
	v_min3_f32 v154, v152, v126, v210
	v_add_f64 v[126:127], v[54:55], v[114:115]
	v_add_f64 v[152:153], v[52:53], v[112:113]
	v_cvt_f32_f64_e32 v152, v[152:153]
	v_cvt_f32_f64_e32 v126, v[126:127]
	v_min_f32_e32 v155, v152, v126
	v_add_f64 v[126:127], v[50:51], v[114:115]
	v_add_f64 v[152:153], v[48:49], v[112:113]
	v_cvt_f32_f64_e32 v152, v[152:153]
	v_cvt_f32_f64_e32 v126, v[126:127]
	v_min3_f32 v124, v124, v155, v125
	v_min3_f32 v152, v152, v126, v154
	v_cvt_f64_f32_e32 v[124:125], v124
	v_lshl_add_u64 v[126:127], v[128:129], 3, v[120:121]
	global_store_dwordx2 v[126:127], v[124:125], off
	s_mov_b64 s[2:3], -1
	v_max_f32_e32 v125, v152, v152
	s_mov_b64 vcc, s[4:5]
	s_cbranch_vccz .LBB169_33
; %bb.32:
	v_min_f32_e32 v124, 0, v125
	v_cvt_f64_f32_e32 v[126:127], v124
	v_lshl_add_u64 v[152:153], v[140:141], 3, v[120:121]
	global_store_dwordx2 v[152:153], v[126:127], off
	s_mov_b64 s[2:3], 0
.LBB169_33:
	s_andn2_b64 vcc, exec, s[2:3]
	v_mov_b32_e32 v124, 0
	s_cbranch_vccnz .LBB169_35
; %bb.34:
	v_lshl_add_u64 v[126:127], v[122:123], 0, v[144:145]
	global_load_dwordx2 v[126:127], v[126:127], off
	v_lshl_add_u64 v[152:153], v[120:121], 0, v[144:145]
	s_waitcnt vmcnt(0)
	v_mul_f64 v[126:127], s[6:7], v[126:127]
	v_cvt_f32_f64_e32 v124, v[126:127]
	v_min_f32_e32 v124, v124, v125
	v_cvt_f64_f32_e32 v[124:125], v124
	global_store_dwordx2 v[152:153], v[124:125], off
	v_lshl_add_u64 v[124:125], v[130:131], 3, v[122:123]
	global_load_dwordx2 v[124:125], v[124:125], off
	s_waitcnt vmcnt(0)
	v_mul_f64 v[124:125], s[6:7], v[124:125]
	v_cvt_f32_f64_e32 v124, v[124:125]
.LBB169_35:
	v_add_f64 v[126:127], v[42:43], v[118:119]
	v_add_f64 v[152:153], v[40:41], v[116:117]
	v_cvt_f32_f64_e32 v125, v[152:153]
	v_cvt_f32_f64_e32 v126, v[126:127]
	v_min3_f32 v125, v125, v126, v207
	v_add_f64 v[126:127], v[46:47], v[118:119]
	v_add_f64 v[152:153], v[44:45], v[116:117]
	v_cvt_f32_f64_e32 v152, v[152:153]
	v_cvt_f32_f64_e32 v126, v[126:127]
	v_min3_f32 v154, v152, v126, v208
	v_add_f64 v[126:127], v[38:39], v[114:115]
	v_add_f64 v[152:153], v[36:37], v[112:113]
	v_cvt_f32_f64_e32 v152, v[152:153]
	v_cvt_f32_f64_e32 v126, v[126:127]
	v_min_f32_e32 v155, v152, v126
	v_add_f64 v[126:127], v[34:35], v[114:115]
	v_add_f64 v[152:153], v[32:33], v[112:113]
	v_cvt_f32_f64_e32 v152, v[152:153]
	v_cvt_f32_f64_e32 v126, v[126:127]
	v_min3_f32 v124, v124, v155, v125
	v_min3_f32 v152, v152, v126, v154
	v_cvt_f64_f32_e32 v[124:125], v124
	v_lshl_add_u64 v[126:127], v[130:131], 3, v[120:121]
	global_store_dwordx2 v[126:127], v[124:125], off
	s_mov_b64 s[2:3], -1
	v_max_f32_e32 v125, v152, v152
	s_mov_b64 vcc, s[4:5]
	s_cbranch_vccz .LBB169_37
; %bb.36:
	v_min_f32_e32 v124, 0, v125
	v_cvt_f64_f32_e32 v[126:127], v124
	v_lshl_add_u64 v[152:153], v[142:143], 3, v[120:121]
	global_store_dwordx2 v[152:153], v[126:127], off
	s_mov_b64 s[2:3], 0
.LBB169_37:
	;; [unrolled: 54-line block ×3, first 2 shown]
	s_andn2_b64 vcc, exec, s[2:3]
	v_mov_b32_e32 v124, 0
	s_cbranch_vccnz .LBB169_43
; %bb.42:
	v_lshl_add_u64 v[126:127], v[122:123], 0, v[150:151]
	global_load_dwordx2 v[126:127], v[126:127], off
	v_lshl_add_u64 v[152:153], v[120:121], 0, v[150:151]
	v_lshl_add_u64 v[122:123], v[136:137], 3, v[122:123]
	s_waitcnt vmcnt(0)
	v_mul_f64 v[126:127], s[6:7], v[126:127]
	v_cvt_f32_f64_e32 v124, v[126:127]
	v_min_f32_e32 v124, v124, v125
	v_cvt_f64_f32_e32 v[124:125], v124
	global_store_dwordx2 v[152:153], v[124:125], off
	global_load_dwordx2 v[122:123], v[122:123], off
	s_waitcnt vmcnt(0)
	v_mul_f64 v[122:123], s[6:7], v[122:123]
	v_cvt_f32_f64_e32 v124, v[122:123]
.LBB169_43:
	v_add_f64 v[118:119], v[2:3], v[118:119]
	v_add_f64 v[116:117], v[0:1], v[116:117]
	v_cvt_f32_f64_e32 v116, v[116:117]
	v_cvt_f32_f64_e32 v117, v[118:119]
	v_add_f64 v[114:115], v[10:11], v[114:115]
	v_add_f64 v[112:113], v[8:9], v[112:113]
	v_min3_f32 v122, v116, v117, v203
	s_waitcnt lgkmcnt(11)
	v_add_f64 v[116:117], v[70:71], v[110:111]
	v_add_f64 v[118:119], v[68:69], v[108:109]
	v_cvt_f32_f64_e32 v112, v[112:113]
	v_cvt_f32_f64_e32 v113, v[114:115]
	;; [unrolled: 1-line block ×4, first 2 shown]
	v_min_f32_e32 v117, v112, v113
	s_waitcnt lgkmcnt(10)
	v_add_f64 v[112:113], v[66:67], v[106:107]
	v_add_f64 v[114:115], v[64:65], v[104:105]
	v_min3_f32 v116, v118, v116, v205
	v_cvt_f32_f64_e32 v114, v[114:115]
	v_cvt_f32_f64_e32 v112, v[112:113]
	v_min3_f32 v116, v114, v112, v116
	v_min3_f32 v112, v124, v117, v122
	v_cvt_f64_f32_e32 v[112:113], v112
	v_lshl_add_u64 v[114:115], v[136:137], 3, v[120:121]
	global_store_dwordx2 v[114:115], v[112:113], off
	v_add_u32_e32 v114, 64, v213
	v_mad_i64_i32 v[112:113], s[2:3], v114, s9, 0
	v_mad_i64_i32 v[114:115], s[2:3], v114, s8, 0
	v_lshl_add_u64 v[112:113], v[112:113], 3, s[0:1]
	s_mov_b64 s[2:3], -1
	v_max_f32_e32 v117, v116, v116
	s_mov_b64 vcc, s[4:5]
	s_cbranch_vccz .LBB169_45
; %bb.44:
	v_min_f32_e32 v116, 0, v117
	v_cvt_f64_f32_e32 v[118:119], v116
	v_lshl_add_u64 v[120:121], v[134:135], 3, v[112:113]
	global_store_dwordx2 v[120:121], v[118:119], off
	s_mov_b64 s[2:3], 0
.LBB169_45:
	v_lshl_add_u64 v[114:115], v[114:115], 3, s[12:13]
	s_andn2_b64 vcc, exec, s[2:3]
	v_mov_b32_e32 v116, 0
	s_cbranch_vccnz .LBB169_47
; %bb.46:
	v_lshl_add_u64 v[118:119], v[114:115], 0, v[138:139]
	global_load_dwordx2 v[118:119], v[118:119], off
	v_lshl_add_u64 v[120:121], v[112:113], 0, v[138:139]
	s_waitcnt vmcnt(0)
	v_mul_f64 v[118:119], s[6:7], v[118:119]
	v_cvt_f32_f64_e32 v116, v[118:119]
	v_min_f32_e32 v116, v116, v117
	v_cvt_f64_f32_e32 v[116:117], v116
	global_store_dwordx2 v[120:121], v[116:117], off
	v_lshl_add_u64 v[116:117], v[128:129], 3, v[114:115]
	global_load_dwordx2 v[116:117], v[116:117], off
	s_waitcnt vmcnt(0)
	v_mul_f64 v[116:117], s[6:7], v[116:117]
	v_cvt_f32_f64_e32 v116, v[116:117]
.LBB169_47:
	v_add_f64 v[118:119], v[62:63], v[110:111]
	v_add_f64 v[120:121], v[60:61], v[108:109]
	v_cvt_f32_f64_e32 v117, v[120:121]
	v_cvt_f32_f64_e32 v118, v[118:119]
	v_min3_f32 v117, v117, v118, v201
	v_add_f64 v[118:119], v[58:59], v[110:111]
	v_add_f64 v[120:121], v[56:57], v[108:109]
	v_cvt_f32_f64_e32 v120, v[120:121]
	v_cvt_f32_f64_e32 v118, v[118:119]
	v_min3_f32 v122, v120, v118, v202
	v_add_f64 v[118:119], v[54:55], v[106:107]
	v_add_f64 v[120:121], v[52:53], v[104:105]
	v_cvt_f32_f64_e32 v120, v[120:121]
	v_cvt_f32_f64_e32 v118, v[118:119]
	v_min_f32_e32 v123, v120, v118
	v_add_f64 v[118:119], v[50:51], v[106:107]
	v_add_f64 v[120:121], v[48:49], v[104:105]
	v_cvt_f32_f64_e32 v120, v[120:121]
	v_cvt_f32_f64_e32 v118, v[118:119]
	v_min3_f32 v116, v116, v123, v117
	v_min3_f32 v120, v120, v118, v122
	v_cvt_f64_f32_e32 v[116:117], v116
	v_lshl_add_u64 v[118:119], v[128:129], 3, v[112:113]
	global_store_dwordx2 v[118:119], v[116:117], off
	s_mov_b64 s[2:3], -1
	v_max_f32_e32 v117, v120, v120
	s_mov_b64 vcc, s[4:5]
	s_cbranch_vccz .LBB169_49
; %bb.48:
	v_min_f32_e32 v116, 0, v117
	v_cvt_f64_f32_e32 v[118:119], v116
	v_lshl_add_u64 v[120:121], v[140:141], 3, v[112:113]
	global_store_dwordx2 v[120:121], v[118:119], off
	s_mov_b64 s[2:3], 0
.LBB169_49:
	s_andn2_b64 vcc, exec, s[2:3]
	v_mov_b32_e32 v116, 0
	s_cbranch_vccnz .LBB169_51
; %bb.50:
	v_lshl_add_u64 v[118:119], v[114:115], 0, v[144:145]
	global_load_dwordx2 v[118:119], v[118:119], off
	v_lshl_add_u64 v[120:121], v[112:113], 0, v[144:145]
	s_waitcnt vmcnt(0)
	v_mul_f64 v[118:119], s[6:7], v[118:119]
	v_cvt_f32_f64_e32 v116, v[118:119]
	v_min_f32_e32 v116, v116, v117
	v_cvt_f64_f32_e32 v[116:117], v116
	global_store_dwordx2 v[120:121], v[116:117], off
	v_lshl_add_u64 v[116:117], v[130:131], 3, v[114:115]
	global_load_dwordx2 v[116:117], v[116:117], off
	s_waitcnt vmcnt(0)
	v_mul_f64 v[116:117], s[6:7], v[116:117]
	v_cvt_f32_f64_e32 v116, v[116:117]
.LBB169_51:
	v_add_f64 v[118:119], v[42:43], v[110:111]
	v_add_f64 v[120:121], v[40:41], v[108:109]
	v_cvt_f32_f64_e32 v117, v[120:121]
	v_cvt_f32_f64_e32 v118, v[118:119]
	v_min3_f32 v117, v117, v118, v198
	v_add_f64 v[118:119], v[46:47], v[110:111]
	v_add_f64 v[120:121], v[44:45], v[108:109]
	v_cvt_f32_f64_e32 v120, v[120:121]
	v_cvt_f32_f64_e32 v118, v[118:119]
	v_min3_f32 v122, v120, v118, v199
	v_add_f64 v[118:119], v[38:39], v[106:107]
	v_add_f64 v[120:121], v[36:37], v[104:105]
	v_cvt_f32_f64_e32 v120, v[120:121]
	v_cvt_f32_f64_e32 v118, v[118:119]
	v_min_f32_e32 v123, v120, v118
	v_add_f64 v[118:119], v[34:35], v[106:107]
	v_add_f64 v[120:121], v[32:33], v[104:105]
	v_cvt_f32_f64_e32 v120, v[120:121]
	v_cvt_f32_f64_e32 v118, v[118:119]
	v_min3_f32 v116, v116, v123, v117
	v_min3_f32 v120, v120, v118, v122
	v_cvt_f64_f32_e32 v[116:117], v116
	v_lshl_add_u64 v[118:119], v[130:131], 3, v[112:113]
	global_store_dwordx2 v[118:119], v[116:117], off
	s_mov_b64 s[2:3], -1
	v_max_f32_e32 v117, v120, v120
	s_mov_b64 vcc, s[4:5]
	s_cbranch_vccz .LBB169_53
; %bb.52:
	v_min_f32_e32 v116, 0, v117
	v_cvt_f64_f32_e32 v[118:119], v116
	v_lshl_add_u64 v[120:121], v[142:143], 3, v[112:113]
	global_store_dwordx2 v[120:121], v[118:119], off
	s_mov_b64 s[2:3], 0
.LBB169_53:
	s_andn2_b64 vcc, exec, s[2:3]
	v_mov_b32_e32 v116, 0
	s_cbranch_vccnz .LBB169_55
; %bb.54:
	v_lshl_add_u64 v[118:119], v[114:115], 0, v[148:149]
	global_load_dwordx2 v[118:119], v[118:119], off
	v_lshl_add_u64 v[120:121], v[112:113], 0, v[148:149]
	s_waitcnt vmcnt(0)
	v_mul_f64 v[118:119], s[6:7], v[118:119]
	v_cvt_f32_f64_e32 v116, v[118:119]
	v_min_f32_e32 v116, v116, v117
	v_cvt_f64_f32_e32 v[116:117], v116
	global_store_dwordx2 v[120:121], v[116:117], off
	v_lshl_add_u64 v[116:117], v[132:133], 3, v[114:115]
	global_load_dwordx2 v[116:117], v[116:117], off
	s_waitcnt vmcnt(0)
	v_mul_f64 v[116:117], s[6:7], v[116:117]
	v_cvt_f32_f64_e32 v116, v[116:117]
.LBB169_55:
	v_add_f64 v[118:119], v[30:31], v[110:111]
	v_add_f64 v[120:121], v[28:29], v[108:109]
	v_cvt_f32_f64_e32 v117, v[120:121]
	v_cvt_f32_f64_e32 v118, v[118:119]
	v_min3_f32 v117, v117, v118, v195
	v_add_f64 v[118:119], v[26:27], v[110:111]
	v_add_f64 v[120:121], v[24:25], v[108:109]
	v_cvt_f32_f64_e32 v120, v[120:121]
	v_cvt_f32_f64_e32 v118, v[118:119]
	v_min3_f32 v122, v120, v118, v197
	v_add_f64 v[118:119], v[22:23], v[106:107]
	v_add_f64 v[120:121], v[20:21], v[104:105]
	v_cvt_f32_f64_e32 v120, v[120:121]
	v_cvt_f32_f64_e32 v118, v[118:119]
	v_min_f32_e32 v123, v120, v118
	v_add_f64 v[118:119], v[18:19], v[106:107]
	v_add_f64 v[120:121], v[16:17], v[104:105]
	v_cvt_f32_f64_e32 v120, v[120:121]
	v_cvt_f32_f64_e32 v118, v[118:119]
	v_min3_f32 v116, v116, v123, v117
	v_min3_f32 v120, v120, v118, v122
	v_cvt_f64_f32_e32 v[116:117], v116
	v_lshl_add_u64 v[118:119], v[132:133], 3, v[112:113]
	global_store_dwordx2 v[118:119], v[116:117], off
	s_mov_b64 s[2:3], -1
	v_max_f32_e32 v117, v120, v120
	s_mov_b64 vcc, s[4:5]
	s_cbranch_vccz .LBB169_57
; %bb.56:
	v_min_f32_e32 v116, 0, v117
	v_cvt_f64_f32_e32 v[118:119], v116
	v_lshl_add_u64 v[120:121], v[146:147], 3, v[112:113]
	global_store_dwordx2 v[120:121], v[118:119], off
	s_mov_b64 s[2:3], 0
.LBB169_57:
	s_andn2_b64 vcc, exec, s[2:3]
	v_mov_b32_e32 v116, 0
	s_cbranch_vccnz .LBB169_59
; %bb.58:
	v_lshl_add_u64 v[118:119], v[114:115], 0, v[150:151]
	global_load_dwordx2 v[118:119], v[118:119], off
	v_lshl_add_u64 v[120:121], v[112:113], 0, v[150:151]
	v_lshl_add_u64 v[114:115], v[136:137], 3, v[114:115]
	s_waitcnt vmcnt(0)
	v_mul_f64 v[118:119], s[6:7], v[118:119]
	v_cvt_f32_f64_e32 v116, v[118:119]
	v_min_f32_e32 v116, v116, v117
	v_cvt_f64_f32_e32 v[116:117], v116
	global_store_dwordx2 v[120:121], v[116:117], off
	global_load_dwordx2 v[114:115], v[114:115], off
	s_waitcnt vmcnt(0)
	v_mul_f64 v[114:115], s[6:7], v[114:115]
	v_cvt_f32_f64_e32 v116, v[114:115]
.LBB169_59:
	v_add_f64 v[110:111], v[2:3], v[110:111]
	v_add_f64 v[108:109], v[0:1], v[108:109]
	v_cvt_f32_f64_e32 v108, v[108:109]
	v_cvt_f32_f64_e32 v109, v[110:111]
	v_add_f64 v[106:107], v[10:11], v[106:107]
	v_add_f64 v[104:105], v[8:9], v[104:105]
	v_min3_f32 v114, v108, v109, v194
	s_waitcnt lgkmcnt(9)
	v_add_f64 v[108:109], v[70:71], v[102:103]
	v_add_f64 v[110:111], v[68:69], v[100:101]
	v_cvt_f32_f64_e32 v104, v[104:105]
	v_cvt_f32_f64_e32 v105, v[106:107]
	;; [unrolled: 1-line block ×4, first 2 shown]
	v_min_f32_e32 v109, v104, v105
	s_waitcnt lgkmcnt(8)
	v_add_f64 v[104:105], v[66:67], v[98:99]
	v_add_f64 v[106:107], v[64:65], v[96:97]
	v_min3_f32 v108, v110, v108, v196
	v_cvt_f32_f64_e32 v106, v[106:107]
	v_cvt_f32_f64_e32 v104, v[104:105]
	v_min3_f32 v108, v106, v104, v108
	v_min3_f32 v104, v116, v109, v114
	v_cvt_f64_f32_e32 v[104:105], v104
	v_lshl_add_u64 v[106:107], v[136:137], 3, v[112:113]
	global_store_dwordx2 v[106:107], v[104:105], off
	v_add_u32_e32 v106, 0x60, v213
	v_mad_i64_i32 v[104:105], s[2:3], v106, s9, 0
	v_mad_i64_i32 v[106:107], s[2:3], v106, s8, 0
	v_lshl_add_u64 v[104:105], v[104:105], 3, s[0:1]
	s_mov_b64 s[2:3], -1
	v_max_f32_e32 v109, v108, v108
	s_mov_b64 vcc, s[4:5]
	s_cbranch_vccz .LBB169_61
; %bb.60:
	v_min_f32_e32 v108, 0, v109
	v_cvt_f64_f32_e32 v[110:111], v108
	v_lshl_add_u64 v[112:113], v[134:135], 3, v[104:105]
	global_store_dwordx2 v[112:113], v[110:111], off
	s_mov_b64 s[2:3], 0
.LBB169_61:
	v_lshl_add_u64 v[106:107], v[106:107], 3, s[12:13]
	s_andn2_b64 vcc, exec, s[2:3]
	v_mov_b32_e32 v108, 0
	s_cbranch_vccnz .LBB169_63
; %bb.62:
	v_lshl_add_u64 v[110:111], v[106:107], 0, v[138:139]
	global_load_dwordx2 v[110:111], v[110:111], off
	v_lshl_add_u64 v[112:113], v[104:105], 0, v[138:139]
	s_waitcnt vmcnt(0)
	v_mul_f64 v[110:111], s[6:7], v[110:111]
	v_cvt_f32_f64_e32 v108, v[110:111]
	v_min_f32_e32 v108, v108, v109
	v_cvt_f64_f32_e32 v[108:109], v108
	global_store_dwordx2 v[112:113], v[108:109], off
	v_lshl_add_u64 v[108:109], v[128:129], 3, v[106:107]
	global_load_dwordx2 v[108:109], v[108:109], off
	s_waitcnt vmcnt(0)
	v_mul_f64 v[108:109], s[6:7], v[108:109]
	v_cvt_f32_f64_e32 v108, v[108:109]
.LBB169_63:
	v_add_f64 v[110:111], v[62:63], v[102:103]
	v_add_f64 v[112:113], v[60:61], v[100:101]
	v_cvt_f32_f64_e32 v109, v[112:113]
	v_cvt_f32_f64_e32 v110, v[110:111]
	v_min3_f32 v109, v109, v110, v192
	v_add_f64 v[110:111], v[58:59], v[102:103]
	v_add_f64 v[112:113], v[56:57], v[100:101]
	v_cvt_f32_f64_e32 v112, v[112:113]
	v_cvt_f32_f64_e32 v110, v[110:111]
	v_min3_f32 v114, v112, v110, v193
	v_add_f64 v[110:111], v[54:55], v[98:99]
	v_add_f64 v[112:113], v[52:53], v[96:97]
	v_cvt_f32_f64_e32 v112, v[112:113]
	v_cvt_f32_f64_e32 v110, v[110:111]
	v_min_f32_e32 v115, v112, v110
	v_add_f64 v[110:111], v[50:51], v[98:99]
	v_add_f64 v[112:113], v[48:49], v[96:97]
	v_cvt_f32_f64_e32 v112, v[112:113]
	v_cvt_f32_f64_e32 v110, v[110:111]
	v_min3_f32 v108, v108, v115, v109
	v_min3_f32 v112, v112, v110, v114
	v_cvt_f64_f32_e32 v[108:109], v108
	v_lshl_add_u64 v[110:111], v[128:129], 3, v[104:105]
	global_store_dwordx2 v[110:111], v[108:109], off
	s_mov_b64 s[2:3], -1
	v_max_f32_e32 v109, v112, v112
	s_mov_b64 vcc, s[4:5]
	s_cbranch_vccz .LBB169_65
; %bb.64:
	v_min_f32_e32 v108, 0, v109
	v_cvt_f64_f32_e32 v[110:111], v108
	v_lshl_add_u64 v[112:113], v[140:141], 3, v[104:105]
	global_store_dwordx2 v[112:113], v[110:111], off
	s_mov_b64 s[2:3], 0
.LBB169_65:
	s_andn2_b64 vcc, exec, s[2:3]
	v_mov_b32_e32 v108, 0
	s_cbranch_vccnz .LBB169_67
; %bb.66:
	v_lshl_add_u64 v[110:111], v[106:107], 0, v[144:145]
	global_load_dwordx2 v[110:111], v[110:111], off
	v_lshl_add_u64 v[112:113], v[104:105], 0, v[144:145]
	s_waitcnt vmcnt(0)
	v_mul_f64 v[110:111], s[6:7], v[110:111]
	v_cvt_f32_f64_e32 v108, v[110:111]
	v_min_f32_e32 v108, v108, v109
	v_cvt_f64_f32_e32 v[108:109], v108
	global_store_dwordx2 v[112:113], v[108:109], off
	v_lshl_add_u64 v[108:109], v[130:131], 3, v[106:107]
	global_load_dwordx2 v[108:109], v[108:109], off
	s_waitcnt vmcnt(0)
	v_mul_f64 v[108:109], s[6:7], v[108:109]
	v_cvt_f32_f64_e32 v108, v[108:109]
.LBB169_67:
	v_add_f64 v[110:111], v[42:43], v[102:103]
	v_add_f64 v[112:113], v[40:41], v[100:101]
	v_cvt_f32_f64_e32 v109, v[112:113]
	v_cvt_f32_f64_e32 v110, v[110:111]
	v_min3_f32 v109, v109, v110, v190
	v_add_f64 v[110:111], v[46:47], v[102:103]
	v_add_f64 v[112:113], v[44:45], v[100:101]
	v_cvt_f32_f64_e32 v112, v[112:113]
	v_cvt_f32_f64_e32 v110, v[110:111]
	v_min3_f32 v114, v112, v110, v191
	v_add_f64 v[110:111], v[38:39], v[98:99]
	v_add_f64 v[112:113], v[36:37], v[96:97]
	v_cvt_f32_f64_e32 v112, v[112:113]
	v_cvt_f32_f64_e32 v110, v[110:111]
	v_min_f32_e32 v115, v112, v110
	v_add_f64 v[110:111], v[34:35], v[98:99]
	v_add_f64 v[112:113], v[32:33], v[96:97]
	v_cvt_f32_f64_e32 v112, v[112:113]
	v_cvt_f32_f64_e32 v110, v[110:111]
	v_min3_f32 v108, v108, v115, v109
	v_min3_f32 v112, v112, v110, v114
	v_cvt_f64_f32_e32 v[108:109], v108
	v_lshl_add_u64 v[110:111], v[130:131], 3, v[104:105]
	global_store_dwordx2 v[110:111], v[108:109], off
	s_mov_b64 s[2:3], -1
	v_max_f32_e32 v109, v112, v112
	s_mov_b64 vcc, s[4:5]
	s_cbranch_vccz .LBB169_69
; %bb.68:
	v_min_f32_e32 v108, 0, v109
	v_cvt_f64_f32_e32 v[110:111], v108
	v_lshl_add_u64 v[112:113], v[142:143], 3, v[104:105]
	global_store_dwordx2 v[112:113], v[110:111], off
	s_mov_b64 s[2:3], 0
.LBB169_69:
	;; [unrolled: 54-line block ×3, first 2 shown]
	s_andn2_b64 vcc, exec, s[2:3]
	v_mov_b32_e32 v108, 0
	s_cbranch_vccnz .LBB169_75
; %bb.74:
	v_lshl_add_u64 v[110:111], v[106:107], 0, v[150:151]
	global_load_dwordx2 v[110:111], v[110:111], off
	v_lshl_add_u64 v[112:113], v[104:105], 0, v[150:151]
	v_lshl_add_u64 v[106:107], v[136:137], 3, v[106:107]
	s_waitcnt vmcnt(0)
	v_mul_f64 v[110:111], s[6:7], v[110:111]
	v_cvt_f32_f64_e32 v108, v[110:111]
	v_min_f32_e32 v108, v108, v109
	v_cvt_f64_f32_e32 v[108:109], v108
	global_store_dwordx2 v[112:113], v[108:109], off
	global_load_dwordx2 v[106:107], v[106:107], off
	s_waitcnt vmcnt(0)
	v_mul_f64 v[106:107], s[6:7], v[106:107]
	v_cvt_f32_f64_e32 v108, v[106:107]
.LBB169_75:
	v_add_f64 v[102:103], v[2:3], v[102:103]
	v_add_f64 v[100:101], v[0:1], v[100:101]
	v_cvt_f32_f64_e32 v100, v[100:101]
	v_cvt_f32_f64_e32 v101, v[102:103]
	v_add_f64 v[98:99], v[10:11], v[98:99]
	v_add_f64 v[96:97], v[8:9], v[96:97]
	v_min3_f32 v106, v100, v101, v186
	s_waitcnt lgkmcnt(7)
	v_add_f64 v[100:101], v[70:71], v[94:95]
	v_add_f64 v[102:103], v[68:69], v[92:93]
	v_cvt_f32_f64_e32 v96, v[96:97]
	v_cvt_f32_f64_e32 v97, v[98:99]
	;; [unrolled: 1-line block ×4, first 2 shown]
	v_min_f32_e32 v101, v96, v97
	s_waitcnt lgkmcnt(6)
	v_add_f64 v[96:97], v[66:67], v[90:91]
	v_add_f64 v[98:99], v[64:65], v[88:89]
	v_min3_f32 v100, v102, v100, v188
	v_cvt_f32_f64_e32 v98, v[98:99]
	v_cvt_f32_f64_e32 v96, v[96:97]
	v_min3_f32 v100, v98, v96, v100
	v_min3_f32 v96, v108, v101, v106
	v_cvt_f64_f32_e32 v[96:97], v96
	v_lshl_add_u64 v[98:99], v[136:137], 3, v[104:105]
	global_store_dwordx2 v[98:99], v[96:97], off
	v_add_u32_e32 v98, 0x80, v213
	v_mad_i64_i32 v[96:97], s[2:3], v98, s9, 0
	v_mad_i64_i32 v[98:99], s[2:3], v98, s8, 0
	v_lshl_add_u64 v[96:97], v[96:97], 3, s[0:1]
	s_mov_b64 s[2:3], -1
	v_max_f32_e32 v101, v100, v100
	s_mov_b64 vcc, s[4:5]
	s_cbranch_vccz .LBB169_77
; %bb.76:
	v_min_f32_e32 v100, 0, v101
	v_cvt_f64_f32_e32 v[102:103], v100
	v_lshl_add_u64 v[104:105], v[134:135], 3, v[96:97]
	global_store_dwordx2 v[104:105], v[102:103], off
	s_mov_b64 s[2:3], 0
.LBB169_77:
	v_lshl_add_u64 v[98:99], v[98:99], 3, s[12:13]
	s_andn2_b64 vcc, exec, s[2:3]
	v_mov_b32_e32 v100, 0
	s_cbranch_vccnz .LBB169_79
; %bb.78:
	v_lshl_add_u64 v[102:103], v[98:99], 0, v[138:139]
	global_load_dwordx2 v[102:103], v[102:103], off
	v_lshl_add_u64 v[104:105], v[96:97], 0, v[138:139]
	s_waitcnt vmcnt(0)
	v_mul_f64 v[102:103], s[6:7], v[102:103]
	v_cvt_f32_f64_e32 v100, v[102:103]
	v_min_f32_e32 v100, v100, v101
	v_cvt_f64_f32_e32 v[100:101], v100
	global_store_dwordx2 v[104:105], v[100:101], off
	v_lshl_add_u64 v[100:101], v[128:129], 3, v[98:99]
	global_load_dwordx2 v[100:101], v[100:101], off
	s_waitcnt vmcnt(0)
	v_mul_f64 v[100:101], s[6:7], v[100:101]
	v_cvt_f32_f64_e32 v100, v[100:101]
.LBB169_79:
	v_add_f64 v[102:103], v[62:63], v[94:95]
	v_add_f64 v[104:105], v[60:61], v[92:93]
	v_cvt_f32_f64_e32 v101, v[104:105]
	v_cvt_f32_f64_e32 v102, v[102:103]
	v_min3_f32 v101, v101, v102, v184
	v_add_f64 v[102:103], v[58:59], v[94:95]
	v_add_f64 v[104:105], v[56:57], v[92:93]
	v_cvt_f32_f64_e32 v104, v[104:105]
	v_cvt_f32_f64_e32 v102, v[102:103]
	v_min3_f32 v106, v104, v102, v185
	v_add_f64 v[102:103], v[54:55], v[90:91]
	v_add_f64 v[104:105], v[52:53], v[88:89]
	v_cvt_f32_f64_e32 v104, v[104:105]
	v_cvt_f32_f64_e32 v102, v[102:103]
	v_min_f32_e32 v107, v104, v102
	v_add_f64 v[102:103], v[50:51], v[90:91]
	v_add_f64 v[104:105], v[48:49], v[88:89]
	v_cvt_f32_f64_e32 v104, v[104:105]
	v_cvt_f32_f64_e32 v102, v[102:103]
	v_min3_f32 v100, v100, v107, v101
	v_min3_f32 v104, v104, v102, v106
	v_cvt_f64_f32_e32 v[100:101], v100
	v_lshl_add_u64 v[102:103], v[128:129], 3, v[96:97]
	global_store_dwordx2 v[102:103], v[100:101], off
	s_mov_b64 s[2:3], -1
	v_max_f32_e32 v101, v104, v104
	s_mov_b64 vcc, s[4:5]
	s_cbranch_vccz .LBB169_81
; %bb.80:
	v_min_f32_e32 v100, 0, v101
	v_cvt_f64_f32_e32 v[102:103], v100
	v_lshl_add_u64 v[104:105], v[140:141], 3, v[96:97]
	global_store_dwordx2 v[104:105], v[102:103], off
	s_mov_b64 s[2:3], 0
.LBB169_81:
	s_andn2_b64 vcc, exec, s[2:3]
	v_mov_b32_e32 v100, 0
	s_cbranch_vccnz .LBB169_83
; %bb.82:
	v_lshl_add_u64 v[102:103], v[98:99], 0, v[144:145]
	global_load_dwordx2 v[102:103], v[102:103], off
	v_lshl_add_u64 v[104:105], v[96:97], 0, v[144:145]
	s_waitcnt vmcnt(0)
	v_mul_f64 v[102:103], s[6:7], v[102:103]
	v_cvt_f32_f64_e32 v100, v[102:103]
	v_min_f32_e32 v100, v100, v101
	v_cvt_f64_f32_e32 v[100:101], v100
	global_store_dwordx2 v[104:105], v[100:101], off
	v_lshl_add_u64 v[100:101], v[130:131], 3, v[98:99]
	global_load_dwordx2 v[100:101], v[100:101], off
	s_waitcnt vmcnt(0)
	v_mul_f64 v[100:101], s[6:7], v[100:101]
	v_cvt_f32_f64_e32 v100, v[100:101]
.LBB169_83:
	v_add_f64 v[102:103], v[42:43], v[94:95]
	v_add_f64 v[104:105], v[40:41], v[92:93]
	v_cvt_f32_f64_e32 v101, v[104:105]
	v_cvt_f32_f64_e32 v102, v[102:103]
	v_min3_f32 v101, v101, v102, v182
	v_add_f64 v[102:103], v[46:47], v[94:95]
	v_add_f64 v[104:105], v[44:45], v[92:93]
	v_cvt_f32_f64_e32 v104, v[104:105]
	v_cvt_f32_f64_e32 v102, v[102:103]
	v_min3_f32 v106, v104, v102, v183
	v_add_f64 v[102:103], v[38:39], v[90:91]
	v_add_f64 v[104:105], v[36:37], v[88:89]
	v_cvt_f32_f64_e32 v104, v[104:105]
	v_cvt_f32_f64_e32 v102, v[102:103]
	v_min_f32_e32 v107, v104, v102
	v_add_f64 v[102:103], v[34:35], v[90:91]
	v_add_f64 v[104:105], v[32:33], v[88:89]
	v_cvt_f32_f64_e32 v104, v[104:105]
	v_cvt_f32_f64_e32 v102, v[102:103]
	v_min3_f32 v100, v100, v107, v101
	v_min3_f32 v104, v104, v102, v106
	v_cvt_f64_f32_e32 v[100:101], v100
	v_lshl_add_u64 v[102:103], v[130:131], 3, v[96:97]
	global_store_dwordx2 v[102:103], v[100:101], off
	s_mov_b64 s[2:3], -1
	v_max_f32_e32 v101, v104, v104
	s_mov_b64 vcc, s[4:5]
	s_cbranch_vccz .LBB169_85
; %bb.84:
	v_min_f32_e32 v100, 0, v101
	v_cvt_f64_f32_e32 v[102:103], v100
	v_lshl_add_u64 v[104:105], v[142:143], 3, v[96:97]
	global_store_dwordx2 v[104:105], v[102:103], off
	s_mov_b64 s[2:3], 0
.LBB169_85:
	;; [unrolled: 54-line block ×3, first 2 shown]
	s_andn2_b64 vcc, exec, s[2:3]
	v_mov_b32_e32 v100, 0
	s_cbranch_vccnz .LBB169_91
; %bb.90:
	v_lshl_add_u64 v[102:103], v[98:99], 0, v[150:151]
	global_load_dwordx2 v[102:103], v[102:103], off
	v_lshl_add_u64 v[104:105], v[96:97], 0, v[150:151]
	v_lshl_add_u64 v[98:99], v[136:137], 3, v[98:99]
	s_waitcnt vmcnt(0)
	v_mul_f64 v[102:103], s[6:7], v[102:103]
	v_cvt_f32_f64_e32 v100, v[102:103]
	v_min_f32_e32 v100, v100, v101
	v_cvt_f64_f32_e32 v[100:101], v100
	global_store_dwordx2 v[104:105], v[100:101], off
	global_load_dwordx2 v[98:99], v[98:99], off
	s_waitcnt vmcnt(0)
	v_mul_f64 v[98:99], s[6:7], v[98:99]
	v_cvt_f32_f64_e32 v100, v[98:99]
.LBB169_91:
	v_add_f64 v[94:95], v[2:3], v[94:95]
	v_add_f64 v[92:93], v[0:1], v[92:93]
	v_cvt_f32_f64_e32 v92, v[92:93]
	v_cvt_f32_f64_e32 v93, v[94:95]
	v_add_f64 v[90:91], v[10:11], v[90:91]
	v_add_f64 v[88:89], v[8:9], v[88:89]
	v_min3_f32 v98, v92, v93, v178
	s_waitcnt lgkmcnt(5)
	v_add_f64 v[92:93], v[70:71], v[86:87]
	v_add_f64 v[94:95], v[68:69], v[84:85]
	v_cvt_f32_f64_e32 v88, v[88:89]
	v_cvt_f32_f64_e32 v89, v[90:91]
	;; [unrolled: 1-line block ×4, first 2 shown]
	v_min_f32_e32 v93, v88, v89
	s_waitcnt lgkmcnt(4)
	v_add_f64 v[88:89], v[66:67], v[82:83]
	v_add_f64 v[90:91], v[64:65], v[80:81]
	v_min3_f32 v92, v94, v92, v180
	v_cvt_f32_f64_e32 v90, v[90:91]
	v_cvt_f32_f64_e32 v88, v[88:89]
	v_min3_f32 v92, v90, v88, v92
	v_min3_f32 v88, v100, v93, v98
	v_cvt_f64_f32_e32 v[88:89], v88
	v_lshl_add_u64 v[90:91], v[136:137], 3, v[96:97]
	global_store_dwordx2 v[90:91], v[88:89], off
	v_add_u32_e32 v90, 0xa0, v213
	v_mad_i64_i32 v[88:89], s[2:3], v90, s9, 0
	v_mad_i64_i32 v[90:91], s[2:3], v90, s8, 0
	v_lshl_add_u64 v[88:89], v[88:89], 3, s[0:1]
	s_mov_b64 s[2:3], -1
	v_max_f32_e32 v93, v92, v92
	s_mov_b64 vcc, s[4:5]
	s_cbranch_vccz .LBB169_93
; %bb.92:
	v_min_f32_e32 v92, 0, v93
	v_cvt_f64_f32_e32 v[94:95], v92
	v_lshl_add_u64 v[96:97], v[134:135], 3, v[88:89]
	global_store_dwordx2 v[96:97], v[94:95], off
	s_mov_b64 s[2:3], 0
.LBB169_93:
	v_lshl_add_u64 v[90:91], v[90:91], 3, s[12:13]
	s_andn2_b64 vcc, exec, s[2:3]
	v_mov_b32_e32 v92, 0
	s_cbranch_vccnz .LBB169_95
; %bb.94:
	v_lshl_add_u64 v[94:95], v[90:91], 0, v[138:139]
	global_load_dwordx2 v[94:95], v[94:95], off
	v_lshl_add_u64 v[96:97], v[88:89], 0, v[138:139]
	s_waitcnt vmcnt(0)
	v_mul_f64 v[94:95], s[6:7], v[94:95]
	v_cvt_f32_f64_e32 v92, v[94:95]
	v_min_f32_e32 v92, v92, v93
	v_cvt_f64_f32_e32 v[92:93], v92
	global_store_dwordx2 v[96:97], v[92:93], off
	v_lshl_add_u64 v[92:93], v[128:129], 3, v[90:91]
	global_load_dwordx2 v[92:93], v[92:93], off
	s_waitcnt vmcnt(0)
	v_mul_f64 v[92:93], s[6:7], v[92:93]
	v_cvt_f32_f64_e32 v92, v[92:93]
.LBB169_95:
	v_add_f64 v[94:95], v[62:63], v[86:87]
	v_add_f64 v[96:97], v[60:61], v[84:85]
	v_cvt_f32_f64_e32 v93, v[96:97]
	v_cvt_f32_f64_e32 v94, v[94:95]
	v_min3_f32 v93, v93, v94, v176
	v_add_f64 v[94:95], v[58:59], v[86:87]
	v_add_f64 v[96:97], v[56:57], v[84:85]
	v_cvt_f32_f64_e32 v96, v[96:97]
	v_cvt_f32_f64_e32 v94, v[94:95]
	v_min3_f32 v98, v96, v94, v177
	v_add_f64 v[94:95], v[54:55], v[82:83]
	v_add_f64 v[96:97], v[52:53], v[80:81]
	v_cvt_f32_f64_e32 v96, v[96:97]
	v_cvt_f32_f64_e32 v94, v[94:95]
	v_min_f32_e32 v99, v96, v94
	v_add_f64 v[94:95], v[50:51], v[82:83]
	v_add_f64 v[96:97], v[48:49], v[80:81]
	v_cvt_f32_f64_e32 v96, v[96:97]
	v_cvt_f32_f64_e32 v94, v[94:95]
	v_min3_f32 v92, v92, v99, v93
	v_min3_f32 v96, v96, v94, v98
	v_cvt_f64_f32_e32 v[92:93], v92
	v_lshl_add_u64 v[94:95], v[128:129], 3, v[88:89]
	global_store_dwordx2 v[94:95], v[92:93], off
	s_mov_b64 s[2:3], -1
	v_max_f32_e32 v93, v96, v96
	s_mov_b64 vcc, s[4:5]
	s_cbranch_vccz .LBB169_97
; %bb.96:
	v_min_f32_e32 v92, 0, v93
	v_cvt_f64_f32_e32 v[94:95], v92
	v_lshl_add_u64 v[96:97], v[140:141], 3, v[88:89]
	global_store_dwordx2 v[96:97], v[94:95], off
	s_mov_b64 s[2:3], 0
.LBB169_97:
	s_andn2_b64 vcc, exec, s[2:3]
	v_mov_b32_e32 v92, 0
	s_cbranch_vccnz .LBB169_99
; %bb.98:
	v_lshl_add_u64 v[94:95], v[90:91], 0, v[144:145]
	global_load_dwordx2 v[94:95], v[94:95], off
	v_lshl_add_u64 v[96:97], v[88:89], 0, v[144:145]
	s_waitcnt vmcnt(0)
	v_mul_f64 v[94:95], s[6:7], v[94:95]
	v_cvt_f32_f64_e32 v92, v[94:95]
	v_min_f32_e32 v92, v92, v93
	v_cvt_f64_f32_e32 v[92:93], v92
	global_store_dwordx2 v[96:97], v[92:93], off
	v_lshl_add_u64 v[92:93], v[130:131], 3, v[90:91]
	global_load_dwordx2 v[92:93], v[92:93], off
	s_waitcnt vmcnt(0)
	v_mul_f64 v[92:93], s[6:7], v[92:93]
	v_cvt_f32_f64_e32 v92, v[92:93]
.LBB169_99:
	v_add_f64 v[94:95], v[42:43], v[86:87]
	v_add_f64 v[96:97], v[40:41], v[84:85]
	v_cvt_f32_f64_e32 v93, v[96:97]
	v_cvt_f32_f64_e32 v94, v[94:95]
	v_min3_f32 v93, v93, v94, v174
	v_add_f64 v[94:95], v[46:47], v[86:87]
	v_add_f64 v[96:97], v[44:45], v[84:85]
	v_cvt_f32_f64_e32 v96, v[96:97]
	v_cvt_f32_f64_e32 v94, v[94:95]
	v_min3_f32 v98, v96, v94, v175
	v_add_f64 v[94:95], v[38:39], v[82:83]
	v_add_f64 v[96:97], v[36:37], v[80:81]
	v_cvt_f32_f64_e32 v96, v[96:97]
	v_cvt_f32_f64_e32 v94, v[94:95]
	v_min_f32_e32 v99, v96, v94
	v_add_f64 v[94:95], v[34:35], v[82:83]
	v_add_f64 v[96:97], v[32:33], v[80:81]
	v_cvt_f32_f64_e32 v96, v[96:97]
	v_cvt_f32_f64_e32 v94, v[94:95]
	v_min3_f32 v92, v92, v99, v93
	v_min3_f32 v96, v96, v94, v98
	v_cvt_f64_f32_e32 v[92:93], v92
	v_lshl_add_u64 v[94:95], v[130:131], 3, v[88:89]
	global_store_dwordx2 v[94:95], v[92:93], off
	s_mov_b64 s[2:3], -1
	v_max_f32_e32 v93, v96, v96
	s_mov_b64 vcc, s[4:5]
	s_cbranch_vccz .LBB169_101
; %bb.100:
	v_min_f32_e32 v92, 0, v93
	v_cvt_f64_f32_e32 v[94:95], v92
	v_lshl_add_u64 v[96:97], v[142:143], 3, v[88:89]
	global_store_dwordx2 v[96:97], v[94:95], off
	s_mov_b64 s[2:3], 0
.LBB169_101:
	;; [unrolled: 54-line block ×3, first 2 shown]
	s_andn2_b64 vcc, exec, s[2:3]
	v_mov_b32_e32 v92, 0
	s_cbranch_vccnz .LBB169_107
; %bb.106:
	v_lshl_add_u64 v[94:95], v[90:91], 0, v[150:151]
	global_load_dwordx2 v[94:95], v[94:95], off
	v_lshl_add_u64 v[96:97], v[88:89], 0, v[150:151]
	v_lshl_add_u64 v[90:91], v[136:137], 3, v[90:91]
	s_waitcnt vmcnt(0)
	v_mul_f64 v[94:95], s[6:7], v[94:95]
	v_cvt_f32_f64_e32 v92, v[94:95]
	v_min_f32_e32 v92, v92, v93
	v_cvt_f64_f32_e32 v[92:93], v92
	global_store_dwordx2 v[96:97], v[92:93], off
	global_load_dwordx2 v[90:91], v[90:91], off
	s_waitcnt vmcnt(0)
	v_mul_f64 v[90:91], s[6:7], v[90:91]
	v_cvt_f32_f64_e32 v92, v[90:91]
.LBB169_107:
	v_add_f64 v[86:87], v[2:3], v[86:87]
	v_add_f64 v[84:85], v[0:1], v[84:85]
	v_cvt_f32_f64_e32 v84, v[84:85]
	v_cvt_f32_f64_e32 v85, v[86:87]
	v_add_f64 v[82:83], v[10:11], v[82:83]
	v_add_f64 v[80:81], v[8:9], v[80:81]
	v_min3_f32 v90, v84, v85, v170
	s_waitcnt lgkmcnt(3)
	v_add_f64 v[84:85], v[70:71], v[78:79]
	v_add_f64 v[86:87], v[68:69], v[76:77]
	v_cvt_f32_f64_e32 v80, v[80:81]
	v_cvt_f32_f64_e32 v81, v[82:83]
	;; [unrolled: 1-line block ×4, first 2 shown]
	v_min_f32_e32 v85, v80, v81
	s_waitcnt lgkmcnt(2)
	v_add_f64 v[80:81], v[66:67], v[74:75]
	v_add_f64 v[82:83], v[64:65], v[72:73]
	v_min3_f32 v84, v86, v84, v172
	v_cvt_f32_f64_e32 v82, v[82:83]
	v_cvt_f32_f64_e32 v80, v[80:81]
	v_min3_f32 v84, v82, v80, v84
	v_min3_f32 v80, v92, v85, v90
	v_cvt_f64_f32_e32 v[80:81], v80
	v_lshl_add_u64 v[82:83], v[136:137], 3, v[88:89]
	global_store_dwordx2 v[82:83], v[80:81], off
	v_add_u32_e32 v82, 0xc0, v213
	v_mad_i64_i32 v[80:81], s[2:3], v82, s9, 0
	v_mad_i64_i32 v[82:83], s[2:3], v82, s8, 0
	v_lshl_add_u64 v[80:81], v[80:81], 3, s[0:1]
	s_mov_b64 s[2:3], -1
	v_max_f32_e32 v85, v84, v84
	s_mov_b64 vcc, s[4:5]
	s_cbranch_vccz .LBB169_109
; %bb.108:
	v_min_f32_e32 v84, 0, v85
	v_cvt_f64_f32_e32 v[86:87], v84
	v_lshl_add_u64 v[88:89], v[134:135], 3, v[80:81]
	global_store_dwordx2 v[88:89], v[86:87], off
	s_mov_b64 s[2:3], 0
.LBB169_109:
	v_lshl_add_u64 v[82:83], v[82:83], 3, s[12:13]
	s_andn2_b64 vcc, exec, s[2:3]
	v_mov_b32_e32 v84, 0
	s_cbranch_vccnz .LBB169_111
; %bb.110:
	v_lshl_add_u64 v[86:87], v[82:83], 0, v[138:139]
	global_load_dwordx2 v[86:87], v[86:87], off
	v_lshl_add_u64 v[88:89], v[80:81], 0, v[138:139]
	s_waitcnt vmcnt(0)
	v_mul_f64 v[86:87], s[6:7], v[86:87]
	v_cvt_f32_f64_e32 v84, v[86:87]
	v_min_f32_e32 v84, v84, v85
	v_cvt_f64_f32_e32 v[84:85], v84
	global_store_dwordx2 v[88:89], v[84:85], off
	v_lshl_add_u64 v[84:85], v[128:129], 3, v[82:83]
	global_load_dwordx2 v[84:85], v[84:85], off
	s_waitcnt vmcnt(0)
	v_mul_f64 v[84:85], s[6:7], v[84:85]
	v_cvt_f32_f64_e32 v84, v[84:85]
.LBB169_111:
	v_add_f64 v[86:87], v[62:63], v[78:79]
	v_add_f64 v[88:89], v[60:61], v[76:77]
	v_cvt_f32_f64_e32 v85, v[88:89]
	v_cvt_f32_f64_e32 v86, v[86:87]
	v_min3_f32 v85, v85, v86, v168
	v_add_f64 v[86:87], v[58:59], v[78:79]
	v_add_f64 v[88:89], v[56:57], v[76:77]
	v_cvt_f32_f64_e32 v88, v[88:89]
	v_cvt_f32_f64_e32 v86, v[86:87]
	v_min3_f32 v90, v88, v86, v169
	v_add_f64 v[86:87], v[54:55], v[74:75]
	v_add_f64 v[88:89], v[52:53], v[72:73]
	v_cvt_f32_f64_e32 v88, v[88:89]
	v_cvt_f32_f64_e32 v86, v[86:87]
	v_min_f32_e32 v91, v88, v86
	v_add_f64 v[86:87], v[50:51], v[74:75]
	v_add_f64 v[88:89], v[48:49], v[72:73]
	v_cvt_f32_f64_e32 v88, v[88:89]
	v_cvt_f32_f64_e32 v86, v[86:87]
	v_min3_f32 v84, v84, v91, v85
	v_min3_f32 v88, v88, v86, v90
	v_cvt_f64_f32_e32 v[84:85], v84
	v_lshl_add_u64 v[86:87], v[128:129], 3, v[80:81]
	global_store_dwordx2 v[86:87], v[84:85], off
	s_mov_b64 s[2:3], -1
	v_max_f32_e32 v85, v88, v88
	s_mov_b64 vcc, s[4:5]
	s_cbranch_vccz .LBB169_113
; %bb.112:
	v_min_f32_e32 v84, 0, v85
	v_cvt_f64_f32_e32 v[86:87], v84
	v_lshl_add_u64 v[88:89], v[140:141], 3, v[80:81]
	global_store_dwordx2 v[88:89], v[86:87], off
	s_mov_b64 s[2:3], 0
.LBB169_113:
	s_andn2_b64 vcc, exec, s[2:3]
	v_mov_b32_e32 v84, 0
	s_cbranch_vccnz .LBB169_115
; %bb.114:
	v_lshl_add_u64 v[86:87], v[82:83], 0, v[144:145]
	global_load_dwordx2 v[86:87], v[86:87], off
	v_lshl_add_u64 v[88:89], v[80:81], 0, v[144:145]
	s_waitcnt vmcnt(0)
	v_mul_f64 v[86:87], s[6:7], v[86:87]
	v_cvt_f32_f64_e32 v84, v[86:87]
	v_min_f32_e32 v84, v84, v85
	v_cvt_f64_f32_e32 v[84:85], v84
	global_store_dwordx2 v[88:89], v[84:85], off
	v_lshl_add_u64 v[84:85], v[130:131], 3, v[82:83]
	global_load_dwordx2 v[84:85], v[84:85], off
	s_waitcnt vmcnt(0)
	v_mul_f64 v[84:85], s[6:7], v[84:85]
	v_cvt_f32_f64_e32 v84, v[84:85]
.LBB169_115:
	v_add_f64 v[86:87], v[42:43], v[78:79]
	v_add_f64 v[88:89], v[40:41], v[76:77]
	v_cvt_f32_f64_e32 v85, v[88:89]
	v_cvt_f32_f64_e32 v86, v[86:87]
	v_min3_f32 v85, v85, v86, v166
	v_add_f64 v[86:87], v[46:47], v[78:79]
	v_add_f64 v[88:89], v[44:45], v[76:77]
	v_cvt_f32_f64_e32 v88, v[88:89]
	v_cvt_f32_f64_e32 v86, v[86:87]
	v_min3_f32 v90, v88, v86, v167
	v_add_f64 v[86:87], v[38:39], v[74:75]
	v_add_f64 v[88:89], v[36:37], v[72:73]
	v_cvt_f32_f64_e32 v88, v[88:89]
	v_cvt_f32_f64_e32 v86, v[86:87]
	v_min_f32_e32 v91, v88, v86
	v_add_f64 v[86:87], v[34:35], v[74:75]
	v_add_f64 v[88:89], v[32:33], v[72:73]
	v_cvt_f32_f64_e32 v88, v[88:89]
	v_cvt_f32_f64_e32 v86, v[86:87]
	v_min3_f32 v84, v84, v91, v85
	v_min3_f32 v88, v88, v86, v90
	v_cvt_f64_f32_e32 v[84:85], v84
	v_lshl_add_u64 v[86:87], v[130:131], 3, v[80:81]
	global_store_dwordx2 v[86:87], v[84:85], off
	s_mov_b64 s[2:3], -1
	v_max_f32_e32 v85, v88, v88
	s_mov_b64 vcc, s[4:5]
	s_cbranch_vccz .LBB169_117
; %bb.116:
	v_min_f32_e32 v84, 0, v85
	v_cvt_f64_f32_e32 v[86:87], v84
	v_lshl_add_u64 v[88:89], v[142:143], 3, v[80:81]
	global_store_dwordx2 v[88:89], v[86:87], off
	s_mov_b64 s[2:3], 0
.LBB169_117:
	;; [unrolled: 54-line block ×3, first 2 shown]
	s_andn2_b64 vcc, exec, s[2:3]
	v_mov_b32_e32 v84, 0
	s_cbranch_vccnz .LBB169_123
; %bb.122:
	v_lshl_add_u64 v[86:87], v[82:83], 0, v[150:151]
	global_load_dwordx2 v[86:87], v[86:87], off
	v_lshl_add_u64 v[88:89], v[80:81], 0, v[150:151]
	v_lshl_add_u64 v[82:83], v[136:137], 3, v[82:83]
	s_waitcnt vmcnt(0)
	v_mul_f64 v[86:87], s[6:7], v[86:87]
	v_cvt_f32_f64_e32 v84, v[86:87]
	v_min_f32_e32 v84, v84, v85
	v_cvt_f64_f32_e32 v[84:85], v84
	global_store_dwordx2 v[88:89], v[84:85], off
	global_load_dwordx2 v[82:83], v[82:83], off
	s_waitcnt vmcnt(0)
	v_mul_f64 v[82:83], s[6:7], v[82:83]
	v_cvt_f32_f64_e32 v84, v[82:83]
.LBB169_123:
	v_add_f64 v[78:79], v[2:3], v[78:79]
	v_add_f64 v[76:77], v[0:1], v[76:77]
	s_waitcnt lgkmcnt(1)
	v_add_f64 v[70:71], v[70:71], v[6:7]
	v_add_f64 v[68:69], v[68:69], v[4:5]
	v_cvt_f32_f64_e32 v76, v[76:77]
	v_cvt_f32_f64_e32 v77, v[78:79]
	;; [unrolled: 1-line block ×4, first 2 shown]
	v_min3_f32 v76, v76, v77, v162
	v_min3_f32 v77, v68, v69, v163
	v_add_f64 v[68:69], v[10:11], v[74:75]
	v_add_f64 v[70:71], v[8:9], v[72:73]
	v_cvt_f32_f64_e32 v70, v[70:71]
	v_cvt_f32_f64_e32 v68, v[68:69]
	s_waitcnt lgkmcnt(0)
	v_add_f64 v[66:67], v[66:67], v[14:15]
	v_add_f64 v[64:65], v[64:65], v[12:13]
	v_min_f32_e32 v68, v70, v68
	v_cvt_f32_f64_e32 v64, v[64:65]
	v_cvt_f32_f64_e32 v65, v[66:67]
	v_min3_f32 v69, v64, v65, v77
	v_min3_f32 v64, v84, v68, v76
	v_cvt_f64_f32_e32 v[64:65], v64
	v_lshl_add_u64 v[66:67], v[136:137], 3, v[80:81]
	global_store_dwordx2 v[66:67], v[64:65], off
	v_add_u32_e32 v66, 0xe0, v213
	v_mad_i64_i32 v[64:65], s[2:3], v66, s9, 0
	v_lshl_add_u64 v[64:65], v[64:65], 3, s[0:1]
	v_mad_i64_i32 v[66:67], s[0:1], v66, s8, 0
	s_mov_b64 s[0:1], -1
	v_max_f32_e32 v69, v69, v69
	s_mov_b64 vcc, s[4:5]
	s_cbranch_vccz .LBB169_125
; %bb.124:
	v_min_f32_e32 v68, 0, v69
	v_cvt_f64_f32_e32 v[70:71], v68
	v_lshl_add_u64 v[72:73], v[134:135], 3, v[64:65]
	global_store_dwordx2 v[72:73], v[70:71], off
	s_mov_b64 s[0:1], 0
.LBB169_125:
	v_lshl_add_u64 v[66:67], v[66:67], 3, s[12:13]
	s_andn2_b64 vcc, exec, s[0:1]
	v_mov_b32_e32 v68, 0
	s_cbranch_vccnz .LBB169_127
; %bb.126:
	v_lshl_add_u64 v[70:71], v[66:67], 0, v[138:139]
	global_load_dwordx2 v[70:71], v[70:71], off
	v_lshl_add_u64 v[72:73], v[64:65], 0, v[138:139]
	s_waitcnt vmcnt(0)
	v_mul_f64 v[70:71], s[6:7], v[70:71]
	v_cvt_f32_f64_e32 v68, v[70:71]
	v_min_f32_e32 v68, v68, v69
	v_cvt_f64_f32_e32 v[68:69], v68
	global_store_dwordx2 v[72:73], v[68:69], off
	v_lshl_add_u64 v[68:69], v[128:129], 3, v[66:67]
	global_load_dwordx2 v[68:69], v[68:69], off
	s_waitcnt vmcnt(0)
	v_mul_f64 v[68:69], s[6:7], v[68:69]
	v_cvt_f32_f64_e32 v68, v[68:69]
.LBB169_127:
	v_add_f64 v[62:63], v[62:63], v[6:7]
	v_add_f64 v[60:61], v[60:61], v[4:5]
	;; [unrolled: 1-line block ×6, first 2 shown]
	v_cvt_f32_f64_e32 v60, v[60:61]
	v_cvt_f32_f64_e32 v61, v[62:63]
	;; [unrolled: 1-line block ×6, first 2 shown]
	v_add_f64 v[50:51], v[50:51], v[14:15]
	v_add_f64 v[48:49], v[48:49], v[12:13]
	v_min3_f32 v60, v60, v61, v160
	v_min3_f32 v56, v56, v57, v161
	v_min_f32_e32 v52, v52, v53
	v_cvt_f32_f64_e32 v48, v[48:49]
	v_cvt_f32_f64_e32 v49, v[50:51]
	v_min3_f32 v53, v48, v49, v56
	v_min3_f32 v48, v68, v52, v60
	v_cvt_f64_f32_e32 v[48:49], v48
	v_lshl_add_u64 v[50:51], v[128:129], 3, v[64:65]
	global_store_dwordx2 v[50:51], v[48:49], off
	s_mov_b64 s[0:1], -1
	v_max_f32_e32 v49, v53, v53
	s_mov_b64 vcc, s[4:5]
	s_cbranch_vccz .LBB169_129
; %bb.128:
	v_min_f32_e32 v48, 0, v49
	v_cvt_f64_f32_e32 v[50:51], v48
	v_lshl_add_u64 v[52:53], v[140:141], 3, v[64:65]
	global_store_dwordx2 v[52:53], v[50:51], off
	s_mov_b64 s[0:1], 0
.LBB169_129:
	s_andn2_b64 vcc, exec, s[0:1]
	v_mov_b32_e32 v48, 0
	s_cbranch_vccnz .LBB169_131
; %bb.130:
	v_lshl_add_u64 v[50:51], v[66:67], 0, v[144:145]
	global_load_dwordx2 v[50:51], v[50:51], off
	v_lshl_add_u64 v[52:53], v[64:65], 0, v[144:145]
	s_waitcnt vmcnt(0)
	v_mul_f64 v[50:51], s[6:7], v[50:51]
	v_cvt_f32_f64_e32 v48, v[50:51]
	v_min_f32_e32 v48, v48, v49
	v_cvt_f64_f32_e32 v[48:49], v48
	global_store_dwordx2 v[52:53], v[48:49], off
	v_lshl_add_u64 v[48:49], v[130:131], 3, v[66:67]
	global_load_dwordx2 v[48:49], v[48:49], off
	s_waitcnt vmcnt(0)
	v_mul_f64 v[48:49], s[6:7], v[48:49]
	v_cvt_f32_f64_e32 v48, v[48:49]
.LBB169_131:
	v_add_f64 v[42:43], v[42:43], v[6:7]
	v_add_f64 v[40:41], v[40:41], v[4:5]
	v_cvt_f32_f64_e32 v40, v[40:41]
	v_cvt_f32_f64_e32 v41, v[42:43]
	v_min3_f32 v49, v40, v41, v158
	v_add_f64 v[40:41], v[46:47], v[6:7]
	v_add_f64 v[42:43], v[44:45], v[4:5]
	;; [unrolled: 1-line block ×4, first 2 shown]
	v_cvt_f32_f64_e32 v42, v[42:43]
	v_cvt_f32_f64_e32 v40, v[40:41]
	v_cvt_f32_f64_e32 v36, v[36:37]
	v_cvt_f32_f64_e32 v37, v[38:39]
	v_add_f64 v[34:35], v[34:35], v[14:15]
	v_add_f64 v[32:33], v[32:33], v[12:13]
	v_min3_f32 v40, v42, v40, v159
	v_min_f32_e32 v36, v36, v37
	v_cvt_f32_f64_e32 v32, v[32:33]
	v_cvt_f32_f64_e32 v33, v[34:35]
	v_min3_f32 v37, v32, v33, v40
	v_min3_f32 v32, v48, v36, v49
	v_cvt_f64_f32_e32 v[32:33], v32
	v_lshl_add_u64 v[34:35], v[130:131], 3, v[64:65]
	global_store_dwordx2 v[34:35], v[32:33], off
	s_mov_b64 s[0:1], -1
	v_max_f32_e32 v33, v37, v37
	s_mov_b64 vcc, s[4:5]
	s_cbranch_vccz .LBB169_133
; %bb.132:
	v_min_f32_e32 v32, 0, v33
	v_cvt_f64_f32_e32 v[34:35], v32
	v_lshl_add_u64 v[36:37], v[142:143], 3, v[64:65]
	global_store_dwordx2 v[36:37], v[34:35], off
	s_mov_b64 s[0:1], 0
.LBB169_133:
	s_andn2_b64 vcc, exec, s[0:1]
	v_mov_b32_e32 v32, 0
	s_cbranch_vccnz .LBB169_135
; %bb.134:
	v_lshl_add_u64 v[34:35], v[66:67], 0, v[148:149]
	global_load_dwordx2 v[34:35], v[34:35], off
	v_lshl_add_u64 v[36:37], v[64:65], 0, v[148:149]
	s_waitcnt vmcnt(0)
	v_mul_f64 v[34:35], s[6:7], v[34:35]
	v_cvt_f32_f64_e32 v32, v[34:35]
	v_min_f32_e32 v32, v32, v33
	v_cvt_f64_f32_e32 v[32:33], v32
	global_store_dwordx2 v[36:37], v[32:33], off
	v_lshl_add_u64 v[32:33], v[132:133], 3, v[66:67]
	global_load_dwordx2 v[32:33], v[32:33], off
	s_waitcnt vmcnt(0)
	v_mul_f64 v[32:33], s[6:7], v[32:33]
	v_cvt_f32_f64_e32 v32, v[32:33]
.LBB169_135:
	v_add_f64 v[30:31], v[30:31], v[6:7]
	v_add_f64 v[28:29], v[28:29], v[4:5]
	;; [unrolled: 1-line block ×6, first 2 shown]
	v_cvt_f32_f64_e32 v28, v[28:29]
	v_cvt_f32_f64_e32 v29, v[30:31]
	;; [unrolled: 1-line block ×6, first 2 shown]
	v_add_f64 v[18:19], v[18:19], v[14:15]
	v_add_f64 v[16:17], v[16:17], v[12:13]
	v_min3_f32 v28, v28, v29, v156
	v_min3_f32 v24, v24, v25, v157
	v_min_f32_e32 v20, v20, v21
	v_cvt_f32_f64_e32 v16, v[16:17]
	v_cvt_f32_f64_e32 v17, v[18:19]
	v_min3_f32 v21, v16, v17, v24
	v_min3_f32 v16, v32, v20, v28
	v_cvt_f64_f32_e32 v[16:17], v16
	v_lshl_add_u64 v[18:19], v[132:133], 3, v[64:65]
	global_store_dwordx2 v[18:19], v[16:17], off
	s_mov_b64 s[0:1], -1
	v_max_f32_e32 v17, v21, v21
	s_mov_b64 vcc, s[4:5]
	s_cbranch_vccz .LBB169_137
; %bb.136:
	v_min_f32_e32 v16, 0, v17
	v_cvt_f64_f32_e32 v[18:19], v16
	v_lshl_add_u64 v[20:21], v[146:147], 3, v[64:65]
	global_store_dwordx2 v[20:21], v[18:19], off
	s_mov_b64 s[0:1], 0
.LBB169_137:
	s_andn2_b64 vcc, exec, s[0:1]
	v_mov_b32_e32 v16, 0
	s_cbranch_vccnz .LBB169_139
; %bb.138:
	v_lshl_add_u64 v[18:19], v[66:67], 0, v[150:151]
	global_load_dwordx2 v[18:19], v[18:19], off
	v_lshl_add_u64 v[20:21], v[64:65], 0, v[150:151]
	s_waitcnt vmcnt(0)
	v_mul_f64 v[18:19], s[6:7], v[18:19]
	v_cvt_f32_f64_e32 v16, v[18:19]
	v_min_f32_e32 v16, v16, v17
	v_cvt_f64_f32_e32 v[16:17], v16
	global_store_dwordx2 v[20:21], v[16:17], off
	v_lshl_add_u64 v[16:17], v[136:137], 3, v[66:67]
	global_load_dwordx2 v[16:17], v[16:17], off
	s_waitcnt vmcnt(0)
	v_mul_f64 v[16:17], s[6:7], v[16:17]
	v_cvt_f32_f64_e32 v16, v[16:17]
.LBB169_139:
	v_add_f64 v[10:11], v[10:11], v[14:15]
	v_add_f64 v[8:9], v[8:9], v[12:13]
	;; [unrolled: 1-line block ×4, first 2 shown]
	v_cvt_f32_f64_e32 v8, v[8:9]
	v_cvt_f32_f64_e32 v9, v[10:11]
	;; [unrolled: 1-line block ×4, first 2 shown]
	v_min_f32_e32 v8, v8, v9
	v_min3_f32 v0, v0, v1, v200
	v_min3_f32 v0, v16, v8, v0
	v_cvt_f64_f32_e32 v[0:1], v0
	v_lshl_add_u64 v[2:3], v[136:137], 3, v[64:65]
	global_store_dwordx2 v[2:3], v[0:1], off
	s_endpgm
	.section	.rodata,"a",@progbits
	.p2align	6, 0x0
	.amdhsa_kernel _ZN12_GLOBAL__N_120geam_min_plus_kernelId15HIP_vector_typeIdLj2EEdLi8ELi32ELi64ELi256ELi4ELi64ELi4ELi64ELi4ELc78ELc84ELb1ELb0ELb1EdKddEEviiiT16_PT17_ilS6_ilS4_S6_ilPT18_ili26rocblas_geam_ex_operation_
		.amdhsa_group_segment_fixed_size 20480
		.amdhsa_private_segment_fixed_size 0
		.amdhsa_kernarg_size 136
		.amdhsa_user_sgpr_count 2
		.amdhsa_user_sgpr_dispatch_ptr 0
		.amdhsa_user_sgpr_queue_ptr 0
		.amdhsa_user_sgpr_kernarg_segment_ptr 1
		.amdhsa_user_sgpr_dispatch_id 0
		.amdhsa_user_sgpr_kernarg_preload_length 0
		.amdhsa_user_sgpr_kernarg_preload_offset 0
		.amdhsa_user_sgpr_private_segment_size 0
		.amdhsa_uses_dynamic_stack 0
		.amdhsa_enable_private_segment 0
		.amdhsa_system_sgpr_workgroup_id_x 1
		.amdhsa_system_sgpr_workgroup_id_y 0
		.amdhsa_system_sgpr_workgroup_id_z 1
		.amdhsa_system_sgpr_workgroup_info 0
		.amdhsa_system_vgpr_workitem_id 1
		.amdhsa_next_free_vgpr 220
		.amdhsa_next_free_sgpr 26
		.amdhsa_accum_offset 220
		.amdhsa_reserve_vcc 1
		.amdhsa_float_round_mode_32 0
		.amdhsa_float_round_mode_16_64 0
		.amdhsa_float_denorm_mode_32 3
		.amdhsa_float_denorm_mode_16_64 3
		.amdhsa_dx10_clamp 1
		.amdhsa_ieee_mode 1
		.amdhsa_fp16_overflow 0
		.amdhsa_tg_split 0
		.amdhsa_exception_fp_ieee_invalid_op 0
		.amdhsa_exception_fp_denorm_src 0
		.amdhsa_exception_fp_ieee_div_zero 0
		.amdhsa_exception_fp_ieee_overflow 0
		.amdhsa_exception_fp_ieee_underflow 0
		.amdhsa_exception_fp_ieee_inexact 0
		.amdhsa_exception_int_div_zero 0
	.end_amdhsa_kernel
	.section	.text._ZN12_GLOBAL__N_120geam_min_plus_kernelId15HIP_vector_typeIdLj2EEdLi8ELi32ELi64ELi256ELi4ELi64ELi4ELi64ELi4ELc78ELc84ELb1ELb0ELb1EdKddEEviiiT16_PT17_ilS6_ilS4_S6_ilPT18_ili26rocblas_geam_ex_operation_,"axG",@progbits,_ZN12_GLOBAL__N_120geam_min_plus_kernelId15HIP_vector_typeIdLj2EEdLi8ELi32ELi64ELi256ELi4ELi64ELi4ELi64ELi4ELc78ELc84ELb1ELb0ELb1EdKddEEviiiT16_PT17_ilS6_ilS4_S6_ilPT18_ili26rocblas_geam_ex_operation_,comdat
.Lfunc_end169:
	.size	_ZN12_GLOBAL__N_120geam_min_plus_kernelId15HIP_vector_typeIdLj2EEdLi8ELi32ELi64ELi256ELi4ELi64ELi4ELi64ELi4ELc78ELc84ELb1ELb0ELb1EdKddEEviiiT16_PT17_ilS6_ilS4_S6_ilPT18_ili26rocblas_geam_ex_operation_, .Lfunc_end169-_ZN12_GLOBAL__N_120geam_min_plus_kernelId15HIP_vector_typeIdLj2EEdLi8ELi32ELi64ELi256ELi4ELi64ELi4ELi64ELi4ELc78ELc84ELb1ELb0ELb1EdKddEEviiiT16_PT17_ilS6_ilS4_S6_ilPT18_ili26rocblas_geam_ex_operation_
                                        ; -- End function
	.set _ZN12_GLOBAL__N_120geam_min_plus_kernelId15HIP_vector_typeIdLj2EEdLi8ELi32ELi64ELi256ELi4ELi64ELi4ELi64ELi4ELc78ELc84ELb1ELb0ELb1EdKddEEviiiT16_PT17_ilS6_ilS4_S6_ilPT18_ili26rocblas_geam_ex_operation_.num_vgpr, 220
	.set _ZN12_GLOBAL__N_120geam_min_plus_kernelId15HIP_vector_typeIdLj2EEdLi8ELi32ELi64ELi256ELi4ELi64ELi4ELi64ELi4ELc78ELc84ELb1ELb0ELb1EdKddEEviiiT16_PT17_ilS6_ilS4_S6_ilPT18_ili26rocblas_geam_ex_operation_.num_agpr, 0
	.set _ZN12_GLOBAL__N_120geam_min_plus_kernelId15HIP_vector_typeIdLj2EEdLi8ELi32ELi64ELi256ELi4ELi64ELi4ELi64ELi4ELc78ELc84ELb1ELb0ELb1EdKddEEviiiT16_PT17_ilS6_ilS4_S6_ilPT18_ili26rocblas_geam_ex_operation_.numbered_sgpr, 26
	.set _ZN12_GLOBAL__N_120geam_min_plus_kernelId15HIP_vector_typeIdLj2EEdLi8ELi32ELi64ELi256ELi4ELi64ELi4ELi64ELi4ELc78ELc84ELb1ELb0ELb1EdKddEEviiiT16_PT17_ilS6_ilS4_S6_ilPT18_ili26rocblas_geam_ex_operation_.num_named_barrier, 0
	.set _ZN12_GLOBAL__N_120geam_min_plus_kernelId15HIP_vector_typeIdLj2EEdLi8ELi32ELi64ELi256ELi4ELi64ELi4ELi64ELi4ELc78ELc84ELb1ELb0ELb1EdKddEEviiiT16_PT17_ilS6_ilS4_S6_ilPT18_ili26rocblas_geam_ex_operation_.private_seg_size, 0
	.set _ZN12_GLOBAL__N_120geam_min_plus_kernelId15HIP_vector_typeIdLj2EEdLi8ELi32ELi64ELi256ELi4ELi64ELi4ELi64ELi4ELc78ELc84ELb1ELb0ELb1EdKddEEviiiT16_PT17_ilS6_ilS4_S6_ilPT18_ili26rocblas_geam_ex_operation_.uses_vcc, 1
	.set _ZN12_GLOBAL__N_120geam_min_plus_kernelId15HIP_vector_typeIdLj2EEdLi8ELi32ELi64ELi256ELi4ELi64ELi4ELi64ELi4ELc78ELc84ELb1ELb0ELb1EdKddEEviiiT16_PT17_ilS6_ilS4_S6_ilPT18_ili26rocblas_geam_ex_operation_.uses_flat_scratch, 0
	.set _ZN12_GLOBAL__N_120geam_min_plus_kernelId15HIP_vector_typeIdLj2EEdLi8ELi32ELi64ELi256ELi4ELi64ELi4ELi64ELi4ELc78ELc84ELb1ELb0ELb1EdKddEEviiiT16_PT17_ilS6_ilS4_S6_ilPT18_ili26rocblas_geam_ex_operation_.has_dyn_sized_stack, 0
	.set _ZN12_GLOBAL__N_120geam_min_plus_kernelId15HIP_vector_typeIdLj2EEdLi8ELi32ELi64ELi256ELi4ELi64ELi4ELi64ELi4ELc78ELc84ELb1ELb0ELb1EdKddEEviiiT16_PT17_ilS6_ilS4_S6_ilPT18_ili26rocblas_geam_ex_operation_.has_recursion, 0
	.set _ZN12_GLOBAL__N_120geam_min_plus_kernelId15HIP_vector_typeIdLj2EEdLi8ELi32ELi64ELi256ELi4ELi64ELi4ELi64ELi4ELc78ELc84ELb1ELb0ELb1EdKddEEviiiT16_PT17_ilS6_ilS4_S6_ilPT18_ili26rocblas_geam_ex_operation_.has_indirect_call, 0
	.section	.AMDGPU.csdata,"",@progbits
; Kernel info:
; codeLenInByte = 24636
; TotalNumSgprs: 32
; NumVgprs: 220
; NumAgprs: 0
; TotalNumVgprs: 220
; ScratchSize: 0
; MemoryBound: 0
; FloatMode: 240
; IeeeMode: 1
; LDSByteSize: 20480 bytes/workgroup (compile time only)
; SGPRBlocks: 3
; VGPRBlocks: 27
; NumSGPRsForWavesPerEU: 32
; NumVGPRsForWavesPerEU: 220
; AccumOffset: 220
; Occupancy: 2
; WaveLimiterHint : 1
; COMPUTE_PGM_RSRC2:SCRATCH_EN: 0
; COMPUTE_PGM_RSRC2:USER_SGPR: 2
; COMPUTE_PGM_RSRC2:TRAP_HANDLER: 0
; COMPUTE_PGM_RSRC2:TGID_X_EN: 1
; COMPUTE_PGM_RSRC2:TGID_Y_EN: 0
; COMPUTE_PGM_RSRC2:TGID_Z_EN: 1
; COMPUTE_PGM_RSRC2:TIDIG_COMP_CNT: 1
; COMPUTE_PGM_RSRC3_GFX90A:ACCUM_OFFSET: 54
; COMPUTE_PGM_RSRC3_GFX90A:TG_SPLIT: 0
	.section	.text._ZN12_GLOBAL__N_120geam_min_plus_kernelId15HIP_vector_typeIdLj2EEdLi8ELi32ELi64ELi256ELi4ELi64ELi4ELi64ELi4ELc78ELc84ELb0ELb0ELb1EdKddEEviiiT16_PT17_ilS6_ilS4_S6_ilPT18_ili26rocblas_geam_ex_operation_,"axG",@progbits,_ZN12_GLOBAL__N_120geam_min_plus_kernelId15HIP_vector_typeIdLj2EEdLi8ELi32ELi64ELi256ELi4ELi64ELi4ELi64ELi4ELc78ELc84ELb0ELb0ELb1EdKddEEviiiT16_PT17_ilS6_ilS4_S6_ilPT18_ili26rocblas_geam_ex_operation_,comdat
	.globl	_ZN12_GLOBAL__N_120geam_min_plus_kernelId15HIP_vector_typeIdLj2EEdLi8ELi32ELi64ELi256ELi4ELi64ELi4ELi64ELi4ELc78ELc84ELb0ELb0ELb1EdKddEEviiiT16_PT17_ilS6_ilS4_S6_ilPT18_ili26rocblas_geam_ex_operation_ ; -- Begin function _ZN12_GLOBAL__N_120geam_min_plus_kernelId15HIP_vector_typeIdLj2EEdLi8ELi32ELi64ELi256ELi4ELi64ELi4ELi64ELi4ELc78ELc84ELb0ELb0ELb1EdKddEEviiiT16_PT17_ilS6_ilS4_S6_ilPT18_ili26rocblas_geam_ex_operation_
	.p2align	8
	.type	_ZN12_GLOBAL__N_120geam_min_plus_kernelId15HIP_vector_typeIdLj2EEdLi8ELi32ELi64ELi256ELi4ELi64ELi4ELi64ELi4ELc78ELc84ELb0ELb0ELb1EdKddEEviiiT16_PT17_ilS6_ilS4_S6_ilPT18_ili26rocblas_geam_ex_operation_,@function
_ZN12_GLOBAL__N_120geam_min_plus_kernelId15HIP_vector_typeIdLj2EEdLi8ELi32ELi64ELi256ELi4ELi64ELi4ELi64ELi4ELc78ELc84ELb0ELb0ELb1EdKddEEviiiT16_PT17_ilS6_ilS4_S6_ilPT18_ili26rocblas_geam_ex_operation_: ; @_ZN12_GLOBAL__N_120geam_min_plus_kernelId15HIP_vector_typeIdLj2EEdLi8ELi32ELi64ELi256ELi4ELi64ELi4ELi64ELi4ELc78ELc84ELb0ELb0ELb1EdKddEEviiiT16_PT17_ilS6_ilS4_S6_ilPT18_ili26rocblas_geam_ex_operation_
; %bb.0:
	s_load_dwordx4 s[16:19], s[0:1], 0x10
	s_load_dwordx4 s[12:15], s[0:1], 0x28
	s_mov_b64 s[20:21], 0
	s_waitcnt lgkmcnt(0)
	v_cmp_eq_f64_e64 s[22:23], s[16:17], 0
	s_and_b64 s[4:5], exec, s[22:23]
	s_mov_b64 vcc, s[4:5]
	s_cbranch_vccnz .LBB170_2
; %bb.1:
	s_mul_i32 s6, s13, s3
	s_mul_hi_u32 s7, s12, s3
	s_add_i32 s7, s7, s6
	s_mul_i32 s6, s12, s3
	s_lshl_b64 s[6:7], s[6:7], 3
	s_add_u32 s20, s18, s6
	s_addc_u32 s21, s19, s7
.LBB170_2:
	s_load_dwordx4 s[8:11], s[0:1], 0x40
	s_load_dwordx2 s[6:7], s[0:1], 0x50
	s_andn2_b64 vcc, exec, s[22:23]
	s_mov_b64 s[12:13], -1
	s_cbranch_vccnz .LBB170_4
; %bb.3:
	s_mov_b64 s[12:13], 0
.LBB170_4:
	s_mov_b64 s[18:19], 0
	s_andn2_b64 vcc, exec, s[12:13]
	s_mov_b64 s[22:23], 0
	s_cbranch_vccnz .LBB170_6
; %bb.5:
	s_waitcnt lgkmcnt(0)
	s_mul_i32 s9, s9, s3
	s_mul_hi_u32 s12, s8, s3
	s_add_i32 s9, s12, s9
	s_mul_i32 s8, s8, s3
	s_lshl_b64 s[8:9], s[8:9], 3
	s_add_u32 s22, s14, s8
	s_addc_u32 s23, s15, s9
.LBB170_6:
	s_load_dwordx4 s[12:15], s[0:1], 0x60
	s_waitcnt lgkmcnt(0)
	v_cmp_eq_f64_e64 s[8:9], s[10:11], 0
	s_and_b64 s[8:9], exec, s[8:9]
	v_cmp_neq_f64_e64 s[24:25], s[16:17], 0
	s_mov_b64 vcc, s[8:9]
	s_cbranch_vccnz .LBB170_8
; %bb.7:
	s_mul_i32 s13, s13, s3
	s_mul_hi_u32 s18, s12, s3
	s_add_i32 s13, s18, s13
	s_mul_i32 s12, s12, s3
	s_lshl_b64 s[12:13], s[12:13], 3
	s_add_u32 s18, s6, s12
	s_addc_u32 s19, s7, s13
.LBB170_8:
	s_load_dword s6, s[0:1], 0x0
	s_load_dword s12, s[0:1], 0x20
	v_and_b32_e32 v156, 0x3ff, v0
	v_bfe_u32 v157, v0, 10, 10
	v_lshl_add_u32 v4, v157, 3, v156
	s_waitcnt lgkmcnt(0)
	s_add_i32 s6, s6, -1
	s_ashr_i32 s7, s6, 31
	s_lshr_b32 s7, s7, 26
	s_add_i32 s6, s6, s7
	s_ashr_i32 s6, s6, 6
	s_add_i32 s7, s6, 1
	v_cvt_f32_u32_e32 v2, s7
	s_not_b32 s6, s6
	s_ashr_i32 s13, s12, 31
	v_and_b32_e32 v111, 63, v4
	v_rcp_iflag_f32_e32 v2, v2
	v_cndmask_b32_e64 v3, 0, 1, s[24:25]
	v_mov_b64_e32 v[0:1], 0
	v_lshrrev_b32_e32 v110, 6, v4
	v_mul_f32_e32 v2, 0x4f7ffffe, v2
	v_cvt_u32_f32_e32 v2, v2
	s_nop 0
	v_readfirstlane_b32 s26, v2
	s_mul_i32 s6, s6, s26
	s_mul_hi_u32 s6, s26, s6
	s_add_i32 s26, s26, s6
	s_mul_hi_u32 s6, s2, s26
	s_mul_i32 s26, s6, s7
	s_sub_i32 s26, s2, s26
	s_add_i32 s27, s6, 1
	s_sub_i32 s28, s26, s7
	s_cmp_ge_u32 s26, s7
	s_cselect_b32 s6, s27, s6
	s_cselect_b32 s26, s28, s26
	s_add_i32 s27, s6, 1
	s_cmp_ge_u32 s26, s7
	s_cselect_b32 s26, s27, s6
	s_mul_i32 s30, s26, s7
	s_sub_i32 s6, s2, s30
	s_lshl_b32 s28, s6, 6
	v_or_b32_e32 v12, s28, v111
	v_cmp_ne_u32_e64 s[6:7], 1, v3
	s_andn2_b64 vcc, exec, s[24:25]
	v_ashrrev_i32_e32 v13, 31, v12
	v_mov_b64_e32 v[2:3], 0
	s_cbranch_vccnz .LBB170_10
; %bb.9:
	v_mad_i64_i32 v[2:3], s[24:25], s12, v110, 0
	v_lshl_add_u64 v[2:3], v[2:3], 3, s[20:21]
	v_lshl_add_u64 v[2:3], v[12:13], 3, v[2:3]
	global_load_dwordx2 v[2:3], v[2:3], off
	s_waitcnt vmcnt(0)
	v_mul_f64 v[2:3], s[16:17], v[2:3]
.LBB170_10:
	s_load_dword s24, s[0:1], 0x38
	s_lshl_b32 s29, s26, 8
	v_or_b32_e32 v6, s29, v111
	s_and_b64 vcc, exec, s[6:7]
	v_ashrrev_i32_e32 v7, 31, v6
	s_waitcnt lgkmcnt(0)
	v_mad_i64_i32 v[4:5], s[26:27], v110, s24, 0
	v_lshl_add_u64 v[14:15], v[4:5], 3, s[22:23]
	v_mov_b64_e32 v[4:5], 0
	s_cbranch_vccnz .LBB170_12
; %bb.11:
	v_lshl_add_u64 v[0:1], v[6:7], 3, v[14:15]
	global_load_dwordx2 v[4:5], v[0:1], off
	global_load_dwordx2 v[8:9], v[0:1], off offset:512
	s_waitcnt vmcnt(1)
	v_mul_f64 v[4:5], s[16:17], v[4:5]
	s_waitcnt vmcnt(0)
	v_mul_f64 v[0:1], s[16:17], v[8:9]
.LBB170_12:
	s_ashr_i32 s25, s24, 31
	s_mov_b64 vcc, s[4:5]
	s_cbranch_vccz .LBB170_14
; %bb.13:
	s_mov_b32 s26, 0
	v_mov_b32_e32 v8, s26
	v_mov_b32_e32 v9, s26
	v_mov_b64_e32 v[100:101], 0
	v_mov_b64_e32 v[10:11], 0
	s_cbranch_execz .LBB170_15
	s_branch .LBB170_16
.LBB170_14:
                                        ; implicit-def: $vgpr8_vgpr9
	v_mov_b64_e32 v[100:101], 0
	v_mov_b64_e32 v[10:11], 0
.LBB170_15:
	v_lshl_add_u64 v[8:9], v[6:7], 3, v[14:15]
	global_load_dwordx2 v[10:11], v[8:9], off offset:1024
	global_load_dwordx2 v[14:15], v[8:9], off offset:1536
	s_waitcnt vmcnt(1)
	v_mul_f64 v[8:9], s[16:17], v[10:11]
	s_waitcnt vmcnt(0)
	v_mul_f64 v[10:11], s[16:17], v[14:15]
.LBB170_16:
	s_and_b64 vcc, exec, s[6:7]
	v_add_u32_e32 v14, 4, v110
	s_cbranch_vccnz .LBB170_18
; %bb.17:
	v_mad_i64_i32 v[16:17], s[26:27], s12, v14, 0
	v_lshl_add_u64 v[16:17], v[16:17], 3, s[20:21]
	v_lshl_add_u64 v[12:13], v[12:13], 3, v[16:17]
	global_load_dwordx2 v[12:13], v[12:13], off
	s_waitcnt vmcnt(0)
	v_mul_f64 v[100:101], s[16:17], v[12:13]
.LBB170_18:
	v_mad_i64_i32 v[12:13], s[26:27], v14, s24, 0
	s_and_b64 vcc, exec, s[6:7]
	v_lshl_add_u64 v[12:13], v[12:13], 3, s[22:23]
	s_cbranch_vccnz .LBB170_21
; %bb.19:
	v_lshl_add_u64 v[14:15], v[6:7], 3, v[12:13]
	global_load_dwordx2 v[16:17], v[14:15], off
	global_load_dwordx2 v[18:19], v[14:15], off offset:512
	s_waitcnt vmcnt(1)
	v_mul_f64 v[104:105], s[16:17], v[16:17]
	s_waitcnt vmcnt(0)
	v_mul_f64 v[102:103], s[16:17], v[18:19]
	s_mov_b64 vcc, s[4:5]
	s_cbranch_vccz .LBB170_22
.LBB170_20:
	s_mov_b32 s26, 0
	v_mov_b32_e32 v106, s26
	v_mov_b32_e32 v107, s26
	v_mov_b64_e32 v[108:109], 0
	s_cbranch_execz .LBB170_23
	s_branch .LBB170_24
.LBB170_21:
	v_mov_b64_e32 v[102:103], 0
	v_mov_b64_e32 v[104:105], v[102:103]
	s_mov_b64 vcc, s[4:5]
	s_cbranch_vccnz .LBB170_20
.LBB170_22:
                                        ; implicit-def: $vgpr106_vgpr107
	v_mov_b64_e32 v[108:109], 0
.LBB170_23:
	v_lshl_add_u64 v[6:7], v[6:7], 3, v[12:13]
	global_load_dwordx2 v[12:13], v[6:7], off offset:1024
	global_load_dwordx2 v[14:15], v[6:7], off offset:1536
	s_waitcnt vmcnt(1)
	v_mul_f64 v[106:107], s[16:17], v[12:13]
	s_waitcnt vmcnt(0)
	v_mul_f64 v[108:109], s[16:17], v[14:15]
.LBB170_24:
	v_lshlrev_b32_e32 v6, 5, v111
	v_lshl_add_u32 v163, v110, 3, v6
	v_lshlrev_b32_e32 v159, 5, v156
	ds_write_b64 v163, v[2:3] offset:16384
	ds_write2st64_b64 v163, v[4:5], v[0:1] offset1:4
	ds_write2st64_b64 v163, v[8:9], v[10:11] offset0:8 offset1:12
	s_waitcnt lgkmcnt(0)
	s_barrier
	v_lshlrev_b32_e32 v158, 5, v157
	ds_read_b128 v[32:35], v159 offset:16640
	ds_read_b128 v[28:31], v159 offset:16896
	;; [unrolled: 1-line block ×13, first 2 shown]
	ds_read_b128 v[96:99], v158
	ds_read_b128 v[44:47], v158 offset:6144
	ds_read_b128 v[36:39], v158 offset:7168
	;; [unrolled: 1-line block ×4, first 2 shown]
	s_waitcnt lgkmcnt(5)
	v_add_f64 v[114:115], v[42:43], v[94:95]
	v_add_f64 v[116:117], v[40:41], v[92:93]
	s_mov_b32 s26, 0x7f800000
	v_cvt_f32_f64_e32 v113, v[116:117]
	v_cvt_f32_f64_e32 v114, v[114:115]
	v_min3_f32 v175, v113, v114, s26
	v_add_f64 v[114:115], v[34:35], v[94:95]
	v_add_f64 v[116:117], v[32:33], v[92:93]
	v_cvt_f32_f64_e32 v113, v[116:117]
	v_cvt_f32_f64_e32 v114, v[114:115]
	v_min3_f32 v176, v113, v114, s26
	v_add_f64 v[114:115], v[30:31], v[94:95]
	v_add_f64 v[116:117], v[28:29], v[92:93]
	;; [unrolled: 5-line block ×34, first 2 shown]
	v_cvt_f32_f64_e32 v113, v[116:117]
	v_cvt_f32_f64_e32 v114, v[114:115]
	v_min3_f32 v119, v113, v114, s26
	s_waitcnt lgkmcnt(3)
	v_add_f64 v[114:115], v[42:43], v[46:47]
	v_add_f64 v[164:165], v[40:41], v[44:45]
	v_cvt_f32_f64_e32 v113, v[164:165]
	v_cvt_f32_f64_e32 v114, v[114:115]
	v_min3_f32 v125, v113, v114, s26
	v_add_f64 v[114:115], v[34:35], v[46:47]
	v_add_f64 v[164:165], v[32:33], v[44:45]
	v_cvt_f32_f64_e32 v113, v[164:165]
	v_cvt_f32_f64_e32 v114, v[114:115]
	v_min3_f32 v122, v113, v114, s26
	v_add_f64 v[114:115], v[30:31], v[46:47]
	v_add_f64 v[164:165], v[28:29], v[44:45]
	v_cvt_f32_f64_e32 v113, v[164:165]
	v_cvt_f32_f64_e32 v114, v[114:115]
	v_add_f64 v[56:57], v[42:43], v[98:99]
	v_add_f64 v[58:59], v[40:41], v[96:97]
	v_min3_f32 v120, v113, v114, s26
	v_add_f64 v[114:115], v[26:27], v[46:47]
	v_add_f64 v[164:165], v[24:25], v[44:45]
	v_cvt_f32_f64_e32 v58, v[58:59]
	v_cvt_f32_f64_e32 v56, v[56:57]
	;; [unrolled: 1-line block ×4, first 2 shown]
	v_min3_f32 v112, v58, v56, s26
	ds_read_b128 v[56:59], v159 offset:16656
	v_add_f64 v[60:61], v[34:35], v[98:99]
	v_add_f64 v[62:63], v[32:33], v[96:97]
	v_min3_f32 v118, v113, v114, s26
	v_add_f64 v[114:115], v[22:23], v[46:47]
	v_add_f64 v[164:165], v[20:21], v[44:45]
	v_cvt_f32_f64_e32 v62, v[62:63]
	v_cvt_f32_f64_e32 v60, v[60:61]
	;; [unrolled: 1-line block ×4, first 2 shown]
	v_add_f64 v[164:165], v[16:17], v[44:45]
	v_min3_f32 v168, v62, v60, s26
	ds_read_b128 v[60:63], v159 offset:16912
	v_add_f64 v[64:65], v[30:31], v[98:99]
	v_add_f64 v[66:67], v[28:29], v[96:97]
	v_add_f64 v[68:69], v[26:27], v[98:99]
	v_add_f64 v[70:71], v[24:25], v[96:97]
	v_add_f64 v[72:73], v[22:23], v[98:99]
	v_add_f64 v[74:75], v[20:21], v[96:97]
	v_add_f64 v[76:77], v[18:19], v[98:99]
	v_add_f64 v[78:79], v[16:17], v[96:97]
	v_add_f64 v[80:81], v[14:15], v[98:99]
	v_add_f64 v[82:83], v[12:13], v[96:97]
	v_add_f64 v[98:99], v[10:11], v[98:99]
	v_add_f64 v[96:97], v[8:9], v[96:97]
	v_add_f64 v[94:95], v[10:11], v[94:95]
	v_add_f64 v[92:93], v[8:9], v[92:93]
	v_add_f64 v[90:91], v[10:11], v[90:91]
	v_add_f64 v[88:89], v[8:9], v[88:89]
	v_add_f64 v[86:87], v[10:11], v[86:87]
	v_add_f64 v[84:85], v[8:9], v[84:85]
	v_add_f64 v[54:55], v[10:11], v[54:55]
	v_add_f64 v[52:53], v[8:9], v[52:53]
	v_add_f64 v[50:51], v[10:11], v[50:51]
	v_add_f64 v[48:49], v[8:9], v[48:49]
	v_min3_f32 v116, v113, v114, s26
	v_add_f64 v[114:115], v[18:19], v[46:47]
	v_cvt_f32_f64_e32 v113, v[164:165]
	v_add_f64 v[164:165], v[14:15], v[46:47]
	v_add_f64 v[166:167], v[12:13], v[44:45]
	;; [unrolled: 1-line block ×4, first 2 shown]
	s_waitcnt lgkmcnt(4)
	v_add_f64 v[14:15], v[14:15], v[38:39]
	v_add_f64 v[12:13], v[12:13], v[36:37]
	;; [unrolled: 1-line block ×4, first 2 shown]
	v_cvt_f32_f64_e32 v66, v[66:67]
	v_cvt_f32_f64_e32 v64, v[64:65]
	;; [unrolled: 1-line block ×7, first 2 shown]
	s_waitcnt lgkmcnt(2)
	v_add_f64 v[10:11], v[2:3], v[6:7]
	v_add_f64 v[14:15], v[0:1], v[4:5]
	v_min3_f32 v169, v66, v64, s26
	ds_read_b128 v[64:67], v159 offset:17168
	v_min3_f32 v115, v113, v114, s26
	v_cvt_f32_f64_e32 v113, v[166:167]
	v_cvt_f32_f64_e32 v114, v[164:165]
	;; [unrolled: 1-line block ×4, first 2 shown]
	v_min3_f32 v8, v8, v9, s26
	v_cvt_f32_f64_e32 v9, v[14:15]
	v_cvt_f32_f64_e32 v10, v[10:11]
	;; [unrolled: 1-line block ×4, first 2 shown]
	v_min3_f32 v114, v113, v114, s26
	v_min3_f32 v113, v44, v45, s26
	ds_read_b128 v[44:47], v158 offset:7184
	v_min3_f32 v230, v9, v10, v112
	s_waitcnt lgkmcnt(3)
	v_add_f64 v[10:11], v[58:59], v[6:7]
	v_add_f64 v[14:15], v[56:57], v[4:5]
	v_min3_f32 v170, v70, v68, s26
	ds_read_b128 v[68:71], v159 offset:17424
	v_cvt_f32_f64_e32 v9, v[14:15]
	v_cvt_f32_f64_e32 v10, v[10:11]
	;; [unrolled: 1-line block ×4, first 2 shown]
	v_min3_f32 v228, v9, v10, v168
	s_waitcnt lgkmcnt(3)
	v_add_f64 v[10:11], v[62:63], v[6:7]
	v_add_f64 v[14:15], v[60:61], v[4:5]
	v_min3_f32 v171, v74, v72, s26
	ds_read_b128 v[72:75], v159 offset:17680
	v_cvt_f32_f64_e32 v9, v[14:15]
	v_cvt_f32_f64_e32 v10, v[10:11]
	v_cvt_f32_f64_e32 v78, v[78:79]
	v_cvt_f32_f64_e32 v76, v[76:77]
	v_cvt_f32_f64_e32 v82, v[82:83]
	v_cvt_f32_f64_e32 v80, v[80:81]
	v_min3_f32 v229, v9, v10, v169
	s_waitcnt lgkmcnt(3)
	v_add_f64 v[10:11], v[66:67], v[6:7]
	v_add_f64 v[14:15], v[64:65], v[4:5]
	v_min3_f32 v172, v78, v76, s26
	ds_read_b128 v[76:79], v159 offset:17936
	v_min3_f32 v173, v82, v80, s26
	ds_read_b128 v[80:83], v159 offset:18192
	v_cvt_f32_f64_e32 v9, v[14:15]
	v_cvt_f32_f64_e32 v10, v[10:11]
	;; [unrolled: 1-line block ×4, first 2 shown]
	v_min3_f32 v226, v9, v10, v170
	s_waitcnt lgkmcnt(3)
	v_add_f64 v[10:11], v[70:71], v[6:7]
	v_add_f64 v[14:15], v[68:69], v[4:5]
	v_min3_f32 v174, v96, v97, s26
	ds_read_b128 v[96:99], v158 offset:1040
	v_cvt_f32_f64_e32 v9, v[14:15]
	v_cvt_f32_f64_e32 v10, v[10:11]
	v_min3_f32 v227, v9, v10, v171
	s_waitcnt lgkmcnt(3)
	v_add_f64 v[10:11], v[74:75], v[6:7]
	v_add_f64 v[14:15], v[72:73], v[4:5]
	v_cvt_f32_f64_e32 v9, v[14:15]
	v_cvt_f32_f64_e32 v10, v[10:11]
	v_min3_f32 v224, v9, v10, v172
	s_waitcnt lgkmcnt(2)
	v_add_f64 v[10:11], v[78:79], v[6:7]
	v_add_f64 v[14:15], v[76:77], v[4:5]
	s_waitcnt lgkmcnt(1)
	v_add_f64 v[6:7], v[82:83], v[6:7]
	v_add_f64 v[4:5], v[80:81], v[4:5]
	v_cvt_f32_f64_e32 v92, v[92:93]
	v_cvt_f32_f64_e32 v93, v[94:95]
	;; [unrolled: 1-line block ×4, first 2 shown]
	v_min3_f32 v148, v92, v93, s26
	ds_read_b128 v[92:95], v158 offset:2064
	v_min3_f32 v217, v4, v5, v174
	s_waitcnt lgkmcnt(1)
	v_add_f64 v[4:5], v[2:3], v[98:99]
	v_add_f64 v[6:7], v[0:1], v[96:97]
	v_cvt_f32_f64_e32 v6, v[6:7]
	v_cvt_f32_f64_e32 v4, v[4:5]
	v_min3_f32 v216, v6, v4, v175
	v_add_f64 v[4:5], v[58:59], v[98:99]
	v_add_f64 v[6:7], v[56:57], v[96:97]
	v_cvt_f32_f64_e32 v6, v[6:7]
	v_cvt_f32_f64_e32 v4, v[4:5]
	v_min3_f32 v215, v6, v4, v176
	;; [unrolled: 5-line block ×8, first 2 shown]
	s_waitcnt lgkmcnt(0)
	v_add_f64 v[4:5], v[2:3], v[94:95]
	v_add_f64 v[6:7], v[0:1], v[92:93]
	v_cvt_f32_f64_e32 v6, v[6:7]
	v_cvt_f32_f64_e32 v4, v[4:5]
	v_min3_f32 v208, v6, v4, v160
	v_add_f64 v[4:5], v[58:59], v[94:95]
	v_add_f64 v[6:7], v[56:57], v[92:93]
	v_cvt_f32_f64_e32 v6, v[6:7]
	v_cvt_f32_f64_e32 v4, v[4:5]
	v_min3_f32 v207, v6, v4, v154
	;; [unrolled: 5-line block ×4, first 2 shown]
	v_add_f64 v[4:5], v[70:71], v[94:95]
	v_add_f64 v[6:7], v[68:69], v[92:93]
	v_cvt_f32_f64_e32 v6, v[6:7]
	v_cvt_f32_f64_e32 v4, v[4:5]
	v_cvt_f32_f64_e32 v88, v[88:89]
	v_cvt_f32_f64_e32 v89, v[90:91]
	v_min3_f32 v204, v6, v4, v147
	v_add_f64 v[4:5], v[74:75], v[94:95]
	v_add_f64 v[6:7], v[72:73], v[92:93]
	v_min3_f32 v140, v88, v89, s26
	ds_read_b128 v[88:91], v158 offset:3088
	v_cvt_f32_f64_e32 v6, v[6:7]
	v_cvt_f32_f64_e32 v4, v[4:5]
	v_min3_f32 v203, v6, v4, v145
	v_add_f64 v[4:5], v[78:79], v[94:95]
	v_add_f64 v[6:7], v[76:77], v[92:93]
	v_cvt_f32_f64_e32 v6, v[6:7]
	v_cvt_f32_f64_e32 v4, v[4:5]
	v_min3_f32 v202, v6, v4, v143
	v_add_f64 v[4:5], v[82:83], v[94:95]
	v_add_f64 v[6:7], v[80:81], v[92:93]
	v_cvt_f32_f64_e32 v84, v[84:85]
	v_cvt_f32_f64_e32 v85, v[86:87]
	;; [unrolled: 1-line block ×4, first 2 shown]
	v_min3_f32 v132, v84, v85, s26
	ds_read_b128 v[84:87], v158 offset:4112
	v_min3_f32 v201, v6, v4, v140
	s_waitcnt lgkmcnt(1)
	v_add_f64 v[4:5], v[2:3], v[90:91]
	v_add_f64 v[6:7], v[0:1], v[88:89]
	v_cvt_f32_f64_e32 v6, v[6:7]
	v_cvt_f32_f64_e32 v4, v[4:5]
	v_min3_f32 v200, v6, v4, v149
	v_add_f64 v[4:5], v[58:59], v[90:91]
	v_add_f64 v[6:7], v[56:57], v[88:89]
	v_cvt_f32_f64_e32 v6, v[6:7]
	v_cvt_f32_f64_e32 v4, v[4:5]
	v_min3_f32 v199, v6, v4, v146
	;; [unrolled: 5-line block ×8, first 2 shown]
	s_waitcnt lgkmcnt(0)
	v_add_f64 v[4:5], v[2:3], v[86:87]
	v_add_f64 v[6:7], v[0:1], v[84:85]
	v_cvt_f32_f64_e32 v6, v[6:7]
	v_cvt_f32_f64_e32 v4, v[4:5]
	v_min3_f32 v192, v6, v4, v141
	v_add_f64 v[4:5], v[58:59], v[86:87]
	v_add_f64 v[6:7], v[56:57], v[84:85]
	v_cvt_f32_f64_e32 v6, v[6:7]
	v_cvt_f32_f64_e32 v4, v[4:5]
	v_min3_f32 v191, v6, v4, v138
	;; [unrolled: 5-line block ×4, first 2 shown]
	v_add_f64 v[4:5], v[70:71], v[86:87]
	v_add_f64 v[6:7], v[68:69], v[84:85]
	v_cvt_f32_f64_e32 v6, v[6:7]
	v_cvt_f32_f64_e32 v4, v[4:5]
	;; [unrolled: 1-line block ×4, first 2 shown]
	v_min3_f32 v188, v6, v4, v131
	v_add_f64 v[4:5], v[74:75], v[86:87]
	v_add_f64 v[6:7], v[72:73], v[84:85]
	v_min3_f32 v124, v52, v53, s26
	ds_read_b128 v[52:55], v158 offset:5136
	v_cvt_f32_f64_e32 v6, v[6:7]
	v_cvt_f32_f64_e32 v4, v[4:5]
	v_min3_f32 v187, v6, v4, v129
	v_add_f64 v[4:5], v[78:79], v[86:87]
	v_add_f64 v[6:7], v[76:77], v[84:85]
	v_cvt_f32_f64_e32 v6, v[6:7]
	v_cvt_f32_f64_e32 v4, v[4:5]
	v_min3_f32 v186, v6, v4, v127
	v_add_f64 v[4:5], v[82:83], v[86:87]
	v_add_f64 v[6:7], v[80:81], v[84:85]
	v_cvt_f32_f64_e32 v48, v[48:49]
	v_cvt_f32_f64_e32 v49, v[50:51]
	;; [unrolled: 1-line block ×4, first 2 shown]
	v_min3_f32 v117, v48, v49, s26
	ds_read_b128 v[48:51], v158 offset:6160
	v_min3_f32 v185, v6, v4, v124
	s_waitcnt lgkmcnt(1)
	v_add_f64 v[4:5], v[2:3], v[54:55]
	v_add_f64 v[6:7], v[0:1], v[52:53]
	v_cvt_f32_f64_e32 v6, v[6:7]
	v_cvt_f32_f64_e32 v4, v[4:5]
	v_min3_f32 v184, v6, v4, v133
	v_add_f64 v[4:5], v[58:59], v[54:55]
	v_add_f64 v[6:7], v[56:57], v[52:53]
	v_cvt_f32_f64_e32 v6, v[6:7]
	v_cvt_f32_f64_e32 v4, v[4:5]
	v_min3_f32 v183, v6, v4, v130
	;; [unrolled: 5-line block ×7, first 2 shown]
	v_add_f64 v[4:5], v[82:83], v[54:55]
	v_add_f64 v[6:7], v[80:81], v[52:53]
	;; [unrolled: 1-line block ×4, first 2 shown]
	v_cvt_f32_f64_e32 v6, v[6:7]
	v_cvt_f32_f64_e32 v4, v[4:5]
	;; [unrolled: 1-line block ×4, first 2 shown]
	v_min3_f32 v177, v6, v4, v117
	s_waitcnt lgkmcnt(0)
	v_add_f64 v[4:5], v[2:3], v[50:51]
	v_add_f64 v[6:7], v[0:1], v[48:49]
	;; [unrolled: 1-line block ×4, first 2 shown]
	v_min3_f32 v40, v40, v41, s26
	v_add_f64 v[34:35], v[34:35], v[38:39]
	v_add_f64 v[32:33], v[32:33], v[36:37]
	v_cvt_f32_f64_e32 v6, v[6:7]
	v_cvt_f32_f64_e32 v4, v[4:5]
	v_cvt_f32_f64_e32 v0, v[0:1]
	v_cvt_f32_f64_e32 v1, v[2:3]
	v_cvt_f32_f64_e32 v32, v[32:33]
	v_cvt_f32_f64_e32 v33, v[34:35]
	v_min3_f32 v176, v6, v4, v125
	v_add_f64 v[4:5], v[58:59], v[50:51]
	v_add_f64 v[6:7], v[56:57], v[48:49]
	v_min3_f32 v168, v0, v1, v40
	v_add_f64 v[0:1], v[58:59], v[46:47]
	v_add_f64 v[2:3], v[56:57], v[44:45]
	v_min3_f32 v32, v32, v33, s26
	v_add_f64 v[30:31], v[30:31], v[38:39]
	v_add_f64 v[28:29], v[28:29], v[36:37]
	v_cvt_f32_f64_e32 v6, v[6:7]
	v_cvt_f32_f64_e32 v4, v[4:5]
	v_cvt_f32_f64_e32 v2, v[2:3]
	v_cvt_f32_f64_e32 v0, v[0:1]
	v_cvt_f32_f64_e32 v28, v[28:29]
	v_cvt_f32_f64_e32 v29, v[30:31]
	v_min3_f32 v175, v6, v4, v122
	v_add_f64 v[4:5], v[62:63], v[50:51]
	v_add_f64 v[6:7], v[60:61], v[48:49]
	v_min3_f32 v167, v2, v0, v32
	v_add_f64 v[0:1], v[62:63], v[46:47]
	v_add_f64 v[2:3], v[60:61], v[44:45]
	;; [unrolled: 15-line block ×3, first 2 shown]
	v_min3_f32 v24, v24, v25, s26
	v_add_f64 v[22:23], v[22:23], v[38:39]
	v_add_f64 v[20:21], v[20:21], v[36:37]
	v_cvt_f32_f64_e32 v9, v[14:15]
	v_cvt_f32_f64_e32 v10, v[10:11]
	v_cvt_f32_f64_e32 v6, v[6:7]
	v_cvt_f32_f64_e32 v4, v[4:5]
	v_cvt_f32_f64_e32 v2, v[2:3]
	v_cvt_f32_f64_e32 v0, v[0:1]
	v_cvt_f32_f64_e32 v20, v[20:21]
	v_cvt_f32_f64_e32 v21, v[22:23]
	v_min3_f32 v225, v9, v10, v173
	v_min3_f32 v173, v6, v4, v118
	v_add_f64 v[4:5], v[70:71], v[50:51]
	v_add_f64 v[6:7], v[68:69], v[48:49]
	v_min3_f32 v165, v2, v0, v24
	v_add_f64 v[0:1], v[70:71], v[46:47]
	v_add_f64 v[2:3], v[68:69], v[44:45]
	;; [unrolled: 3-line block ×3, first 2 shown]
	v_cvt_f32_f64_e32 v6, v[6:7]
	v_cvt_f32_f64_e32 v4, v[4:5]
	;; [unrolled: 1-line block ×6, first 2 shown]
	v_min3_f32 v172, v6, v4, v116
	v_add_f64 v[4:5], v[74:75], v[50:51]
	v_add_f64 v[6:7], v[72:73], v[48:49]
	v_min3_f32 v164, v2, v0, v20
	v_add_f64 v[0:1], v[74:75], v[46:47]
	v_add_f64 v[2:3], v[72:73], v[44:45]
	s_load_dword s31, s[0:1], 0x8
	v_min3_f32 v16, v16, v17, s26
	v_cvt_f32_f64_e32 v6, v[6:7]
	v_cvt_f32_f64_e32 v4, v[4:5]
	;; [unrolled: 1-line block ×4, first 2 shown]
	v_min3_f32 v171, v6, v4, v115
	v_add_f64 v[4:5], v[78:79], v[50:51]
	v_add_f64 v[6:7], v[76:77], v[48:49]
	v_min3_f32 v162, v2, v0, v16
	v_add_f64 v[0:1], v[78:79], v[46:47]
	v_add_f64 v[2:3], v[76:77], v[44:45]
	v_min3_f32 v12, v12, v13, s26
	v_cvt_f32_f64_e32 v6, v[6:7]
	v_cvt_f32_f64_e32 v4, v[4:5]
	;; [unrolled: 1-line block ×4, first 2 shown]
	v_min3_f32 v170, v6, v4, v114
	v_add_f64 v[4:5], v[82:83], v[50:51]
	v_add_f64 v[6:7], v[80:81], v[48:49]
	v_min3_f32 v161, v2, v0, v12
	v_add_f64 v[0:1], v[82:83], v[46:47]
	v_add_f64 v[2:3], v[80:81], v[44:45]
	v_cvt_f32_f64_e32 v6, v[6:7]
	v_cvt_f32_f64_e32 v4, v[4:5]
	;; [unrolled: 1-line block ×4, first 2 shown]
	v_min3_f32 v169, v6, v4, v113
	v_min3_f32 v160, v2, v0, v8
	s_waitcnt lgkmcnt(0)
	s_cmp_lt_i32 s31, 9
	ds_write_b64 v163, v[100:101] offset:18432
	ds_write2st64_b64 v163, v[104:105], v[102:103] offset0:16 offset1:20
	ds_write2st64_b64 v163, v[106:107], v[108:109] offset0:24 offset1:28
	s_waitcnt lgkmcnt(0)
	s_barrier
	s_cbranch_scc1 .LBB170_47
; %bb.25:
	v_mov_b32_e32 v0, 0x4800
	v_lshl_add_u32 v222, v156, 5, v0
	v_mov_b32_e32 v0, 0x2000
	v_add_u32_e32 v2, 12, v110
	v_lshl_add_u32 v223, v157, 5, v0
	v_mad_i64_i32 v[0:1], s[26:27], v2, s12, 0
	v_lshlrev_b64 v[136:137], 3, v[0:1]
	v_lshl_or_b32 v0, s2, 6, v111
	s_lshl_b32 s2, s30, 6
	v_subrev_u32_e32 v0, s2, v0
	v_ashrrev_i32_e32 v1, 31, v0
	v_lshl_add_u64 v[138:139], v[0:1], 3, s[20:21]
	v_add_u32_e32 v0, s29, v111
	v_ashrrev_i32_e32 v1, 31, v0
	v_lshlrev_b64 v[140:141], 3, v[0:1]
	v_mad_i64_i32 v[0:1], s[26:27], v2, s24, 0
	v_add_u32_e32 v2, 8, v110
	v_lshl_add_u64 v[142:143], v[0:1], 3, s[22:23]
	s_lshl_b64 s[26:27], s[24:25], 6
	v_mad_i64_i32 v[0:1], s[24:25], v2, s24, 0
	s_lshl_b64 s[20:21], s[12:13], 6
	v_lshl_add_u64 v[144:145], v[0:1], 3, s[22:23]
	v_mad_i64_i32 v[0:1], s[12:13], v2, s12, 0
	v_or_b32_e32 v218, 0x4000, v163
	v_add_u32_e32 v219, 0x4000, v159
	v_add_u32_e32 v220, 0x4800, v163
	v_or_b32_e32 v221, 0x2000, v163
	s_add_i32 s31, s31, -8
	v_lshlrev_b64 v[146:147], 3, v[0:1]
	s_mov_b32 s2, 0
	s_mov_b32 s22, 0
	s_branch .LBB170_27
.LBB170_26:                             ;   in Loop: Header=BB170_27 Depth=1
	v_add_f64 v[2:3], v[106:107], v[134:135]
	v_add_f64 v[4:5], v[104:105], v[132:133]
	v_cvt_f32_f64_e32 v4, v[4:5]
	v_cvt_f32_f64_e32 v2, v[2:3]
	v_min3_f32 v6, v4, v2, v230
	v_add_f64 v[2:3], v[102:103], v[134:135]
	v_add_f64 v[4:5], v[100:101], v[132:133]
	v_cvt_f32_f64_e32 v4, v[4:5]
	v_cvt_f32_f64_e32 v2, v[2:3]
	v_min3_f32 v7, v4, v2, v228
	;; [unrolled: 5-line block ×128, first 2 shown]
	ds_read_b128 v[38:41], v219 offset:256
	ds_read_b128 v[34:37], v219 offset:512
	;; [unrolled: 1-line block ×12, first 2 shown]
	ds_read_b128 v[98:101], v158
	ds_read_b128 v[50:53], v219
	ds_read_b128 v[74:77], v158 offset:6144
	ds_read_b128 v[26:29], v158 offset:7168
	;; [unrolled: 1-line block ×4, first 2 shown]
	s_waitcnt lgkmcnt(5)
	v_add_f64 v[46:47], v[40:41], v[100:101]
	v_add_f64 v[48:49], v[38:39], v[98:99]
	;; [unrolled: 1-line block ×4, first 2 shown]
	v_cvt_f32_f64_e32 v48, v[48:49]
	v_cvt_f32_f64_e32 v46, v[46:47]
	;; [unrolled: 1-line block ×4, first 2 shown]
	v_min3_f32 v189, v48, v46, v72
	v_min3_f32 v190, v56, v54, v73
	v_add_f64 v[58:59], v[32:33], v[100:101]
	v_add_f64 v[60:61], v[30:31], v[98:99]
	;; [unrolled: 1-line block ×8, first 2 shown]
	v_cvt_f32_f64_e32 v60, v[60:61]
	v_cvt_f32_f64_e32 v58, v[58:59]
	;; [unrolled: 1-line block ×8, first 2 shown]
	v_min3_f32 v191, v60, v58, v102
	v_min3_f32 v192, v64, v62, v103
	;; [unrolled: 1-line block ×4, first 2 shown]
	s_waitcnt lgkmcnt(4)
	v_add_f64 v[102:103], v[52:53], v[96:97]
	v_add_f64 v[104:105], v[50:51], v[94:95]
	v_cvt_f32_f64_e32 v104, v[104:105]
	v_cvt_f32_f64_e32 v102, v[102:103]
	v_min3_f32 v107, v104, v102, v107
	v_add_f64 v[102:103], v[40:41], v[96:97]
	v_add_f64 v[104:105], v[38:39], v[94:95]
	v_cvt_f32_f64_e32 v104, v[104:105]
	v_cvt_f32_f64_e32 v102, v[102:103]
	v_min3_f32 v108, v104, v102, v108
	;; [unrolled: 5-line block ×35, first 2 shown]
	s_waitcnt lgkmcnt(3)
	v_add_f64 v[102:103], v[52:53], v[76:77]
	v_add_f64 v[104:105], v[50:51], v[74:75]
	v_cvt_f32_f64_e32 v104, v[104:105]
	v_cvt_f32_f64_e32 v102, v[102:103]
	v_min3_f32 v172, v104, v102, v172
	v_add_f64 v[102:103], v[40:41], v[76:77]
	v_add_f64 v[104:105], v[38:39], v[74:75]
	v_cvt_f32_f64_e32 v104, v[104:105]
	v_cvt_f32_f64_e32 v102, v[102:103]
	v_min3_f32 v173, v104, v102, v173
	;; [unrolled: 5-line block ×4, first 2 shown]
	v_add_f64 v[102:103], v[24:25], v[76:77]
	v_add_f64 v[104:105], v[22:23], v[74:75]
	;; [unrolled: 1-line block ×4, first 2 shown]
	v_cvt_f32_f64_e32 v104, v[104:105]
	v_cvt_f32_f64_e32 v102, v[102:103]
	;; [unrolled: 1-line block ×4, first 2 shown]
	v_min3_f32 v232, v104, v102, v176
	v_add_f64 v[102:103], v[20:21], v[76:77]
	v_add_f64 v[104:105], v[18:19], v[74:75]
	v_min3_f32 v188, v44, v42, v208
	ds_read_b128 v[42:45], v219 offset:272
	v_cvt_f32_f64_e32 v104, v[104:105]
	v_cvt_f32_f64_e32 v102, v[102:103]
	v_add_f64 v[100:101], v[12:13], v[100:101]
	v_add_f64 v[98:99], v[10:11], v[98:99]
	;; [unrolled: 1-line block ×12, first 2 shown]
	v_min3_f32 v233, v104, v102, v177
	v_add_f64 v[102:103], v[16:17], v[76:77]
	v_add_f64 v[104:105], v[14:15], v[74:75]
	;; [unrolled: 1-line block ×4, first 2 shown]
	s_waitcnt lgkmcnt(3)
	v_add_f64 v[16:17], v[16:17], v[28:29]
	v_add_f64 v[14:15], v[14:15], v[26:27]
	;; [unrolled: 1-line block ×4, first 2 shown]
	ds_read_b128 v[46:49], v219 offset:528
	ds_read_b128 v[54:57], v219 offset:784
	v_cvt_f32_f64_e32 v14, v[14:15]
	v_cvt_f32_f64_e32 v15, v[16:17]
	;; [unrolled: 1-line block ×4, first 2 shown]
	v_min3_f32 v14, v14, v15, v186
	v_min3_f32 v15, v10, v11, v187
	s_waitcnt lgkmcnt(3)
	v_add_f64 v[10:11], v[4:5], v[8:9]
	v_add_f64 v[12:13], v[2:3], v[6:7]
	v_cvt_f32_f64_e32 v74, v[74:75]
	v_cvt_f32_f64_e32 v75, v[76:77]
	;; [unrolled: 1-line block ×5, first 2 shown]
	v_min3_f32 v103, v74, v75, v179
	ds_read_b128 v[74:77], v158 offset:7184
	v_min3_f32 v230, v12, v10, v188
	s_waitcnt lgkmcnt(3)
	v_add_f64 v[10:11], v[44:45], v[8:9]
	v_add_f64 v[12:13], v[42:43], v[6:7]
	ds_read_b128 v[58:61], v219 offset:1040
	ds_read_b128 v[62:65], v219 offset:1296
	v_cvt_f32_f64_e32 v12, v[12:13]
	v_cvt_f32_f64_e32 v10, v[10:11]
	v_min3_f32 v228, v12, v10, v189
	s_waitcnt lgkmcnt(4)
	v_add_f64 v[10:11], v[48:49], v[8:9]
	v_add_f64 v[12:13], v[46:47], v[6:7]
	v_cvt_f32_f64_e32 v12, v[12:13]
	v_cvt_f32_f64_e32 v10, v[10:11]
	v_min3_f32 v229, v12, v10, v190
	s_waitcnt lgkmcnt(3)
	v_add_f64 v[10:11], v[56:57], v[8:9]
	v_add_f64 v[12:13], v[54:55], v[6:7]
	ds_read_b128 v[66:69], v219 offset:1552
	ds_read_b128 v[70:73], v219 offset:1808
	v_cvt_f32_f64_e32 v12, v[12:13]
	v_cvt_f32_f64_e32 v10, v[10:11]
	;; [unrolled: 1-line block ×4, first 2 shown]
	v_min3_f32 v226, v12, v10, v191
	s_waitcnt lgkmcnt(3)
	v_add_f64 v[10:11], v[60:61], v[8:9]
	v_add_f64 v[12:13], v[58:59], v[6:7]
	v_min3_f32 v106, v98, v99, v106
	ds_read_b128 v[98:101], v158 offset:1040
	v_cvt_f32_f64_e32 v12, v[12:13]
	v_cvt_f32_f64_e32 v10, v[10:11]
	v_min3_f32 v227, v12, v10, v192
	s_waitcnt lgkmcnt(3)
	v_add_f64 v[10:11], v[64:65], v[8:9]
	v_add_f64 v[12:13], v[62:63], v[6:7]
	v_cvt_f32_f64_e32 v12, v[12:13]
	v_cvt_f32_f64_e32 v10, v[10:11]
	v_min3_f32 v224, v12, v10, v193
	s_waitcnt lgkmcnt(2)
	v_add_f64 v[10:11], v[68:69], v[8:9]
	v_add_f64 v[12:13], v[66:67], v[6:7]
	s_waitcnt lgkmcnt(1)
	v_add_f64 v[8:9], v[72:73], v[8:9]
	v_add_f64 v[6:7], v[70:71], v[6:7]
	v_cvt_f32_f64_e32 v94, v[94:95]
	v_cvt_f32_f64_e32 v95, v[96:97]
	;; [unrolled: 1-line block ×4, first 2 shown]
	v_min3_f32 v114, v94, v95, v114
	ds_read_b128 v[94:97], v158 offset:2064
	v_min3_f32 v217, v6, v7, v106
	s_waitcnt lgkmcnt(1)
	v_add_f64 v[6:7], v[4:5], v[100:101]
	v_add_f64 v[8:9], v[2:3], v[98:99]
	v_cvt_f32_f64_e32 v8, v[8:9]
	v_cvt_f32_f64_e32 v6, v[6:7]
	v_min3_f32 v216, v8, v6, v107
	v_add_f64 v[6:7], v[44:45], v[100:101]
	v_add_f64 v[8:9], v[42:43], v[98:99]
	v_cvt_f32_f64_e32 v8, v[8:9]
	v_cvt_f32_f64_e32 v6, v[6:7]
	v_min3_f32 v215, v8, v6, v108
	;; [unrolled: 5-line block ×8, first 2 shown]
	s_waitcnt lgkmcnt(0)
	v_add_f64 v[6:7], v[4:5], v[96:97]
	v_add_f64 v[8:9], v[2:3], v[94:95]
	v_cvt_f32_f64_e32 v8, v[8:9]
	v_cvt_f32_f64_e32 v6, v[6:7]
	v_min3_f32 v208, v8, v6, v115
	v_add_f64 v[6:7], v[44:45], v[96:97]
	v_add_f64 v[8:9], v[42:43], v[94:95]
	v_cvt_f32_f64_e32 v8, v[8:9]
	v_cvt_f32_f64_e32 v6, v[6:7]
	v_min3_f32 v207, v8, v6, v116
	;; [unrolled: 5-line block ×4, first 2 shown]
	v_add_f64 v[6:7], v[60:61], v[96:97]
	v_add_f64 v[8:9], v[58:59], v[94:95]
	v_cvt_f32_f64_e32 v8, v[8:9]
	v_cvt_f32_f64_e32 v6, v[6:7]
	;; [unrolled: 1-line block ×4, first 2 shown]
	v_min3_f32 v204, v8, v6, v119
	v_add_f64 v[6:7], v[64:65], v[96:97]
	v_add_f64 v[8:9], v[62:63], v[94:95]
	v_min3_f32 v122, v90, v91, v122
	ds_read_b128 v[90:93], v158 offset:3088
	v_cvt_f32_f64_e32 v8, v[8:9]
	v_cvt_f32_f64_e32 v6, v[6:7]
	v_min3_f32 v203, v8, v6, v120
	v_add_f64 v[6:7], v[68:69], v[96:97]
	v_add_f64 v[8:9], v[66:67], v[94:95]
	v_cvt_f32_f64_e32 v8, v[8:9]
	v_cvt_f32_f64_e32 v6, v[6:7]
	v_min3_f32 v202, v8, v6, v121
	v_add_f64 v[6:7], v[72:73], v[96:97]
	v_add_f64 v[8:9], v[70:71], v[94:95]
	v_cvt_f32_f64_e32 v86, v[86:87]
	v_cvt_f32_f64_e32 v87, v[88:89]
	v_cvt_f32_f64_e32 v8, v[8:9]
	v_cvt_f32_f64_e32 v6, v[6:7]
	v_min3_f32 v130, v86, v87, v130
	ds_read_b128 v[86:89], v158 offset:4112
	v_min3_f32 v201, v8, v6, v122
	s_waitcnt lgkmcnt(1)
	v_add_f64 v[6:7], v[4:5], v[92:93]
	v_add_f64 v[8:9], v[2:3], v[90:91]
	v_cvt_f32_f64_e32 v8, v[8:9]
	v_cvt_f32_f64_e32 v6, v[6:7]
	v_min3_f32 v200, v8, v6, v123
	v_add_f64 v[6:7], v[44:45], v[92:93]
	v_add_f64 v[8:9], v[42:43], v[90:91]
	v_cvt_f32_f64_e32 v8, v[8:9]
	v_cvt_f32_f64_e32 v6, v[6:7]
	v_min3_f32 v199, v8, v6, v124
	;; [unrolled: 5-line block ×6, first 2 shown]
	v_add_f64 v[6:7], v[68:69], v[92:93]
	v_add_f64 v[8:9], v[66:67], v[90:91]
	v_cvt_f32_f64_e32 v12, v[12:13]
	v_cvt_f32_f64_e32 v10, v[10:11]
	v_cvt_f32_f64_e32 v8, v[8:9]
	v_cvt_f32_f64_e32 v6, v[6:7]
	v_min3_f32 v225, v12, v10, v194
	v_min3_f32 v194, v8, v6, v129
	v_add_f64 v[6:7], v[72:73], v[92:93]
	v_add_f64 v[8:9], v[70:71], v[90:91]
	v_cvt_f32_f64_e32 v8, v[8:9]
	v_cvt_f32_f64_e32 v6, v[6:7]
	v_min3_f32 v193, v8, v6, v130
	s_waitcnt lgkmcnt(0)
	v_add_f64 v[6:7], v[4:5], v[88:89]
	v_add_f64 v[8:9], v[2:3], v[86:87]
	v_cvt_f32_f64_e32 v8, v[8:9]
	v_cvt_f32_f64_e32 v6, v[6:7]
	v_min3_f32 v192, v8, v6, v131
	v_add_f64 v[6:7], v[44:45], v[88:89]
	v_add_f64 v[8:9], v[42:43], v[86:87]
	v_cvt_f32_f64_e32 v8, v[8:9]
	v_cvt_f32_f64_e32 v6, v[6:7]
	v_min3_f32 v191, v8, v6, v132
	;; [unrolled: 5-line block ×4, first 2 shown]
	v_add_f64 v[6:7], v[60:61], v[88:89]
	v_add_f64 v[8:9], v[58:59], v[86:87]
	v_cvt_f32_f64_e32 v8, v[8:9]
	v_cvt_f32_f64_e32 v6, v[6:7]
	;; [unrolled: 1-line block ×4, first 2 shown]
	v_min3_f32 v188, v8, v6, v135
	v_add_f64 v[6:7], v[64:65], v[88:89]
	v_add_f64 v[8:9], v[62:63], v[86:87]
	v_min3_f32 v162, v82, v83, v162
	ds_read_b128 v[82:85], v158 offset:5136
	v_cvt_f32_f64_e32 v8, v[8:9]
	v_cvt_f32_f64_e32 v6, v[6:7]
	v_min3_f32 v187, v8, v6, v160
	v_add_f64 v[6:7], v[68:69], v[88:89]
	v_add_f64 v[8:9], v[66:67], v[86:87]
	v_cvt_f32_f64_e32 v8, v[8:9]
	v_cvt_f32_f64_e32 v6, v[6:7]
	v_add_f64 v[20:21], v[20:21], v[28:29]
	v_add_f64 v[18:19], v[18:19], v[26:27]
	v_min3_f32 v186, v8, v6, v161
	v_add_f64 v[6:7], v[72:73], v[88:89]
	v_add_f64 v[8:9], v[70:71], v[86:87]
	v_cvt_f32_f64_e32 v78, v[78:79]
	v_cvt_f32_f64_e32 v79, v[80:81]
	;; [unrolled: 1-line block ×6, first 2 shown]
	v_min3_f32 v171, v78, v79, v171
	ds_read_b128 v[78:81], v158 offset:6160
	v_add_f64 v[24:25], v[24:25], v[28:29]
	v_add_f64 v[22:23], v[22:23], v[26:27]
	v_min3_f32 v18, v18, v19, v185
	v_min3_f32 v185, v8, v6, v162
	s_waitcnt lgkmcnt(1)
	v_add_f64 v[6:7], v[4:5], v[84:85]
	v_add_f64 v[8:9], v[2:3], v[82:83]
	v_cvt_f32_f64_e32 v22, v[22:23]
	v_cvt_f32_f64_e32 v23, v[24:25]
	v_cvt_f32_f64_e32 v8, v[8:9]
	v_cvt_f32_f64_e32 v6, v[6:7]
	v_add_f64 v[32:33], v[32:33], v[28:29]
	v_add_f64 v[30:31], v[30:31], v[26:27]
	v_min3_f32 v22, v22, v23, v184
	v_min3_f32 v184, v8, v6, v164
	v_add_f64 v[6:7], v[44:45], v[84:85]
	v_add_f64 v[8:9], v[42:43], v[82:83]
	v_cvt_f32_f64_e32 v30, v[30:31]
	v_cvt_f32_f64_e32 v31, v[32:33]
	v_cvt_f32_f64_e32 v8, v[8:9]
	v_cvt_f32_f64_e32 v6, v[6:7]
	v_add_f64 v[36:37], v[36:37], v[28:29]
	v_add_f64 v[34:35], v[34:35], v[26:27]
	v_min3_f32 v30, v30, v31, v183
	v_min3_f32 v183, v8, v6, v165
	;; [unrolled: 10-line block ×4, first 2 shown]
	v_add_f64 v[6:7], v[60:61], v[84:85]
	v_add_f64 v[8:9], v[58:59], v[82:83]
	v_cvt_f32_f64_e32 v50, v[50:51]
	v_cvt_f32_f64_e32 v51, v[52:53]
	;; [unrolled: 1-line block ×4, first 2 shown]
	v_min3_f32 v50, v50, v51, v180
	v_min3_f32 v180, v8, v6, v168
	v_add_f64 v[6:7], v[64:65], v[84:85]
	v_add_f64 v[8:9], v[62:63], v[82:83]
	v_cvt_f32_f64_e32 v8, v[8:9]
	v_cvt_f32_f64_e32 v6, v[6:7]
	v_min3_f32 v179, v8, v6, v169
	v_add_f64 v[6:7], v[68:69], v[84:85]
	v_add_f64 v[8:9], v[66:67], v[82:83]
	v_cvt_f32_f64_e32 v104, v[104:105]
	v_cvt_f32_f64_e32 v8, v[8:9]
	;; [unrolled: 1-line block ×3, first 2 shown]
	v_min3_f32 v102, v104, v102, v178
	v_min3_f32 v178, v8, v6, v170
	v_add_f64 v[6:7], v[72:73], v[84:85]
	v_add_f64 v[8:9], v[70:71], v[82:83]
	v_cvt_f32_f64_e32 v8, v[8:9]
	v_cvt_f32_f64_e32 v6, v[6:7]
	v_min3_f32 v177, v8, v6, v171
	s_waitcnt lgkmcnt(0)
	v_add_f64 v[6:7], v[4:5], v[80:81]
	v_add_f64 v[8:9], v[2:3], v[78:79]
	;; [unrolled: 1-line block ×4, first 2 shown]
	v_cvt_f32_f64_e32 v8, v[8:9]
	v_cvt_f32_f64_e32 v6, v[6:7]
	v_cvt_f32_f64_e32 v2, v[2:3]
	v_cvt_f32_f64_e32 v3, v[4:5]
	v_min3_f32 v176, v8, v6, v172
	v_add_f64 v[6:7], v[44:45], v[80:81]
	v_add_f64 v[8:9], v[42:43], v[78:79]
	v_min3_f32 v168, v2, v3, v50
	v_add_f64 v[2:3], v[44:45], v[76:77]
	v_add_f64 v[4:5], v[42:43], v[74:75]
	v_cvt_f32_f64_e32 v8, v[8:9]
	v_cvt_f32_f64_e32 v6, v[6:7]
	v_cvt_f32_f64_e32 v4, v[4:5]
	v_cvt_f32_f64_e32 v2, v[2:3]
	v_min3_f32 v175, v8, v6, v173
	v_add_f64 v[6:7], v[48:49], v[80:81]
	v_add_f64 v[8:9], v[46:47], v[78:79]
	v_min3_f32 v167, v4, v2, v38
	v_add_f64 v[2:3], v[48:49], v[76:77]
	v_add_f64 v[4:5], v[46:47], v[74:75]
	;; [unrolled: 10-line block ×7, first 2 shown]
	v_cvt_f32_f64_e32 v8, v[8:9]
	v_cvt_f32_f64_e32 v6, v[6:7]
	;; [unrolled: 1-line block ×4, first 2 shown]
	s_add_i32 s22, s22, 8
	v_min3_f32 v169, v8, v6, v103
	v_min3_f32 v160, v4, v2, v15
	v_lshl_add_u64 v[138:139], v[138:139], 0, s[20:21]
	v_lshl_add_u64 v[142:143], v[142:143], 0, s[26:27]
	s_cmp_ge_i32 s22, s31
	v_lshl_add_u64 v[144:145], v[144:145], 0, s[26:27]
	ds_write_b64 v220, v[148:149]
	ds_write2st64_b64 v221, v[0:1], v[150:151] offset1:4
	ds_write2st64_b64 v221, v[152:153], v[154:155] offset0:8 offset1:12
	s_waitcnt lgkmcnt(0)
	s_barrier
	s_cbranch_scc1 .LBB170_47
.LBB170_27:                             ; =>This Inner Loop Header: Depth=1
	s_and_b64 vcc, exec, s[6:7]
	s_cbranch_vccnz .LBB170_46
; %bb.28:                               ;   in Loop: Header=BB170_27 Depth=1
	v_lshl_add_u64 v[0:1], v[138:139], 0, v[146:147]
	global_load_dwordx2 v[0:1], v[0:1], off
	s_waitcnt vmcnt(0)
	v_mul_f64 v[150:151], s[16:17], v[0:1]
	s_mov_b64 s[12:13], -1
	s_mov_b64 vcc, s[4:5]
                                        ; implicit-def: $vgpr0_vgpr1_vgpr2_vgpr3_vgpr4_vgpr5_vgpr6_vgpr7
	s_cbranch_vccz .LBB170_30
.LBB170_29:                             ;   in Loop: Header=BB170_27 Depth=1
	v_mov_b32_e32 v0, s2
	v_mov_b32_e32 v1, s2
	s_mov_b64 s[12:13], 0
.LBB170_30:                             ;   in Loop: Header=BB170_27 Depth=1
	v_mov_b64_e32 v[2:3], 0
	s_andn2_b64 vcc, exec, s[12:13]
	v_lshl_add_u64 v[8:9], v[144:145], 0, v[140:141]
	s_cbranch_vccz .LBB170_40
; %bb.31:                               ;   in Loop: Header=BB170_27 Depth=1
	s_mov_b64 s[12:13], -1
	s_mov_b64 vcc, s[4:5]
                                        ; implicit-def: $vgpr4_vgpr5
	s_cbranch_vccnz .LBB170_41
.LBB170_32:                             ;   in Loop: Header=BB170_27 Depth=1
	v_mov_b64_e32 v[148:149], 0
	s_andn2_b64 vcc, exec, s[12:13]
	v_mov_b64_e32 v[6:7], 0
	s_cbranch_vccnz .LBB170_34
.LBB170_33:                             ;   in Loop: Header=BB170_27 Depth=1
	global_load_dwordx2 v[4:5], v[8:9], off offset:1024
	global_load_dwordx2 v[6:7], v[8:9], off offset:1536
	s_waitcnt vmcnt(1)
	v_mul_f64 v[4:5], s[16:17], v[4:5]
	s_waitcnt vmcnt(0)
	v_mul_f64 v[6:7], s[16:17], v[6:7]
.LBB170_34:                             ;   in Loop: Header=BB170_27 Depth=1
	ds_read_b128 v[132:135], v223
	ds_read_b128 v[68:71], v223 offset:16
	ds_read_b128 v[104:107], v222
	ds_read_b128 v[40:43], v222 offset:16
	ds_read_b128 v[100:103], v222 offset:256
	;; [unrolled: 1-line block ×29, first 2 shown]
	s_and_b64 vcc, exec, s[6:7]
	ds_write_b64 v218, v[150:151]
	ds_write2st64_b64 v163, v[0:1], v[2:3] offset1:4
	ds_write2st64_b64 v163, v[4:5], v[6:7] offset0:8 offset1:12
	s_waitcnt lgkmcnt(0)
	s_barrier
	s_cbranch_vccnz .LBB170_36
; %bb.35:                               ;   in Loop: Header=BB170_27 Depth=1
	v_lshl_add_u64 v[0:1], v[138:139], 0, v[136:137]
	global_load_dwordx2 v[0:1], v[0:1], off
	s_waitcnt vmcnt(0)
	v_mul_f64 v[148:149], s[16:17], v[0:1]
.LBB170_36:                             ;   in Loop: Header=BB170_27 Depth=1
	s_mov_b64 s[12:13], -1
	s_mov_b64 vcc, s[4:5]
                                        ; implicit-def: $vgpr0_vgpr1_vgpr2_vgpr3_vgpr4_vgpr5_vgpr6_vgpr7
	s_cbranch_vccnz .LBB170_42
; %bb.37:                               ;   in Loop: Header=BB170_27 Depth=1
	v_mov_b64_e32 v[150:151], 0
	s_andn2_b64 vcc, exec, s[12:13]
	v_lshl_add_u64 v[2:3], v[142:143], 0, v[140:141]
	s_cbranch_vccz .LBB170_43
.LBB170_38:                             ;   in Loop: Header=BB170_27 Depth=1
	s_mov_b64 s[12:13], -1
	s_mov_b64 vcc, s[4:5]
                                        ; implicit-def: $vgpr152_vgpr153
	s_cbranch_vccnz .LBB170_44
.LBB170_39:                             ;   in Loop: Header=BB170_27 Depth=1
	s_andn2_b64 vcc, exec, s[12:13]
	v_mov_b64_e32 v[154:155], 0
	s_cbranch_vccnz .LBB170_26
	s_branch .LBB170_45
.LBB170_40:                             ;   in Loop: Header=BB170_27 Depth=1
	global_load_dwordx2 v[0:1], v[8:9], off
	global_load_dwordx2 v[2:3], v[8:9], off offset:512
	s_waitcnt vmcnt(1)
	v_mul_f64 v[0:1], s[16:17], v[0:1]
	s_waitcnt vmcnt(0)
	v_mul_f64 v[2:3], s[16:17], v[2:3]
	s_mov_b64 s[12:13], -1
	s_mov_b64 vcc, s[4:5]
                                        ; implicit-def: $vgpr4_vgpr5
	s_cbranch_vccz .LBB170_32
.LBB170_41:                             ;   in Loop: Header=BB170_27 Depth=1
	v_mov_b32_e32 v4, s2
	v_mov_b32_e32 v5, s2
	v_mov_b64_e32 v[148:149], 0
	v_mov_b64_e32 v[6:7], 0
	s_cbranch_execz .LBB170_33
	s_branch .LBB170_34
.LBB170_42:                             ;   in Loop: Header=BB170_27 Depth=1
	v_mov_b32_e32 v0, s2
	v_mov_b32_e32 v1, s2
	v_mov_b64_e32 v[150:151], 0
	v_lshl_add_u64 v[2:3], v[142:143], 0, v[140:141]
	s_cbranch_execnz .LBB170_38
.LBB170_43:                             ;   in Loop: Header=BB170_27 Depth=1
	global_load_dwordx2 v[0:1], v[2:3], off
	global_load_dwordx2 v[4:5], v[2:3], off offset:512
	s_waitcnt vmcnt(1)
	v_mul_f64 v[0:1], s[16:17], v[0:1]
	s_waitcnt vmcnt(0)
	v_mul_f64 v[150:151], s[16:17], v[4:5]
	s_mov_b64 s[12:13], -1
	s_mov_b64 vcc, s[4:5]
                                        ; implicit-def: $vgpr152_vgpr153
	s_cbranch_vccz .LBB170_39
.LBB170_44:                             ;   in Loop: Header=BB170_27 Depth=1
	v_mov_b32_e32 v152, s2
	v_mov_b32_e32 v153, s2
	v_mov_b64_e32 v[154:155], 0
	s_cbranch_execnz .LBB170_26
.LBB170_45:                             ;   in Loop: Header=BB170_27 Depth=1
	global_load_dwordx2 v[4:5], v[2:3], off offset:1024
	s_nop 0
	global_load_dwordx2 v[2:3], v[2:3], off offset:1536
	s_waitcnt vmcnt(1)
	v_mul_f64 v[152:153], s[16:17], v[4:5]
	s_waitcnt vmcnt(0)
	v_mul_f64 v[154:155], s[16:17], v[2:3]
	s_branch .LBB170_26
.LBB170_46:                             ;   in Loop: Header=BB170_27 Depth=1
	v_mov_b64_e32 v[150:151], 0
	s_mov_b64 s[12:13], -1
	s_mov_b64 vcc, s[4:5]
                                        ; implicit-def: $vgpr0_vgpr1_vgpr2_vgpr3_vgpr4_vgpr5_vgpr6_vgpr7
	s_cbranch_vccnz .LBB170_29
	s_branch .LBB170_30
.LBB170_47:
	s_load_dwordx2 s[6:7], s[0:1], 0x78
	s_load_dword s4, s[0:1], 0x58
	s_load_dword s5, s[0:1], 0x70
	ds_read_b128 v[68:71], v159 offset:18432
	ds_read_b128 v[124:127], v158 offset:8192
	;; [unrolled: 1-line block ×4, first 2 shown]
	s_waitcnt lgkmcnt(0)
	s_mul_i32 s1, s7, s3
	s_mul_hi_u32 s2, s6, s3
	s_mul_i32 s0, s6, s3
	v_add_f64 v[0:1], v[70:71], v[126:127]
	v_add_f64 v[2:3], v[68:69], v[124:125]
	s_add_i32 s1, s2, s1
	v_cvt_f32_f64_e32 v2, v[2:3]
	v_cvt_f32_f64_e32 v0, v[0:1]
	s_lshl_b64 s[0:1], s[0:1], 3
	v_min3_f32 v4, v2, v0, v230
	v_add_f64 v[0:1], v[66:67], v[122:123]
	v_add_f64 v[2:3], v[64:65], v[120:121]
	s_add_u32 s0, s14, s0
	v_cvt_f32_f64_e32 v2, v[2:3]
	v_cvt_f32_f64_e32 v0, v[0:1]
	v_add_u32_e32 v134, s28, v156
	v_add_u32_e32 v156, s29, v157
	s_addc_u32 s1, s15, s1
	v_min3_f32 v2, v2, v0, v4
	v_mad_i64_i32 v[0:1], s[2:3], v156, s5, 0
	v_add_u32_e32 v128, 8, v134
	v_lshl_add_u64 v[152:153], v[0:1], 3, s[0:1]
	v_mad_i64_i32 v[0:1], s[2:3], v156, s4, 0
	v_ashrrev_i32_e32 v135, 31, v134
	v_ashrrev_i32_e32 v129, 31, v128
	s_mov_b64 s[2:3], -1
	v_max_f32_e32 v2, v2, v2
	s_mov_b64 vcc, s[8:9]
	s_cbranch_vccz .LBB170_49
; %bb.48:
	v_min_f32_e32 v3, 0, v2
	v_cvt_f64_f32_e32 v[4:5], v3
	v_lshl_add_u64 v[6:7], v[134:135], 3, v[152:153]
	global_store_dwordx2 v[6:7], v[4:5], off
	s_mov_b64 s[2:3], 0
.LBB170_49:
	ds_read_b128 v[60:63], v159 offset:18688
	ds_read_b128 v[52:55], v159 offset:18704
	;; [unrolled: 1-line block ×4, first 2 shown]
	v_lshl_add_u64 v[154:155], v[0:1], 3, s[18:19]
	v_mov_b32_e32 v132, 0
	s_andn2_b64 vcc, exec, s[2:3]
	v_lshlrev_b64 v[138:139], 3, v[134:135]
	s_cbranch_vccnz .LBB170_51
; %bb.50:
	v_lshl_add_u64 v[0:1], v[154:155], 0, v[138:139]
	global_load_dwordx2 v[0:1], v[0:1], off
	v_lshl_add_u64 v[4:5], v[152:153], 0, v[138:139]
	s_waitcnt vmcnt(0)
	v_mul_f64 v[0:1], s[10:11], v[0:1]
	v_cvt_f32_f64_e32 v0, v[0:1]
	v_min_f32_e32 v0, v0, v2
	v_cvt_f64_f32_e32 v[0:1], v0
	global_store_dwordx2 v[4:5], v[0:1], off
	v_lshl_add_u64 v[0:1], v[128:129], 3, v[154:155]
	global_load_dwordx2 v[0:1], v[0:1], off
	s_waitcnt vmcnt(0)
	v_mul_f64 v[0:1], s[10:11], v[0:1]
	v_cvt_f32_f64_e32 v132, v[0:1]
.LBB170_51:
	ds_read_b128 v[40:43], v159 offset:19200
	ds_read_b128 v[36:39], v159 offset:19216
	ds_read_b128 v[44:47], v159 offset:19456
	ds_read_b128 v[32:35], v159 offset:19472
	ds_read_b128 v[28:31], v159 offset:19712
	ds_read_b128 v[20:23], v159 offset:19728
	ds_read_b128 v[24:27], v159 offset:19968
	ds_read_b128 v[16:19], v159 offset:19984
	ds_read_b128 v[0:3], v159 offset:20224
	ds_read_b128 v[8:11], v159 offset:20240
	ds_read_b128 v[116:119], v158 offset:9216
	ds_read_b128 v[112:115], v158 offset:9232
	ds_read_b128 v[108:111], v158 offset:10240
	ds_read_b128 v[104:107], v158 offset:10256
	ds_read_b128 v[100:103], v158 offset:11264
	ds_read_b128 v[96:99], v158 offset:11280
	ds_read_b128 v[92:95], v158 offset:12288
	ds_read_b128 v[88:91], v158 offset:12304
	ds_read_b128 v[84:87], v158 offset:13312
	ds_read_b128 v[80:83], v158 offset:13328
	ds_read_b128 v[76:79], v158 offset:14336
	ds_read_b128 v[72:75], v158 offset:14352
	ds_read_b128 v[4:7], v158 offset:15360
	ds_read_b128 v[12:15], v158 offset:15376
	s_waitcnt lgkmcnt(14)
	v_add_f64 v[130:131], v[62:63], v[126:127]
	v_add_f64 v[136:137], v[60:61], v[124:125]
	v_cvt_f32_f64_e32 v133, v[136:137]
	v_cvt_f32_f64_e32 v130, v[130:131]
	v_min3_f32 v133, v133, v130, v228
	v_add_f64 v[130:131], v[58:59], v[126:127]
	v_add_f64 v[136:137], v[56:57], v[124:125]
	v_cvt_f32_f64_e32 v136, v[136:137]
	v_cvt_f32_f64_e32 v130, v[130:131]
	v_min3_f32 v140, v136, v130, v229
	v_add_f64 v[130:131], v[54:55], v[122:123]
	v_add_f64 v[136:137], v[52:53], v[120:121]
	v_cvt_f32_f64_e32 v136, v[136:137]
	v_cvt_f32_f64_e32 v130, v[130:131]
	v_min_f32_e32 v142, v136, v130
	v_add_f64 v[130:131], v[50:51], v[122:123]
	v_add_f64 v[136:137], v[48:49], v[120:121]
	v_cvt_f32_f64_e32 v136, v[136:137]
	v_cvt_f32_f64_e32 v130, v[130:131]
	v_min3_f32 v132, v132, v142, v133
	v_min3_f32 v143, v136, v130, v140
	v_add_u32_e32 v140, 16, v134
	v_add_u32_e32 v130, 24, v134
	v_cvt_f64_f32_e32 v[132:133], v132
	v_lshl_add_u64 v[136:137], v[128:129], 3, v[152:153]
	v_ashrrev_i32_e32 v141, 31, v140
	v_ashrrev_i32_e32 v131, 31, v130
	global_store_dwordx2 v[136:137], v[132:133], off
	s_mov_b64 s[2:3], -1
	v_max_f32_e32 v132, v143, v143
	s_mov_b64 vcc, s[8:9]
	s_cbranch_vccz .LBB170_53
; %bb.52:
	v_min_f32_e32 v133, 0, v132
	v_cvt_f64_f32_e32 v[136:137], v133
	v_lshl_add_u64 v[142:143], v[140:141], 3, v[152:153]
	global_store_dwordx2 v[142:143], v[136:137], off
	s_mov_b64 s[2:3], 0
.LBB170_53:
	v_mov_b32_e32 v136, 0
	s_andn2_b64 vcc, exec, s[2:3]
	v_lshlrev_b64 v[144:145], 3, v[140:141]
	s_cbranch_vccnz .LBB170_55
; %bb.54:
	v_lshl_add_u64 v[136:137], v[154:155], 0, v[144:145]
	global_load_dwordx2 v[136:137], v[136:137], off
	v_lshl_add_u64 v[142:143], v[152:153], 0, v[144:145]
	s_waitcnt vmcnt(0)
	v_mul_f64 v[136:137], s[10:11], v[136:137]
	v_cvt_f32_f64_e32 v133, v[136:137]
	v_min_f32_e32 v132, v133, v132
	v_cvt_f64_f32_e32 v[132:133], v132
	global_store_dwordx2 v[142:143], v[132:133], off
	v_lshl_add_u64 v[132:133], v[130:131], 3, v[154:155]
	global_load_dwordx2 v[132:133], v[132:133], off
	s_waitcnt vmcnt(0)
	v_mul_f64 v[132:133], s[10:11], v[132:133]
	v_cvt_f32_f64_e32 v136, v[132:133]
.LBB170_55:
	v_add_f64 v[132:133], v[42:43], v[126:127]
	v_add_f64 v[142:143], v[40:41], v[124:125]
	v_cvt_f32_f64_e32 v137, v[142:143]
	v_cvt_f32_f64_e32 v132, v[132:133]
	v_min3_f32 v137, v137, v132, v226
	v_add_f64 v[132:133], v[46:47], v[126:127]
	v_add_f64 v[142:143], v[44:45], v[124:125]
	v_cvt_f32_f64_e32 v142, v[142:143]
	v_cvt_f32_f64_e32 v132, v[132:133]
	v_min3_f32 v146, v142, v132, v227
	v_add_f64 v[132:133], v[38:39], v[122:123]
	v_add_f64 v[142:143], v[36:37], v[120:121]
	v_cvt_f32_f64_e32 v142, v[142:143]
	v_cvt_f32_f64_e32 v132, v[132:133]
	v_min_f32_e32 v147, v142, v132
	v_add_f64 v[132:133], v[34:35], v[122:123]
	v_add_f64 v[142:143], v[32:33], v[120:121]
	v_cvt_f32_f64_e32 v142, v[142:143]
	v_cvt_f32_f64_e32 v132, v[132:133]
	v_min3_f32 v136, v136, v147, v137
	v_min3_f32 v148, v142, v132, v146
	v_add_u32_e32 v142, 32, v134
	v_add_u32_e32 v132, 40, v134
	v_cvt_f64_f32_e32 v[136:137], v136
	v_lshl_add_u64 v[146:147], v[130:131], 3, v[152:153]
	v_ashrrev_i32_e32 v143, 31, v142
	v_ashrrev_i32_e32 v133, 31, v132
	global_store_dwordx2 v[146:147], v[136:137], off
	s_mov_b64 s[2:3], -1
	v_max_f32_e32 v136, v148, v148
	s_mov_b64 vcc, s[8:9]
	s_cbranch_vccz .LBB170_57
; %bb.56:
	v_min_f32_e32 v137, 0, v136
	v_cvt_f64_f32_e32 v[146:147], v137
	v_lshl_add_u64 v[148:149], v[142:143], 3, v[152:153]
	global_store_dwordx2 v[148:149], v[146:147], off
	s_mov_b64 s[2:3], 0
.LBB170_57:
	v_mov_b32_e32 v150, 0
	s_andn2_b64 vcc, exec, s[2:3]
	v_lshlrev_b64 v[148:149], 3, v[142:143]
	s_cbranch_vccnz .LBB170_59
; %bb.58:
	v_lshl_add_u64 v[146:147], v[154:155], 0, v[148:149]
	global_load_dwordx2 v[146:147], v[146:147], off
	v_lshl_add_u64 v[150:151], v[152:153], 0, v[148:149]
	s_waitcnt vmcnt(0)
	v_mul_f64 v[146:147], s[10:11], v[146:147]
	v_cvt_f32_f64_e32 v137, v[146:147]
	v_min_f32_e32 v136, v137, v136
	v_cvt_f64_f32_e32 v[136:137], v136
	global_store_dwordx2 v[150:151], v[136:137], off
	v_lshl_add_u64 v[136:137], v[132:133], 3, v[154:155]
	global_load_dwordx2 v[136:137], v[136:137], off
	s_waitcnt vmcnt(0)
	v_mul_f64 v[136:137], s[10:11], v[136:137]
	v_cvt_f32_f64_e32 v150, v[136:137]
.LBB170_59:
	v_add_f64 v[136:137], v[30:31], v[126:127]
	v_add_f64 v[146:147], v[28:29], v[124:125]
	v_cvt_f32_f64_e32 v146, v[146:147]
	v_cvt_f32_f64_e32 v136, v[136:137]
	v_min3_f32 v151, v146, v136, v224
	v_add_f64 v[136:137], v[26:27], v[126:127]
	v_add_f64 v[146:147], v[24:25], v[124:125]
	v_cvt_f32_f64_e32 v146, v[146:147]
	v_cvt_f32_f64_e32 v136, v[136:137]
	v_min3_f32 v157, v146, v136, v225
	v_add_f64 v[136:137], v[22:23], v[122:123]
	v_add_f64 v[146:147], v[20:21], v[120:121]
	v_cvt_f32_f64_e32 v146, v[146:147]
	v_cvt_f32_f64_e32 v136, v[136:137]
	v_min_f32_e32 v158, v146, v136
	v_add_f64 v[136:137], v[18:19], v[122:123]
	v_add_f64 v[146:147], v[16:17], v[120:121]
	v_cvt_f32_f64_e32 v146, v[146:147]
	v_cvt_f32_f64_e32 v136, v[136:137]
	v_min3_f32 v150, v150, v158, v151
	v_min3_f32 v157, v146, v136, v157
	v_add_u32_e32 v146, 48, v134
	v_add_u32_e32 v136, 56, v134
	v_cvt_f64_f32_e32 v[150:151], v150
	v_lshl_add_u64 v[158:159], v[132:133], 3, v[152:153]
	v_ashrrev_i32_e32 v147, 31, v146
	v_ashrrev_i32_e32 v137, 31, v136
	global_store_dwordx2 v[158:159], v[150:151], off
	s_mov_b64 s[2:3], -1
	v_max_f32_e32 v158, v157, v157
	s_mov_b64 vcc, s[8:9]
	s_cbranch_vccz .LBB170_61
; %bb.60:
	v_min_f32_e32 v150, 0, v158
	v_cvt_f64_f32_e32 v[150:151], v150
	v_lshl_add_u64 v[218:219], v[146:147], 3, v[152:153]
	global_store_dwordx2 v[218:219], v[150:151], off
	s_mov_b64 s[2:3], 0
.LBB170_61:
	v_mov_b32_e32 v157, 0
	s_andn2_b64 vcc, exec, s[2:3]
	v_lshlrev_b64 v[150:151], 3, v[146:147]
	s_cbranch_vccnz .LBB170_63
; %bb.62:
	v_lshl_add_u64 v[218:219], v[154:155], 0, v[150:151]
	global_load_dwordx2 v[218:219], v[218:219], off
	v_lshl_add_u64 v[220:221], v[152:153], 0, v[150:151]
	v_lshl_add_u64 v[154:155], v[136:137], 3, v[154:155]
	s_waitcnt vmcnt(0)
	v_mul_f64 v[218:219], s[10:11], v[218:219]
	v_cvt_f32_f64_e32 v157, v[218:219]
	v_min_f32_e32 v157, v157, v158
	v_cvt_f64_f32_e32 v[158:159], v157
	global_store_dwordx2 v[220:221], v[158:159], off
	global_load_dwordx2 v[154:155], v[154:155], off
	s_waitcnt vmcnt(0)
	v_mul_f64 v[154:155], s[10:11], v[154:155]
	v_cvt_f32_f64_e32 v157, v[154:155]
.LBB170_63:
	v_add_f64 v[126:127], v[2:3], v[126:127]
	v_add_f64 v[124:125], v[0:1], v[124:125]
	v_cvt_f32_f64_e32 v124, v[124:125]
	v_cvt_f32_f64_e32 v125, v[126:127]
	v_add_f64 v[122:123], v[10:11], v[122:123]
	v_add_f64 v[120:121], v[8:9], v[120:121]
	v_min3_f32 v154, v124, v125, v217
	s_waitcnt lgkmcnt(13)
	v_add_f64 v[124:125], v[70:71], v[118:119]
	v_add_f64 v[126:127], v[68:69], v[116:117]
	v_cvt_f32_f64_e32 v120, v[120:121]
	v_cvt_f32_f64_e32 v121, v[122:123]
	;; [unrolled: 1-line block ×4, first 2 shown]
	v_min_f32_e32 v125, v120, v121
	s_waitcnt lgkmcnt(12)
	v_add_f64 v[120:121], v[66:67], v[114:115]
	v_add_f64 v[122:123], v[64:65], v[112:113]
	v_min3_f32 v124, v126, v124, v216
	v_cvt_f32_f64_e32 v122, v[122:123]
	v_cvt_f32_f64_e32 v120, v[120:121]
	v_min3_f32 v124, v122, v120, v124
	v_min3_f32 v120, v157, v125, v154
	v_cvt_f64_f32_e32 v[120:121], v120
	v_lshl_add_u64 v[122:123], v[136:137], 3, v[152:153]
	global_store_dwordx2 v[122:123], v[120:121], off
	v_add_u32_e32 v122, 32, v156
	v_mad_i64_i32 v[120:121], s[2:3], v122, s5, 0
	v_mad_i64_i32 v[122:123], s[2:3], v122, s4, 0
	v_lshl_add_u64 v[120:121], v[120:121], 3, s[0:1]
	s_mov_b64 s[2:3], -1
	v_max_f32_e32 v125, v124, v124
	s_mov_b64 vcc, s[8:9]
	s_cbranch_vccz .LBB170_65
; %bb.64:
	v_min_f32_e32 v124, 0, v125
	v_cvt_f64_f32_e32 v[126:127], v124
	v_lshl_add_u64 v[152:153], v[134:135], 3, v[120:121]
	global_store_dwordx2 v[152:153], v[126:127], off
	s_mov_b64 s[2:3], 0
.LBB170_65:
	v_lshl_add_u64 v[122:123], v[122:123], 3, s[18:19]
	s_andn2_b64 vcc, exec, s[2:3]
	v_mov_b32_e32 v124, 0
	s_cbranch_vccnz .LBB170_67
; %bb.66:
	v_lshl_add_u64 v[126:127], v[122:123], 0, v[138:139]
	global_load_dwordx2 v[126:127], v[126:127], off
	v_lshl_add_u64 v[152:153], v[120:121], 0, v[138:139]
	s_waitcnt vmcnt(0)
	v_mul_f64 v[126:127], s[10:11], v[126:127]
	v_cvt_f32_f64_e32 v124, v[126:127]
	v_min_f32_e32 v124, v124, v125
	v_cvt_f64_f32_e32 v[124:125], v124
	global_store_dwordx2 v[152:153], v[124:125], off
	v_lshl_add_u64 v[124:125], v[128:129], 3, v[122:123]
	global_load_dwordx2 v[124:125], v[124:125], off
	s_waitcnt vmcnt(0)
	v_mul_f64 v[124:125], s[10:11], v[124:125]
	v_cvt_f32_f64_e32 v124, v[124:125]
.LBB170_67:
	v_add_f64 v[126:127], v[62:63], v[118:119]
	v_add_f64 v[152:153], v[60:61], v[116:117]
	v_cvt_f32_f64_e32 v125, v[152:153]
	v_cvt_f32_f64_e32 v126, v[126:127]
	v_min3_f32 v125, v125, v126, v215
	v_add_f64 v[126:127], v[58:59], v[118:119]
	v_add_f64 v[152:153], v[56:57], v[116:117]
	v_cvt_f32_f64_e32 v152, v[152:153]
	v_cvt_f32_f64_e32 v126, v[126:127]
	v_min3_f32 v154, v152, v126, v214
	v_add_f64 v[126:127], v[54:55], v[114:115]
	v_add_f64 v[152:153], v[52:53], v[112:113]
	v_cvt_f32_f64_e32 v152, v[152:153]
	v_cvt_f32_f64_e32 v126, v[126:127]
	v_min_f32_e32 v155, v152, v126
	v_add_f64 v[126:127], v[50:51], v[114:115]
	v_add_f64 v[152:153], v[48:49], v[112:113]
	v_cvt_f32_f64_e32 v152, v[152:153]
	v_cvt_f32_f64_e32 v126, v[126:127]
	v_min3_f32 v124, v124, v155, v125
	v_min3_f32 v152, v152, v126, v154
	v_cvt_f64_f32_e32 v[124:125], v124
	v_lshl_add_u64 v[126:127], v[128:129], 3, v[120:121]
	global_store_dwordx2 v[126:127], v[124:125], off
	s_mov_b64 s[2:3], -1
	v_max_f32_e32 v125, v152, v152
	s_mov_b64 vcc, s[8:9]
	s_cbranch_vccz .LBB170_69
; %bb.68:
	v_min_f32_e32 v124, 0, v125
	v_cvt_f64_f32_e32 v[126:127], v124
	v_lshl_add_u64 v[152:153], v[140:141], 3, v[120:121]
	global_store_dwordx2 v[152:153], v[126:127], off
	s_mov_b64 s[2:3], 0
.LBB170_69:
	s_andn2_b64 vcc, exec, s[2:3]
	v_mov_b32_e32 v124, 0
	s_cbranch_vccnz .LBB170_71
; %bb.70:
	v_lshl_add_u64 v[126:127], v[122:123], 0, v[144:145]
	global_load_dwordx2 v[126:127], v[126:127], off
	v_lshl_add_u64 v[152:153], v[120:121], 0, v[144:145]
	s_waitcnt vmcnt(0)
	v_mul_f64 v[126:127], s[10:11], v[126:127]
	v_cvt_f32_f64_e32 v124, v[126:127]
	v_min_f32_e32 v124, v124, v125
	v_cvt_f64_f32_e32 v[124:125], v124
	global_store_dwordx2 v[152:153], v[124:125], off
	v_lshl_add_u64 v[124:125], v[130:131], 3, v[122:123]
	global_load_dwordx2 v[124:125], v[124:125], off
	s_waitcnt vmcnt(0)
	v_mul_f64 v[124:125], s[10:11], v[124:125]
	v_cvt_f32_f64_e32 v124, v[124:125]
.LBB170_71:
	v_add_f64 v[126:127], v[42:43], v[118:119]
	v_add_f64 v[152:153], v[40:41], v[116:117]
	v_cvt_f32_f64_e32 v125, v[152:153]
	v_cvt_f32_f64_e32 v126, v[126:127]
	v_min3_f32 v125, v125, v126, v213
	v_add_f64 v[126:127], v[46:47], v[118:119]
	v_add_f64 v[152:153], v[44:45], v[116:117]
	v_cvt_f32_f64_e32 v152, v[152:153]
	v_cvt_f32_f64_e32 v126, v[126:127]
	v_min3_f32 v154, v152, v126, v212
	v_add_f64 v[126:127], v[38:39], v[114:115]
	v_add_f64 v[152:153], v[36:37], v[112:113]
	v_cvt_f32_f64_e32 v152, v[152:153]
	v_cvt_f32_f64_e32 v126, v[126:127]
	v_min_f32_e32 v155, v152, v126
	v_add_f64 v[126:127], v[34:35], v[114:115]
	v_add_f64 v[152:153], v[32:33], v[112:113]
	v_cvt_f32_f64_e32 v152, v[152:153]
	v_cvt_f32_f64_e32 v126, v[126:127]
	v_min3_f32 v124, v124, v155, v125
	v_min3_f32 v152, v152, v126, v154
	v_cvt_f64_f32_e32 v[124:125], v124
	v_lshl_add_u64 v[126:127], v[130:131], 3, v[120:121]
	global_store_dwordx2 v[126:127], v[124:125], off
	s_mov_b64 s[2:3], -1
	v_max_f32_e32 v125, v152, v152
	s_mov_b64 vcc, s[8:9]
	s_cbranch_vccz .LBB170_73
; %bb.72:
	v_min_f32_e32 v124, 0, v125
	v_cvt_f64_f32_e32 v[126:127], v124
	v_lshl_add_u64 v[152:153], v[142:143], 3, v[120:121]
	global_store_dwordx2 v[152:153], v[126:127], off
	s_mov_b64 s[2:3], 0
.LBB170_73:
	s_andn2_b64 vcc, exec, s[2:3]
	v_mov_b32_e32 v124, 0
	s_cbranch_vccnz .LBB170_75
; %bb.74:
	v_lshl_add_u64 v[126:127], v[122:123], 0, v[148:149]
	global_load_dwordx2 v[126:127], v[126:127], off
	v_lshl_add_u64 v[152:153], v[120:121], 0, v[148:149]
	s_waitcnt vmcnt(0)
	v_mul_f64 v[126:127], s[10:11], v[126:127]
	v_cvt_f32_f64_e32 v124, v[126:127]
	v_min_f32_e32 v124, v124, v125
	v_cvt_f64_f32_e32 v[124:125], v124
	global_store_dwordx2 v[152:153], v[124:125], off
	v_lshl_add_u64 v[124:125], v[132:133], 3, v[122:123]
	global_load_dwordx2 v[124:125], v[124:125], off
	s_waitcnt vmcnt(0)
	v_mul_f64 v[124:125], s[10:11], v[124:125]
	v_cvt_f32_f64_e32 v124, v[124:125]
.LBB170_75:
	v_add_f64 v[126:127], v[30:31], v[118:119]
	v_add_f64 v[152:153], v[28:29], v[116:117]
	v_cvt_f32_f64_e32 v125, v[152:153]
	v_cvt_f32_f64_e32 v126, v[126:127]
	v_min3_f32 v125, v125, v126, v211
	v_add_f64 v[126:127], v[26:27], v[118:119]
	v_add_f64 v[152:153], v[24:25], v[116:117]
	v_cvt_f32_f64_e32 v152, v[152:153]
	v_cvt_f32_f64_e32 v126, v[126:127]
	v_min3_f32 v154, v152, v126, v210
	v_add_f64 v[126:127], v[22:23], v[114:115]
	v_add_f64 v[152:153], v[20:21], v[112:113]
	v_cvt_f32_f64_e32 v152, v[152:153]
	v_cvt_f32_f64_e32 v126, v[126:127]
	v_min_f32_e32 v155, v152, v126
	v_add_f64 v[126:127], v[18:19], v[114:115]
	v_add_f64 v[152:153], v[16:17], v[112:113]
	v_cvt_f32_f64_e32 v152, v[152:153]
	v_cvt_f32_f64_e32 v126, v[126:127]
	v_min3_f32 v124, v124, v155, v125
	v_min3_f32 v152, v152, v126, v154
	v_cvt_f64_f32_e32 v[124:125], v124
	v_lshl_add_u64 v[126:127], v[132:133], 3, v[120:121]
	global_store_dwordx2 v[126:127], v[124:125], off
	s_mov_b64 s[2:3], -1
	v_max_f32_e32 v125, v152, v152
	s_mov_b64 vcc, s[8:9]
	s_cbranch_vccz .LBB170_77
; %bb.76:
	v_min_f32_e32 v124, 0, v125
	v_cvt_f64_f32_e32 v[126:127], v124
	v_lshl_add_u64 v[152:153], v[146:147], 3, v[120:121]
	global_store_dwordx2 v[152:153], v[126:127], off
	s_mov_b64 s[2:3], 0
.LBB170_77:
	s_andn2_b64 vcc, exec, s[2:3]
	v_mov_b32_e32 v124, 0
	s_cbranch_vccnz .LBB170_79
; %bb.78:
	v_lshl_add_u64 v[126:127], v[122:123], 0, v[150:151]
	global_load_dwordx2 v[126:127], v[126:127], off
	v_lshl_add_u64 v[152:153], v[120:121], 0, v[150:151]
	v_lshl_add_u64 v[122:123], v[136:137], 3, v[122:123]
	s_waitcnt vmcnt(0)
	v_mul_f64 v[126:127], s[10:11], v[126:127]
	v_cvt_f32_f64_e32 v124, v[126:127]
	v_min_f32_e32 v124, v124, v125
	v_cvt_f64_f32_e32 v[124:125], v124
	global_store_dwordx2 v[152:153], v[124:125], off
	global_load_dwordx2 v[122:123], v[122:123], off
	s_waitcnt vmcnt(0)
	v_mul_f64 v[122:123], s[10:11], v[122:123]
	v_cvt_f32_f64_e32 v124, v[122:123]
.LBB170_79:
	v_add_f64 v[118:119], v[2:3], v[118:119]
	v_add_f64 v[116:117], v[0:1], v[116:117]
	v_cvt_f32_f64_e32 v116, v[116:117]
	v_cvt_f32_f64_e32 v117, v[118:119]
	v_add_f64 v[114:115], v[10:11], v[114:115]
	v_add_f64 v[112:113], v[8:9], v[112:113]
	v_min3_f32 v122, v116, v117, v209
	s_waitcnt lgkmcnt(11)
	v_add_f64 v[116:117], v[70:71], v[110:111]
	v_add_f64 v[118:119], v[68:69], v[108:109]
	v_cvt_f32_f64_e32 v112, v[112:113]
	v_cvt_f32_f64_e32 v113, v[114:115]
	;; [unrolled: 1-line block ×4, first 2 shown]
	v_min_f32_e32 v117, v112, v113
	s_waitcnt lgkmcnt(10)
	v_add_f64 v[112:113], v[66:67], v[106:107]
	v_add_f64 v[114:115], v[64:65], v[104:105]
	v_min3_f32 v116, v118, v116, v208
	v_cvt_f32_f64_e32 v114, v[114:115]
	v_cvt_f32_f64_e32 v112, v[112:113]
	v_min3_f32 v116, v114, v112, v116
	v_min3_f32 v112, v124, v117, v122
	v_cvt_f64_f32_e32 v[112:113], v112
	v_lshl_add_u64 v[114:115], v[136:137], 3, v[120:121]
	global_store_dwordx2 v[114:115], v[112:113], off
	v_add_u32_e32 v114, 64, v156
	v_mad_i64_i32 v[112:113], s[2:3], v114, s5, 0
	v_mad_i64_i32 v[114:115], s[2:3], v114, s4, 0
	v_lshl_add_u64 v[112:113], v[112:113], 3, s[0:1]
	s_mov_b64 s[2:3], -1
	v_max_f32_e32 v117, v116, v116
	s_mov_b64 vcc, s[8:9]
	s_cbranch_vccz .LBB170_81
; %bb.80:
	v_min_f32_e32 v116, 0, v117
	v_cvt_f64_f32_e32 v[118:119], v116
	v_lshl_add_u64 v[120:121], v[134:135], 3, v[112:113]
	global_store_dwordx2 v[120:121], v[118:119], off
	s_mov_b64 s[2:3], 0
.LBB170_81:
	v_lshl_add_u64 v[114:115], v[114:115], 3, s[18:19]
	s_andn2_b64 vcc, exec, s[2:3]
	v_mov_b32_e32 v116, 0
	s_cbranch_vccnz .LBB170_83
; %bb.82:
	v_lshl_add_u64 v[118:119], v[114:115], 0, v[138:139]
	global_load_dwordx2 v[118:119], v[118:119], off
	v_lshl_add_u64 v[120:121], v[112:113], 0, v[138:139]
	s_waitcnt vmcnt(0)
	v_mul_f64 v[118:119], s[10:11], v[118:119]
	v_cvt_f32_f64_e32 v116, v[118:119]
	v_min_f32_e32 v116, v116, v117
	v_cvt_f64_f32_e32 v[116:117], v116
	global_store_dwordx2 v[120:121], v[116:117], off
	v_lshl_add_u64 v[116:117], v[128:129], 3, v[114:115]
	global_load_dwordx2 v[116:117], v[116:117], off
	s_waitcnt vmcnt(0)
	v_mul_f64 v[116:117], s[10:11], v[116:117]
	v_cvt_f32_f64_e32 v116, v[116:117]
.LBB170_83:
	v_add_f64 v[118:119], v[62:63], v[110:111]
	v_add_f64 v[120:121], v[60:61], v[108:109]
	v_cvt_f32_f64_e32 v117, v[120:121]
	v_cvt_f32_f64_e32 v118, v[118:119]
	v_min3_f32 v117, v117, v118, v207
	v_add_f64 v[118:119], v[58:59], v[110:111]
	v_add_f64 v[120:121], v[56:57], v[108:109]
	v_cvt_f32_f64_e32 v120, v[120:121]
	v_cvt_f32_f64_e32 v118, v[118:119]
	v_min3_f32 v122, v120, v118, v206
	v_add_f64 v[118:119], v[54:55], v[106:107]
	v_add_f64 v[120:121], v[52:53], v[104:105]
	v_cvt_f32_f64_e32 v120, v[120:121]
	v_cvt_f32_f64_e32 v118, v[118:119]
	v_min_f32_e32 v123, v120, v118
	v_add_f64 v[118:119], v[50:51], v[106:107]
	v_add_f64 v[120:121], v[48:49], v[104:105]
	v_cvt_f32_f64_e32 v120, v[120:121]
	v_cvt_f32_f64_e32 v118, v[118:119]
	v_min3_f32 v116, v116, v123, v117
	v_min3_f32 v120, v120, v118, v122
	v_cvt_f64_f32_e32 v[116:117], v116
	v_lshl_add_u64 v[118:119], v[128:129], 3, v[112:113]
	global_store_dwordx2 v[118:119], v[116:117], off
	s_mov_b64 s[2:3], -1
	v_max_f32_e32 v117, v120, v120
	s_mov_b64 vcc, s[8:9]
	s_cbranch_vccz .LBB170_85
; %bb.84:
	v_min_f32_e32 v116, 0, v117
	v_cvt_f64_f32_e32 v[118:119], v116
	v_lshl_add_u64 v[120:121], v[140:141], 3, v[112:113]
	global_store_dwordx2 v[120:121], v[118:119], off
	s_mov_b64 s[2:3], 0
.LBB170_85:
	s_andn2_b64 vcc, exec, s[2:3]
	v_mov_b32_e32 v116, 0
	s_cbranch_vccnz .LBB170_87
; %bb.86:
	v_lshl_add_u64 v[118:119], v[114:115], 0, v[144:145]
	global_load_dwordx2 v[118:119], v[118:119], off
	v_lshl_add_u64 v[120:121], v[112:113], 0, v[144:145]
	s_waitcnt vmcnt(0)
	v_mul_f64 v[118:119], s[10:11], v[118:119]
	v_cvt_f32_f64_e32 v116, v[118:119]
	v_min_f32_e32 v116, v116, v117
	v_cvt_f64_f32_e32 v[116:117], v116
	global_store_dwordx2 v[120:121], v[116:117], off
	v_lshl_add_u64 v[116:117], v[130:131], 3, v[114:115]
	global_load_dwordx2 v[116:117], v[116:117], off
	s_waitcnt vmcnt(0)
	v_mul_f64 v[116:117], s[10:11], v[116:117]
	v_cvt_f32_f64_e32 v116, v[116:117]
.LBB170_87:
	v_add_f64 v[118:119], v[42:43], v[110:111]
	v_add_f64 v[120:121], v[40:41], v[108:109]
	v_cvt_f32_f64_e32 v117, v[120:121]
	v_cvt_f32_f64_e32 v118, v[118:119]
	v_min3_f32 v117, v117, v118, v205
	v_add_f64 v[118:119], v[46:47], v[110:111]
	v_add_f64 v[120:121], v[44:45], v[108:109]
	v_cvt_f32_f64_e32 v120, v[120:121]
	v_cvt_f32_f64_e32 v118, v[118:119]
	v_min3_f32 v122, v120, v118, v204
	v_add_f64 v[118:119], v[38:39], v[106:107]
	v_add_f64 v[120:121], v[36:37], v[104:105]
	v_cvt_f32_f64_e32 v120, v[120:121]
	v_cvt_f32_f64_e32 v118, v[118:119]
	v_min_f32_e32 v123, v120, v118
	v_add_f64 v[118:119], v[34:35], v[106:107]
	v_add_f64 v[120:121], v[32:33], v[104:105]
	v_cvt_f32_f64_e32 v120, v[120:121]
	v_cvt_f32_f64_e32 v118, v[118:119]
	v_min3_f32 v116, v116, v123, v117
	v_min3_f32 v120, v120, v118, v122
	v_cvt_f64_f32_e32 v[116:117], v116
	v_lshl_add_u64 v[118:119], v[130:131], 3, v[112:113]
	global_store_dwordx2 v[118:119], v[116:117], off
	s_mov_b64 s[2:3], -1
	v_max_f32_e32 v117, v120, v120
	s_mov_b64 vcc, s[8:9]
	s_cbranch_vccz .LBB170_89
; %bb.88:
	v_min_f32_e32 v116, 0, v117
	v_cvt_f64_f32_e32 v[118:119], v116
	v_lshl_add_u64 v[120:121], v[142:143], 3, v[112:113]
	global_store_dwordx2 v[120:121], v[118:119], off
	s_mov_b64 s[2:3], 0
.LBB170_89:
	;; [unrolled: 54-line block ×3, first 2 shown]
	s_andn2_b64 vcc, exec, s[2:3]
	v_mov_b32_e32 v116, 0
	s_cbranch_vccnz .LBB170_95
; %bb.94:
	v_lshl_add_u64 v[118:119], v[114:115], 0, v[150:151]
	global_load_dwordx2 v[118:119], v[118:119], off
	v_lshl_add_u64 v[120:121], v[112:113], 0, v[150:151]
	v_lshl_add_u64 v[114:115], v[136:137], 3, v[114:115]
	s_waitcnt vmcnt(0)
	v_mul_f64 v[118:119], s[10:11], v[118:119]
	v_cvt_f32_f64_e32 v116, v[118:119]
	v_min_f32_e32 v116, v116, v117
	v_cvt_f64_f32_e32 v[116:117], v116
	global_store_dwordx2 v[120:121], v[116:117], off
	global_load_dwordx2 v[114:115], v[114:115], off
	s_waitcnt vmcnt(0)
	v_mul_f64 v[114:115], s[10:11], v[114:115]
	v_cvt_f32_f64_e32 v116, v[114:115]
.LBB170_95:
	v_add_f64 v[110:111], v[2:3], v[110:111]
	v_add_f64 v[108:109], v[0:1], v[108:109]
	v_cvt_f32_f64_e32 v108, v[108:109]
	v_cvt_f32_f64_e32 v109, v[110:111]
	v_add_f64 v[106:107], v[10:11], v[106:107]
	v_add_f64 v[104:105], v[8:9], v[104:105]
	v_min3_f32 v114, v108, v109, v201
	s_waitcnt lgkmcnt(9)
	v_add_f64 v[108:109], v[70:71], v[102:103]
	v_add_f64 v[110:111], v[68:69], v[100:101]
	v_cvt_f32_f64_e32 v104, v[104:105]
	v_cvt_f32_f64_e32 v105, v[106:107]
	;; [unrolled: 1-line block ×4, first 2 shown]
	v_min_f32_e32 v109, v104, v105
	s_waitcnt lgkmcnt(8)
	v_add_f64 v[104:105], v[66:67], v[98:99]
	v_add_f64 v[106:107], v[64:65], v[96:97]
	v_min3_f32 v108, v110, v108, v200
	v_cvt_f32_f64_e32 v106, v[106:107]
	v_cvt_f32_f64_e32 v104, v[104:105]
	v_min3_f32 v108, v106, v104, v108
	v_min3_f32 v104, v116, v109, v114
	v_cvt_f64_f32_e32 v[104:105], v104
	v_lshl_add_u64 v[106:107], v[136:137], 3, v[112:113]
	global_store_dwordx2 v[106:107], v[104:105], off
	v_add_u32_e32 v106, 0x60, v156
	v_mad_i64_i32 v[104:105], s[2:3], v106, s5, 0
	v_mad_i64_i32 v[106:107], s[2:3], v106, s4, 0
	v_lshl_add_u64 v[104:105], v[104:105], 3, s[0:1]
	s_mov_b64 s[2:3], -1
	v_max_f32_e32 v109, v108, v108
	s_mov_b64 vcc, s[8:9]
	s_cbranch_vccz .LBB170_97
; %bb.96:
	v_min_f32_e32 v108, 0, v109
	v_cvt_f64_f32_e32 v[110:111], v108
	v_lshl_add_u64 v[112:113], v[134:135], 3, v[104:105]
	global_store_dwordx2 v[112:113], v[110:111], off
	s_mov_b64 s[2:3], 0
.LBB170_97:
	v_lshl_add_u64 v[106:107], v[106:107], 3, s[18:19]
	s_andn2_b64 vcc, exec, s[2:3]
	v_mov_b32_e32 v108, 0
	s_cbranch_vccnz .LBB170_99
; %bb.98:
	v_lshl_add_u64 v[110:111], v[106:107], 0, v[138:139]
	global_load_dwordx2 v[110:111], v[110:111], off
	v_lshl_add_u64 v[112:113], v[104:105], 0, v[138:139]
	s_waitcnt vmcnt(0)
	v_mul_f64 v[110:111], s[10:11], v[110:111]
	v_cvt_f32_f64_e32 v108, v[110:111]
	v_min_f32_e32 v108, v108, v109
	v_cvt_f64_f32_e32 v[108:109], v108
	global_store_dwordx2 v[112:113], v[108:109], off
	v_lshl_add_u64 v[108:109], v[128:129], 3, v[106:107]
	global_load_dwordx2 v[108:109], v[108:109], off
	s_waitcnt vmcnt(0)
	v_mul_f64 v[108:109], s[10:11], v[108:109]
	v_cvt_f32_f64_e32 v108, v[108:109]
.LBB170_99:
	v_add_f64 v[110:111], v[62:63], v[102:103]
	v_add_f64 v[112:113], v[60:61], v[100:101]
	v_cvt_f32_f64_e32 v109, v[112:113]
	v_cvt_f32_f64_e32 v110, v[110:111]
	v_min3_f32 v109, v109, v110, v199
	v_add_f64 v[110:111], v[58:59], v[102:103]
	v_add_f64 v[112:113], v[56:57], v[100:101]
	v_cvt_f32_f64_e32 v112, v[112:113]
	v_cvt_f32_f64_e32 v110, v[110:111]
	v_min3_f32 v114, v112, v110, v198
	v_add_f64 v[110:111], v[54:55], v[98:99]
	v_add_f64 v[112:113], v[52:53], v[96:97]
	v_cvt_f32_f64_e32 v112, v[112:113]
	v_cvt_f32_f64_e32 v110, v[110:111]
	v_min_f32_e32 v115, v112, v110
	v_add_f64 v[110:111], v[50:51], v[98:99]
	v_add_f64 v[112:113], v[48:49], v[96:97]
	v_cvt_f32_f64_e32 v112, v[112:113]
	v_cvt_f32_f64_e32 v110, v[110:111]
	v_min3_f32 v108, v108, v115, v109
	v_min3_f32 v112, v112, v110, v114
	v_cvt_f64_f32_e32 v[108:109], v108
	v_lshl_add_u64 v[110:111], v[128:129], 3, v[104:105]
	global_store_dwordx2 v[110:111], v[108:109], off
	s_mov_b64 s[2:3], -1
	v_max_f32_e32 v109, v112, v112
	s_mov_b64 vcc, s[8:9]
	s_cbranch_vccz .LBB170_101
; %bb.100:
	v_min_f32_e32 v108, 0, v109
	v_cvt_f64_f32_e32 v[110:111], v108
	v_lshl_add_u64 v[112:113], v[140:141], 3, v[104:105]
	global_store_dwordx2 v[112:113], v[110:111], off
	s_mov_b64 s[2:3], 0
.LBB170_101:
	s_andn2_b64 vcc, exec, s[2:3]
	v_mov_b32_e32 v108, 0
	s_cbranch_vccnz .LBB170_103
; %bb.102:
	v_lshl_add_u64 v[110:111], v[106:107], 0, v[144:145]
	global_load_dwordx2 v[110:111], v[110:111], off
	v_lshl_add_u64 v[112:113], v[104:105], 0, v[144:145]
	s_waitcnt vmcnt(0)
	v_mul_f64 v[110:111], s[10:11], v[110:111]
	v_cvt_f32_f64_e32 v108, v[110:111]
	v_min_f32_e32 v108, v108, v109
	v_cvt_f64_f32_e32 v[108:109], v108
	global_store_dwordx2 v[112:113], v[108:109], off
	v_lshl_add_u64 v[108:109], v[130:131], 3, v[106:107]
	global_load_dwordx2 v[108:109], v[108:109], off
	s_waitcnt vmcnt(0)
	v_mul_f64 v[108:109], s[10:11], v[108:109]
	v_cvt_f32_f64_e32 v108, v[108:109]
.LBB170_103:
	v_add_f64 v[110:111], v[42:43], v[102:103]
	v_add_f64 v[112:113], v[40:41], v[100:101]
	v_cvt_f32_f64_e32 v109, v[112:113]
	v_cvt_f32_f64_e32 v110, v[110:111]
	v_min3_f32 v109, v109, v110, v197
	v_add_f64 v[110:111], v[46:47], v[102:103]
	v_add_f64 v[112:113], v[44:45], v[100:101]
	v_cvt_f32_f64_e32 v112, v[112:113]
	v_cvt_f32_f64_e32 v110, v[110:111]
	v_min3_f32 v114, v112, v110, v196
	v_add_f64 v[110:111], v[38:39], v[98:99]
	v_add_f64 v[112:113], v[36:37], v[96:97]
	v_cvt_f32_f64_e32 v112, v[112:113]
	v_cvt_f32_f64_e32 v110, v[110:111]
	v_min_f32_e32 v115, v112, v110
	v_add_f64 v[110:111], v[34:35], v[98:99]
	v_add_f64 v[112:113], v[32:33], v[96:97]
	v_cvt_f32_f64_e32 v112, v[112:113]
	v_cvt_f32_f64_e32 v110, v[110:111]
	v_min3_f32 v108, v108, v115, v109
	v_min3_f32 v112, v112, v110, v114
	v_cvt_f64_f32_e32 v[108:109], v108
	v_lshl_add_u64 v[110:111], v[130:131], 3, v[104:105]
	global_store_dwordx2 v[110:111], v[108:109], off
	s_mov_b64 s[2:3], -1
	v_max_f32_e32 v109, v112, v112
	s_mov_b64 vcc, s[8:9]
	s_cbranch_vccz .LBB170_105
; %bb.104:
	v_min_f32_e32 v108, 0, v109
	v_cvt_f64_f32_e32 v[110:111], v108
	v_lshl_add_u64 v[112:113], v[142:143], 3, v[104:105]
	global_store_dwordx2 v[112:113], v[110:111], off
	s_mov_b64 s[2:3], 0
.LBB170_105:
	;; [unrolled: 54-line block ×3, first 2 shown]
	s_andn2_b64 vcc, exec, s[2:3]
	v_mov_b32_e32 v108, 0
	s_cbranch_vccnz .LBB170_111
; %bb.110:
	v_lshl_add_u64 v[110:111], v[106:107], 0, v[150:151]
	global_load_dwordx2 v[110:111], v[110:111], off
	v_lshl_add_u64 v[112:113], v[104:105], 0, v[150:151]
	v_lshl_add_u64 v[106:107], v[136:137], 3, v[106:107]
	s_waitcnt vmcnt(0)
	v_mul_f64 v[110:111], s[10:11], v[110:111]
	v_cvt_f32_f64_e32 v108, v[110:111]
	v_min_f32_e32 v108, v108, v109
	v_cvt_f64_f32_e32 v[108:109], v108
	global_store_dwordx2 v[112:113], v[108:109], off
	global_load_dwordx2 v[106:107], v[106:107], off
	s_waitcnt vmcnt(0)
	v_mul_f64 v[106:107], s[10:11], v[106:107]
	v_cvt_f32_f64_e32 v108, v[106:107]
.LBB170_111:
	v_add_f64 v[102:103], v[2:3], v[102:103]
	v_add_f64 v[100:101], v[0:1], v[100:101]
	v_cvt_f32_f64_e32 v100, v[100:101]
	v_cvt_f32_f64_e32 v101, v[102:103]
	v_add_f64 v[98:99], v[10:11], v[98:99]
	v_add_f64 v[96:97], v[8:9], v[96:97]
	v_min3_f32 v106, v100, v101, v193
	s_waitcnt lgkmcnt(7)
	v_add_f64 v[100:101], v[70:71], v[94:95]
	v_add_f64 v[102:103], v[68:69], v[92:93]
	v_cvt_f32_f64_e32 v96, v[96:97]
	v_cvt_f32_f64_e32 v97, v[98:99]
	;; [unrolled: 1-line block ×4, first 2 shown]
	v_min_f32_e32 v101, v96, v97
	s_waitcnt lgkmcnt(6)
	v_add_f64 v[96:97], v[66:67], v[90:91]
	v_add_f64 v[98:99], v[64:65], v[88:89]
	v_min3_f32 v100, v102, v100, v192
	v_cvt_f32_f64_e32 v98, v[98:99]
	v_cvt_f32_f64_e32 v96, v[96:97]
	v_min3_f32 v100, v98, v96, v100
	v_min3_f32 v96, v108, v101, v106
	v_cvt_f64_f32_e32 v[96:97], v96
	v_lshl_add_u64 v[98:99], v[136:137], 3, v[104:105]
	global_store_dwordx2 v[98:99], v[96:97], off
	v_add_u32_e32 v98, 0x80, v156
	v_mad_i64_i32 v[96:97], s[2:3], v98, s5, 0
	v_mad_i64_i32 v[98:99], s[2:3], v98, s4, 0
	v_lshl_add_u64 v[96:97], v[96:97], 3, s[0:1]
	s_mov_b64 s[2:3], -1
	v_max_f32_e32 v101, v100, v100
	s_mov_b64 vcc, s[8:9]
	s_cbranch_vccz .LBB170_113
; %bb.112:
	v_min_f32_e32 v100, 0, v101
	v_cvt_f64_f32_e32 v[102:103], v100
	v_lshl_add_u64 v[104:105], v[134:135], 3, v[96:97]
	global_store_dwordx2 v[104:105], v[102:103], off
	s_mov_b64 s[2:3], 0
.LBB170_113:
	v_lshl_add_u64 v[98:99], v[98:99], 3, s[18:19]
	s_andn2_b64 vcc, exec, s[2:3]
	v_mov_b32_e32 v100, 0
	s_cbranch_vccnz .LBB170_115
; %bb.114:
	v_lshl_add_u64 v[102:103], v[98:99], 0, v[138:139]
	global_load_dwordx2 v[102:103], v[102:103], off
	v_lshl_add_u64 v[104:105], v[96:97], 0, v[138:139]
	s_waitcnt vmcnt(0)
	v_mul_f64 v[102:103], s[10:11], v[102:103]
	v_cvt_f32_f64_e32 v100, v[102:103]
	v_min_f32_e32 v100, v100, v101
	v_cvt_f64_f32_e32 v[100:101], v100
	global_store_dwordx2 v[104:105], v[100:101], off
	v_lshl_add_u64 v[100:101], v[128:129], 3, v[98:99]
	global_load_dwordx2 v[100:101], v[100:101], off
	s_waitcnt vmcnt(0)
	v_mul_f64 v[100:101], s[10:11], v[100:101]
	v_cvt_f32_f64_e32 v100, v[100:101]
.LBB170_115:
	v_add_f64 v[102:103], v[62:63], v[94:95]
	v_add_f64 v[104:105], v[60:61], v[92:93]
	v_cvt_f32_f64_e32 v101, v[104:105]
	v_cvt_f32_f64_e32 v102, v[102:103]
	v_min3_f32 v101, v101, v102, v191
	v_add_f64 v[102:103], v[58:59], v[94:95]
	v_add_f64 v[104:105], v[56:57], v[92:93]
	v_cvt_f32_f64_e32 v104, v[104:105]
	v_cvt_f32_f64_e32 v102, v[102:103]
	v_min3_f32 v106, v104, v102, v190
	v_add_f64 v[102:103], v[54:55], v[90:91]
	v_add_f64 v[104:105], v[52:53], v[88:89]
	v_cvt_f32_f64_e32 v104, v[104:105]
	v_cvt_f32_f64_e32 v102, v[102:103]
	v_min_f32_e32 v107, v104, v102
	v_add_f64 v[102:103], v[50:51], v[90:91]
	v_add_f64 v[104:105], v[48:49], v[88:89]
	v_cvt_f32_f64_e32 v104, v[104:105]
	v_cvt_f32_f64_e32 v102, v[102:103]
	v_min3_f32 v100, v100, v107, v101
	v_min3_f32 v104, v104, v102, v106
	v_cvt_f64_f32_e32 v[100:101], v100
	v_lshl_add_u64 v[102:103], v[128:129], 3, v[96:97]
	global_store_dwordx2 v[102:103], v[100:101], off
	s_mov_b64 s[2:3], -1
	v_max_f32_e32 v101, v104, v104
	s_mov_b64 vcc, s[8:9]
	s_cbranch_vccz .LBB170_117
; %bb.116:
	v_min_f32_e32 v100, 0, v101
	v_cvt_f64_f32_e32 v[102:103], v100
	v_lshl_add_u64 v[104:105], v[140:141], 3, v[96:97]
	global_store_dwordx2 v[104:105], v[102:103], off
	s_mov_b64 s[2:3], 0
.LBB170_117:
	s_andn2_b64 vcc, exec, s[2:3]
	v_mov_b32_e32 v100, 0
	s_cbranch_vccnz .LBB170_119
; %bb.118:
	v_lshl_add_u64 v[102:103], v[98:99], 0, v[144:145]
	global_load_dwordx2 v[102:103], v[102:103], off
	v_lshl_add_u64 v[104:105], v[96:97], 0, v[144:145]
	s_waitcnt vmcnt(0)
	v_mul_f64 v[102:103], s[10:11], v[102:103]
	v_cvt_f32_f64_e32 v100, v[102:103]
	v_min_f32_e32 v100, v100, v101
	v_cvt_f64_f32_e32 v[100:101], v100
	global_store_dwordx2 v[104:105], v[100:101], off
	v_lshl_add_u64 v[100:101], v[130:131], 3, v[98:99]
	global_load_dwordx2 v[100:101], v[100:101], off
	s_waitcnt vmcnt(0)
	v_mul_f64 v[100:101], s[10:11], v[100:101]
	v_cvt_f32_f64_e32 v100, v[100:101]
.LBB170_119:
	v_add_f64 v[102:103], v[42:43], v[94:95]
	v_add_f64 v[104:105], v[40:41], v[92:93]
	v_cvt_f32_f64_e32 v101, v[104:105]
	v_cvt_f32_f64_e32 v102, v[102:103]
	v_min3_f32 v101, v101, v102, v189
	v_add_f64 v[102:103], v[46:47], v[94:95]
	v_add_f64 v[104:105], v[44:45], v[92:93]
	v_cvt_f32_f64_e32 v104, v[104:105]
	v_cvt_f32_f64_e32 v102, v[102:103]
	v_min3_f32 v106, v104, v102, v188
	v_add_f64 v[102:103], v[38:39], v[90:91]
	v_add_f64 v[104:105], v[36:37], v[88:89]
	v_cvt_f32_f64_e32 v104, v[104:105]
	v_cvt_f32_f64_e32 v102, v[102:103]
	v_min_f32_e32 v107, v104, v102
	v_add_f64 v[102:103], v[34:35], v[90:91]
	v_add_f64 v[104:105], v[32:33], v[88:89]
	v_cvt_f32_f64_e32 v104, v[104:105]
	v_cvt_f32_f64_e32 v102, v[102:103]
	v_min3_f32 v100, v100, v107, v101
	v_min3_f32 v104, v104, v102, v106
	v_cvt_f64_f32_e32 v[100:101], v100
	v_lshl_add_u64 v[102:103], v[130:131], 3, v[96:97]
	global_store_dwordx2 v[102:103], v[100:101], off
	s_mov_b64 s[2:3], -1
	v_max_f32_e32 v101, v104, v104
	s_mov_b64 vcc, s[8:9]
	s_cbranch_vccz .LBB170_121
; %bb.120:
	v_min_f32_e32 v100, 0, v101
	v_cvt_f64_f32_e32 v[102:103], v100
	v_lshl_add_u64 v[104:105], v[142:143], 3, v[96:97]
	global_store_dwordx2 v[104:105], v[102:103], off
	s_mov_b64 s[2:3], 0
.LBB170_121:
	;; [unrolled: 54-line block ×3, first 2 shown]
	s_andn2_b64 vcc, exec, s[2:3]
	v_mov_b32_e32 v100, 0
	s_cbranch_vccnz .LBB170_127
; %bb.126:
	v_lshl_add_u64 v[102:103], v[98:99], 0, v[150:151]
	global_load_dwordx2 v[102:103], v[102:103], off
	v_lshl_add_u64 v[104:105], v[96:97], 0, v[150:151]
	v_lshl_add_u64 v[98:99], v[136:137], 3, v[98:99]
	s_waitcnt vmcnt(0)
	v_mul_f64 v[102:103], s[10:11], v[102:103]
	v_cvt_f32_f64_e32 v100, v[102:103]
	v_min_f32_e32 v100, v100, v101
	v_cvt_f64_f32_e32 v[100:101], v100
	global_store_dwordx2 v[104:105], v[100:101], off
	global_load_dwordx2 v[98:99], v[98:99], off
	s_waitcnt vmcnt(0)
	v_mul_f64 v[98:99], s[10:11], v[98:99]
	v_cvt_f32_f64_e32 v100, v[98:99]
.LBB170_127:
	v_add_f64 v[94:95], v[2:3], v[94:95]
	v_add_f64 v[92:93], v[0:1], v[92:93]
	v_cvt_f32_f64_e32 v92, v[92:93]
	v_cvt_f32_f64_e32 v93, v[94:95]
	v_add_f64 v[90:91], v[10:11], v[90:91]
	v_add_f64 v[88:89], v[8:9], v[88:89]
	v_min3_f32 v98, v92, v93, v185
	s_waitcnt lgkmcnt(5)
	v_add_f64 v[92:93], v[70:71], v[86:87]
	v_add_f64 v[94:95], v[68:69], v[84:85]
	v_cvt_f32_f64_e32 v88, v[88:89]
	v_cvt_f32_f64_e32 v89, v[90:91]
	;; [unrolled: 1-line block ×4, first 2 shown]
	v_min_f32_e32 v93, v88, v89
	s_waitcnt lgkmcnt(4)
	v_add_f64 v[88:89], v[66:67], v[82:83]
	v_add_f64 v[90:91], v[64:65], v[80:81]
	v_min3_f32 v92, v94, v92, v184
	v_cvt_f32_f64_e32 v90, v[90:91]
	v_cvt_f32_f64_e32 v88, v[88:89]
	v_min3_f32 v92, v90, v88, v92
	v_min3_f32 v88, v100, v93, v98
	v_cvt_f64_f32_e32 v[88:89], v88
	v_lshl_add_u64 v[90:91], v[136:137], 3, v[96:97]
	global_store_dwordx2 v[90:91], v[88:89], off
	v_add_u32_e32 v90, 0xa0, v156
	v_mad_i64_i32 v[88:89], s[2:3], v90, s5, 0
	v_mad_i64_i32 v[90:91], s[2:3], v90, s4, 0
	v_lshl_add_u64 v[88:89], v[88:89], 3, s[0:1]
	s_mov_b64 s[2:3], -1
	v_max_f32_e32 v93, v92, v92
	s_mov_b64 vcc, s[8:9]
	s_cbranch_vccz .LBB170_129
; %bb.128:
	v_min_f32_e32 v92, 0, v93
	v_cvt_f64_f32_e32 v[94:95], v92
	v_lshl_add_u64 v[96:97], v[134:135], 3, v[88:89]
	global_store_dwordx2 v[96:97], v[94:95], off
	s_mov_b64 s[2:3], 0
.LBB170_129:
	v_lshl_add_u64 v[90:91], v[90:91], 3, s[18:19]
	s_andn2_b64 vcc, exec, s[2:3]
	v_mov_b32_e32 v92, 0
	s_cbranch_vccnz .LBB170_131
; %bb.130:
	v_lshl_add_u64 v[94:95], v[90:91], 0, v[138:139]
	global_load_dwordx2 v[94:95], v[94:95], off
	v_lshl_add_u64 v[96:97], v[88:89], 0, v[138:139]
	s_waitcnt vmcnt(0)
	v_mul_f64 v[94:95], s[10:11], v[94:95]
	v_cvt_f32_f64_e32 v92, v[94:95]
	v_min_f32_e32 v92, v92, v93
	v_cvt_f64_f32_e32 v[92:93], v92
	global_store_dwordx2 v[96:97], v[92:93], off
	v_lshl_add_u64 v[92:93], v[128:129], 3, v[90:91]
	global_load_dwordx2 v[92:93], v[92:93], off
	s_waitcnt vmcnt(0)
	v_mul_f64 v[92:93], s[10:11], v[92:93]
	v_cvt_f32_f64_e32 v92, v[92:93]
.LBB170_131:
	v_add_f64 v[94:95], v[62:63], v[86:87]
	v_add_f64 v[96:97], v[60:61], v[84:85]
	v_cvt_f32_f64_e32 v93, v[96:97]
	v_cvt_f32_f64_e32 v94, v[94:95]
	v_min3_f32 v93, v93, v94, v183
	v_add_f64 v[94:95], v[58:59], v[86:87]
	v_add_f64 v[96:97], v[56:57], v[84:85]
	v_cvt_f32_f64_e32 v96, v[96:97]
	v_cvt_f32_f64_e32 v94, v[94:95]
	v_min3_f32 v98, v96, v94, v182
	v_add_f64 v[94:95], v[54:55], v[82:83]
	v_add_f64 v[96:97], v[52:53], v[80:81]
	v_cvt_f32_f64_e32 v96, v[96:97]
	v_cvt_f32_f64_e32 v94, v[94:95]
	v_min_f32_e32 v99, v96, v94
	v_add_f64 v[94:95], v[50:51], v[82:83]
	v_add_f64 v[96:97], v[48:49], v[80:81]
	v_cvt_f32_f64_e32 v96, v[96:97]
	v_cvt_f32_f64_e32 v94, v[94:95]
	v_min3_f32 v92, v92, v99, v93
	v_min3_f32 v96, v96, v94, v98
	v_cvt_f64_f32_e32 v[92:93], v92
	v_lshl_add_u64 v[94:95], v[128:129], 3, v[88:89]
	global_store_dwordx2 v[94:95], v[92:93], off
	s_mov_b64 s[2:3], -1
	v_max_f32_e32 v93, v96, v96
	s_mov_b64 vcc, s[8:9]
	s_cbranch_vccz .LBB170_133
; %bb.132:
	v_min_f32_e32 v92, 0, v93
	v_cvt_f64_f32_e32 v[94:95], v92
	v_lshl_add_u64 v[96:97], v[140:141], 3, v[88:89]
	global_store_dwordx2 v[96:97], v[94:95], off
	s_mov_b64 s[2:3], 0
.LBB170_133:
	s_andn2_b64 vcc, exec, s[2:3]
	v_mov_b32_e32 v92, 0
	s_cbranch_vccnz .LBB170_135
; %bb.134:
	v_lshl_add_u64 v[94:95], v[90:91], 0, v[144:145]
	global_load_dwordx2 v[94:95], v[94:95], off
	v_lshl_add_u64 v[96:97], v[88:89], 0, v[144:145]
	s_waitcnt vmcnt(0)
	v_mul_f64 v[94:95], s[10:11], v[94:95]
	v_cvt_f32_f64_e32 v92, v[94:95]
	v_min_f32_e32 v92, v92, v93
	v_cvt_f64_f32_e32 v[92:93], v92
	global_store_dwordx2 v[96:97], v[92:93], off
	v_lshl_add_u64 v[92:93], v[130:131], 3, v[90:91]
	global_load_dwordx2 v[92:93], v[92:93], off
	s_waitcnt vmcnt(0)
	v_mul_f64 v[92:93], s[10:11], v[92:93]
	v_cvt_f32_f64_e32 v92, v[92:93]
.LBB170_135:
	v_add_f64 v[94:95], v[42:43], v[86:87]
	v_add_f64 v[96:97], v[40:41], v[84:85]
	v_cvt_f32_f64_e32 v93, v[96:97]
	v_cvt_f32_f64_e32 v94, v[94:95]
	v_min3_f32 v93, v93, v94, v181
	v_add_f64 v[94:95], v[46:47], v[86:87]
	v_add_f64 v[96:97], v[44:45], v[84:85]
	v_cvt_f32_f64_e32 v96, v[96:97]
	v_cvt_f32_f64_e32 v94, v[94:95]
	v_min3_f32 v98, v96, v94, v180
	v_add_f64 v[94:95], v[38:39], v[82:83]
	v_add_f64 v[96:97], v[36:37], v[80:81]
	v_cvt_f32_f64_e32 v96, v[96:97]
	v_cvt_f32_f64_e32 v94, v[94:95]
	v_min_f32_e32 v99, v96, v94
	v_add_f64 v[94:95], v[34:35], v[82:83]
	v_add_f64 v[96:97], v[32:33], v[80:81]
	v_cvt_f32_f64_e32 v96, v[96:97]
	v_cvt_f32_f64_e32 v94, v[94:95]
	v_min3_f32 v92, v92, v99, v93
	v_min3_f32 v96, v96, v94, v98
	v_cvt_f64_f32_e32 v[92:93], v92
	v_lshl_add_u64 v[94:95], v[130:131], 3, v[88:89]
	global_store_dwordx2 v[94:95], v[92:93], off
	s_mov_b64 s[2:3], -1
	v_max_f32_e32 v93, v96, v96
	s_mov_b64 vcc, s[8:9]
	s_cbranch_vccz .LBB170_137
; %bb.136:
	v_min_f32_e32 v92, 0, v93
	v_cvt_f64_f32_e32 v[94:95], v92
	v_lshl_add_u64 v[96:97], v[142:143], 3, v[88:89]
	global_store_dwordx2 v[96:97], v[94:95], off
	s_mov_b64 s[2:3], 0
.LBB170_137:
	;; [unrolled: 54-line block ×3, first 2 shown]
	s_andn2_b64 vcc, exec, s[2:3]
	v_mov_b32_e32 v92, 0
	s_cbranch_vccnz .LBB170_143
; %bb.142:
	v_lshl_add_u64 v[94:95], v[90:91], 0, v[150:151]
	global_load_dwordx2 v[94:95], v[94:95], off
	v_lshl_add_u64 v[96:97], v[88:89], 0, v[150:151]
	v_lshl_add_u64 v[90:91], v[136:137], 3, v[90:91]
	s_waitcnt vmcnt(0)
	v_mul_f64 v[94:95], s[10:11], v[94:95]
	v_cvt_f32_f64_e32 v92, v[94:95]
	v_min_f32_e32 v92, v92, v93
	v_cvt_f64_f32_e32 v[92:93], v92
	global_store_dwordx2 v[96:97], v[92:93], off
	global_load_dwordx2 v[90:91], v[90:91], off
	s_waitcnt vmcnt(0)
	v_mul_f64 v[90:91], s[10:11], v[90:91]
	v_cvt_f32_f64_e32 v92, v[90:91]
.LBB170_143:
	v_add_f64 v[86:87], v[2:3], v[86:87]
	v_add_f64 v[84:85], v[0:1], v[84:85]
	v_cvt_f32_f64_e32 v84, v[84:85]
	v_cvt_f32_f64_e32 v85, v[86:87]
	v_add_f64 v[82:83], v[10:11], v[82:83]
	v_add_f64 v[80:81], v[8:9], v[80:81]
	v_min3_f32 v90, v84, v85, v177
	s_waitcnt lgkmcnt(3)
	v_add_f64 v[84:85], v[70:71], v[78:79]
	v_add_f64 v[86:87], v[68:69], v[76:77]
	v_cvt_f32_f64_e32 v80, v[80:81]
	v_cvt_f32_f64_e32 v81, v[82:83]
	;; [unrolled: 1-line block ×4, first 2 shown]
	v_min_f32_e32 v85, v80, v81
	s_waitcnt lgkmcnt(2)
	v_add_f64 v[80:81], v[66:67], v[74:75]
	v_add_f64 v[82:83], v[64:65], v[72:73]
	v_min3_f32 v84, v86, v84, v176
	v_cvt_f32_f64_e32 v82, v[82:83]
	v_cvt_f32_f64_e32 v80, v[80:81]
	v_min3_f32 v84, v82, v80, v84
	v_min3_f32 v80, v92, v85, v90
	v_cvt_f64_f32_e32 v[80:81], v80
	v_lshl_add_u64 v[82:83], v[136:137], 3, v[88:89]
	global_store_dwordx2 v[82:83], v[80:81], off
	v_add_u32_e32 v82, 0xc0, v156
	v_mad_i64_i32 v[80:81], s[2:3], v82, s5, 0
	v_mad_i64_i32 v[82:83], s[2:3], v82, s4, 0
	v_lshl_add_u64 v[80:81], v[80:81], 3, s[0:1]
	s_mov_b64 s[2:3], -1
	v_max_f32_e32 v85, v84, v84
	s_mov_b64 vcc, s[8:9]
	s_cbranch_vccz .LBB170_145
; %bb.144:
	v_min_f32_e32 v84, 0, v85
	v_cvt_f64_f32_e32 v[86:87], v84
	v_lshl_add_u64 v[88:89], v[134:135], 3, v[80:81]
	global_store_dwordx2 v[88:89], v[86:87], off
	s_mov_b64 s[2:3], 0
.LBB170_145:
	v_lshl_add_u64 v[82:83], v[82:83], 3, s[18:19]
	s_andn2_b64 vcc, exec, s[2:3]
	v_mov_b32_e32 v84, 0
	s_cbranch_vccnz .LBB170_147
; %bb.146:
	v_lshl_add_u64 v[86:87], v[82:83], 0, v[138:139]
	global_load_dwordx2 v[86:87], v[86:87], off
	v_lshl_add_u64 v[88:89], v[80:81], 0, v[138:139]
	s_waitcnt vmcnt(0)
	v_mul_f64 v[86:87], s[10:11], v[86:87]
	v_cvt_f32_f64_e32 v84, v[86:87]
	v_min_f32_e32 v84, v84, v85
	v_cvt_f64_f32_e32 v[84:85], v84
	global_store_dwordx2 v[88:89], v[84:85], off
	v_lshl_add_u64 v[84:85], v[128:129], 3, v[82:83]
	global_load_dwordx2 v[84:85], v[84:85], off
	s_waitcnt vmcnt(0)
	v_mul_f64 v[84:85], s[10:11], v[84:85]
	v_cvt_f32_f64_e32 v84, v[84:85]
.LBB170_147:
	v_add_f64 v[86:87], v[62:63], v[78:79]
	v_add_f64 v[88:89], v[60:61], v[76:77]
	v_cvt_f32_f64_e32 v85, v[88:89]
	v_cvt_f32_f64_e32 v86, v[86:87]
	v_min3_f32 v85, v85, v86, v175
	v_add_f64 v[86:87], v[58:59], v[78:79]
	v_add_f64 v[88:89], v[56:57], v[76:77]
	v_cvt_f32_f64_e32 v88, v[88:89]
	v_cvt_f32_f64_e32 v86, v[86:87]
	v_min3_f32 v90, v88, v86, v174
	v_add_f64 v[86:87], v[54:55], v[74:75]
	v_add_f64 v[88:89], v[52:53], v[72:73]
	v_cvt_f32_f64_e32 v88, v[88:89]
	v_cvt_f32_f64_e32 v86, v[86:87]
	v_min_f32_e32 v91, v88, v86
	v_add_f64 v[86:87], v[50:51], v[74:75]
	v_add_f64 v[88:89], v[48:49], v[72:73]
	v_cvt_f32_f64_e32 v88, v[88:89]
	v_cvt_f32_f64_e32 v86, v[86:87]
	v_min3_f32 v84, v84, v91, v85
	v_min3_f32 v88, v88, v86, v90
	v_cvt_f64_f32_e32 v[84:85], v84
	v_lshl_add_u64 v[86:87], v[128:129], 3, v[80:81]
	global_store_dwordx2 v[86:87], v[84:85], off
	s_mov_b64 s[2:3], -1
	v_max_f32_e32 v85, v88, v88
	s_mov_b64 vcc, s[8:9]
	s_cbranch_vccz .LBB170_149
; %bb.148:
	v_min_f32_e32 v84, 0, v85
	v_cvt_f64_f32_e32 v[86:87], v84
	v_lshl_add_u64 v[88:89], v[140:141], 3, v[80:81]
	global_store_dwordx2 v[88:89], v[86:87], off
	s_mov_b64 s[2:3], 0
.LBB170_149:
	s_andn2_b64 vcc, exec, s[2:3]
	v_mov_b32_e32 v84, 0
	s_cbranch_vccnz .LBB170_151
; %bb.150:
	v_lshl_add_u64 v[86:87], v[82:83], 0, v[144:145]
	global_load_dwordx2 v[86:87], v[86:87], off
	v_lshl_add_u64 v[88:89], v[80:81], 0, v[144:145]
	s_waitcnt vmcnt(0)
	v_mul_f64 v[86:87], s[10:11], v[86:87]
	v_cvt_f32_f64_e32 v84, v[86:87]
	v_min_f32_e32 v84, v84, v85
	v_cvt_f64_f32_e32 v[84:85], v84
	global_store_dwordx2 v[88:89], v[84:85], off
	v_lshl_add_u64 v[84:85], v[130:131], 3, v[82:83]
	global_load_dwordx2 v[84:85], v[84:85], off
	s_waitcnt vmcnt(0)
	v_mul_f64 v[84:85], s[10:11], v[84:85]
	v_cvt_f32_f64_e32 v84, v[84:85]
.LBB170_151:
	v_add_f64 v[86:87], v[42:43], v[78:79]
	v_add_f64 v[88:89], v[40:41], v[76:77]
	v_cvt_f32_f64_e32 v85, v[88:89]
	v_cvt_f32_f64_e32 v86, v[86:87]
	v_min3_f32 v85, v85, v86, v173
	v_add_f64 v[86:87], v[46:47], v[78:79]
	v_add_f64 v[88:89], v[44:45], v[76:77]
	v_cvt_f32_f64_e32 v88, v[88:89]
	v_cvt_f32_f64_e32 v86, v[86:87]
	v_min3_f32 v90, v88, v86, v172
	v_add_f64 v[86:87], v[38:39], v[74:75]
	v_add_f64 v[88:89], v[36:37], v[72:73]
	v_cvt_f32_f64_e32 v88, v[88:89]
	v_cvt_f32_f64_e32 v86, v[86:87]
	v_min_f32_e32 v91, v88, v86
	v_add_f64 v[86:87], v[34:35], v[74:75]
	v_add_f64 v[88:89], v[32:33], v[72:73]
	v_cvt_f32_f64_e32 v88, v[88:89]
	v_cvt_f32_f64_e32 v86, v[86:87]
	v_min3_f32 v84, v84, v91, v85
	v_min3_f32 v88, v88, v86, v90
	v_cvt_f64_f32_e32 v[84:85], v84
	v_lshl_add_u64 v[86:87], v[130:131], 3, v[80:81]
	global_store_dwordx2 v[86:87], v[84:85], off
	s_mov_b64 s[2:3], -1
	v_max_f32_e32 v85, v88, v88
	s_mov_b64 vcc, s[8:9]
	s_cbranch_vccz .LBB170_153
; %bb.152:
	v_min_f32_e32 v84, 0, v85
	v_cvt_f64_f32_e32 v[86:87], v84
	v_lshl_add_u64 v[88:89], v[142:143], 3, v[80:81]
	global_store_dwordx2 v[88:89], v[86:87], off
	s_mov_b64 s[2:3], 0
.LBB170_153:
	;; [unrolled: 54-line block ×3, first 2 shown]
	s_andn2_b64 vcc, exec, s[2:3]
	v_mov_b32_e32 v84, 0
	s_cbranch_vccnz .LBB170_159
; %bb.158:
	v_lshl_add_u64 v[86:87], v[82:83], 0, v[150:151]
	global_load_dwordx2 v[86:87], v[86:87], off
	v_lshl_add_u64 v[88:89], v[80:81], 0, v[150:151]
	v_lshl_add_u64 v[82:83], v[136:137], 3, v[82:83]
	s_waitcnt vmcnt(0)
	v_mul_f64 v[86:87], s[10:11], v[86:87]
	v_cvt_f32_f64_e32 v84, v[86:87]
	v_min_f32_e32 v84, v84, v85
	v_cvt_f64_f32_e32 v[84:85], v84
	global_store_dwordx2 v[88:89], v[84:85], off
	global_load_dwordx2 v[82:83], v[82:83], off
	s_waitcnt vmcnt(0)
	v_mul_f64 v[82:83], s[10:11], v[82:83]
	v_cvt_f32_f64_e32 v84, v[82:83]
.LBB170_159:
	v_add_f64 v[78:79], v[2:3], v[78:79]
	v_add_f64 v[76:77], v[0:1], v[76:77]
	s_waitcnt lgkmcnt(1)
	v_add_f64 v[70:71], v[70:71], v[6:7]
	v_add_f64 v[68:69], v[68:69], v[4:5]
	v_cvt_f32_f64_e32 v76, v[76:77]
	v_cvt_f32_f64_e32 v77, v[78:79]
	;; [unrolled: 1-line block ×4, first 2 shown]
	v_min3_f32 v76, v76, v77, v169
	v_min3_f32 v77, v68, v69, v168
	v_add_f64 v[68:69], v[10:11], v[74:75]
	v_add_f64 v[70:71], v[8:9], v[72:73]
	v_cvt_f32_f64_e32 v70, v[70:71]
	v_cvt_f32_f64_e32 v68, v[68:69]
	s_waitcnt lgkmcnt(0)
	v_add_f64 v[66:67], v[66:67], v[14:15]
	v_add_f64 v[64:65], v[64:65], v[12:13]
	v_min_f32_e32 v68, v70, v68
	v_cvt_f32_f64_e32 v64, v[64:65]
	v_cvt_f32_f64_e32 v65, v[66:67]
	v_min3_f32 v69, v64, v65, v77
	v_min3_f32 v64, v84, v68, v76
	v_cvt_f64_f32_e32 v[64:65], v64
	v_lshl_add_u64 v[66:67], v[136:137], 3, v[80:81]
	global_store_dwordx2 v[66:67], v[64:65], off
	v_add_u32_e32 v66, 0xe0, v156
	v_mad_i64_i32 v[64:65], s[2:3], v66, s5, 0
	v_lshl_add_u64 v[64:65], v[64:65], 3, s[0:1]
	v_mad_i64_i32 v[66:67], s[0:1], v66, s4, 0
	s_mov_b64 s[0:1], -1
	v_max_f32_e32 v69, v69, v69
	s_mov_b64 vcc, s[8:9]
	s_cbranch_vccz .LBB170_161
; %bb.160:
	v_min_f32_e32 v68, 0, v69
	v_cvt_f64_f32_e32 v[70:71], v68
	v_lshl_add_u64 v[72:73], v[134:135], 3, v[64:65]
	global_store_dwordx2 v[72:73], v[70:71], off
	s_mov_b64 s[0:1], 0
.LBB170_161:
	v_lshl_add_u64 v[66:67], v[66:67], 3, s[18:19]
	s_andn2_b64 vcc, exec, s[0:1]
	v_mov_b32_e32 v68, 0
	s_cbranch_vccnz .LBB170_163
; %bb.162:
	v_lshl_add_u64 v[70:71], v[66:67], 0, v[138:139]
	global_load_dwordx2 v[70:71], v[70:71], off
	v_lshl_add_u64 v[72:73], v[64:65], 0, v[138:139]
	s_waitcnt vmcnt(0)
	v_mul_f64 v[70:71], s[10:11], v[70:71]
	v_cvt_f32_f64_e32 v68, v[70:71]
	v_min_f32_e32 v68, v68, v69
	v_cvt_f64_f32_e32 v[68:69], v68
	global_store_dwordx2 v[72:73], v[68:69], off
	v_lshl_add_u64 v[68:69], v[128:129], 3, v[66:67]
	global_load_dwordx2 v[68:69], v[68:69], off
	s_waitcnt vmcnt(0)
	v_mul_f64 v[68:69], s[10:11], v[68:69]
	v_cvt_f32_f64_e32 v68, v[68:69]
.LBB170_163:
	v_add_f64 v[62:63], v[62:63], v[6:7]
	v_add_f64 v[60:61], v[60:61], v[4:5]
	;; [unrolled: 1-line block ×6, first 2 shown]
	v_cvt_f32_f64_e32 v60, v[60:61]
	v_cvt_f32_f64_e32 v61, v[62:63]
	;; [unrolled: 1-line block ×6, first 2 shown]
	v_add_f64 v[50:51], v[50:51], v[14:15]
	v_add_f64 v[48:49], v[48:49], v[12:13]
	v_min3_f32 v60, v60, v61, v167
	v_min3_f32 v56, v56, v57, v166
	v_min_f32_e32 v52, v52, v53
	v_cvt_f32_f64_e32 v48, v[48:49]
	v_cvt_f32_f64_e32 v49, v[50:51]
	v_min3_f32 v53, v48, v49, v56
	v_min3_f32 v48, v68, v52, v60
	v_cvt_f64_f32_e32 v[48:49], v48
	v_lshl_add_u64 v[50:51], v[128:129], 3, v[64:65]
	global_store_dwordx2 v[50:51], v[48:49], off
	s_mov_b64 s[0:1], -1
	v_max_f32_e32 v49, v53, v53
	s_mov_b64 vcc, s[8:9]
	s_cbranch_vccz .LBB170_165
; %bb.164:
	v_min_f32_e32 v48, 0, v49
	v_cvt_f64_f32_e32 v[50:51], v48
	v_lshl_add_u64 v[52:53], v[140:141], 3, v[64:65]
	global_store_dwordx2 v[52:53], v[50:51], off
	s_mov_b64 s[0:1], 0
.LBB170_165:
	s_andn2_b64 vcc, exec, s[0:1]
	v_mov_b32_e32 v48, 0
	s_cbranch_vccnz .LBB170_167
; %bb.166:
	v_lshl_add_u64 v[50:51], v[66:67], 0, v[144:145]
	global_load_dwordx2 v[50:51], v[50:51], off
	v_lshl_add_u64 v[52:53], v[64:65], 0, v[144:145]
	s_waitcnt vmcnt(0)
	v_mul_f64 v[50:51], s[10:11], v[50:51]
	v_cvt_f32_f64_e32 v48, v[50:51]
	v_min_f32_e32 v48, v48, v49
	v_cvt_f64_f32_e32 v[48:49], v48
	global_store_dwordx2 v[52:53], v[48:49], off
	v_lshl_add_u64 v[48:49], v[130:131], 3, v[66:67]
	global_load_dwordx2 v[48:49], v[48:49], off
	s_waitcnt vmcnt(0)
	v_mul_f64 v[48:49], s[10:11], v[48:49]
	v_cvt_f32_f64_e32 v48, v[48:49]
.LBB170_167:
	v_add_f64 v[42:43], v[42:43], v[6:7]
	v_add_f64 v[40:41], v[40:41], v[4:5]
	v_cvt_f32_f64_e32 v40, v[40:41]
	v_cvt_f32_f64_e32 v41, v[42:43]
	v_min3_f32 v49, v40, v41, v165
	v_add_f64 v[40:41], v[46:47], v[6:7]
	v_add_f64 v[42:43], v[44:45], v[4:5]
	;; [unrolled: 1-line block ×4, first 2 shown]
	v_cvt_f32_f64_e32 v42, v[42:43]
	v_cvt_f32_f64_e32 v40, v[40:41]
	;; [unrolled: 1-line block ×4, first 2 shown]
	v_add_f64 v[34:35], v[34:35], v[14:15]
	v_add_f64 v[32:33], v[32:33], v[12:13]
	v_min3_f32 v40, v42, v40, v164
	v_min_f32_e32 v36, v36, v37
	v_cvt_f32_f64_e32 v32, v[32:33]
	v_cvt_f32_f64_e32 v33, v[34:35]
	v_min3_f32 v37, v32, v33, v40
	v_min3_f32 v32, v48, v36, v49
	v_cvt_f64_f32_e32 v[32:33], v32
	v_lshl_add_u64 v[34:35], v[130:131], 3, v[64:65]
	global_store_dwordx2 v[34:35], v[32:33], off
	s_mov_b64 s[0:1], -1
	v_max_f32_e32 v33, v37, v37
	s_mov_b64 vcc, s[8:9]
	s_cbranch_vccz .LBB170_169
; %bb.168:
	v_min_f32_e32 v32, 0, v33
	v_cvt_f64_f32_e32 v[34:35], v32
	v_lshl_add_u64 v[36:37], v[142:143], 3, v[64:65]
	global_store_dwordx2 v[36:37], v[34:35], off
	s_mov_b64 s[0:1], 0
.LBB170_169:
	s_andn2_b64 vcc, exec, s[0:1]
	v_mov_b32_e32 v32, 0
	s_cbranch_vccnz .LBB170_171
; %bb.170:
	v_lshl_add_u64 v[34:35], v[66:67], 0, v[148:149]
	global_load_dwordx2 v[34:35], v[34:35], off
	v_lshl_add_u64 v[36:37], v[64:65], 0, v[148:149]
	s_waitcnt vmcnt(0)
	v_mul_f64 v[34:35], s[10:11], v[34:35]
	v_cvt_f32_f64_e32 v32, v[34:35]
	v_min_f32_e32 v32, v32, v33
	v_cvt_f64_f32_e32 v[32:33], v32
	global_store_dwordx2 v[36:37], v[32:33], off
	v_lshl_add_u64 v[32:33], v[132:133], 3, v[66:67]
	global_load_dwordx2 v[32:33], v[32:33], off
	s_waitcnt vmcnt(0)
	v_mul_f64 v[32:33], s[10:11], v[32:33]
	v_cvt_f32_f64_e32 v32, v[32:33]
.LBB170_171:
	v_add_f64 v[30:31], v[30:31], v[6:7]
	v_add_f64 v[28:29], v[28:29], v[4:5]
	;; [unrolled: 1-line block ×6, first 2 shown]
	v_cvt_f32_f64_e32 v28, v[28:29]
	v_cvt_f32_f64_e32 v29, v[30:31]
	;; [unrolled: 1-line block ×6, first 2 shown]
	v_add_f64 v[18:19], v[18:19], v[14:15]
	v_add_f64 v[16:17], v[16:17], v[12:13]
	v_min3_f32 v28, v28, v29, v162
	v_min3_f32 v24, v24, v25, v161
	v_min_f32_e32 v20, v20, v21
	v_cvt_f32_f64_e32 v16, v[16:17]
	v_cvt_f32_f64_e32 v17, v[18:19]
	v_min3_f32 v21, v16, v17, v24
	v_min3_f32 v16, v32, v20, v28
	v_cvt_f64_f32_e32 v[16:17], v16
	v_lshl_add_u64 v[18:19], v[132:133], 3, v[64:65]
	global_store_dwordx2 v[18:19], v[16:17], off
	s_mov_b64 s[0:1], -1
	v_max_f32_e32 v17, v21, v21
	s_mov_b64 vcc, s[8:9]
	s_cbranch_vccz .LBB170_173
; %bb.172:
	v_min_f32_e32 v16, 0, v17
	v_cvt_f64_f32_e32 v[18:19], v16
	v_lshl_add_u64 v[20:21], v[146:147], 3, v[64:65]
	global_store_dwordx2 v[20:21], v[18:19], off
	s_mov_b64 s[0:1], 0
.LBB170_173:
	s_andn2_b64 vcc, exec, s[0:1]
	v_mov_b32_e32 v16, 0
	s_cbranch_vccnz .LBB170_175
; %bb.174:
	v_lshl_add_u64 v[18:19], v[66:67], 0, v[150:151]
	global_load_dwordx2 v[18:19], v[18:19], off
	v_lshl_add_u64 v[20:21], v[64:65], 0, v[150:151]
	s_waitcnt vmcnt(0)
	v_mul_f64 v[18:19], s[10:11], v[18:19]
	v_cvt_f32_f64_e32 v16, v[18:19]
	v_min_f32_e32 v16, v16, v17
	v_cvt_f64_f32_e32 v[16:17], v16
	global_store_dwordx2 v[20:21], v[16:17], off
	v_lshl_add_u64 v[16:17], v[136:137], 3, v[66:67]
	global_load_dwordx2 v[16:17], v[16:17], off
	s_waitcnt vmcnt(0)
	v_mul_f64 v[16:17], s[10:11], v[16:17]
	v_cvt_f32_f64_e32 v16, v[16:17]
.LBB170_175:
	v_add_f64 v[10:11], v[10:11], v[14:15]
	v_add_f64 v[8:9], v[8:9], v[12:13]
	;; [unrolled: 1-line block ×4, first 2 shown]
	v_cvt_f32_f64_e32 v8, v[8:9]
	v_cvt_f32_f64_e32 v9, v[10:11]
	;; [unrolled: 1-line block ×4, first 2 shown]
	v_min_f32_e32 v8, v8, v9
	v_min3_f32 v0, v0, v1, v160
	v_min3_f32 v0, v16, v8, v0
	v_cvt_f64_f32_e32 v[0:1], v0
	v_lshl_add_u64 v[2:3], v[136:137], 3, v[64:65]
	global_store_dwordx2 v[2:3], v[0:1], off
	s_endpgm
	.section	.rodata,"a",@progbits
	.p2align	6, 0x0
	.amdhsa_kernel _ZN12_GLOBAL__N_120geam_min_plus_kernelId15HIP_vector_typeIdLj2EEdLi8ELi32ELi64ELi256ELi4ELi64ELi4ELi64ELi4ELc78ELc84ELb0ELb0ELb1EdKddEEviiiT16_PT17_ilS6_ilS4_S6_ilPT18_ili26rocblas_geam_ex_operation_
		.amdhsa_group_segment_fixed_size 20480
		.amdhsa_private_segment_fixed_size 0
		.amdhsa_kernarg_size 136
		.amdhsa_user_sgpr_count 2
		.amdhsa_user_sgpr_dispatch_ptr 0
		.amdhsa_user_sgpr_queue_ptr 0
		.amdhsa_user_sgpr_kernarg_segment_ptr 1
		.amdhsa_user_sgpr_dispatch_id 0
		.amdhsa_user_sgpr_kernarg_preload_length 0
		.amdhsa_user_sgpr_kernarg_preload_offset 0
		.amdhsa_user_sgpr_private_segment_size 0
		.amdhsa_uses_dynamic_stack 0
		.amdhsa_enable_private_segment 0
		.amdhsa_system_sgpr_workgroup_id_x 1
		.amdhsa_system_sgpr_workgroup_id_y 0
		.amdhsa_system_sgpr_workgroup_id_z 1
		.amdhsa_system_sgpr_workgroup_info 0
		.amdhsa_system_vgpr_workitem_id 1
		.amdhsa_next_free_vgpr 234
		.amdhsa_next_free_sgpr 32
		.amdhsa_accum_offset 236
		.amdhsa_reserve_vcc 1
		.amdhsa_float_round_mode_32 0
		.amdhsa_float_round_mode_16_64 0
		.amdhsa_float_denorm_mode_32 3
		.amdhsa_float_denorm_mode_16_64 3
		.amdhsa_dx10_clamp 1
		.amdhsa_ieee_mode 1
		.amdhsa_fp16_overflow 0
		.amdhsa_tg_split 0
		.amdhsa_exception_fp_ieee_invalid_op 0
		.amdhsa_exception_fp_denorm_src 0
		.amdhsa_exception_fp_ieee_div_zero 0
		.amdhsa_exception_fp_ieee_overflow 0
		.amdhsa_exception_fp_ieee_underflow 0
		.amdhsa_exception_fp_ieee_inexact 0
		.amdhsa_exception_int_div_zero 0
	.end_amdhsa_kernel
	.section	.text._ZN12_GLOBAL__N_120geam_min_plus_kernelId15HIP_vector_typeIdLj2EEdLi8ELi32ELi64ELi256ELi4ELi64ELi4ELi64ELi4ELc78ELc84ELb0ELb0ELb1EdKddEEviiiT16_PT17_ilS6_ilS4_S6_ilPT18_ili26rocblas_geam_ex_operation_,"axG",@progbits,_ZN12_GLOBAL__N_120geam_min_plus_kernelId15HIP_vector_typeIdLj2EEdLi8ELi32ELi64ELi256ELi4ELi64ELi4ELi64ELi4ELc78ELc84ELb0ELb0ELb1EdKddEEviiiT16_PT17_ilS6_ilS4_S6_ilPT18_ili26rocblas_geam_ex_operation_,comdat
.Lfunc_end170:
	.size	_ZN12_GLOBAL__N_120geam_min_plus_kernelId15HIP_vector_typeIdLj2EEdLi8ELi32ELi64ELi256ELi4ELi64ELi4ELi64ELi4ELc78ELc84ELb0ELb0ELb1EdKddEEviiiT16_PT17_ilS6_ilS4_S6_ilPT18_ili26rocblas_geam_ex_operation_, .Lfunc_end170-_ZN12_GLOBAL__N_120geam_min_plus_kernelId15HIP_vector_typeIdLj2EEdLi8ELi32ELi64ELi256ELi4ELi64ELi4ELi64ELi4ELc78ELc84ELb0ELb0ELb1EdKddEEviiiT16_PT17_ilS6_ilS4_S6_ilPT18_ili26rocblas_geam_ex_operation_
                                        ; -- End function
	.set _ZN12_GLOBAL__N_120geam_min_plus_kernelId15HIP_vector_typeIdLj2EEdLi8ELi32ELi64ELi256ELi4ELi64ELi4ELi64ELi4ELc78ELc84ELb0ELb0ELb1EdKddEEviiiT16_PT17_ilS6_ilS4_S6_ilPT18_ili26rocblas_geam_ex_operation_.num_vgpr, 234
	.set _ZN12_GLOBAL__N_120geam_min_plus_kernelId15HIP_vector_typeIdLj2EEdLi8ELi32ELi64ELi256ELi4ELi64ELi4ELi64ELi4ELc78ELc84ELb0ELb0ELb1EdKddEEviiiT16_PT17_ilS6_ilS4_S6_ilPT18_ili26rocblas_geam_ex_operation_.num_agpr, 0
	.set _ZN12_GLOBAL__N_120geam_min_plus_kernelId15HIP_vector_typeIdLj2EEdLi8ELi32ELi64ELi256ELi4ELi64ELi4ELi64ELi4ELc78ELc84ELb0ELb0ELb1EdKddEEviiiT16_PT17_ilS6_ilS4_S6_ilPT18_ili26rocblas_geam_ex_operation_.numbered_sgpr, 32
	.set _ZN12_GLOBAL__N_120geam_min_plus_kernelId15HIP_vector_typeIdLj2EEdLi8ELi32ELi64ELi256ELi4ELi64ELi4ELi64ELi4ELc78ELc84ELb0ELb0ELb1EdKddEEviiiT16_PT17_ilS6_ilS4_S6_ilPT18_ili26rocblas_geam_ex_operation_.num_named_barrier, 0
	.set _ZN12_GLOBAL__N_120geam_min_plus_kernelId15HIP_vector_typeIdLj2EEdLi8ELi32ELi64ELi256ELi4ELi64ELi4ELi64ELi4ELc78ELc84ELb0ELb0ELb1EdKddEEviiiT16_PT17_ilS6_ilS4_S6_ilPT18_ili26rocblas_geam_ex_operation_.private_seg_size, 0
	.set _ZN12_GLOBAL__N_120geam_min_plus_kernelId15HIP_vector_typeIdLj2EEdLi8ELi32ELi64ELi256ELi4ELi64ELi4ELi64ELi4ELc78ELc84ELb0ELb0ELb1EdKddEEviiiT16_PT17_ilS6_ilS4_S6_ilPT18_ili26rocblas_geam_ex_operation_.uses_vcc, 1
	.set _ZN12_GLOBAL__N_120geam_min_plus_kernelId15HIP_vector_typeIdLj2EEdLi8ELi32ELi64ELi256ELi4ELi64ELi4ELi64ELi4ELc78ELc84ELb0ELb0ELb1EdKddEEviiiT16_PT17_ilS6_ilS4_S6_ilPT18_ili26rocblas_geam_ex_operation_.uses_flat_scratch, 0
	.set _ZN12_GLOBAL__N_120geam_min_plus_kernelId15HIP_vector_typeIdLj2EEdLi8ELi32ELi64ELi256ELi4ELi64ELi4ELi64ELi4ELc78ELc84ELb0ELb0ELb1EdKddEEviiiT16_PT17_ilS6_ilS4_S6_ilPT18_ili26rocblas_geam_ex_operation_.has_dyn_sized_stack, 0
	.set _ZN12_GLOBAL__N_120geam_min_plus_kernelId15HIP_vector_typeIdLj2EEdLi8ELi32ELi64ELi256ELi4ELi64ELi4ELi64ELi4ELc78ELc84ELb0ELb0ELb1EdKddEEviiiT16_PT17_ilS6_ilS4_S6_ilPT18_ili26rocblas_geam_ex_operation_.has_recursion, 0
	.set _ZN12_GLOBAL__N_120geam_min_plus_kernelId15HIP_vector_typeIdLj2EEdLi8ELi32ELi64ELi256ELi4ELi64ELi4ELi64ELi4ELc78ELc84ELb0ELb0ELb1EdKddEEviiiT16_PT17_ilS6_ilS4_S6_ilPT18_ili26rocblas_geam_ex_operation_.has_indirect_call, 0
	.section	.AMDGPU.csdata,"",@progbits
; Kernel info:
; codeLenInByte = 25252
; TotalNumSgprs: 38
; NumVgprs: 234
; NumAgprs: 0
; TotalNumVgprs: 234
; ScratchSize: 0
; MemoryBound: 0
; FloatMode: 240
; IeeeMode: 1
; LDSByteSize: 20480 bytes/workgroup (compile time only)
; SGPRBlocks: 4
; VGPRBlocks: 29
; NumSGPRsForWavesPerEU: 38
; NumVGPRsForWavesPerEU: 234
; AccumOffset: 236
; Occupancy: 2
; WaveLimiterHint : 1
; COMPUTE_PGM_RSRC2:SCRATCH_EN: 0
; COMPUTE_PGM_RSRC2:USER_SGPR: 2
; COMPUTE_PGM_RSRC2:TRAP_HANDLER: 0
; COMPUTE_PGM_RSRC2:TGID_X_EN: 1
; COMPUTE_PGM_RSRC2:TGID_Y_EN: 0
; COMPUTE_PGM_RSRC2:TGID_Z_EN: 1
; COMPUTE_PGM_RSRC2:TIDIG_COMP_CNT: 1
; COMPUTE_PGM_RSRC3_GFX90A:ACCUM_OFFSET: 58
; COMPUTE_PGM_RSRC3_GFX90A:TG_SPLIT: 0
	.section	.text._ZN12_GLOBAL__N_120geam_min_plus_kernelId15HIP_vector_typeIdLj2EEdLi8ELi32ELi64ELi256ELi4ELi64ELi4ELi64ELi4ELc78ELc84ELb0ELb1ELb1EPKdS3_dEEviiiT16_PT17_ilS7_ilS5_S7_ilPT18_ili26rocblas_geam_ex_operation_,"axG",@progbits,_ZN12_GLOBAL__N_120geam_min_plus_kernelId15HIP_vector_typeIdLj2EEdLi8ELi32ELi64ELi256ELi4ELi64ELi4ELi64ELi4ELc78ELc84ELb0ELb1ELb1EPKdS3_dEEviiiT16_PT17_ilS7_ilS5_S7_ilPT18_ili26rocblas_geam_ex_operation_,comdat
	.globl	_ZN12_GLOBAL__N_120geam_min_plus_kernelId15HIP_vector_typeIdLj2EEdLi8ELi32ELi64ELi256ELi4ELi64ELi4ELi64ELi4ELc78ELc84ELb0ELb1ELb1EPKdS3_dEEviiiT16_PT17_ilS7_ilS5_S7_ilPT18_ili26rocblas_geam_ex_operation_ ; -- Begin function _ZN12_GLOBAL__N_120geam_min_plus_kernelId15HIP_vector_typeIdLj2EEdLi8ELi32ELi64ELi256ELi4ELi64ELi4ELi64ELi4ELc78ELc84ELb0ELb1ELb1EPKdS3_dEEviiiT16_PT17_ilS7_ilS5_S7_ilPT18_ili26rocblas_geam_ex_operation_
	.p2align	8
	.type	_ZN12_GLOBAL__N_120geam_min_plus_kernelId15HIP_vector_typeIdLj2EEdLi8ELi32ELi64ELi256ELi4ELi64ELi4ELi64ELi4ELc78ELc84ELb0ELb1ELb1EPKdS3_dEEviiiT16_PT17_ilS7_ilS5_S7_ilPT18_ili26rocblas_geam_ex_operation_,@function
_ZN12_GLOBAL__N_120geam_min_plus_kernelId15HIP_vector_typeIdLj2EEdLi8ELi32ELi64ELi256ELi4ELi64ELi4ELi64ELi4ELc78ELc84ELb0ELb1ELb1EPKdS3_dEEviiiT16_PT17_ilS7_ilS5_S7_ilPT18_ili26rocblas_geam_ex_operation_: ; @_ZN12_GLOBAL__N_120geam_min_plus_kernelId15HIP_vector_typeIdLj2EEdLi8ELi32ELi64ELi256ELi4ELi64ELi4ELi64ELi4ELc78ELc84ELb0ELb1ELb1EPKdS3_dEEviiiT16_PT17_ilS7_ilS5_S7_ilPT18_ili26rocblas_geam_ex_operation_
; %bb.0:
	s_load_dwordx4 s[12:15], s[0:1], 0x10
	s_load_dwordx4 s[4:7], s[0:1], 0x28
	;; [unrolled: 1-line block ×3, first 2 shown]
	s_mov_b32 s18, s3
	s_mov_b32 s19, 0
	s_lshl_b64 s[16:17], s[18:19], 3
	s_waitcnt lgkmcnt(0)
	s_add_u32 s12, s12, s16
	s_addc_u32 s13, s13, s17
	s_load_dwordx2 s[28:29], s[12:13], 0x0
	s_load_dwordx2 s[20:21], s[0:1], 0x50
	s_add_u32 s10, s10, s16
	s_addc_u32 s11, s11, s17
	s_mov_b64 s[30:31], 0
	s_waitcnt lgkmcnt(0)
	v_cmp_eq_f64_e64 s[16:17], s[28:29], 0
	v_cmp_neq_f64_e64 s[12:13], s[28:29], 0
	s_and_b64 vcc, exec, s[16:17]
	s_mov_b64 s[36:37], 0
	s_cbranch_vccnz .LBB171_2
; %bb.1:
	s_mul_i32 s3, s5, s18
	s_mul_hi_u32 s5, s4, s18
	s_add_i32 s5, s5, s3
	s_mul_i32 s4, s4, s18
	s_lshl_b64 s[4:5], s[4:5], 3
	s_add_u32 s36, s14, s4
	s_addc_u32 s37, s15, s5
.LBB171_2:
	s_load_dwordx2 s[24:25], s[10:11], 0x0
	s_andn2_b64 vcc, exec, s[12:13]
	s_cbranch_vccnz .LBB171_4
; %bb.3:
	s_mul_i32 s3, s9, s18
	s_mul_hi_u32 s4, s8, s18
	s_add_i32 s5, s4, s3
	s_mul_i32 s4, s8, s18
	s_lshl_b64 s[4:5], s[4:5], 3
	s_add_u32 s30, s6, s4
	s_addc_u32 s31, s7, s5
.LBB171_4:
	s_load_dwordx4 s[12:15], s[0:1], 0x60
	s_waitcnt lgkmcnt(0)
	v_cmp_eq_f64_e64 s[4:5], s[24:25], 0
	s_mov_b64 s[26:27], 0
	v_cmp_neq_f64_e64 s[16:17], s[24:25], 0
	s_and_b64 vcc, exec, s[4:5]
	s_cbranch_vccnz .LBB171_6
; %bb.5:
	s_mul_i32 s3, s13, s18
	s_mul_hi_u32 s4, s12, s18
	s_add_i32 s5, s4, s3
	s_mul_i32 s4, s12, s18
	s_lshl_b64 s[4:5], s[4:5], 3
	s_add_u32 s26, s20, s4
	s_addc_u32 s27, s21, s5
.LBB171_6:
	s_load_dwordx4 s[20:23], s[0:1], 0x0
	s_load_dword s38, s[0:1], 0x20
	v_and_b32_e32 v150, 0x3ff, v0
	v_bfe_u32 v151, v0, 10, 10
	v_cmp_eq_f64_e64 s[34:35], s[28:29], 0
	s_waitcnt lgkmcnt(0)
	s_add_i32 s3, s20, -1
	s_ashr_i32 s4, s3, 31
	s_lshr_b32 s4, s4, 26
	s_add_i32 s3, s3, s4
	s_ashr_i32 s3, s3, 6
	s_add_i32 s4, s3, 1
	v_cvt_f32_u32_e32 v1, s4
	s_not_b32 s3, s3
	s_ashr_i32 s39, s38, 31
	v_rcp_iflag_f32_e32 v0, v1
	v_lshl_add_u32 v1, v151, 3, v150
	v_and_b32_e32 v12, 63, v1
	v_lshrrev_b32_e32 v158, 6, v1
	v_mul_f32_e32 v0, 0x4f7ffffe, v0
	v_cvt_u32_f32_e32 v0, v0
	v_cmp_le_i32_e64 s[10:11], s22, v158
	v_readfirstlane_b32 s5, v0
	s_mul_i32 s3, s3, s5
	s_mul_hi_u32 s3, s5, s3
	s_add_i32 s5, s5, s3
	s_mul_hi_u32 s3, s2, s5
	s_mul_i32 s5, s3, s4
	s_sub_i32 s5, s2, s5
	s_add_i32 s6, s3, 1
	s_sub_i32 s7, s5, s4
	s_cmp_ge_u32 s5, s4
	s_cselect_b32 s3, s6, s3
	s_cselect_b32 s5, s7, s5
	s_add_i32 s6, s3, 1
	s_cmp_ge_u32 s5, s4
	s_cselect_b32 s6, s6, s3
	s_mul_i32 s3, s6, s4
	s_sub_i32 s2, s2, s3
	s_lshl_b32 s19, s2, 6
	v_or_b32_e32 v100, s19, v12
	v_cmp_le_i32_e32 vcc, s20, v100
	s_or_b64 s[2:3], vcc, s[10:11]
	s_nor_b64 s[4:5], s[34:35], s[2:3]
	v_ashrrev_i32_e32 v101, 31, v100
                                        ; implicit-def: $vgpr0_vgpr1
                                        ; implicit-def: $sgpr7
	s_and_saveexec_b64 s[8:9], s[4:5]
	s_xor_b64 s[4:5], exec, s[8:9]
	s_cbranch_execz .LBB171_8
; %bb.7:
	s_add_i32 s7, s22, -1
	v_min_u32_e32 v0, s7, v158
	v_mad_i64_i32 v[0:1], s[8:9], s38, v0, 0
	v_lshl_add_u64 v[0:1], v[0:1], 3, s[36:37]
	v_lshl_add_u64 v[0:1], v[100:101], 3, v[0:1]
	global_load_dwordx2 v[0:1], v[0:1], off
	s_waitcnt vmcnt(0)
	v_mul_f64 v[0:1], s[28:29], v[0:1]
.LBB171_8:
	s_or_saveexec_b64 s[4:5], s[4:5]
	v_mov_b32_e32 v2, s7
	s_xor_b64 exec, exec, s[4:5]
; %bb.9:
	v_mov_b32_e32 v0, 0x7fefffff
	v_cndmask_b32_e64 v1, 0, v0, s[2:3]
	v_cndmask_b32_e64 v0, 0, -1, s[2:3]
	s_add_i32 s2, s22, -1
	v_mov_b32_e32 v2, s2
; %bb.10:
	s_or_b64 exec, exec, s[4:5]
	s_load_dword s23, s[0:1], 0x38
	s_lshl_b32 s33, s6, 8
	v_min_i32_e32 v2, v158, v2
	v_or_b32_e32 v128, s33, v12
	v_mov_b32_e32 v4, 0x7fefffff
	s_waitcnt lgkmcnt(0)
	v_mad_i64_i32 v[2:3], s[2:3], v2, s23, 0
	v_cmp_le_i32_e64 s[2:3], s21, v128
	s_or_b64 s[4:5], s[2:3], s[10:11]
	v_lshl_add_u64 v[10:11], v[2:3], 3, s[30:31]
	v_cndmask_b32_e64 v3, 0, v4, s[4:5]
	s_nor_b64 s[6:7], s[34:35], s[4:5]
	v_cndmask_b32_e64 v2, 0, -1, s[4:5]
	v_ashrrev_i32_e32 v129, 31, v128
	s_and_saveexec_b64 s[4:5], s[6:7]
	s_cbranch_execz .LBB171_12
; %bb.11:
	v_lshl_add_u64 v[2:3], v[128:129], 3, v[10:11]
	global_load_dwordx2 v[2:3], v[2:3], off
	s_waitcnt vmcnt(0)
	v_mul_f64 v[2:3], s[28:29], v[2:3]
.LBB171_12:
	s_or_b64 exec, exec, s[4:5]
	v_or_b32_e32 v5, 64, v128
	v_cmp_le_i32_e64 s[4:5], s21, v5
	s_or_b64 s[6:7], s[4:5], s[10:11]
	v_cndmask_b32_e64 v5, 0, v4, s[6:7]
	s_nor_b64 s[8:9], s[34:35], s[6:7]
	v_cndmask_b32_e64 v4, 0, -1, s[6:7]
	s_and_saveexec_b64 s[6:7], s[8:9]
	s_cbranch_execz .LBB171_14
; %bb.13:
	v_lshl_add_u64 v[4:5], v[128:129], 3, v[10:11]
	global_load_dwordx2 v[4:5], v[4:5], off offset:512
	s_waitcnt vmcnt(0)
	v_mul_f64 v[4:5], s[28:29], v[4:5]
.LBB171_14:
	s_or_b64 exec, exec, s[6:7]
	v_or_b32_e32 v6, 0x80, v128
	v_cmp_le_i32_e64 s[6:7], s21, v6
	v_mov_b32_e32 v8, 0x7fefffff
	s_or_b64 s[8:9], s[6:7], s[10:11]
	v_cndmask_b32_e64 v7, 0, v8, s[8:9]
	s_nor_b64 s[12:13], s[34:35], s[8:9]
	v_cndmask_b32_e64 v6, 0, -1, s[8:9]
	s_and_saveexec_b64 s[8:9], s[12:13]
	s_cbranch_execz .LBB171_16
; %bb.15:
	v_lshl_add_u64 v[6:7], v[128:129], 3, v[10:11]
	global_load_dwordx2 v[6:7], v[6:7], off offset:1024
	s_waitcnt vmcnt(0)
	v_mul_f64 v[6:7], s[28:29], v[6:7]
.LBB171_16:
	s_or_b64 exec, exec, s[8:9]
	v_or_b32_e32 v9, 0xc0, v128
	v_cmp_le_i32_e64 s[8:9], s21, v9
	s_or_b64 s[10:11], s[8:9], s[10:11]
	v_cndmask_b32_e64 v9, 0, v8, s[10:11]
	s_nor_b64 s[12:13], s[34:35], s[10:11]
	v_cndmask_b32_e64 v8, 0, -1, s[10:11]
	s_and_saveexec_b64 s[10:11], s[12:13]
	s_cbranch_execz .LBB171_18
; %bb.17:
	v_lshl_add_u64 v[8:9], v[128:129], 3, v[10:11]
	global_load_dwordx2 v[8:9], v[8:9], off offset:1536
	s_waitcnt vmcnt(0)
	v_mul_f64 v[8:9], s[28:29], v[8:9]
.LBB171_18:
	s_or_b64 exec, exec, s[10:11]
	v_add_u32_e32 v10, 4, v158
	v_cmp_le_i32_e64 s[10:11], s22, v10
	s_or_b64 s[12:13], vcc, s[10:11]
	s_nor_b64 s[40:41], s[34:35], s[12:13]
                                        ; implicit-def: $vgpr102_vgpr103
                                        ; implicit-def: $sgpr42
	s_and_saveexec_b64 s[44:45], s[40:41]
	s_xor_b64 s[40:41], exec, s[44:45]
	s_cbranch_execz .LBB171_20
; %bb.19:
	s_add_i32 s42, s22, -1
	v_min_u32_e32 v11, s42, v10
	v_mad_u64_u32 v[14:15], s[44:45], s38, v11, 0
	v_mov_b32_e32 v16, v15
	v_mad_u64_u32 v[16:17], s[44:45], s39, v11, v[16:17]
	v_mov_b32_e32 v15, v16
	v_lshl_add_u64 v[14:15], v[14:15], 3, s[36:37]
	v_lshl_add_u64 v[14:15], v[100:101], 3, v[14:15]
	global_load_dwordx2 v[14:15], v[14:15], off
	s_waitcnt vmcnt(0)
	v_mul_f64 v[102:103], s[28:29], v[14:15]
.LBB171_20:
	s_or_saveexec_b64 s[40:41], s[40:41]
	v_mov_b32_e32 v11, s42
	s_xor_b64 exec, exec, s[40:41]
; %bb.21:
	v_mov_b32_e32 v11, 0x7fefffff
	v_cndmask_b32_e64 v103, 0, v11, s[12:13]
	v_cndmask_b32_e64 v102, 0, -1, s[12:13]
	s_add_i32 s12, s22, -1
	v_mov_b32_e32 v11, s12
; %bb.22:
	s_or_b64 exec, exec, s[40:41]
	v_min_i32_e32 v10, v10, v11
	v_mad_i64_i32 v[10:11], s[12:13], v10, s23, 0
	v_mov_b32_e32 v13, 0x7fefffff
	s_or_b64 s[12:13], s[2:3], s[10:11]
	v_lshl_add_u64 v[10:11], v[10:11], 3, s[30:31]
	v_cndmask_b32_e64 v105, 0, v13, s[12:13]
	s_nor_b64 s[40:41], s[34:35], s[12:13]
	v_cndmask_b32_e64 v104, 0, -1, s[12:13]
	s_and_saveexec_b64 s[12:13], s[40:41]
	s_cbranch_execz .LBB171_24
; %bb.23:
	v_lshl_add_u64 v[14:15], v[128:129], 3, v[10:11]
	global_load_dwordx2 v[14:15], v[14:15], off
	s_waitcnt vmcnt(0)
	v_mul_f64 v[104:105], s[28:29], v[14:15]
.LBB171_24:
	s_or_b64 exec, exec, s[12:13]
	s_or_b64 s[12:13], s[4:5], s[10:11]
	v_cndmask_b32_e64 v107, 0, v13, s[12:13]
	s_nor_b64 s[40:41], s[34:35], s[12:13]
	v_cndmask_b32_e64 v106, 0, -1, s[12:13]
	s_and_saveexec_b64 s[12:13], s[40:41]
	s_cbranch_execz .LBB171_26
; %bb.25:
	v_lshl_add_u64 v[14:15], v[128:129], 3, v[10:11]
	global_load_dwordx2 v[14:15], v[14:15], off offset:512
	s_waitcnt vmcnt(0)
	v_mul_f64 v[106:107], s[28:29], v[14:15]
.LBB171_26:
	s_or_b64 exec, exec, s[12:13]
	v_mov_b32_e32 v13, 0x7fefffff
	s_or_b64 s[12:13], s[6:7], s[10:11]
	v_cndmask_b32_e64 v109, 0, v13, s[12:13]
	s_nor_b64 s[40:41], s[34:35], s[12:13]
	v_cndmask_b32_e64 v108, 0, -1, s[12:13]
	s_and_saveexec_b64 s[12:13], s[40:41]
	s_cbranch_execz .LBB171_28
; %bb.27:
	v_lshl_add_u64 v[14:15], v[128:129], 3, v[10:11]
	global_load_dwordx2 v[14:15], v[14:15], off offset:1024
	s_waitcnt vmcnt(0)
	v_mul_f64 v[108:109], s[28:29], v[14:15]
.LBB171_28:
	s_or_b64 exec, exec, s[12:13]
	s_or_b64 s[10:11], s[8:9], s[10:11]
	v_cndmask_b32_e64 v111, 0, v13, s[10:11]
	s_nor_b64 s[12:13], s[34:35], s[10:11]
	v_cndmask_b32_e64 v110, 0, -1, s[10:11]
	s_and_saveexec_b64 s[10:11], s[12:13]
	s_cbranch_execz .LBB171_30
; %bb.29:
	v_lshl_add_u64 v[10:11], v[128:129], 3, v[10:11]
	global_load_dwordx2 v[10:11], v[10:11], off offset:1536
	s_waitcnt vmcnt(0)
	v_mul_f64 v[110:111], s[28:29], v[10:11]
.LBB171_30:
	s_or_b64 exec, exec, s[10:11]
	v_lshlrev_b32_e32 v10, 5, v12
	v_lshl_add_u32 v168, v158, 3, v10
	v_lshlrev_b32_e32 v162, 5, v150
	ds_write_b64 v168, v[0:1] offset:16384
	ds_write2st64_b64 v168, v[2:3], v[4:5] offset1:4
	ds_write2st64_b64 v168, v[6:7], v[8:9] offset0:8 offset1:12
	s_waitcnt lgkmcnt(0)
	s_barrier
	v_lshlrev_b32_e32 v161, 5, v151
	ds_read_b128 v[32:35], v162 offset:16640
	ds_read_b128 v[28:31], v162 offset:16896
	;; [unrolled: 1-line block ×13, first 2 shown]
	ds_read_b128 v[96:99], v161
	ds_read_b128 v[44:47], v161 offset:6144
	ds_read_b128 v[36:39], v161 offset:7168
	;; [unrolled: 1-line block ×4, first 2 shown]
	s_waitcnt lgkmcnt(5)
	v_add_f64 v[114:115], v[42:43], v[94:95]
	v_add_f64 v[116:117], v[40:41], v[92:93]
	s_mov_b32 s10, 0x7f800000
	v_cvt_f32_f64_e32 v113, v[116:117]
	v_cvt_f32_f64_e32 v114, v[114:115]
	v_min3_f32 v178, v113, v114, s10
	v_add_f64 v[114:115], v[34:35], v[94:95]
	v_add_f64 v[116:117], v[32:33], v[92:93]
	v_cvt_f32_f64_e32 v113, v[116:117]
	v_cvt_f32_f64_e32 v114, v[114:115]
	v_min3_f32 v179, v113, v114, s10
	v_add_f64 v[114:115], v[30:31], v[94:95]
	v_add_f64 v[116:117], v[28:29], v[92:93]
	;; [unrolled: 5-line block ×34, first 2 shown]
	v_cvt_f32_f64_e32 v113, v[116:117]
	v_cvt_f32_f64_e32 v114, v[114:115]
	v_min3_f32 v119, v113, v114, s10
	s_waitcnt lgkmcnt(3)
	v_add_f64 v[114:115], v[42:43], v[46:47]
	v_add_f64 v[166:167], v[40:41], v[44:45]
	v_cvt_f32_f64_e32 v113, v[166:167]
	v_cvt_f32_f64_e32 v114, v[114:115]
	v_min3_f32 v125, v113, v114, s10
	v_add_f64 v[114:115], v[34:35], v[46:47]
	v_add_f64 v[166:167], v[32:33], v[44:45]
	v_cvt_f32_f64_e32 v113, v[166:167]
	v_cvt_f32_f64_e32 v114, v[114:115]
	v_min3_f32 v122, v113, v114, s10
	v_add_f64 v[114:115], v[30:31], v[46:47]
	v_add_f64 v[166:167], v[28:29], v[44:45]
	v_cvt_f32_f64_e32 v113, v[166:167]
	v_cvt_f32_f64_e32 v114, v[114:115]
	v_add_f64 v[56:57], v[42:43], v[98:99]
	v_add_f64 v[58:59], v[40:41], v[96:97]
	v_min3_f32 v120, v113, v114, s10
	v_add_f64 v[114:115], v[26:27], v[46:47]
	v_add_f64 v[166:167], v[24:25], v[44:45]
	v_cvt_f32_f64_e32 v58, v[58:59]
	v_cvt_f32_f64_e32 v56, v[56:57]
	;; [unrolled: 1-line block ×4, first 2 shown]
	v_min3_f32 v112, v58, v56, s10
	ds_read_b128 v[56:59], v162 offset:16656
	v_add_f64 v[60:61], v[34:35], v[98:99]
	v_add_f64 v[62:63], v[32:33], v[96:97]
	v_min3_f32 v118, v113, v114, s10
	v_add_f64 v[114:115], v[22:23], v[46:47]
	v_add_f64 v[166:167], v[20:21], v[44:45]
	v_cvt_f32_f64_e32 v62, v[62:63]
	v_cvt_f32_f64_e32 v60, v[60:61]
	;; [unrolled: 1-line block ×4, first 2 shown]
	v_add_f64 v[166:167], v[16:17], v[44:45]
	v_min3_f32 v169, v62, v60, s10
	ds_read_b128 v[60:63], v162 offset:16912
	v_add_f64 v[64:65], v[30:31], v[98:99]
	v_add_f64 v[66:67], v[28:29], v[96:97]
	;; [unrolled: 1-line block ×22, first 2 shown]
	v_min3_f32 v116, v113, v114, s10
	v_add_f64 v[114:115], v[18:19], v[46:47]
	v_cvt_f32_f64_e32 v113, v[166:167]
	v_add_f64 v[166:167], v[14:15], v[46:47]
	v_add_f64 v[170:171], v[12:13], v[44:45]
	;; [unrolled: 1-line block ×4, first 2 shown]
	s_waitcnt lgkmcnt(4)
	v_add_f64 v[14:15], v[14:15], v[38:39]
	v_add_f64 v[12:13], v[12:13], v[36:37]
	;; [unrolled: 1-line block ×4, first 2 shown]
	v_cvt_f32_f64_e32 v66, v[66:67]
	v_cvt_f32_f64_e32 v64, v[64:65]
	;; [unrolled: 1-line block ×7, first 2 shown]
	s_waitcnt lgkmcnt(2)
	v_add_f64 v[10:11], v[2:3], v[6:7]
	v_add_f64 v[14:15], v[0:1], v[4:5]
	v_min3_f32 v172, v66, v64, s10
	ds_read_b128 v[64:67], v162 offset:17168
	v_min3_f32 v115, v113, v114, s10
	v_cvt_f32_f64_e32 v113, v[170:171]
	v_cvt_f32_f64_e32 v114, v[166:167]
	;; [unrolled: 1-line block ×4, first 2 shown]
	v_min3_f32 v8, v8, v9, s10
	v_cvt_f32_f64_e32 v9, v[14:15]
	v_cvt_f32_f64_e32 v10, v[10:11]
	;; [unrolled: 1-line block ×4, first 2 shown]
	v_min3_f32 v114, v113, v114, s10
	v_min3_f32 v113, v44, v45, s10
	ds_read_b128 v[44:47], v161 offset:7184
	v_min3_f32 v224, v9, v10, v112
	s_waitcnt lgkmcnt(3)
	v_add_f64 v[10:11], v[58:59], v[6:7]
	v_add_f64 v[14:15], v[56:57], v[4:5]
	v_min3_f32 v173, v70, v68, s10
	ds_read_b128 v[68:71], v162 offset:17424
	v_cvt_f32_f64_e32 v9, v[14:15]
	v_cvt_f32_f64_e32 v10, v[10:11]
	;; [unrolled: 1-line block ×4, first 2 shown]
	v_min3_f32 v223, v9, v10, v169
	s_waitcnt lgkmcnt(3)
	v_add_f64 v[10:11], v[62:63], v[6:7]
	v_add_f64 v[14:15], v[60:61], v[4:5]
	v_min3_f32 v174, v74, v72, s10
	ds_read_b128 v[72:75], v162 offset:17680
	v_cvt_f32_f64_e32 v9, v[14:15]
	v_cvt_f32_f64_e32 v10, v[10:11]
	;; [unrolled: 1-line block ×6, first 2 shown]
	v_min3_f32 v222, v9, v10, v172
	s_waitcnt lgkmcnt(3)
	v_add_f64 v[10:11], v[66:67], v[6:7]
	v_add_f64 v[14:15], v[64:65], v[4:5]
	v_min3_f32 v175, v78, v76, s10
	ds_read_b128 v[76:79], v162 offset:17936
	v_min3_f32 v176, v82, v80, s10
	ds_read_b128 v[80:83], v162 offset:18192
	v_cvt_f32_f64_e32 v9, v[14:15]
	v_cvt_f32_f64_e32 v10, v[10:11]
	;; [unrolled: 1-line block ×4, first 2 shown]
	v_min3_f32 v221, v9, v10, v173
	s_waitcnt lgkmcnt(3)
	v_add_f64 v[10:11], v[70:71], v[6:7]
	v_add_f64 v[14:15], v[68:69], v[4:5]
	v_min3_f32 v177, v96, v97, s10
	ds_read_b128 v[96:99], v161 offset:1040
	v_cvt_f32_f64_e32 v9, v[14:15]
	v_cvt_f32_f64_e32 v10, v[10:11]
	v_min3_f32 v219, v9, v10, v174
	s_waitcnt lgkmcnt(3)
	v_add_f64 v[10:11], v[74:75], v[6:7]
	v_add_f64 v[14:15], v[72:73], v[4:5]
	v_cvt_f32_f64_e32 v9, v[14:15]
	v_cvt_f32_f64_e32 v10, v[10:11]
	v_min3_f32 v212, v9, v10, v175
	s_waitcnt lgkmcnt(2)
	v_add_f64 v[10:11], v[78:79], v[6:7]
	v_add_f64 v[14:15], v[76:77], v[4:5]
	s_waitcnt lgkmcnt(1)
	v_add_f64 v[6:7], v[82:83], v[6:7]
	v_add_f64 v[4:5], v[80:81], v[4:5]
	v_cvt_f32_f64_e32 v92, v[92:93]
	v_cvt_f32_f64_e32 v93, v[94:95]
	;; [unrolled: 1-line block ×4, first 2 shown]
	v_min3_f32 v152, v92, v93, s10
	ds_read_b128 v[92:95], v161 offset:2064
	v_min3_f32 v210, v4, v5, v177
	s_waitcnt lgkmcnt(1)
	v_add_f64 v[4:5], v[2:3], v[98:99]
	v_add_f64 v[6:7], v[0:1], v[96:97]
	v_cvt_f32_f64_e32 v6, v[6:7]
	v_cvt_f32_f64_e32 v4, v[4:5]
	v_min3_f32 v209, v6, v4, v178
	v_add_f64 v[4:5], v[58:59], v[98:99]
	v_add_f64 v[6:7], v[56:57], v[96:97]
	v_cvt_f32_f64_e32 v6, v[6:7]
	v_cvt_f32_f64_e32 v4, v[4:5]
	v_min3_f32 v208, v6, v4, v179
	;; [unrolled: 5-line block ×8, first 2 shown]
	s_waitcnt lgkmcnt(0)
	v_add_f64 v[4:5], v[2:3], v[94:95]
	v_add_f64 v[6:7], v[0:1], v[92:93]
	v_cvt_f32_f64_e32 v6, v[6:7]
	v_cvt_f32_f64_e32 v4, v[4:5]
	v_min3_f32 v201, v6, v4, v163
	v_add_f64 v[4:5], v[58:59], v[94:95]
	v_add_f64 v[6:7], v[56:57], v[92:93]
	v_cvt_f32_f64_e32 v6, v[6:7]
	v_cvt_f32_f64_e32 v4, v[4:5]
	v_min3_f32 v200, v6, v4, v159
	;; [unrolled: 5-line block ×4, first 2 shown]
	v_add_f64 v[4:5], v[70:71], v[94:95]
	v_add_f64 v[6:7], v[68:69], v[92:93]
	v_cvt_f32_f64_e32 v6, v[6:7]
	v_cvt_f32_f64_e32 v4, v[4:5]
	;; [unrolled: 1-line block ×4, first 2 shown]
	v_min3_f32 v197, v6, v4, v149
	v_add_f64 v[4:5], v[74:75], v[94:95]
	v_add_f64 v[6:7], v[72:73], v[92:93]
	v_min3_f32 v142, v88, v89, s10
	ds_read_b128 v[88:91], v161 offset:3088
	v_cvt_f32_f64_e32 v6, v[6:7]
	v_cvt_f32_f64_e32 v4, v[4:5]
	v_min3_f32 v196, v6, v4, v147
	v_add_f64 v[4:5], v[78:79], v[94:95]
	v_add_f64 v[6:7], v[76:77], v[92:93]
	v_cvt_f32_f64_e32 v6, v[6:7]
	v_cvt_f32_f64_e32 v4, v[4:5]
	v_min3_f32 v195, v6, v4, v145
	v_add_f64 v[4:5], v[82:83], v[94:95]
	v_add_f64 v[6:7], v[80:81], v[92:93]
	v_cvt_f32_f64_e32 v84, v[84:85]
	v_cvt_f32_f64_e32 v85, v[86:87]
	v_cvt_f32_f64_e32 v6, v[6:7]
	v_cvt_f32_f64_e32 v4, v[4:5]
	v_min3_f32 v134, v84, v85, s10
	ds_read_b128 v[84:87], v161 offset:4112
	v_min3_f32 v194, v6, v4, v142
	s_waitcnt lgkmcnt(1)
	v_add_f64 v[4:5], v[2:3], v[90:91]
	v_add_f64 v[6:7], v[0:1], v[88:89]
	v_cvt_f32_f64_e32 v6, v[6:7]
	v_cvt_f32_f64_e32 v4, v[4:5]
	v_min3_f32 v193, v6, v4, v153
	v_add_f64 v[4:5], v[58:59], v[90:91]
	v_add_f64 v[6:7], v[56:57], v[88:89]
	v_cvt_f32_f64_e32 v6, v[6:7]
	v_cvt_f32_f64_e32 v4, v[4:5]
	v_min3_f32 v192, v6, v4, v148
	;; [unrolled: 5-line block ×8, first 2 shown]
	s_waitcnt lgkmcnt(0)
	v_add_f64 v[4:5], v[2:3], v[86:87]
	v_add_f64 v[6:7], v[0:1], v[84:85]
	v_cvt_f32_f64_e32 v6, v[6:7]
	v_cvt_f32_f64_e32 v4, v[4:5]
	v_min3_f32 v185, v6, v4, v143
	v_add_f64 v[4:5], v[58:59], v[86:87]
	v_add_f64 v[6:7], v[56:57], v[84:85]
	v_cvt_f32_f64_e32 v6, v[6:7]
	v_cvt_f32_f64_e32 v4, v[4:5]
	v_min3_f32 v184, v6, v4, v140
	v_add_f64 v[4:5], v[62:63], v[86:87]
	v_add_f64 v[6:7], v[60:61], v[84:85]
	v_cvt_f32_f64_e32 v6, v[6:7]
	v_cvt_f32_f64_e32 v4, v[4:5]
	v_min3_f32 v183, v6, v4, v138
	v_add_f64 v[4:5], v[66:67], v[86:87]
	v_add_f64 v[6:7], v[64:65], v[84:85]
	v_cvt_f32_f64_e32 v6, v[6:7]
	v_cvt_f32_f64_e32 v4, v[4:5]
	v_min3_f32 v182, v6, v4, v136
	v_add_f64 v[4:5], v[70:71], v[86:87]
	v_add_f64 v[6:7], v[68:69], v[84:85]
	v_cvt_f32_f64_e32 v6, v[6:7]
	v_cvt_f32_f64_e32 v4, v[4:5]
	;; [unrolled: 1-line block ×4, first 2 shown]
	v_min3_f32 v181, v6, v4, v133
	v_add_f64 v[4:5], v[74:75], v[86:87]
	v_add_f64 v[6:7], v[72:73], v[84:85]
	v_min3_f32 v124, v52, v53, s10
	ds_read_b128 v[52:55], v161 offset:5136
	v_cvt_f32_f64_e32 v6, v[6:7]
	v_cvt_f32_f64_e32 v4, v[4:5]
	v_min3_f32 v180, v6, v4, v131
	v_add_f64 v[4:5], v[78:79], v[86:87]
	v_add_f64 v[6:7], v[76:77], v[84:85]
	v_cvt_f32_f64_e32 v6, v[6:7]
	v_cvt_f32_f64_e32 v4, v[4:5]
	v_min3_f32 v179, v6, v4, v127
	v_add_f64 v[4:5], v[82:83], v[86:87]
	v_add_f64 v[6:7], v[80:81], v[84:85]
	v_cvt_f32_f64_e32 v48, v[48:49]
	v_cvt_f32_f64_e32 v49, v[50:51]
	;; [unrolled: 1-line block ×4, first 2 shown]
	v_min3_f32 v117, v48, v49, s10
	ds_read_b128 v[48:51], v161 offset:6160
	v_min3_f32 v178, v6, v4, v124
	s_waitcnt lgkmcnt(1)
	v_add_f64 v[4:5], v[2:3], v[54:55]
	v_add_f64 v[6:7], v[0:1], v[52:53]
	v_cvt_f32_f64_e32 v6, v[6:7]
	v_cvt_f32_f64_e32 v4, v[4:5]
	v_min3_f32 v177, v6, v4, v135
	v_add_f64 v[4:5], v[58:59], v[54:55]
	v_add_f64 v[6:7], v[56:57], v[52:53]
	v_cvt_f32_f64_e32 v9, v[14:15]
	v_cvt_f32_f64_e32 v10, v[10:11]
	;; [unrolled: 1-line block ×4, first 2 shown]
	v_min3_f32 v211, v9, v10, v176
	v_min3_f32 v176, v6, v4, v132
	v_add_f64 v[4:5], v[62:63], v[54:55]
	v_add_f64 v[6:7], v[60:61], v[52:53]
	v_cvt_f32_f64_e32 v6, v[6:7]
	v_cvt_f32_f64_e32 v4, v[4:5]
	v_min3_f32 v175, v6, v4, v130
	v_add_f64 v[4:5], v[66:67], v[54:55]
	v_add_f64 v[6:7], v[64:65], v[52:53]
	v_cvt_f32_f64_e32 v6, v[6:7]
	v_cvt_f32_f64_e32 v4, v[4:5]
	;; [unrolled: 5-line block ×5, first 2 shown]
	v_min3_f32 v171, v6, v4, v119
	v_add_f64 v[4:5], v[82:83], v[54:55]
	v_add_f64 v[6:7], v[80:81], v[52:53]
	;; [unrolled: 1-line block ×4, first 2 shown]
	v_cvt_f32_f64_e32 v6, v[6:7]
	v_cvt_f32_f64_e32 v4, v[4:5]
	v_cvt_f32_f64_e32 v40, v[40:41]
	v_cvt_f32_f64_e32 v41, v[42:43]
	v_min3_f32 v170, v6, v4, v117
	s_waitcnt lgkmcnt(0)
	v_add_f64 v[4:5], v[2:3], v[50:51]
	v_add_f64 v[6:7], v[0:1], v[48:49]
	;; [unrolled: 1-line block ×4, first 2 shown]
	v_min3_f32 v40, v40, v41, s10
	v_add_f64 v[34:35], v[34:35], v[38:39]
	v_add_f64 v[32:33], v[32:33], v[36:37]
	v_cvt_f32_f64_e32 v6, v[6:7]
	v_cvt_f32_f64_e32 v4, v[4:5]
	v_cvt_f32_f64_e32 v0, v[0:1]
	v_cvt_f32_f64_e32 v1, v[2:3]
	v_cvt_f32_f64_e32 v32, v[32:33]
	v_cvt_f32_f64_e32 v33, v[34:35]
	v_min3_f32 v169, v6, v4, v125
	v_add_f64 v[4:5], v[58:59], v[50:51]
	v_add_f64 v[6:7], v[56:57], v[48:49]
	v_min3_f32 v157, v0, v1, v40
	v_add_f64 v[0:1], v[58:59], v[46:47]
	v_add_f64 v[2:3], v[56:57], v[44:45]
	v_min3_f32 v32, v32, v33, s10
	v_add_f64 v[30:31], v[30:31], v[38:39]
	v_add_f64 v[28:29], v[28:29], v[36:37]
	v_cvt_f32_f64_e32 v6, v[6:7]
	v_cvt_f32_f64_e32 v4, v[4:5]
	v_cvt_f32_f64_e32 v2, v[2:3]
	v_cvt_f32_f64_e32 v0, v[0:1]
	v_cvt_f32_f64_e32 v28, v[28:29]
	v_cvt_f32_f64_e32 v29, v[30:31]
	v_min3_f32 v167, v6, v4, v122
	v_add_f64 v[4:5], v[62:63], v[50:51]
	v_add_f64 v[6:7], v[60:61], v[48:49]
	v_min3_f32 v156, v2, v0, v32
	v_add_f64 v[0:1], v[62:63], v[46:47]
	v_add_f64 v[2:3], v[60:61], v[44:45]
	;; [unrolled: 15-line block ×5, first 2 shown]
	v_min3_f32 v16, v16, v17, s10
	v_cvt_f32_f64_e32 v6, v[6:7]
	v_cvt_f32_f64_e32 v4, v[4:5]
	;; [unrolled: 1-line block ×4, first 2 shown]
	v_min3_f32 v163, v6, v4, v115
	v_add_f64 v[4:5], v[78:79], v[50:51]
	v_add_f64 v[6:7], v[76:77], v[48:49]
	v_min3_f32 v152, v2, v0, v16
	v_add_f64 v[0:1], v[78:79], v[46:47]
	v_add_f64 v[2:3], v[76:77], v[44:45]
	v_min3_f32 v12, v12, v13, s10
	v_cvt_f32_f64_e32 v6, v[6:7]
	v_cvt_f32_f64_e32 v4, v[4:5]
	;; [unrolled: 1-line block ×4, first 2 shown]
	v_min3_f32 v160, v6, v4, v114
	v_add_f64 v[4:5], v[82:83], v[50:51]
	v_add_f64 v[6:7], v[80:81], v[48:49]
	v_min3_f32 v149, v2, v0, v12
	v_add_f64 v[0:1], v[82:83], v[46:47]
	v_add_f64 v[2:3], v[80:81], v[44:45]
	v_cvt_f32_f64_e32 v6, v[6:7]
	v_cvt_f32_f64_e32 v4, v[4:5]
	;; [unrolled: 1-line block ×4, first 2 shown]
	v_min3_f32 v159, v6, v4, v113
	v_min3_f32 v148, v2, v0, v8
	s_cmp_lt_i32 s22, 9
	ds_write_b64 v168, v[102:103] offset:18432
	ds_write2st64_b64 v168, v[104:105], v[106:107] offset0:16 offset1:20
	ds_write2st64_b64 v168, v[108:109], v[110:111] offset0:24 offset1:28
	s_waitcnt lgkmcnt(0)
	s_barrier
	s_cbranch_scc1 .LBB171_57
; %bb.31:
	v_mov_b32_e32 v0, 0x4800
	v_lshl_add_u32 v217, v150, 5, v0
	v_mov_b32_e32 v0, 0x2000
	v_lshl_add_u32 v218, v151, 5, v0
	v_add_u32_e32 v0, 12, v158
	v_mad_i64_i32 v[0:1], s[10:11], v0, s38, 0
	v_lshlrev_b64 v[132:133], 3, v[0:1]
	v_add_u32_e32 v0, 8, v158
	v_mad_i64_i32 v[0:1], s[10:11], v0, s38, 0
	v_or_b32_e32 v213, 0x4000, v168
	v_add_u32_e32 v214, 0x4000, v162
	v_add_u32_e32 v215, 0x4800, v168
	v_or_b32_e32 v216, 0x2000, v168
	s_add_i32 s40, s22, -8
	v_lshl_add_u64 v[130:131], v[100:101], 3, s[36:37]
	s_add_i32 s41, s22, -1
	s_lshl_b64 s[36:37], s[38:39], 6
	v_lshlrev_b64 v[134:135], 3, v[0:1]
	s_mov_b32 s42, 0
	v_mov_b32_e32 v220, 0x7fefffff
	s_branch .LBB171_33
.LBB171_32:                             ;   in Loop: Header=BB171_33 Depth=1
	s_or_b64 exec, exec, s[10:11]
	v_add_f64 v[146:147], v[98:99], v[126:127]
	v_add_f64 v[226:227], v[96:97], v[124:125]
	v_cvt_f32_f64_e32 v225, v[226:227]
	v_cvt_f32_f64_e32 v146, v[146:147]
	v_min3_f32 v226, v225, v146, v224
	v_add_f64 v[146:147], v[94:95], v[126:127]
	v_add_f64 v[224:225], v[92:93], v[124:125]
	v_cvt_f32_f64_e32 v224, v[224:225]
	v_cvt_f32_f64_e32 v146, v[146:147]
	v_min3_f32 v227, v224, v146, v223
	;; [unrolled: 5-line block ×6, first 2 shown]
	v_add_f64 v[146:147], v[70:71], v[126:127]
	v_add_f64 v[222:223], v[68:69], v[124:125]
	;; [unrolled: 1-line block ×4, first 2 shown]
	v_cvt_f32_f64_e32 v124, v[124:125]
	v_cvt_f32_f64_e32 v125, v[126:127]
	;; [unrolled: 1-line block ×3, first 2 shown]
	v_min3_f32 v147, v124, v125, v210
	v_add_f64 v[124:125], v[98:99], v[122:123]
	v_add_f64 v[126:127], v[96:97], v[120:121]
	v_cvt_f32_f64_e32 v126, v[126:127]
	v_cvt_f32_f64_e32 v124, v[124:125]
	v_min3_f32 v209, v126, v124, v209
	v_add_f64 v[124:125], v[94:95], v[122:123]
	v_add_f64 v[126:127], v[92:93], v[120:121]
	v_cvt_f32_f64_e32 v126, v[126:127]
	v_cvt_f32_f64_e32 v124, v[124:125]
	;; [unrolled: 5-line block ×6, first 2 shown]
	v_min3_f32 v204, v126, v124, v204
	v_add_f64 v[124:125], v[70:71], v[122:123]
	v_add_f64 v[126:127], v[68:69], v[120:121]
	;; [unrolled: 1-line block ×4, first 2 shown]
	v_cvt_f32_f64_e32 v120, v[120:121]
	v_cvt_f32_f64_e32 v121, v[122:123]
	v_cvt_f32_f64_e32 v124, v[124:125]
	v_min3_f32 v125, v120, v121, v202
	v_add_f64 v[120:121], v[98:99], v[118:119]
	v_add_f64 v[122:123], v[96:97], v[116:117]
	v_cvt_f32_f64_e32 v126, v[126:127]
	v_cvt_f32_f64_e32 v122, v[122:123]
	;; [unrolled: 1-line block ×3, first 2 shown]
	v_min3_f32 v124, v126, v124, v203
	v_min3_f32 v126, v122, v120, v201
	v_add_f64 v[120:121], v[94:95], v[118:119]
	v_add_f64 v[122:123], v[92:93], v[116:117]
	v_cvt_f32_f64_e32 v122, v[122:123]
	v_cvt_f32_f64_e32 v120, v[120:121]
	v_min3_f32 v127, v122, v120, v200
	v_add_f64 v[120:121], v[90:91], v[118:119]
	v_add_f64 v[122:123], v[88:89], v[116:117]
	v_cvt_f32_f64_e32 v122, v[122:123]
	v_cvt_f32_f64_e32 v120, v[120:121]
	;; [unrolled: 5-line block ×5, first 2 shown]
	v_min3_f32 v196, v122, v120, v196
	v_add_f64 v[120:121], v[70:71], v[118:119]
	v_add_f64 v[122:123], v[68:69], v[116:117]
	;; [unrolled: 1-line block ×4, first 2 shown]
	v_cvt_f32_f64_e32 v116, v[116:117]
	v_cvt_f32_f64_e32 v117, v[118:119]
	;; [unrolled: 1-line block ×3, first 2 shown]
	v_min3_f32 v121, v116, v117, v194
	v_add_f64 v[116:117], v[98:99], v[114:115]
	v_add_f64 v[118:119], v[96:97], v[112:113]
	v_cvt_f32_f64_e32 v122, v[122:123]
	v_cvt_f32_f64_e32 v118, v[118:119]
	;; [unrolled: 1-line block ×3, first 2 shown]
	v_min3_f32 v120, v122, v120, v195
	v_min3_f32 v122, v118, v116, v193
	v_add_f64 v[116:117], v[94:95], v[114:115]
	v_add_f64 v[118:119], v[92:93], v[112:113]
	v_cvt_f32_f64_e32 v118, v[118:119]
	v_cvt_f32_f64_e32 v116, v[116:117]
	v_min3_f32 v123, v118, v116, v192
	v_add_f64 v[116:117], v[90:91], v[114:115]
	v_add_f64 v[118:119], v[88:89], v[112:113]
	v_cvt_f32_f64_e32 v118, v[118:119]
	v_cvt_f32_f64_e32 v116, v[116:117]
	v_min3_f32 v191, v118, v116, v191
	v_add_f64 v[116:117], v[82:83], v[114:115]
	v_add_f64 v[118:119], v[80:81], v[112:113]
	v_cvt_f32_f64_e32 v118, v[118:119]
	v_cvt_f32_f64_e32 v116, v[116:117]
	v_min3_f32 v190, v118, v116, v190
	v_add_f64 v[116:117], v[78:79], v[114:115]
	v_add_f64 v[118:119], v[76:77], v[112:113]
	v_cvt_f32_f64_e32 v118, v[118:119]
	v_cvt_f32_f64_e32 v116, v[116:117]
	v_min3_f32 v189, v118, v116, v189
	v_add_f64 v[116:117], v[74:75], v[114:115]
	v_add_f64 v[118:119], v[72:73], v[112:113]
	v_cvt_f32_f64_e32 v118, v[118:119]
	v_cvt_f32_f64_e32 v116, v[116:117]
	v_min3_f32 v188, v118, v116, v188
	v_add_f64 v[116:117], v[70:71], v[114:115]
	v_add_f64 v[118:119], v[68:69], v[112:113]
	v_add_f64 v[114:115], v[66:67], v[114:115]
	v_add_f64 v[112:113], v[64:65], v[112:113]
	v_cvt_f32_f64_e32 v112, v[112:113]
	v_cvt_f32_f64_e32 v113, v[114:115]
	v_min3_f32 v186, v112, v113, v186
	v_add_f64 v[112:113], v[98:99], v[110:111]
	v_add_f64 v[114:115], v[96:97], v[108:109]
	v_cvt_f32_f64_e32 v114, v[114:115]
	v_cvt_f32_f64_e32 v112, v[112:113]
	v_min3_f32 v185, v114, v112, v185
	v_add_f64 v[112:113], v[94:95], v[110:111]
	v_add_f64 v[114:115], v[92:93], v[108:109]
	v_cvt_f32_f64_e32 v114, v[114:115]
	v_cvt_f32_f64_e32 v112, v[112:113]
	v_min3_f32 v184, v114, v112, v184
	v_add_f64 v[112:113], v[90:91], v[110:111]
	v_add_f64 v[114:115], v[88:89], v[108:109]
	v_cvt_f32_f64_e32 v114, v[114:115]
	v_cvt_f32_f64_e32 v112, v[112:113]
	v_min3_f32 v183, v114, v112, v183
	v_add_f64 v[112:113], v[82:83], v[110:111]
	v_add_f64 v[114:115], v[80:81], v[108:109]
	v_cvt_f32_f64_e32 v114, v[114:115]
	v_cvt_f32_f64_e32 v112, v[112:113]
	v_min3_f32 v182, v114, v112, v182
	v_add_f64 v[112:113], v[78:79], v[110:111]
	v_add_f64 v[114:115], v[76:77], v[108:109]
	v_cvt_f32_f64_e32 v114, v[114:115]
	v_cvt_f32_f64_e32 v112, v[112:113]
	v_min3_f32 v181, v114, v112, v181
	v_add_f64 v[112:113], v[74:75], v[110:111]
	v_add_f64 v[114:115], v[72:73], v[108:109]
	v_cvt_f32_f64_e32 v114, v[114:115]
	v_cvt_f32_f64_e32 v112, v[112:113]
	v_min3_f32 v180, v114, v112, v180
	v_add_f64 v[112:113], v[70:71], v[110:111]
	v_add_f64 v[114:115], v[68:69], v[108:109]
	v_add_f64 v[110:111], v[66:67], v[110:111]
	v_add_f64 v[108:109], v[64:65], v[108:109]
	v_cvt_f32_f64_e32 v108, v[108:109]
	v_cvt_f32_f64_e32 v109, v[110:111]
	v_min3_f32 v178, v108, v109, v178
	v_add_f64 v[108:109], v[98:99], v[106:107]
	v_add_f64 v[110:111], v[96:97], v[104:105]
	v_cvt_f32_f64_e32 v110, v[110:111]
	v_cvt_f32_f64_e32 v108, v[108:109]
	;; [unrolled: 37-line block ×3, first 2 shown]
	v_min3_f32 v169, v106, v104, v169
	v_add_f64 v[104:105], v[94:95], v[102:103]
	v_add_f64 v[106:107], v[92:93], v[100:101]
	v_cvt_f32_f64_e32 v106, v[106:107]
	v_cvt_f32_f64_e32 v104, v[104:105]
	v_min3_f32 v167, v106, v104, v167
	v_add_f64 v[104:105], v[90:91], v[102:103]
	v_add_f64 v[106:107], v[88:89], v[100:101]
	v_cvt_f32_f64_e32 v106, v[106:107]
	v_cvt_f32_f64_e32 v104, v[104:105]
	;; [unrolled: 5-line block ×5, first 2 shown]
	v_min3_f32 v194, v106, v104, v163
	v_add_f64 v[104:105], v[70:71], v[102:103]
	v_add_f64 v[106:107], v[68:69], v[100:101]
	;; [unrolled: 1-line block ×8, first 2 shown]
	v_cvt_f32_f64_e32 v76, v[76:77]
	v_cvt_f32_f64_e32 v77, v[78:79]
	;; [unrolled: 1-line block ×4, first 2 shown]
	v_min3_f32 v76, v76, v77, v153
	v_min3_f32 v77, v64, v65, v148
	v_add_f64 v[64:65], v[34:35], v[62:63]
	v_add_f64 v[66:67], v[32:33], v[60:61]
	v_cvt_f32_f64_e32 v66, v[66:67]
	v_cvt_f32_f64_e32 v64, v[64:65]
	v_add_f64 v[70:71], v[70:71], v[86:87]
	v_add_f64 v[68:69], v[68:69], v[84:85]
	v_min3_f32 v201, v66, v64, v226
	v_add_f64 v[64:65], v[30:31], v[62:63]
	v_add_f64 v[66:67], v[28:29], v[60:61]
	;; [unrolled: 1-line block ×4, first 2 shown]
	v_cvt_f32_f64_e32 v68, v[68:69]
	v_cvt_f32_f64_e32 v69, v[70:71]
	;; [unrolled: 1-line block ×6, first 2 shown]
	v_min3_f32 v75, v68, v69, v149
	v_min3_f32 v64, v66, v64, v227
	v_add_f64 v[66:67], v[26:27], v[62:63]
	v_add_f64 v[68:69], v[24:25], v[60:61]
	v_cvt_f32_f64_e32 v65, v[68:69]
	v_cvt_f32_f64_e32 v66, v[66:67]
	v_min3_f32 v65, v65, v66, v224
	v_add_f64 v[66:67], v[18:19], v[62:63]
	v_add_f64 v[68:69], v[16:17], v[60:61]
	v_cvt_f32_f64_e32 v68, v[68:69]
	v_cvt_f32_f64_e32 v66, v[66:67]
	;; [unrolled: 5-line block ×4, first 2 shown]
	v_min3_f32 v74, v72, v73, v152
	v_min3_f32 v68, v70, v68, v212
	v_add_f64 v[70:71], v[6:7], v[62:63]
	v_add_f64 v[72:73], v[4:5], v[60:61]
	v_add_f64 v[62:63], v[2:3], v[62:63]
	v_add_f64 v[60:61], v[0:1], v[60:61]
	v_cvt_f32_f64_e32 v100, v[100:101]
	v_cvt_f32_f64_e32 v101, v[102:103]
	v_cvt_f32_f64_e32 v60, v[60:61]
	v_cvt_f32_f64_e32 v61, v[62:63]
	v_min3_f32 v200, v100, v101, v159
	v_min3_f32 v100, v60, v61, v147
	v_add_f64 v[60:61], v[34:35], v[58:59]
	v_add_f64 v[62:63], v[32:33], v[56:57]
	v_cvt_f32_f64_e32 v62, v[62:63]
	v_cvt_f32_f64_e32 v60, v[60:61]
	v_min3_f32 v101, v62, v60, v209
	v_add_f64 v[60:61], v[30:31], v[58:59]
	v_add_f64 v[62:63], v[28:29], v[56:57]
	v_cvt_f32_f64_e32 v62, v[62:63]
	v_cvt_f32_f64_e32 v60, v[60:61]
	v_min3_f32 v102, v62, v60, v208
	v_add_f64 v[60:61], v[26:27], v[58:59]
	v_add_f64 v[62:63], v[24:25], v[56:57]
	v_cvt_f32_f64_e32 v62, v[62:63]
	v_cvt_f32_f64_e32 v60, v[60:61]
	v_min3_f32 v103, v62, v60, v207
	v_add_f64 v[60:61], v[18:19], v[58:59]
	v_add_f64 v[62:63], v[16:17], v[56:57]
	v_cvt_f32_f64_e32 v106, v[106:107]
	v_cvt_f32_f64_e32 v104, v[104:105]
	v_cvt_f32_f64_e32 v62, v[62:63]
	v_cvt_f32_f64_e32 v60, v[60:61]
	v_min3_f32 v195, v106, v104, v160
	v_min3_f32 v104, v62, v60, v206
	v_add_f64 v[60:61], v[14:15], v[58:59]
	v_add_f64 v[62:63], v[12:13], v[56:57]
	v_cvt_f32_f64_e32 v62, v[62:63]
	v_cvt_f32_f64_e32 v60, v[60:61]
	v_min3_f32 v105, v62, v60, v205
	v_add_f64 v[60:61], v[10:11], v[58:59]
	v_add_f64 v[62:63], v[8:9], v[56:57]
	v_cvt_f32_f64_e32 v62, v[62:63]
	v_cvt_f32_f64_e32 v60, v[60:61]
	v_min3_f32 v106, v62, v60, v204
	v_add_f64 v[60:61], v[6:7], v[58:59]
	v_add_f64 v[62:63], v[4:5], v[56:57]
	v_add_f64 v[58:59], v[2:3], v[58:59]
	v_add_f64 v[56:57], v[0:1], v[56:57]
	v_cvt_f32_f64_e32 v110, v[110:111]
	v_cvt_f32_f64_e32 v108, v[108:109]
	v_cvt_f32_f64_e32 v56, v[56:57]
	v_cvt_f32_f64_e32 v57, v[58:59]
	v_min3_f32 v171, v110, v108, v171
	v_min3_f32 v108, v56, v57, v125
	v_add_f64 v[56:57], v[34:35], v[54:55]
	v_add_f64 v[58:59], v[32:33], v[52:53]
	v_cvt_f32_f64_e32 v58, v[58:59]
	v_cvt_f32_f64_e32 v56, v[56:57]
	v_min3_f32 v109, v58, v56, v126
	v_add_f64 v[56:57], v[30:31], v[54:55]
	v_add_f64 v[58:59], v[28:29], v[52:53]
	v_cvt_f32_f64_e32 v58, v[58:59]
	v_cvt_f32_f64_e32 v56, v[56:57]
	v_min3_f32 v110, v58, v56, v127
	v_add_f64 v[56:57], v[26:27], v[54:55]
	v_add_f64 v[58:59], v[24:25], v[52:53]
	v_cvt_f32_f64_e32 v58, v[58:59]
	v_cvt_f32_f64_e32 v56, v[56:57]
	v_min3_f32 v111, v58, v56, v199
	v_add_f64 v[56:57], v[18:19], v[54:55]
	v_add_f64 v[58:59], v[16:17], v[52:53]
	v_cvt_f32_f64_e32 v114, v[114:115]
	v_cvt_f32_f64_e32 v112, v[112:113]
	v_cvt_f32_f64_e32 v58, v[58:59]
	v_cvt_f32_f64_e32 v56, v[56:57]
	v_min3_f32 v179, v114, v112, v179
	v_min3_f32 v112, v58, v56, v198
	v_add_f64 v[56:57], v[14:15], v[54:55]
	v_add_f64 v[58:59], v[12:13], v[52:53]
	v_cvt_f32_f64_e32 v58, v[58:59]
	v_cvt_f32_f64_e32 v56, v[56:57]
	v_min3_f32 v113, v58, v56, v197
	v_add_f64 v[56:57], v[10:11], v[54:55]
	v_add_f64 v[58:59], v[8:9], v[52:53]
	v_cvt_f32_f64_e32 v58, v[58:59]
	v_cvt_f32_f64_e32 v56, v[56:57]
	;; [unrolled: 43-line block ×3, first 2 shown]
	v_min3_f32 v122, v54, v52, v188
	v_add_f64 v[52:53], v[6:7], v[50:51]
	v_add_f64 v[54:55], v[4:5], v[48:49]
	v_add_f64 v[50:51], v[2:3], v[50:51]
	v_add_f64 v[48:49], v[0:1], v[48:49]
	v_cvt_f32_f64_e32 v62, v[62:63]
	v_cvt_f32_f64_e32 v60, v[60:61]
	;; [unrolled: 1-line block ×4, first 2 shown]
	v_min3_f32 v107, v62, v60, v124
	v_min3_f32 v124, v48, v49, v186
	v_add_f64 v[48:49], v[34:35], v[46:47]
	v_add_f64 v[50:51], v[32:33], v[44:45]
	v_cvt_f32_f64_e32 v50, v[50:51]
	v_cvt_f32_f64_e32 v48, v[48:49]
	v_min3_f32 v125, v50, v48, v185
	v_add_f64 v[48:49], v[30:31], v[46:47]
	v_add_f64 v[50:51], v[28:29], v[44:45]
	v_cvt_f32_f64_e32 v50, v[50:51]
	v_cvt_f32_f64_e32 v48, v[48:49]
	;; [unrolled: 5-line block ×3, first 2 shown]
	v_cvt_f32_f64_e32 v222, v[222:223]
	v_min3_f32 v127, v50, v48, v183
	v_add_f64 v[48:49], v[18:19], v[46:47]
	v_add_f64 v[50:51], v[16:17], v[44:45]
	v_min3_f32 v146, v222, v146, v211
	v_cvt_f32_f64_e32 v69, v[72:73]
	v_cvt_f32_f64_e32 v70, v[70:71]
	;; [unrolled: 1-line block ×4, first 2 shown]
	v_min3_f32 v69, v69, v70, v146
	v_min3_f32 v146, v50, v48, v182
	v_add_f64 v[48:49], v[14:15], v[46:47]
	v_add_f64 v[50:51], v[12:13], v[44:45]
	v_cvt_f32_f64_e32 v50, v[50:51]
	v_cvt_f32_f64_e32 v48, v[48:49]
	v_min3_f32 v147, v50, v48, v181
	v_add_f64 v[48:49], v[10:11], v[46:47]
	v_add_f64 v[50:51], v[8:9], v[44:45]
	v_cvt_f32_f64_e32 v50, v[50:51]
	v_cvt_f32_f64_e32 v48, v[48:49]
	v_min3_f32 v148, v50, v48, v180
	v_add_f64 v[48:49], v[6:7], v[46:47]
	v_add_f64 v[50:51], v[4:5], v[44:45]
	;; [unrolled: 1-line block ×4, first 2 shown]
	v_cvt_f32_f64_e32 v44, v[44:45]
	v_cvt_f32_f64_e32 v45, v[46:47]
	v_min3_f32 v152, v44, v45, v178
	v_add_f64 v[44:45], v[34:35], v[42:43]
	v_add_f64 v[46:47], v[32:33], v[40:41]
	v_cvt_f32_f64_e32 v46, v[46:47]
	v_cvt_f32_f64_e32 v44, v[44:45]
	v_add_f64 v[82:83], v[82:83], v[86:87]
	v_add_f64 v[80:81], v[80:81], v[84:85]
	v_min3_f32 v153, v46, v44, v177
	v_add_f64 v[44:45], v[30:31], v[42:43]
	v_add_f64 v[46:47], v[28:29], v[40:41]
	v_cvt_f32_f64_e32 v80, v[80:81]
	v_cvt_f32_f64_e32 v81, v[82:83]
	v_cvt_f32_f64_e32 v46, v[46:47]
	v_cvt_f32_f64_e32 v44, v[44:45]
	v_add_f64 v[90:91], v[90:91], v[86:87]
	v_add_f64 v[88:89], v[88:89], v[84:85]
	v_min3_f32 v80, v80, v81, v154
	v_min3_f32 v154, v46, v44, v176
	v_add_f64 v[44:45], v[26:27], v[42:43]
	v_add_f64 v[46:47], v[24:25], v[40:41]
	v_cvt_f32_f64_e32 v88, v[88:89]
	v_cvt_f32_f64_e32 v89, v[90:91]
	v_cvt_f32_f64_e32 v46, v[46:47]
	v_cvt_f32_f64_e32 v44, v[44:45]
	v_add_f64 v[94:95], v[94:95], v[86:87]
	v_add_f64 v[92:93], v[92:93], v[84:85]
	v_min3_f32 v88, v88, v89, v155
	;; [unrolled: 10-line block ×3, first 2 shown]
	v_min3_f32 v156, v46, v44, v174
	v_add_f64 v[44:45], v[14:15], v[42:43]
	v_add_f64 v[46:47], v[12:13], v[40:41]
	v_cvt_f32_f64_e32 v96, v[96:97]
	v_cvt_f32_f64_e32 v97, v[98:99]
	;; [unrolled: 1-line block ×4, first 2 shown]
	v_min3_f32 v96, v96, v97, v157
	v_min3_f32 v157, v46, v44, v173
	v_add_f64 v[44:45], v[10:11], v[42:43]
	v_add_f64 v[46:47], v[8:9], v[40:41]
	v_cvt_f32_f64_e32 v46, v[46:47]
	v_cvt_f32_f64_e32 v44, v[44:45]
	v_min3_f32 v159, v46, v44, v172
	v_add_f64 v[44:45], v[6:7], v[42:43]
	v_add_f64 v[46:47], v[4:5], v[40:41]
	;; [unrolled: 1-line block ×4, first 2 shown]
	v_cvt_f32_f64_e32 v40, v[40:41]
	v_cvt_f32_f64_e32 v41, v[42:43]
	v_min3_f32 v163, v40, v41, v170
	v_add_f64 v[40:41], v[34:35], v[38:39]
	v_add_f64 v[42:43], v[32:33], v[36:37]
	v_cvt_f32_f64_e32 v42, v[42:43]
	v_cvt_f32_f64_e32 v40, v[40:41]
	v_min3_f32 v164, v42, v40, v169
	v_add_f64 v[40:41], v[30:31], v[38:39]
	v_add_f64 v[42:43], v[28:29], v[36:37]
	;; [unrolled: 5-line block ×7, first 2 shown]
	v_add_f64 v[38:39], v[2:3], v[38:39]
	v_add_f64 v[36:37], v[0:1], v[36:37]
	;; [unrolled: 1-line block ×18, first 2 shown]
	v_cvt_f32_f64_e32 v54, v[54:55]
	v_cvt_f32_f64_e32 v52, v[52:53]
	;; [unrolled: 1-line block ×24, first 2 shown]
	v_min3_f32 v123, v54, v52, v187
	v_min3_f32 v149, v50, v48, v179
	;; [unrolled: 1-line block ×12, first 2 shown]
	ds_read_b128 v[36:39], v214 offset:256
	ds_read_b128 v[32:35], v214 offset:512
	;; [unrolled: 1-line block ×12, first 2 shown]
	ds_read_b128 v[96:99], v161
	ds_read_b128 v[48:51], v214
	ds_read_b128 v[72:75], v161 offset:6144
	ds_read_b128 v[24:27], v161 offset:7168
	;; [unrolled: 1-line block ×4, first 2 shown]
	s_waitcnt lgkmcnt(5)
	v_add_f64 v[44:45], v[38:39], v[98:99]
	v_add_f64 v[46:47], v[36:37], v[96:97]
	;; [unrolled: 1-line block ×8, first 2 shown]
	v_cvt_f32_f64_e32 v46, v[46:47]
	v_cvt_f32_f64_e32 v44, v[44:45]
	;; [unrolled: 1-line block ×10, first 2 shown]
	v_min3_f32 v186, v46, v44, v64
	v_min3_f32 v187, v54, v52, v65
	;; [unrolled: 1-line block ×4, first 2 shown]
	v_add_f64 v[64:65], v[18:19], v[98:99]
	v_add_f64 v[66:67], v[16:17], v[96:97]
	v_min3_f32 v171, v42, v40, v195
	s_waitcnt lgkmcnt(4)
	v_add_f64 v[40:41], v[50:51], v[98:99]
	v_add_f64 v[42:43], v[48:49], v[96:97]
	v_cvt_f32_f64_e32 v66, v[66:67]
	v_cvt_f32_f64_e32 v64, v[64:65]
	v_add_f64 v[70:71], v[14:15], v[98:99]
	v_add_f64 v[182:183], v[12:13], v[96:97]
	;; [unrolled: 1-line block ×4, first 2 shown]
	v_min3_f32 v190, v66, v64, v68
	v_cvt_f32_f64_e32 v68, v[182:183]
	v_cvt_f32_f64_e32 v96, v[96:97]
	;; [unrolled: 1-line block ×3, first 2 shown]
	v_add_f64 v[182:183], v[50:51], v[94:95]
	v_add_f64 v[184:185], v[48:49], v[92:93]
	v_min3_f32 v192, v96, v97, v100
	v_cvt_f32_f64_e32 v100, v[184:185]
	v_cvt_f32_f64_e32 v182, v[182:183]
	v_min3_f32 v184, v100, v182, v101
	v_add_f64 v[100:101], v[38:39], v[94:95]
	v_add_f64 v[182:183], v[36:37], v[92:93]
	v_cvt_f32_f64_e32 v182, v[182:183]
	v_cvt_f32_f64_e32 v100, v[100:101]
	v_min3_f32 v185, v182, v100, v102
	v_add_f64 v[100:101], v[34:35], v[94:95]
	v_add_f64 v[182:183], v[32:33], v[92:93]
	;; [unrolled: 5-line block ×34, first 2 shown]
	v_cvt_f32_f64_e32 v102, v[102:103]
	v_cvt_f32_f64_e32 v100, v[100:101]
	v_min3_f32 v160, v102, v100, v160
	s_waitcnt lgkmcnt(3)
	v_add_f64 v[100:101], v[50:51], v[74:75]
	v_add_f64 v[102:103], v[48:49], v[72:73]
	v_cvt_f32_f64_e32 v102, v[102:103]
	v_cvt_f32_f64_e32 v100, v[100:101]
	v_min3_f32 v164, v102, v100, v164
	v_add_f64 v[100:101], v[38:39], v[74:75]
	v_add_f64 v[102:103], v[36:37], v[72:73]
	v_cvt_f32_f64_e32 v102, v[102:103]
	v_cvt_f32_f64_e32 v100, v[100:101]
	v_min3_f32 v165, v102, v100, v165
	;; [unrolled: 5-line block ×4, first 2 shown]
	v_add_f64 v[100:101], v[22:23], v[74:75]
	v_add_f64 v[102:103], v[20:21], v[72:73]
	v_cvt_f32_f64_e32 v102, v[102:103]
	v_cvt_f32_f64_e32 v100, v[100:101]
	;; [unrolled: 1-line block ×4, first 2 shown]
	v_min3_f32 v226, v102, v100, v169
	v_add_f64 v[100:101], v[18:19], v[74:75]
	v_add_f64 v[102:103], v[16:17], v[72:73]
	v_min3_f32 v181, v42, v40, v201
	ds_read_b128 v[40:43], v214 offset:272
	v_cvt_f32_f64_e32 v102, v[102:103]
	v_cvt_f32_f64_e32 v100, v[100:101]
	v_add_f64 v[94:95], v[10:11], v[94:95]
	v_add_f64 v[92:93], v[8:9], v[92:93]
	v_add_f64 v[90:91], v[10:11], v[90:91]
	v_add_f64 v[88:89], v[8:9], v[88:89]
	v_add_f64 v[86:87], v[10:11], v[86:87]
	v_add_f64 v[84:85], v[8:9], v[84:85]
	v_add_f64 v[82:83], v[10:11], v[82:83]
	v_add_f64 v[80:81], v[8:9], v[80:81]
	v_add_f64 v[78:79], v[10:11], v[78:79]
	v_add_f64 v[76:77], v[8:9], v[76:77]
	v_min3_f32 v227, v102, v100, v170
	v_add_f64 v[100:101], v[14:15], v[74:75]
	v_add_f64 v[102:103], v[12:13], v[72:73]
	;; [unrolled: 1-line block ×4, first 2 shown]
	s_waitcnt lgkmcnt(3)
	v_add_f64 v[14:15], v[14:15], v[26:27]
	v_add_f64 v[12:13], v[12:13], v[24:25]
	;; [unrolled: 1-line block ×4, first 2 shown]
	ds_read_b128 v[44:47], v214 offset:528
	ds_read_b128 v[52:55], v214 offset:784
	v_cvt_f32_f64_e32 v12, v[12:13]
	v_cvt_f32_f64_e32 v13, v[14:15]
	;; [unrolled: 1-line block ×4, first 2 shown]
	v_min3_f32 v12, v12, v13, v179
	v_min3_f32 v13, v8, v9, v180
	s_waitcnt lgkmcnt(3)
	v_add_f64 v[8:9], v[2:3], v[6:7]
	v_add_f64 v[10:11], v[0:1], v[4:5]
	v_cvt_f32_f64_e32 v72, v[72:73]
	v_cvt_f32_f64_e32 v73, v[74:75]
	;; [unrolled: 1-line block ×5, first 2 shown]
	v_min3_f32 v101, v72, v73, v172
	ds_read_b128 v[72:75], v161 offset:7184
	v_min3_f32 v224, v10, v8, v181
	s_waitcnt lgkmcnt(3)
	v_add_f64 v[8:9], v[42:43], v[6:7]
	v_add_f64 v[10:11], v[40:41], v[4:5]
	ds_read_b128 v[56:59], v214 offset:1040
	ds_read_b128 v[60:63], v214 offset:1296
	v_cvt_f32_f64_e32 v10, v[10:11]
	v_cvt_f32_f64_e32 v8, v[8:9]
	v_min3_f32 v223, v10, v8, v186
	s_waitcnt lgkmcnt(4)
	v_add_f64 v[8:9], v[46:47], v[6:7]
	v_add_f64 v[10:11], v[44:45], v[4:5]
	v_cvt_f32_f64_e32 v10, v[10:11]
	v_cvt_f32_f64_e32 v8, v[8:9]
	;; [unrolled: 1-line block ×3, first 2 shown]
	v_min3_f32 v222, v10, v8, v187
	s_waitcnt lgkmcnt(3)
	v_add_f64 v[8:9], v[54:55], v[6:7]
	v_add_f64 v[10:11], v[52:53], v[4:5]
	ds_read_b128 v[64:67], v214 offset:1552
	v_min3_f32 v191, v68, v70, v69
	ds_read_b128 v[68:71], v214 offset:1808
	v_cvt_f32_f64_e32 v10, v[10:11]
	v_cvt_f32_f64_e32 v8, v[8:9]
	v_min3_f32 v221, v10, v8, v188
	s_waitcnt lgkmcnt(3)
	v_add_f64 v[8:9], v[58:59], v[6:7]
	v_add_f64 v[10:11], v[56:57], v[4:5]
	ds_read_b128 v[96:99], v161 offset:1040
	v_cvt_f32_f64_e32 v10, v[10:11]
	v_cvt_f32_f64_e32 v8, v[8:9]
	v_min3_f32 v219, v10, v8, v189
	s_waitcnt lgkmcnt(3)
	v_add_f64 v[8:9], v[62:63], v[6:7]
	v_add_f64 v[10:11], v[60:61], v[4:5]
	v_cvt_f32_f64_e32 v10, v[10:11]
	v_cvt_f32_f64_e32 v8, v[8:9]
	v_min3_f32 v212, v10, v8, v190
	s_waitcnt lgkmcnt(2)
	v_add_f64 v[8:9], v[66:67], v[6:7]
	v_add_f64 v[10:11], v[64:65], v[4:5]
	s_waitcnt lgkmcnt(1)
	v_add_f64 v[6:7], v[70:71], v[6:7]
	v_add_f64 v[4:5], v[68:69], v[4:5]
	v_cvt_f32_f64_e32 v92, v[92:93]
	v_cvt_f32_f64_e32 v93, v[94:95]
	;; [unrolled: 1-line block ×4, first 2 shown]
	v_min3_f32 v108, v92, v93, v108
	ds_read_b128 v[92:95], v161 offset:2064
	v_min3_f32 v210, v4, v5, v192
	s_waitcnt lgkmcnt(1)
	v_add_f64 v[4:5], v[2:3], v[98:99]
	v_add_f64 v[6:7], v[0:1], v[96:97]
	v_cvt_f32_f64_e32 v6, v[6:7]
	v_cvt_f32_f64_e32 v4, v[4:5]
	v_min3_f32 v209, v6, v4, v184
	v_add_f64 v[4:5], v[42:43], v[98:99]
	v_add_f64 v[6:7], v[40:41], v[96:97]
	v_cvt_f32_f64_e32 v6, v[6:7]
	v_cvt_f32_f64_e32 v4, v[4:5]
	v_min3_f32 v208, v6, v4, v185
	;; [unrolled: 5-line block ×8, first 2 shown]
	s_waitcnt lgkmcnt(0)
	v_add_f64 v[4:5], v[2:3], v[94:95]
	v_add_f64 v[6:7], v[0:1], v[92:93]
	v_cvt_f32_f64_e32 v6, v[6:7]
	v_cvt_f32_f64_e32 v4, v[4:5]
	v_min3_f32 v201, v6, v4, v109
	v_add_f64 v[4:5], v[42:43], v[94:95]
	v_add_f64 v[6:7], v[40:41], v[92:93]
	v_cvt_f32_f64_e32 v6, v[6:7]
	v_cvt_f32_f64_e32 v4, v[4:5]
	v_min3_f32 v200, v6, v4, v110
	;; [unrolled: 5-line block ×4, first 2 shown]
	v_add_f64 v[4:5], v[58:59], v[94:95]
	v_add_f64 v[6:7], v[56:57], v[92:93]
	v_cvt_f32_f64_e32 v6, v[6:7]
	v_cvt_f32_f64_e32 v4, v[4:5]
	v_cvt_f32_f64_e32 v88, v[88:89]
	v_cvt_f32_f64_e32 v89, v[90:91]
	v_min3_f32 v197, v6, v4, v113
	v_add_f64 v[4:5], v[62:63], v[94:95]
	v_add_f64 v[6:7], v[60:61], v[92:93]
	v_min3_f32 v116, v88, v89, v116
	ds_read_b128 v[88:91], v161 offset:3088
	v_cvt_f32_f64_e32 v6, v[6:7]
	v_cvt_f32_f64_e32 v4, v[4:5]
	v_min3_f32 v196, v6, v4, v114
	v_add_f64 v[4:5], v[66:67], v[94:95]
	v_add_f64 v[6:7], v[64:65], v[92:93]
	v_cvt_f32_f64_e32 v6, v[6:7]
	v_cvt_f32_f64_e32 v4, v[4:5]
	v_min3_f32 v195, v6, v4, v115
	v_add_f64 v[4:5], v[70:71], v[94:95]
	v_add_f64 v[6:7], v[68:69], v[92:93]
	v_cvt_f32_f64_e32 v84, v[84:85]
	v_cvt_f32_f64_e32 v85, v[86:87]
	;; [unrolled: 1-line block ×4, first 2 shown]
	v_min3_f32 v124, v84, v85, v124
	ds_read_b128 v[84:87], v161 offset:4112
	v_min3_f32 v194, v6, v4, v116
	s_waitcnt lgkmcnt(1)
	v_add_f64 v[4:5], v[2:3], v[90:91]
	v_add_f64 v[6:7], v[0:1], v[88:89]
	v_cvt_f32_f64_e32 v6, v[6:7]
	v_cvt_f32_f64_e32 v4, v[4:5]
	v_min3_f32 v193, v6, v4, v117
	v_add_f64 v[4:5], v[42:43], v[90:91]
	v_add_f64 v[6:7], v[40:41], v[88:89]
	v_cvt_f32_f64_e32 v6, v[6:7]
	v_cvt_f32_f64_e32 v4, v[4:5]
	v_min3_f32 v192, v6, v4, v118
	v_add_f64 v[4:5], v[46:47], v[90:91]
	v_add_f64 v[6:7], v[44:45], v[88:89]
	v_cvt_f32_f64_e32 v10, v[10:11]
	v_cvt_f32_f64_e32 v8, v[8:9]
	;; [unrolled: 1-line block ×4, first 2 shown]
	v_min3_f32 v211, v10, v8, v191
	v_min3_f32 v191, v6, v4, v119
	v_add_f64 v[4:5], v[54:55], v[90:91]
	v_add_f64 v[6:7], v[52:53], v[88:89]
	v_cvt_f32_f64_e32 v6, v[6:7]
	v_cvt_f32_f64_e32 v4, v[4:5]
	v_min3_f32 v190, v6, v4, v120
	v_add_f64 v[4:5], v[58:59], v[90:91]
	v_add_f64 v[6:7], v[56:57], v[88:89]
	v_cvt_f32_f64_e32 v6, v[6:7]
	v_cvt_f32_f64_e32 v4, v[4:5]
	;; [unrolled: 5-line block ×5, first 2 shown]
	v_min3_f32 v186, v6, v4, v124
	s_waitcnt lgkmcnt(0)
	v_add_f64 v[4:5], v[2:3], v[86:87]
	v_add_f64 v[6:7], v[0:1], v[84:85]
	v_cvt_f32_f64_e32 v6, v[6:7]
	v_cvt_f32_f64_e32 v4, v[4:5]
	v_min3_f32 v185, v6, v4, v125
	v_add_f64 v[4:5], v[42:43], v[86:87]
	v_add_f64 v[6:7], v[40:41], v[84:85]
	v_cvt_f32_f64_e32 v6, v[6:7]
	v_cvt_f32_f64_e32 v4, v[4:5]
	v_min3_f32 v184, v6, v4, v126
	v_add_f64 v[4:5], v[46:47], v[86:87]
	v_add_f64 v[6:7], v[44:45], v[84:85]
	v_cvt_f32_f64_e32 v6, v[6:7]
	v_cvt_f32_f64_e32 v4, v[4:5]
	v_min3_f32 v183, v6, v4, v127
	v_add_f64 v[4:5], v[54:55], v[86:87]
	v_add_f64 v[6:7], v[52:53], v[84:85]
	v_cvt_f32_f64_e32 v6, v[6:7]
	v_cvt_f32_f64_e32 v4, v[4:5]
	v_min3_f32 v182, v6, v4, v146
	v_add_f64 v[4:5], v[58:59], v[86:87]
	v_add_f64 v[6:7], v[56:57], v[84:85]
	v_cvt_f32_f64_e32 v6, v[6:7]
	v_cvt_f32_f64_e32 v4, v[4:5]
	;; [unrolled: 1-line block ×4, first 2 shown]
	v_min3_f32 v181, v6, v4, v147
	v_add_f64 v[4:5], v[62:63], v[86:87]
	v_add_f64 v[6:7], v[60:61], v[84:85]
	v_min3_f32 v152, v80, v81, v152
	ds_read_b128 v[80:83], v161 offset:5136
	v_cvt_f32_f64_e32 v6, v[6:7]
	v_cvt_f32_f64_e32 v4, v[4:5]
	v_min3_f32 v180, v6, v4, v148
	v_add_f64 v[4:5], v[66:67], v[86:87]
	v_add_f64 v[6:7], v[64:65], v[84:85]
	v_cvt_f32_f64_e32 v6, v[6:7]
	v_cvt_f32_f64_e32 v4, v[4:5]
	v_add_f64 v[18:19], v[18:19], v[26:27]
	v_add_f64 v[16:17], v[16:17], v[24:25]
	v_min3_f32 v179, v6, v4, v149
	v_add_f64 v[4:5], v[70:71], v[86:87]
	v_add_f64 v[6:7], v[68:69], v[84:85]
	v_cvt_f32_f64_e32 v76, v[76:77]
	v_cvt_f32_f64_e32 v77, v[78:79]
	;; [unrolled: 1-line block ×6, first 2 shown]
	v_min3_f32 v163, v76, v77, v163
	ds_read_b128 v[76:79], v161 offset:6160
	v_add_f64 v[22:23], v[22:23], v[26:27]
	v_add_f64 v[20:21], v[20:21], v[24:25]
	v_min3_f32 v16, v16, v17, v178
	v_min3_f32 v178, v6, v4, v152
	s_waitcnt lgkmcnt(1)
	v_add_f64 v[4:5], v[2:3], v[82:83]
	v_add_f64 v[6:7], v[0:1], v[80:81]
	v_cvt_f32_f64_e32 v20, v[20:21]
	v_cvt_f32_f64_e32 v21, v[22:23]
	v_cvt_f32_f64_e32 v6, v[6:7]
	v_cvt_f32_f64_e32 v4, v[4:5]
	v_add_f64 v[30:31], v[30:31], v[26:27]
	v_add_f64 v[28:29], v[28:29], v[24:25]
	v_min3_f32 v20, v20, v21, v177
	v_min3_f32 v177, v6, v4, v153
	v_add_f64 v[4:5], v[42:43], v[82:83]
	v_add_f64 v[6:7], v[40:41], v[80:81]
	v_cvt_f32_f64_e32 v28, v[28:29]
	v_cvt_f32_f64_e32 v29, v[30:31]
	v_cvt_f32_f64_e32 v6, v[6:7]
	v_cvt_f32_f64_e32 v4, v[4:5]
	v_add_f64 v[34:35], v[34:35], v[26:27]
	v_add_f64 v[32:33], v[32:33], v[24:25]
	v_min3_f32 v28, v28, v29, v176
	v_min3_f32 v176, v6, v4, v154
	;; [unrolled: 10-line block ×4, first 2 shown]
	v_add_f64 v[4:5], v[58:59], v[82:83]
	v_add_f64 v[6:7], v[56:57], v[80:81]
	v_cvt_f32_f64_e32 v48, v[48:49]
	v_cvt_f32_f64_e32 v49, v[50:51]
	;; [unrolled: 1-line block ×4, first 2 shown]
	v_min3_f32 v48, v48, v49, v173
	v_min3_f32 v173, v6, v4, v157
	v_add_f64 v[4:5], v[62:63], v[82:83]
	v_add_f64 v[6:7], v[60:61], v[80:81]
	v_cvt_f32_f64_e32 v6, v[6:7]
	v_cvt_f32_f64_e32 v4, v[4:5]
	v_min3_f32 v172, v6, v4, v159
	v_add_f64 v[4:5], v[66:67], v[82:83]
	v_add_f64 v[6:7], v[64:65], v[80:81]
	v_cvt_f32_f64_e32 v102, v[102:103]
	v_cvt_f32_f64_e32 v6, v[6:7]
	;; [unrolled: 1-line block ×3, first 2 shown]
	v_min3_f32 v100, v102, v100, v171
	v_min3_f32 v171, v6, v4, v160
	v_add_f64 v[4:5], v[70:71], v[82:83]
	v_add_f64 v[6:7], v[68:69], v[80:81]
	v_cvt_f32_f64_e32 v6, v[6:7]
	v_cvt_f32_f64_e32 v4, v[4:5]
	v_min3_f32 v170, v6, v4, v163
	s_waitcnt lgkmcnt(0)
	v_add_f64 v[4:5], v[2:3], v[78:79]
	v_add_f64 v[6:7], v[0:1], v[76:77]
	;; [unrolled: 1-line block ×4, first 2 shown]
	v_cvt_f32_f64_e32 v6, v[6:7]
	v_cvt_f32_f64_e32 v4, v[4:5]
	v_cvt_f32_f64_e32 v0, v[0:1]
	v_cvt_f32_f64_e32 v1, v[2:3]
	v_min3_f32 v169, v6, v4, v164
	v_add_f64 v[4:5], v[42:43], v[78:79]
	v_add_f64 v[6:7], v[40:41], v[76:77]
	v_min3_f32 v157, v0, v1, v48
	v_add_f64 v[0:1], v[42:43], v[74:75]
	v_add_f64 v[2:3], v[40:41], v[72:73]
	v_cvt_f32_f64_e32 v6, v[6:7]
	v_cvt_f32_f64_e32 v4, v[4:5]
	v_cvt_f32_f64_e32 v2, v[2:3]
	v_cvt_f32_f64_e32 v0, v[0:1]
	v_min3_f32 v167, v6, v4, v165
	v_add_f64 v[4:5], v[46:47], v[78:79]
	v_add_f64 v[6:7], v[44:45], v[76:77]
	v_min3_f32 v156, v2, v0, v36
	v_add_f64 v[0:1], v[46:47], v[74:75]
	v_add_f64 v[2:3], v[44:45], v[72:73]
	;; [unrolled: 10-line block ×7, first 2 shown]
	v_cvt_f32_f64_e32 v6, v[6:7]
	v_cvt_f32_f64_e32 v4, v[4:5]
	;; [unrolled: 1-line block ×4, first 2 shown]
	s_add_i32 s42, s42, 8
	v_min3_f32 v159, v6, v4, v101
	v_min3_f32 v148, v2, v0, v13
	s_cmp_ge_i32 s42, s40
	v_lshl_add_u64 v[130:131], v[130:131], 0, s[36:37]
	ds_write_b64 v215, v[136:137]
	ds_write2st64_b64 v216, v[138:139], v[140:141] offset1:4
	ds_write2st64_b64 v216, v[142:143], v[144:145] offset0:8 offset1:12
	s_waitcnt lgkmcnt(0)
	s_barrier
	s_cbranch_scc1 .LBB171_57
.LBB171_33:                             ; =>This Inner Loop Header: Depth=1
	v_add_u32_e32 v146, s42, v158
	v_add_u32_e32 v0, 8, v146
	v_cmp_le_i32_e64 s[10:11], s22, v0
	s_or_b64 s[12:13], vcc, s[10:11]
	s_nor_b64 s[38:39], s[34:35], s[12:13]
                                        ; implicit-def: $vgpr136_vgpr137
	s_and_saveexec_b64 s[44:45], s[38:39]
	s_xor_b64 s[38:39], exec, s[44:45]
	s_cbranch_execz .LBB171_35
; %bb.34:                               ;   in Loop: Header=BB171_33 Depth=1
	v_lshl_add_u64 v[2:3], v[130:131], 0, v[134:135]
	global_load_dwordx2 v[2:3], v[2:3], off
	s_waitcnt vmcnt(0)
	v_mul_f64 v[136:137], s[28:29], v[2:3]
.LBB171_35:                             ;   in Loop: Header=BB171_33 Depth=1
	s_andn2_saveexec_b64 s[38:39], s[38:39]
; %bb.36:                               ;   in Loop: Header=BB171_33 Depth=1
	v_cndmask_b32_e64 v137, 0, v220, s[12:13]
	v_cndmask_b32_e64 v136, 0, -1, s[12:13]
; %bb.37:                               ;   in Loop: Header=BB171_33 Depth=1
	s_or_b64 exec, exec, s[38:39]
	v_min_i32_e32 v0, s41, v0
	v_mad_i64_i32 v[0:1], s[12:13], v0, s23, 0
	v_lshl_add_u64 v[0:1], v[0:1], 3, s[30:31]
	s_or_b64 s[12:13], s[2:3], s[10:11]
	v_cndmask_b32_e64 v139, 0, v220, s[12:13]
	s_nor_b64 s[38:39], s[34:35], s[12:13]
	v_cndmask_b32_e64 v138, 0, -1, s[12:13]
	v_lshl_add_u64 v[0:1], v[128:129], 3, v[0:1]
	s_and_saveexec_b64 s[12:13], s[38:39]
	s_cbranch_execz .LBB171_39
; %bb.38:                               ;   in Loop: Header=BB171_33 Depth=1
	global_load_dwordx2 v[2:3], v[0:1], off
	s_waitcnt vmcnt(0)
	v_mul_f64 v[138:139], s[28:29], v[2:3]
.LBB171_39:                             ;   in Loop: Header=BB171_33 Depth=1
	s_or_b64 exec, exec, s[12:13]
	s_or_b64 s[12:13], s[4:5], s[10:11]
	v_cndmask_b32_e64 v141, 0, v220, s[12:13]
	s_nor_b64 s[38:39], s[34:35], s[12:13]
	v_cndmask_b32_e64 v140, 0, -1, s[12:13]
	s_and_saveexec_b64 s[12:13], s[38:39]
	s_cbranch_execz .LBB171_41
; %bb.40:                               ;   in Loop: Header=BB171_33 Depth=1
	global_load_dwordx2 v[2:3], v[0:1], off offset:512
	s_waitcnt vmcnt(0)
	v_mul_f64 v[140:141], s[28:29], v[2:3]
.LBB171_41:                             ;   in Loop: Header=BB171_33 Depth=1
	s_or_b64 exec, exec, s[12:13]
	s_or_b64 s[12:13], s[6:7], s[10:11]
	v_cndmask_b32_e64 v143, 0, v220, s[12:13]
	s_nor_b64 s[38:39], s[34:35], s[12:13]
	v_cndmask_b32_e64 v142, 0, -1, s[12:13]
	s_and_saveexec_b64 s[12:13], s[38:39]
	s_cbranch_execz .LBB171_43
; %bb.42:                               ;   in Loop: Header=BB171_33 Depth=1
	global_load_dwordx2 v[2:3], v[0:1], off offset:1024
	s_waitcnt vmcnt(0)
	v_mul_f64 v[142:143], s[28:29], v[2:3]
.LBB171_43:                             ;   in Loop: Header=BB171_33 Depth=1
	;; [unrolled: 12-line block ×3, first 2 shown]
	s_or_b64 exec, exec, s[10:11]
	ds_read_b128 v[124:127], v218
	ds_read_b128 v[60:63], v218 offset:16
	ds_read_b128 v[96:99], v217
	ds_read_b128 v[32:35], v217 offset:16
	ds_read_b128 v[92:95], v217 offset:256
	;; [unrolled: 1-line block ×29, first 2 shown]
	ds_write_b64 v213, v[136:137]
	ds_write2st64_b64 v168, v[138:139], v[140:141] offset1:4
	ds_write2st64_b64 v168, v[142:143], v[144:145] offset0:8 offset1:12
	v_add_u32_e32 v138, 12, v146
	v_cmp_le_i32_e64 s[10:11], s22, v138
	s_or_b64 s[12:13], vcc, s[10:11]
	s_nor_b64 s[38:39], s[34:35], s[12:13]
	s_waitcnt lgkmcnt(0)
	s_barrier
                                        ; implicit-def: $vgpr136_vgpr137
	s_and_saveexec_b64 s[44:45], s[38:39]
	s_xor_b64 s[38:39], exec, s[44:45]
	s_cbranch_execz .LBB171_47
; %bb.46:                               ;   in Loop: Header=BB171_33 Depth=1
	v_lshl_add_u64 v[136:137], v[130:131], 0, v[132:133]
	global_load_dwordx2 v[136:137], v[136:137], off
	s_waitcnt vmcnt(0)
	v_mul_f64 v[136:137], s[28:29], v[136:137]
.LBB171_47:                             ;   in Loop: Header=BB171_33 Depth=1
	s_andn2_saveexec_b64 s[38:39], s[38:39]
; %bb.48:                               ;   in Loop: Header=BB171_33 Depth=1
	v_cndmask_b32_e64 v137, 0, v220, s[12:13]
	v_cndmask_b32_e64 v136, 0, -1, s[12:13]
; %bb.49:                               ;   in Loop: Header=BB171_33 Depth=1
	s_or_b64 exec, exec, s[38:39]
	v_min_i32_e32 v138, s41, v138
	v_mad_i64_i32 v[138:139], s[12:13], v138, s23, 0
	v_lshl_add_u64 v[140:141], v[138:139], 3, s[30:31]
	s_or_b64 s[12:13], s[2:3], s[10:11]
	v_cndmask_b32_e64 v139, 0, v220, s[12:13]
	s_nor_b64 s[38:39], s[34:35], s[12:13]
	v_cndmask_b32_e64 v138, 0, -1, s[12:13]
	v_lshl_add_u64 v[146:147], v[128:129], 3, v[140:141]
	s_and_saveexec_b64 s[12:13], s[38:39]
	s_cbranch_execz .LBB171_51
; %bb.50:                               ;   in Loop: Header=BB171_33 Depth=1
	global_load_dwordx2 v[138:139], v[146:147], off
	s_waitcnt vmcnt(0)
	v_mul_f64 v[138:139], s[28:29], v[138:139]
.LBB171_51:                             ;   in Loop: Header=BB171_33 Depth=1
	s_or_b64 exec, exec, s[12:13]
	s_or_b64 s[12:13], s[4:5], s[10:11]
	v_cndmask_b32_e64 v141, 0, v220, s[12:13]
	s_nor_b64 s[38:39], s[34:35], s[12:13]
	v_cndmask_b32_e64 v140, 0, -1, s[12:13]
	s_and_saveexec_b64 s[12:13], s[38:39]
	s_cbranch_execz .LBB171_53
; %bb.52:                               ;   in Loop: Header=BB171_33 Depth=1
	global_load_dwordx2 v[140:141], v[146:147], off offset:512
	s_waitcnt vmcnt(0)
	v_mul_f64 v[140:141], s[28:29], v[140:141]
.LBB171_53:                             ;   in Loop: Header=BB171_33 Depth=1
	s_or_b64 exec, exec, s[12:13]
	s_or_b64 s[12:13], s[6:7], s[10:11]
	v_cndmask_b32_e64 v143, 0, v220, s[12:13]
	s_nor_b64 s[38:39], s[34:35], s[12:13]
	v_cndmask_b32_e64 v142, 0, -1, s[12:13]
	s_and_saveexec_b64 s[12:13], s[38:39]
	s_cbranch_execz .LBB171_55
; %bb.54:                               ;   in Loop: Header=BB171_33 Depth=1
	global_load_dwordx2 v[142:143], v[146:147], off offset:1024
	s_waitcnt vmcnt(0)
	v_mul_f64 v[142:143], s[28:29], v[142:143]
.LBB171_55:                             ;   in Loop: Header=BB171_33 Depth=1
	s_or_b64 exec, exec, s[12:13]
	s_or_b64 s[10:11], s[8:9], s[10:11]
	v_cndmask_b32_e64 v145, 0, v220, s[10:11]
	s_nor_b64 s[12:13], s[34:35], s[10:11]
	v_cndmask_b32_e64 v144, 0, -1, s[10:11]
	s_and_saveexec_b64 s[10:11], s[12:13]
	s_cbranch_execz .LBB171_32
; %bb.56:                               ;   in Loop: Header=BB171_33 Depth=1
	global_load_dwordx2 v[144:145], v[146:147], off offset:1536
	s_waitcnt vmcnt(0)
	v_mul_f64 v[144:145], s[28:29], v[144:145]
	s_branch .LBB171_32
.LBB171_57:
	s_load_dwordx2 s[2:3], s[0:1], 0x78
	s_load_dword s31, s[0:1], 0x58
	s_load_dword s30, s[0:1], 0x70
	ds_read_b128 v[68:71], v162 offset:18432
	ds_read_b128 v[64:67], v162 offset:18448
	;; [unrolled: 1-line block ×32, first 2 shown]
	v_add_u32_e32 v128, s19, v150
	s_waitcnt lgkmcnt(0)
	s_mul_i32 s1, s3, s18
	s_mul_hi_u32 s3, s2, s18
	s_mul_i32 s0, s2, s18
	s_add_i32 s1, s3, s1
	s_lshl_b64 s[0:1], s[0:1], 3
	s_add_u32 s22, s14, s0
	v_add_u32_e32 v150, s33, v151
	s_addc_u32 s23, s15, s1
	v_mad_i64_i32 v[130:131], s[0:1], v150, s31, 0
	v_lshl_add_u64 v[146:147], v[130:131], 3, s[26:27]
	v_mad_i64_i32 v[130:131], s[0:1], v150, s30, 0
	v_cmp_gt_i32_e64 s[2:3], s20, v128
	v_cmp_gt_i32_e64 s[18:19], s21, v150
	v_lshl_add_u64 v[144:145], v[130:131], 3, s[22:23]
	v_cndmask_b32_e64 v130, 0, 1, s[16:17]
	v_ashrrev_i32_e32 v129, 31, v128
	s_and_b64 s[6:7], s[2:3], s[18:19]
	v_cmp_ne_u32_e64 s[0:1], 1, v130
	s_and_saveexec_b64 s[4:5], s[6:7]
	s_cbranch_execz .LBB171_62
; %bb.58:
	s_and_b64 vcc, exec, s[0:1]
	s_cbranch_vccnz .LBB171_60
; %bb.59:
	v_lshl_add_u64 v[130:131], v[128:129], 3, v[146:147]
	global_load_dwordx2 v[130:131], v[130:131], off
	s_waitcnt vmcnt(0)
	v_mul_f64 v[130:131], s[24:25], v[130:131]
	v_cvt_f32_f64_e32 v130, v[130:131]
	s_branch .LBB171_61
.LBB171_60:
	v_mov_b32_e32 v130, 0
.LBB171_61:
	v_add_f64 v[132:133], v[70:71], v[126:127]
	v_add_f64 v[134:135], v[68:69], v[124:125]
	v_cvt_f32_f64_e32 v131, v[134:135]
	v_cvt_f32_f64_e32 v132, v[132:133]
	v_min3_f32 v131, v131, v132, v224
	v_add_f64 v[132:133], v[66:67], v[122:123]
	v_add_f64 v[134:135], v[64:65], v[120:121]
	v_cvt_f32_f64_e32 v134, v[134:135]
	v_cvt_f32_f64_e32 v132, v[132:133]
	v_min_f32_e32 v132, v134, v132
	v_min3_f32 v130, v130, v132, v131
	v_cvt_f64_f32_e32 v[130:131], v130
	v_lshl_add_u64 v[132:133], v[128:129], 3, v[144:145]
	global_store_dwordx2 v[132:133], v[130:131], off
.LBB171_62:
	s_or_b64 exec, exec, s[4:5]
	v_add_u32_e32 v130, 8, v128
	v_cmp_gt_i32_e64 s[4:5], s20, v130
	v_ashrrev_i32_e32 v131, 31, v130
	s_and_b64 s[8:9], s[4:5], s[18:19]
	s_and_saveexec_b64 s[6:7], s[8:9]
	s_cbranch_execz .LBB171_67
; %bb.63:
	s_and_b64 vcc, exec, s[0:1]
	s_cbranch_vccnz .LBB171_65
; %bb.64:
	v_lshl_add_u64 v[132:133], v[130:131], 3, v[146:147]
	global_load_dwordx2 v[132:133], v[132:133], off
	s_waitcnt vmcnt(0)
	v_mul_f64 v[132:133], s[24:25], v[132:133]
	v_cvt_f32_f64_e32 v132, v[132:133]
	s_branch .LBB171_66
.LBB171_65:
	v_mov_b32_e32 v132, 0
.LBB171_66:
	v_add_f64 v[134:135], v[62:63], v[126:127]
	v_add_f64 v[136:137], v[60:61], v[124:125]
	v_cvt_f32_f64_e32 v133, v[136:137]
	v_cvt_f32_f64_e32 v134, v[134:135]
	v_min3_f32 v133, v133, v134, v223
	v_add_f64 v[134:135], v[58:59], v[122:123]
	v_add_f64 v[136:137], v[56:57], v[120:121]
	v_cvt_f32_f64_e32 v136, v[136:137]
	v_cvt_f32_f64_e32 v134, v[134:135]
	v_min_f32_e32 v134, v136, v134
	v_min3_f32 v132, v132, v134, v133
	v_cvt_f64_f32_e32 v[132:133], v132
	v_lshl_add_u64 v[134:135], v[130:131], 3, v[144:145]
	global_store_dwordx2 v[134:135], v[132:133], off
.LBB171_67:
	s_or_b64 exec, exec, s[6:7]
	v_add_u32_e32 v132, 16, v128
	v_cmp_gt_i32_e64 s[6:7], s20, v132
	v_ashrrev_i32_e32 v133, 31, v132
	s_and_b64 s[10:11], s[6:7], s[18:19]
	;; [unrolled: 35-line block ×6, first 2 shown]
	s_and_saveexec_b64 s[16:17], s[28:29]
	s_cbranch_execz .LBB171_92
; %bb.88:
	s_and_b64 vcc, exec, s[0:1]
	s_cbranch_vccnz .LBB171_90
; %bb.89:
	v_lshl_add_u64 v[142:143], v[140:141], 3, v[146:147]
	global_load_dwordx2 v[142:143], v[142:143], off
	s_waitcnt vmcnt(0)
	v_mul_f64 v[142:143], s[24:25], v[142:143]
	v_cvt_f32_f64_e32 v142, v[142:143]
	s_branch .LBB171_91
.LBB171_90:
	v_mov_b32_e32 v142, 0
.LBB171_91:
	v_add_f64 v[212:213], v[22:23], v[126:127]
	v_add_f64 v[214:215], v[20:21], v[124:125]
	v_cvt_f32_f64_e32 v143, v[214:215]
	v_cvt_f32_f64_e32 v151, v[212:213]
	v_add_f64 v[212:213], v[18:19], v[122:123]
	v_add_f64 v[214:215], v[16:17], v[120:121]
	v_min3_f32 v143, v143, v151, v211
	v_cvt_f32_f64_e32 v151, v[214:215]
	v_cvt_f32_f64_e32 v158, v[212:213]
	v_min_f32_e32 v151, v151, v158
	v_min3_f32 v142, v142, v151, v143
	v_cvt_f64_f32_e32 v[142:143], v142
	v_lshl_add_u64 v[212:213], v[140:141], 3, v[144:145]
	global_store_dwordx2 v[212:213], v[142:143], off
.LBB171_92:
	s_or_b64 exec, exec, s[16:17]
	v_add_u32_e32 v142, 56, v128
	v_cmp_gt_i32_e64 s[16:17], s20, v142
	v_ashrrev_i32_e32 v143, 31, v142
	s_and_b64 s[28:29], s[16:17], s[18:19]
	s_and_saveexec_b64 s[18:19], s[28:29]
	s_cbranch_execz .LBB171_97
; %bb.93:
	s_and_b64 vcc, exec, s[0:1]
	s_cbranch_vccnz .LBB171_95
; %bb.94:
	v_lshl_add_u64 v[146:147], v[142:143], 3, v[146:147]
	global_load_dwordx2 v[146:147], v[146:147], off
	s_waitcnt vmcnt(0)
	v_mul_f64 v[146:147], s[24:25], v[146:147]
	v_cvt_f32_f64_e32 v146, v[146:147]
	s_branch .LBB171_96
.LBB171_95:
	v_mov_b32_e32 v146, 0
.LBB171_96:
	v_add_f64 v[126:127], v[6:7], v[126:127]
	v_add_f64 v[124:125], v[4:5], v[124:125]
	;; [unrolled: 1-line block ×4, first 2 shown]
	v_cvt_f32_f64_e32 v124, v[124:125]
	v_cvt_f32_f64_e32 v125, v[126:127]
	;; [unrolled: 1-line block ×4, first 2 shown]
	v_min3_f32 v124, v124, v125, v210
	v_min_f32_e32 v120, v120, v121
	v_min3_f32 v120, v146, v120, v124
	v_cvt_f64_f32_e32 v[120:121], v120
	v_lshl_add_u64 v[122:123], v[142:143], 3, v[144:145]
	global_store_dwordx2 v[122:123], v[120:121], off
.LBB171_97:
	s_or_b64 exec, exec, s[18:19]
	v_add_u32_e32 v124, 32, v150
	v_mad_i64_i32 v[120:121], s[28:29], v124, s31, 0
	v_cmp_gt_i32_e64 s[18:19], s21, v124
	v_lshl_add_u64 v[122:123], v[120:121], 3, s[26:27]
	v_mad_i64_i32 v[120:121], s[28:29], v124, s30, 0
	v_lshl_add_u64 v[120:121], v[120:121], 3, s[22:23]
	s_and_b64 s[34:35], s[2:3], s[18:19]
	s_and_saveexec_b64 s[28:29], s[34:35]
	s_cbranch_execnz .LBB171_105
; %bb.98:
	s_or_b64 exec, exec, s[28:29]
	s_and_b64 s[34:35], s[4:5], s[18:19]
	s_and_saveexec_b64 s[28:29], s[34:35]
	s_cbranch_execnz .LBB171_109
.LBB171_99:
	s_or_b64 exec, exec, s[28:29]
	s_and_b64 s[34:35], s[6:7], s[18:19]
	s_and_saveexec_b64 s[28:29], s[34:35]
	s_cbranch_execnz .LBB171_113
.LBB171_100:
	s_or_b64 exec, exec, s[28:29]
	s_and_b64 s[34:35], s[8:9], s[18:19]
	s_and_saveexec_b64 s[28:29], s[34:35]
	s_cbranch_execnz .LBB171_117
.LBB171_101:
	s_or_b64 exec, exec, s[28:29]
	s_and_b64 s[34:35], s[10:11], s[18:19]
	s_and_saveexec_b64 s[28:29], s[34:35]
	s_cbranch_execnz .LBB171_121
.LBB171_102:
	s_or_b64 exec, exec, s[28:29]
	s_and_b64 s[34:35], s[12:13], s[18:19]
	s_and_saveexec_b64 s[28:29], s[34:35]
	s_cbranch_execnz .LBB171_125
.LBB171_103:
	s_or_b64 exec, exec, s[28:29]
	s_and_b64 s[34:35], s[14:15], s[18:19]
	s_and_saveexec_b64 s[28:29], s[34:35]
	s_cbranch_execnz .LBB171_129
.LBB171_104:
	s_or_b64 exec, exec, s[28:29]
	s_and_b64 s[28:29], s[16:17], s[18:19]
	s_and_saveexec_b64 s[18:19], s[28:29]
	s_cbranch_execnz .LBB171_133
	s_branch .LBB171_137
.LBB171_105:
	s_and_b64 vcc, exec, s[0:1]
	s_cbranch_vccnz .LBB171_107
; %bb.106:
	v_lshl_add_u64 v[124:125], v[128:129], 3, v[122:123]
	global_load_dwordx2 v[124:125], v[124:125], off
	s_waitcnt vmcnt(0)
	v_mul_f64 v[124:125], s[24:25], v[124:125]
	v_cvt_f32_f64_e32 v124, v[124:125]
	s_branch .LBB171_108
.LBB171_107:
	v_mov_b32_e32 v124, 0
.LBB171_108:
	v_add_f64 v[126:127], v[70:71], v[118:119]
	v_add_f64 v[144:145], v[68:69], v[116:117]
	v_cvt_f32_f64_e32 v125, v[144:145]
	v_cvt_f32_f64_e32 v126, v[126:127]
	v_min3_f32 v125, v125, v126, v209
	v_add_f64 v[126:127], v[66:67], v[114:115]
	v_add_f64 v[144:145], v[64:65], v[112:113]
	v_cvt_f32_f64_e32 v144, v[144:145]
	v_cvt_f32_f64_e32 v126, v[126:127]
	v_min_f32_e32 v126, v144, v126
	v_min3_f32 v124, v124, v126, v125
	v_cvt_f64_f32_e32 v[124:125], v124
	v_lshl_add_u64 v[126:127], v[128:129], 3, v[120:121]
	global_store_dwordx2 v[126:127], v[124:125], off
	s_or_b64 exec, exec, s[28:29]
	s_and_b64 s[34:35], s[4:5], s[18:19]
	s_and_saveexec_b64 s[28:29], s[34:35]
	s_cbranch_execz .LBB171_99
.LBB171_109:
	s_and_b64 vcc, exec, s[0:1]
	s_cbranch_vccnz .LBB171_111
; %bb.110:
	v_lshl_add_u64 v[124:125], v[130:131], 3, v[122:123]
	global_load_dwordx2 v[124:125], v[124:125], off
	s_waitcnt vmcnt(0)
	v_mul_f64 v[124:125], s[24:25], v[124:125]
	v_cvt_f32_f64_e32 v124, v[124:125]
	s_branch .LBB171_112
.LBB171_111:
	v_mov_b32_e32 v124, 0
.LBB171_112:
	v_add_f64 v[126:127], v[62:63], v[118:119]
	v_add_f64 v[144:145], v[60:61], v[116:117]
	v_cvt_f32_f64_e32 v125, v[144:145]
	v_cvt_f32_f64_e32 v126, v[126:127]
	v_min3_f32 v125, v125, v126, v208
	v_add_f64 v[126:127], v[58:59], v[114:115]
	v_add_f64 v[144:145], v[56:57], v[112:113]
	v_cvt_f32_f64_e32 v144, v[144:145]
	v_cvt_f32_f64_e32 v126, v[126:127]
	v_min_f32_e32 v126, v144, v126
	v_min3_f32 v124, v124, v126, v125
	v_cvt_f64_f32_e32 v[124:125], v124
	v_lshl_add_u64 v[126:127], v[130:131], 3, v[120:121]
	global_store_dwordx2 v[126:127], v[124:125], off
	s_or_b64 exec, exec, s[28:29]
	s_and_b64 s[34:35], s[6:7], s[18:19]
	s_and_saveexec_b64 s[28:29], s[34:35]
	s_cbranch_execz .LBB171_100
.LBB171_113:
	s_and_b64 vcc, exec, s[0:1]
	s_cbranch_vccnz .LBB171_115
; %bb.114:
	v_lshl_add_u64 v[124:125], v[132:133], 3, v[122:123]
	global_load_dwordx2 v[124:125], v[124:125], off
	s_waitcnt vmcnt(0)
	v_mul_f64 v[124:125], s[24:25], v[124:125]
	v_cvt_f32_f64_e32 v124, v[124:125]
	s_branch .LBB171_116
.LBB171_115:
	v_mov_b32_e32 v124, 0
.LBB171_116:
	v_add_f64 v[126:127], v[54:55], v[118:119]
	v_add_f64 v[144:145], v[52:53], v[116:117]
	v_cvt_f32_f64_e32 v125, v[144:145]
	v_cvt_f32_f64_e32 v126, v[126:127]
	v_min3_f32 v125, v125, v126, v207
	v_add_f64 v[126:127], v[50:51], v[114:115]
	v_add_f64 v[144:145], v[48:49], v[112:113]
	v_cvt_f32_f64_e32 v144, v[144:145]
	v_cvt_f32_f64_e32 v126, v[126:127]
	v_min_f32_e32 v126, v144, v126
	v_min3_f32 v124, v124, v126, v125
	v_cvt_f64_f32_e32 v[124:125], v124
	v_lshl_add_u64 v[126:127], v[132:133], 3, v[120:121]
	global_store_dwordx2 v[126:127], v[124:125], off
	s_or_b64 exec, exec, s[28:29]
	s_and_b64 s[34:35], s[8:9], s[18:19]
	s_and_saveexec_b64 s[28:29], s[34:35]
	s_cbranch_execz .LBB171_101
.LBB171_117:
	s_and_b64 vcc, exec, s[0:1]
	s_cbranch_vccnz .LBB171_119
; %bb.118:
	v_lshl_add_u64 v[124:125], v[134:135], 3, v[122:123]
	global_load_dwordx2 v[124:125], v[124:125], off
	s_waitcnt vmcnt(0)
	v_mul_f64 v[124:125], s[24:25], v[124:125]
	v_cvt_f32_f64_e32 v124, v[124:125]
	s_branch .LBB171_120
.LBB171_119:
	v_mov_b32_e32 v124, 0
.LBB171_120:
	v_add_f64 v[126:127], v[46:47], v[118:119]
	v_add_f64 v[144:145], v[44:45], v[116:117]
	v_cvt_f32_f64_e32 v125, v[144:145]
	v_cvt_f32_f64_e32 v126, v[126:127]
	v_min3_f32 v125, v125, v126, v206
	v_add_f64 v[126:127], v[42:43], v[114:115]
	v_add_f64 v[144:145], v[40:41], v[112:113]
	v_cvt_f32_f64_e32 v144, v[144:145]
	v_cvt_f32_f64_e32 v126, v[126:127]
	v_min_f32_e32 v126, v144, v126
	v_min3_f32 v124, v124, v126, v125
	v_cvt_f64_f32_e32 v[124:125], v124
	v_lshl_add_u64 v[126:127], v[134:135], 3, v[120:121]
	global_store_dwordx2 v[126:127], v[124:125], off
	s_or_b64 exec, exec, s[28:29]
	s_and_b64 s[34:35], s[10:11], s[18:19]
	s_and_saveexec_b64 s[28:29], s[34:35]
	s_cbranch_execz .LBB171_102
.LBB171_121:
	s_and_b64 vcc, exec, s[0:1]
	s_cbranch_vccnz .LBB171_123
; %bb.122:
	v_lshl_add_u64 v[124:125], v[136:137], 3, v[122:123]
	global_load_dwordx2 v[124:125], v[124:125], off
	s_waitcnt vmcnt(0)
	v_mul_f64 v[124:125], s[24:25], v[124:125]
	v_cvt_f32_f64_e32 v124, v[124:125]
	s_branch .LBB171_124
.LBB171_123:
	v_mov_b32_e32 v124, 0
.LBB171_124:
	v_add_f64 v[126:127], v[38:39], v[118:119]
	v_add_f64 v[144:145], v[36:37], v[116:117]
	v_cvt_f32_f64_e32 v125, v[144:145]
	v_cvt_f32_f64_e32 v126, v[126:127]
	v_min3_f32 v125, v125, v126, v205
	v_add_f64 v[126:127], v[34:35], v[114:115]
	v_add_f64 v[144:145], v[32:33], v[112:113]
	v_cvt_f32_f64_e32 v144, v[144:145]
	v_cvt_f32_f64_e32 v126, v[126:127]
	v_min_f32_e32 v126, v144, v126
	v_min3_f32 v124, v124, v126, v125
	v_cvt_f64_f32_e32 v[124:125], v124
	v_lshl_add_u64 v[126:127], v[136:137], 3, v[120:121]
	global_store_dwordx2 v[126:127], v[124:125], off
	s_or_b64 exec, exec, s[28:29]
	s_and_b64 s[34:35], s[12:13], s[18:19]
	s_and_saveexec_b64 s[28:29], s[34:35]
	s_cbranch_execz .LBB171_103
.LBB171_125:
	s_and_b64 vcc, exec, s[0:1]
	s_cbranch_vccnz .LBB171_127
; %bb.126:
	v_lshl_add_u64 v[124:125], v[138:139], 3, v[122:123]
	global_load_dwordx2 v[124:125], v[124:125], off
	s_waitcnt vmcnt(0)
	v_mul_f64 v[124:125], s[24:25], v[124:125]
	v_cvt_f32_f64_e32 v124, v[124:125]
	s_branch .LBB171_128
.LBB171_127:
	v_mov_b32_e32 v124, 0
.LBB171_128:
	v_add_f64 v[126:127], v[30:31], v[118:119]
	v_add_f64 v[144:145], v[28:29], v[116:117]
	v_cvt_f32_f64_e32 v125, v[144:145]
	v_cvt_f32_f64_e32 v126, v[126:127]
	v_min3_f32 v125, v125, v126, v204
	v_add_f64 v[126:127], v[26:27], v[114:115]
	v_add_f64 v[144:145], v[24:25], v[112:113]
	v_cvt_f32_f64_e32 v144, v[144:145]
	v_cvt_f32_f64_e32 v126, v[126:127]
	v_min_f32_e32 v126, v144, v126
	v_min3_f32 v124, v124, v126, v125
	v_cvt_f64_f32_e32 v[124:125], v124
	v_lshl_add_u64 v[126:127], v[138:139], 3, v[120:121]
	global_store_dwordx2 v[126:127], v[124:125], off
	s_or_b64 exec, exec, s[28:29]
	s_and_b64 s[34:35], s[14:15], s[18:19]
	s_and_saveexec_b64 s[28:29], s[34:35]
	s_cbranch_execz .LBB171_104
.LBB171_129:
	s_and_b64 vcc, exec, s[0:1]
	s_cbranch_vccnz .LBB171_131
; %bb.130:
	v_lshl_add_u64 v[124:125], v[140:141], 3, v[122:123]
	global_load_dwordx2 v[124:125], v[124:125], off
	s_waitcnt vmcnt(0)
	v_mul_f64 v[124:125], s[24:25], v[124:125]
	v_cvt_f32_f64_e32 v124, v[124:125]
	s_branch .LBB171_132
.LBB171_131:
	v_mov_b32_e32 v124, 0
.LBB171_132:
	v_add_f64 v[126:127], v[22:23], v[118:119]
	v_add_f64 v[144:145], v[20:21], v[116:117]
	v_cvt_f32_f64_e32 v125, v[144:145]
	v_cvt_f32_f64_e32 v126, v[126:127]
	v_min3_f32 v125, v125, v126, v203
	v_add_f64 v[126:127], v[18:19], v[114:115]
	v_add_f64 v[144:145], v[16:17], v[112:113]
	v_cvt_f32_f64_e32 v144, v[144:145]
	v_cvt_f32_f64_e32 v126, v[126:127]
	v_min_f32_e32 v126, v144, v126
	v_min3_f32 v124, v124, v126, v125
	v_cvt_f64_f32_e32 v[124:125], v124
	v_lshl_add_u64 v[126:127], v[140:141], 3, v[120:121]
	global_store_dwordx2 v[126:127], v[124:125], off
	s_or_b64 exec, exec, s[28:29]
	s_and_b64 s[28:29], s[16:17], s[18:19]
	s_and_saveexec_b64 s[18:19], s[28:29]
	s_cbranch_execz .LBB171_137
.LBB171_133:
	s_and_b64 vcc, exec, s[0:1]
	s_cbranch_vccnz .LBB171_135
; %bb.134:
	v_lshl_add_u64 v[122:123], v[142:143], 3, v[122:123]
	global_load_dwordx2 v[122:123], v[122:123], off
	s_waitcnt vmcnt(0)
	v_mul_f64 v[122:123], s[24:25], v[122:123]
	v_cvt_f32_f64_e32 v122, v[122:123]
	s_branch .LBB171_136
.LBB171_135:
	v_mov_b32_e32 v122, 0
.LBB171_136:
	v_add_f64 v[118:119], v[6:7], v[118:119]
	v_add_f64 v[116:117], v[4:5], v[116:117]
	;; [unrolled: 1-line block ×4, first 2 shown]
	v_cvt_f32_f64_e32 v116, v[116:117]
	v_cvt_f32_f64_e32 v117, v[118:119]
	;; [unrolled: 1-line block ×4, first 2 shown]
	v_min3_f32 v116, v116, v117, v202
	v_min_f32_e32 v112, v112, v113
	v_min3_f32 v112, v122, v112, v116
	v_cvt_f64_f32_e32 v[112:113], v112
	v_lshl_add_u64 v[114:115], v[142:143], 3, v[120:121]
	global_store_dwordx2 v[114:115], v[112:113], off
.LBB171_137:
	s_or_b64 exec, exec, s[18:19]
	v_add_u32_e32 v116, 64, v150
	v_mad_i64_i32 v[112:113], s[28:29], v116, s31, 0
	v_cmp_gt_i32_e64 s[18:19], s21, v116
	v_lshl_add_u64 v[114:115], v[112:113], 3, s[26:27]
	v_mad_i64_i32 v[112:113], s[28:29], v116, s30, 0
	v_lshl_add_u64 v[112:113], v[112:113], 3, s[22:23]
	s_and_b64 s[34:35], s[2:3], s[18:19]
	s_and_saveexec_b64 s[28:29], s[34:35]
	s_cbranch_execnz .LBB171_145
; %bb.138:
	s_or_b64 exec, exec, s[28:29]
	s_and_b64 s[34:35], s[4:5], s[18:19]
	s_and_saveexec_b64 s[28:29], s[34:35]
	s_cbranch_execnz .LBB171_149
.LBB171_139:
	s_or_b64 exec, exec, s[28:29]
	s_and_b64 s[34:35], s[6:7], s[18:19]
	s_and_saveexec_b64 s[28:29], s[34:35]
	s_cbranch_execnz .LBB171_153
.LBB171_140:
	s_or_b64 exec, exec, s[28:29]
	s_and_b64 s[34:35], s[8:9], s[18:19]
	s_and_saveexec_b64 s[28:29], s[34:35]
	s_cbranch_execnz .LBB171_157
.LBB171_141:
	s_or_b64 exec, exec, s[28:29]
	s_and_b64 s[34:35], s[10:11], s[18:19]
	s_and_saveexec_b64 s[28:29], s[34:35]
	s_cbranch_execnz .LBB171_161
.LBB171_142:
	s_or_b64 exec, exec, s[28:29]
	s_and_b64 s[34:35], s[12:13], s[18:19]
	s_and_saveexec_b64 s[28:29], s[34:35]
	s_cbranch_execnz .LBB171_165
.LBB171_143:
	s_or_b64 exec, exec, s[28:29]
	s_and_b64 s[34:35], s[14:15], s[18:19]
	s_and_saveexec_b64 s[28:29], s[34:35]
	s_cbranch_execnz .LBB171_169
.LBB171_144:
	s_or_b64 exec, exec, s[28:29]
	s_and_b64 s[28:29], s[16:17], s[18:19]
	s_and_saveexec_b64 s[18:19], s[28:29]
	s_cbranch_execnz .LBB171_173
	s_branch .LBB171_177
.LBB171_145:
	s_and_b64 vcc, exec, s[0:1]
	s_cbranch_vccnz .LBB171_147
; %bb.146:
	v_lshl_add_u64 v[116:117], v[128:129], 3, v[114:115]
	global_load_dwordx2 v[116:117], v[116:117], off
	s_waitcnt vmcnt(0)
	v_mul_f64 v[116:117], s[24:25], v[116:117]
	v_cvt_f32_f64_e32 v116, v[116:117]
	s_branch .LBB171_148
.LBB171_147:
	v_mov_b32_e32 v116, 0
.LBB171_148:
	v_add_f64 v[118:119], v[70:71], v[110:111]
	v_add_f64 v[120:121], v[68:69], v[108:109]
	v_cvt_f32_f64_e32 v117, v[120:121]
	v_cvt_f32_f64_e32 v118, v[118:119]
	v_min3_f32 v117, v117, v118, v201
	v_add_f64 v[118:119], v[66:67], v[106:107]
	v_add_f64 v[120:121], v[64:65], v[104:105]
	v_cvt_f32_f64_e32 v120, v[120:121]
	v_cvt_f32_f64_e32 v118, v[118:119]
	v_min_f32_e32 v118, v120, v118
	v_min3_f32 v116, v116, v118, v117
	v_cvt_f64_f32_e32 v[116:117], v116
	v_lshl_add_u64 v[118:119], v[128:129], 3, v[112:113]
	global_store_dwordx2 v[118:119], v[116:117], off
	s_or_b64 exec, exec, s[28:29]
	s_and_b64 s[34:35], s[4:5], s[18:19]
	s_and_saveexec_b64 s[28:29], s[34:35]
	s_cbranch_execz .LBB171_139
.LBB171_149:
	s_and_b64 vcc, exec, s[0:1]
	s_cbranch_vccnz .LBB171_151
; %bb.150:
	v_lshl_add_u64 v[116:117], v[130:131], 3, v[114:115]
	global_load_dwordx2 v[116:117], v[116:117], off
	s_waitcnt vmcnt(0)
	v_mul_f64 v[116:117], s[24:25], v[116:117]
	v_cvt_f32_f64_e32 v116, v[116:117]
	s_branch .LBB171_152
.LBB171_151:
	v_mov_b32_e32 v116, 0
.LBB171_152:
	v_add_f64 v[118:119], v[62:63], v[110:111]
	v_add_f64 v[120:121], v[60:61], v[108:109]
	v_cvt_f32_f64_e32 v117, v[120:121]
	v_cvt_f32_f64_e32 v118, v[118:119]
	v_min3_f32 v117, v117, v118, v200
	v_add_f64 v[118:119], v[58:59], v[106:107]
	v_add_f64 v[120:121], v[56:57], v[104:105]
	v_cvt_f32_f64_e32 v120, v[120:121]
	v_cvt_f32_f64_e32 v118, v[118:119]
	v_min_f32_e32 v118, v120, v118
	v_min3_f32 v116, v116, v118, v117
	v_cvt_f64_f32_e32 v[116:117], v116
	v_lshl_add_u64 v[118:119], v[130:131], 3, v[112:113]
	global_store_dwordx2 v[118:119], v[116:117], off
	s_or_b64 exec, exec, s[28:29]
	s_and_b64 s[34:35], s[6:7], s[18:19]
	s_and_saveexec_b64 s[28:29], s[34:35]
	s_cbranch_execz .LBB171_140
.LBB171_153:
	s_and_b64 vcc, exec, s[0:1]
	s_cbranch_vccnz .LBB171_155
; %bb.154:
	v_lshl_add_u64 v[116:117], v[132:133], 3, v[114:115]
	global_load_dwordx2 v[116:117], v[116:117], off
	s_waitcnt vmcnt(0)
	v_mul_f64 v[116:117], s[24:25], v[116:117]
	v_cvt_f32_f64_e32 v116, v[116:117]
	s_branch .LBB171_156
.LBB171_155:
	v_mov_b32_e32 v116, 0
.LBB171_156:
	v_add_f64 v[118:119], v[54:55], v[110:111]
	v_add_f64 v[120:121], v[52:53], v[108:109]
	v_cvt_f32_f64_e32 v117, v[120:121]
	v_cvt_f32_f64_e32 v118, v[118:119]
	v_min3_f32 v117, v117, v118, v199
	v_add_f64 v[118:119], v[50:51], v[106:107]
	v_add_f64 v[120:121], v[48:49], v[104:105]
	v_cvt_f32_f64_e32 v120, v[120:121]
	v_cvt_f32_f64_e32 v118, v[118:119]
	v_min_f32_e32 v118, v120, v118
	v_min3_f32 v116, v116, v118, v117
	v_cvt_f64_f32_e32 v[116:117], v116
	v_lshl_add_u64 v[118:119], v[132:133], 3, v[112:113]
	global_store_dwordx2 v[118:119], v[116:117], off
	s_or_b64 exec, exec, s[28:29]
	s_and_b64 s[34:35], s[8:9], s[18:19]
	s_and_saveexec_b64 s[28:29], s[34:35]
	s_cbranch_execz .LBB171_141
.LBB171_157:
	s_and_b64 vcc, exec, s[0:1]
	s_cbranch_vccnz .LBB171_159
; %bb.158:
	v_lshl_add_u64 v[116:117], v[134:135], 3, v[114:115]
	global_load_dwordx2 v[116:117], v[116:117], off
	s_waitcnt vmcnt(0)
	v_mul_f64 v[116:117], s[24:25], v[116:117]
	v_cvt_f32_f64_e32 v116, v[116:117]
	s_branch .LBB171_160
.LBB171_159:
	v_mov_b32_e32 v116, 0
.LBB171_160:
	v_add_f64 v[118:119], v[46:47], v[110:111]
	v_add_f64 v[120:121], v[44:45], v[108:109]
	v_cvt_f32_f64_e32 v117, v[120:121]
	v_cvt_f32_f64_e32 v118, v[118:119]
	v_min3_f32 v117, v117, v118, v198
	v_add_f64 v[118:119], v[42:43], v[106:107]
	v_add_f64 v[120:121], v[40:41], v[104:105]
	v_cvt_f32_f64_e32 v120, v[120:121]
	v_cvt_f32_f64_e32 v118, v[118:119]
	v_min_f32_e32 v118, v120, v118
	v_min3_f32 v116, v116, v118, v117
	v_cvt_f64_f32_e32 v[116:117], v116
	v_lshl_add_u64 v[118:119], v[134:135], 3, v[112:113]
	global_store_dwordx2 v[118:119], v[116:117], off
	s_or_b64 exec, exec, s[28:29]
	s_and_b64 s[34:35], s[10:11], s[18:19]
	s_and_saveexec_b64 s[28:29], s[34:35]
	s_cbranch_execz .LBB171_142
.LBB171_161:
	s_and_b64 vcc, exec, s[0:1]
	s_cbranch_vccnz .LBB171_163
; %bb.162:
	v_lshl_add_u64 v[116:117], v[136:137], 3, v[114:115]
	global_load_dwordx2 v[116:117], v[116:117], off
	s_waitcnt vmcnt(0)
	v_mul_f64 v[116:117], s[24:25], v[116:117]
	v_cvt_f32_f64_e32 v116, v[116:117]
	s_branch .LBB171_164
.LBB171_163:
	v_mov_b32_e32 v116, 0
.LBB171_164:
	v_add_f64 v[118:119], v[38:39], v[110:111]
	v_add_f64 v[120:121], v[36:37], v[108:109]
	v_cvt_f32_f64_e32 v117, v[120:121]
	v_cvt_f32_f64_e32 v118, v[118:119]
	v_min3_f32 v117, v117, v118, v197
	v_add_f64 v[118:119], v[34:35], v[106:107]
	v_add_f64 v[120:121], v[32:33], v[104:105]
	v_cvt_f32_f64_e32 v120, v[120:121]
	v_cvt_f32_f64_e32 v118, v[118:119]
	v_min_f32_e32 v118, v120, v118
	v_min3_f32 v116, v116, v118, v117
	v_cvt_f64_f32_e32 v[116:117], v116
	v_lshl_add_u64 v[118:119], v[136:137], 3, v[112:113]
	global_store_dwordx2 v[118:119], v[116:117], off
	s_or_b64 exec, exec, s[28:29]
	s_and_b64 s[34:35], s[12:13], s[18:19]
	s_and_saveexec_b64 s[28:29], s[34:35]
	s_cbranch_execz .LBB171_143
.LBB171_165:
	s_and_b64 vcc, exec, s[0:1]
	s_cbranch_vccnz .LBB171_167
; %bb.166:
	v_lshl_add_u64 v[116:117], v[138:139], 3, v[114:115]
	global_load_dwordx2 v[116:117], v[116:117], off
	s_waitcnt vmcnt(0)
	v_mul_f64 v[116:117], s[24:25], v[116:117]
	v_cvt_f32_f64_e32 v116, v[116:117]
	s_branch .LBB171_168
.LBB171_167:
	v_mov_b32_e32 v116, 0
.LBB171_168:
	v_add_f64 v[118:119], v[30:31], v[110:111]
	v_add_f64 v[120:121], v[28:29], v[108:109]
	v_cvt_f32_f64_e32 v117, v[120:121]
	v_cvt_f32_f64_e32 v118, v[118:119]
	v_min3_f32 v117, v117, v118, v196
	v_add_f64 v[118:119], v[26:27], v[106:107]
	v_add_f64 v[120:121], v[24:25], v[104:105]
	v_cvt_f32_f64_e32 v120, v[120:121]
	v_cvt_f32_f64_e32 v118, v[118:119]
	v_min_f32_e32 v118, v120, v118
	v_min3_f32 v116, v116, v118, v117
	v_cvt_f64_f32_e32 v[116:117], v116
	v_lshl_add_u64 v[118:119], v[138:139], 3, v[112:113]
	global_store_dwordx2 v[118:119], v[116:117], off
	s_or_b64 exec, exec, s[28:29]
	s_and_b64 s[34:35], s[14:15], s[18:19]
	s_and_saveexec_b64 s[28:29], s[34:35]
	s_cbranch_execz .LBB171_144
.LBB171_169:
	s_and_b64 vcc, exec, s[0:1]
	s_cbranch_vccnz .LBB171_171
; %bb.170:
	v_lshl_add_u64 v[116:117], v[140:141], 3, v[114:115]
	global_load_dwordx2 v[116:117], v[116:117], off
	s_waitcnt vmcnt(0)
	v_mul_f64 v[116:117], s[24:25], v[116:117]
	v_cvt_f32_f64_e32 v116, v[116:117]
	s_branch .LBB171_172
.LBB171_171:
	v_mov_b32_e32 v116, 0
.LBB171_172:
	v_add_f64 v[118:119], v[22:23], v[110:111]
	v_add_f64 v[120:121], v[20:21], v[108:109]
	v_cvt_f32_f64_e32 v117, v[120:121]
	v_cvt_f32_f64_e32 v118, v[118:119]
	v_min3_f32 v117, v117, v118, v195
	v_add_f64 v[118:119], v[18:19], v[106:107]
	v_add_f64 v[120:121], v[16:17], v[104:105]
	v_cvt_f32_f64_e32 v120, v[120:121]
	v_cvt_f32_f64_e32 v118, v[118:119]
	v_min_f32_e32 v118, v120, v118
	v_min3_f32 v116, v116, v118, v117
	v_cvt_f64_f32_e32 v[116:117], v116
	v_lshl_add_u64 v[118:119], v[140:141], 3, v[112:113]
	global_store_dwordx2 v[118:119], v[116:117], off
	s_or_b64 exec, exec, s[28:29]
	s_and_b64 s[28:29], s[16:17], s[18:19]
	s_and_saveexec_b64 s[18:19], s[28:29]
	s_cbranch_execz .LBB171_177
.LBB171_173:
	s_and_b64 vcc, exec, s[0:1]
	s_cbranch_vccnz .LBB171_175
; %bb.174:
	v_lshl_add_u64 v[114:115], v[142:143], 3, v[114:115]
	global_load_dwordx2 v[114:115], v[114:115], off
	s_waitcnt vmcnt(0)
	v_mul_f64 v[114:115], s[24:25], v[114:115]
	v_cvt_f32_f64_e32 v114, v[114:115]
	s_branch .LBB171_176
.LBB171_175:
	v_mov_b32_e32 v114, 0
.LBB171_176:
	v_add_f64 v[110:111], v[6:7], v[110:111]
	v_add_f64 v[108:109], v[4:5], v[108:109]
	v_add_f64 v[106:107], v[2:3], v[106:107]
	v_add_f64 v[104:105], v[0:1], v[104:105]
	v_cvt_f32_f64_e32 v108, v[108:109]
	v_cvt_f32_f64_e32 v109, v[110:111]
	;; [unrolled: 1-line block ×4, first 2 shown]
	v_min3_f32 v108, v108, v109, v194
	v_min_f32_e32 v104, v104, v105
	v_min3_f32 v104, v114, v104, v108
	v_cvt_f64_f32_e32 v[104:105], v104
	v_lshl_add_u64 v[106:107], v[142:143], 3, v[112:113]
	global_store_dwordx2 v[106:107], v[104:105], off
.LBB171_177:
	s_or_b64 exec, exec, s[18:19]
	v_add_u32_e32 v108, 0x60, v150
	v_mad_i64_i32 v[104:105], s[28:29], v108, s31, 0
	v_cmp_gt_i32_e64 s[18:19], s21, v108
	v_lshl_add_u64 v[106:107], v[104:105], 3, s[26:27]
	v_mad_i64_i32 v[104:105], s[28:29], v108, s30, 0
	v_lshl_add_u64 v[104:105], v[104:105], 3, s[22:23]
	s_and_b64 s[34:35], s[2:3], s[18:19]
	s_and_saveexec_b64 s[28:29], s[34:35]
	s_cbranch_execnz .LBB171_185
; %bb.178:
	s_or_b64 exec, exec, s[28:29]
	s_and_b64 s[34:35], s[4:5], s[18:19]
	s_and_saveexec_b64 s[28:29], s[34:35]
	s_cbranch_execnz .LBB171_189
.LBB171_179:
	s_or_b64 exec, exec, s[28:29]
	s_and_b64 s[34:35], s[6:7], s[18:19]
	s_and_saveexec_b64 s[28:29], s[34:35]
	s_cbranch_execnz .LBB171_193
.LBB171_180:
	s_or_b64 exec, exec, s[28:29]
	s_and_b64 s[34:35], s[8:9], s[18:19]
	s_and_saveexec_b64 s[28:29], s[34:35]
	s_cbranch_execnz .LBB171_197
.LBB171_181:
	s_or_b64 exec, exec, s[28:29]
	s_and_b64 s[34:35], s[10:11], s[18:19]
	s_and_saveexec_b64 s[28:29], s[34:35]
	s_cbranch_execnz .LBB171_201
.LBB171_182:
	s_or_b64 exec, exec, s[28:29]
	s_and_b64 s[34:35], s[12:13], s[18:19]
	s_and_saveexec_b64 s[28:29], s[34:35]
	s_cbranch_execnz .LBB171_205
.LBB171_183:
	s_or_b64 exec, exec, s[28:29]
	s_and_b64 s[34:35], s[14:15], s[18:19]
	s_and_saveexec_b64 s[28:29], s[34:35]
	s_cbranch_execnz .LBB171_209
.LBB171_184:
	s_or_b64 exec, exec, s[28:29]
	s_and_b64 s[28:29], s[16:17], s[18:19]
	s_and_saveexec_b64 s[18:19], s[28:29]
	s_cbranch_execnz .LBB171_213
	s_branch .LBB171_217
.LBB171_185:
	s_and_b64 vcc, exec, s[0:1]
	s_cbranch_vccnz .LBB171_187
; %bb.186:
	v_lshl_add_u64 v[108:109], v[128:129], 3, v[106:107]
	global_load_dwordx2 v[108:109], v[108:109], off
	s_waitcnt vmcnt(0)
	v_mul_f64 v[108:109], s[24:25], v[108:109]
	v_cvt_f32_f64_e32 v108, v[108:109]
	s_branch .LBB171_188
.LBB171_187:
	v_mov_b32_e32 v108, 0
.LBB171_188:
	v_add_f64 v[110:111], v[70:71], v[102:103]
	v_add_f64 v[112:113], v[68:69], v[100:101]
	v_cvt_f32_f64_e32 v109, v[112:113]
	v_cvt_f32_f64_e32 v110, v[110:111]
	v_min3_f32 v109, v109, v110, v193
	v_add_f64 v[110:111], v[66:67], v[98:99]
	v_add_f64 v[112:113], v[64:65], v[96:97]
	v_cvt_f32_f64_e32 v112, v[112:113]
	v_cvt_f32_f64_e32 v110, v[110:111]
	v_min_f32_e32 v110, v112, v110
	v_min3_f32 v108, v108, v110, v109
	v_cvt_f64_f32_e32 v[108:109], v108
	v_lshl_add_u64 v[110:111], v[128:129], 3, v[104:105]
	global_store_dwordx2 v[110:111], v[108:109], off
	s_or_b64 exec, exec, s[28:29]
	s_and_b64 s[34:35], s[4:5], s[18:19]
	s_and_saveexec_b64 s[28:29], s[34:35]
	s_cbranch_execz .LBB171_179
.LBB171_189:
	s_and_b64 vcc, exec, s[0:1]
	s_cbranch_vccnz .LBB171_191
; %bb.190:
	v_lshl_add_u64 v[108:109], v[130:131], 3, v[106:107]
	global_load_dwordx2 v[108:109], v[108:109], off
	s_waitcnt vmcnt(0)
	v_mul_f64 v[108:109], s[24:25], v[108:109]
	v_cvt_f32_f64_e32 v108, v[108:109]
	s_branch .LBB171_192
.LBB171_191:
	v_mov_b32_e32 v108, 0
.LBB171_192:
	v_add_f64 v[110:111], v[62:63], v[102:103]
	v_add_f64 v[112:113], v[60:61], v[100:101]
	v_cvt_f32_f64_e32 v109, v[112:113]
	v_cvt_f32_f64_e32 v110, v[110:111]
	v_min3_f32 v109, v109, v110, v192
	v_add_f64 v[110:111], v[58:59], v[98:99]
	v_add_f64 v[112:113], v[56:57], v[96:97]
	v_cvt_f32_f64_e32 v112, v[112:113]
	v_cvt_f32_f64_e32 v110, v[110:111]
	v_min_f32_e32 v110, v112, v110
	v_min3_f32 v108, v108, v110, v109
	v_cvt_f64_f32_e32 v[108:109], v108
	v_lshl_add_u64 v[110:111], v[130:131], 3, v[104:105]
	global_store_dwordx2 v[110:111], v[108:109], off
	s_or_b64 exec, exec, s[28:29]
	s_and_b64 s[34:35], s[6:7], s[18:19]
	s_and_saveexec_b64 s[28:29], s[34:35]
	s_cbranch_execz .LBB171_180
.LBB171_193:
	s_and_b64 vcc, exec, s[0:1]
	s_cbranch_vccnz .LBB171_195
; %bb.194:
	v_lshl_add_u64 v[108:109], v[132:133], 3, v[106:107]
	global_load_dwordx2 v[108:109], v[108:109], off
	s_waitcnt vmcnt(0)
	v_mul_f64 v[108:109], s[24:25], v[108:109]
	v_cvt_f32_f64_e32 v108, v[108:109]
	s_branch .LBB171_196
.LBB171_195:
	v_mov_b32_e32 v108, 0
.LBB171_196:
	v_add_f64 v[110:111], v[54:55], v[102:103]
	v_add_f64 v[112:113], v[52:53], v[100:101]
	v_cvt_f32_f64_e32 v109, v[112:113]
	v_cvt_f32_f64_e32 v110, v[110:111]
	v_min3_f32 v109, v109, v110, v191
	v_add_f64 v[110:111], v[50:51], v[98:99]
	v_add_f64 v[112:113], v[48:49], v[96:97]
	v_cvt_f32_f64_e32 v112, v[112:113]
	v_cvt_f32_f64_e32 v110, v[110:111]
	v_min_f32_e32 v110, v112, v110
	v_min3_f32 v108, v108, v110, v109
	v_cvt_f64_f32_e32 v[108:109], v108
	v_lshl_add_u64 v[110:111], v[132:133], 3, v[104:105]
	global_store_dwordx2 v[110:111], v[108:109], off
	s_or_b64 exec, exec, s[28:29]
	s_and_b64 s[34:35], s[8:9], s[18:19]
	s_and_saveexec_b64 s[28:29], s[34:35]
	s_cbranch_execz .LBB171_181
.LBB171_197:
	s_and_b64 vcc, exec, s[0:1]
	s_cbranch_vccnz .LBB171_199
; %bb.198:
	v_lshl_add_u64 v[108:109], v[134:135], 3, v[106:107]
	global_load_dwordx2 v[108:109], v[108:109], off
	s_waitcnt vmcnt(0)
	v_mul_f64 v[108:109], s[24:25], v[108:109]
	v_cvt_f32_f64_e32 v108, v[108:109]
	s_branch .LBB171_200
.LBB171_199:
	v_mov_b32_e32 v108, 0
.LBB171_200:
	v_add_f64 v[110:111], v[46:47], v[102:103]
	v_add_f64 v[112:113], v[44:45], v[100:101]
	v_cvt_f32_f64_e32 v109, v[112:113]
	v_cvt_f32_f64_e32 v110, v[110:111]
	v_min3_f32 v109, v109, v110, v190
	v_add_f64 v[110:111], v[42:43], v[98:99]
	v_add_f64 v[112:113], v[40:41], v[96:97]
	v_cvt_f32_f64_e32 v112, v[112:113]
	v_cvt_f32_f64_e32 v110, v[110:111]
	v_min_f32_e32 v110, v112, v110
	v_min3_f32 v108, v108, v110, v109
	v_cvt_f64_f32_e32 v[108:109], v108
	v_lshl_add_u64 v[110:111], v[134:135], 3, v[104:105]
	global_store_dwordx2 v[110:111], v[108:109], off
	s_or_b64 exec, exec, s[28:29]
	s_and_b64 s[34:35], s[10:11], s[18:19]
	s_and_saveexec_b64 s[28:29], s[34:35]
	s_cbranch_execz .LBB171_182
.LBB171_201:
	s_and_b64 vcc, exec, s[0:1]
	s_cbranch_vccnz .LBB171_203
; %bb.202:
	v_lshl_add_u64 v[108:109], v[136:137], 3, v[106:107]
	global_load_dwordx2 v[108:109], v[108:109], off
	s_waitcnt vmcnt(0)
	v_mul_f64 v[108:109], s[24:25], v[108:109]
	v_cvt_f32_f64_e32 v108, v[108:109]
	s_branch .LBB171_204
.LBB171_203:
	v_mov_b32_e32 v108, 0
.LBB171_204:
	v_add_f64 v[110:111], v[38:39], v[102:103]
	v_add_f64 v[112:113], v[36:37], v[100:101]
	v_cvt_f32_f64_e32 v109, v[112:113]
	v_cvt_f32_f64_e32 v110, v[110:111]
	v_min3_f32 v109, v109, v110, v189
	v_add_f64 v[110:111], v[34:35], v[98:99]
	v_add_f64 v[112:113], v[32:33], v[96:97]
	v_cvt_f32_f64_e32 v112, v[112:113]
	v_cvt_f32_f64_e32 v110, v[110:111]
	v_min_f32_e32 v110, v112, v110
	v_min3_f32 v108, v108, v110, v109
	v_cvt_f64_f32_e32 v[108:109], v108
	v_lshl_add_u64 v[110:111], v[136:137], 3, v[104:105]
	global_store_dwordx2 v[110:111], v[108:109], off
	s_or_b64 exec, exec, s[28:29]
	s_and_b64 s[34:35], s[12:13], s[18:19]
	s_and_saveexec_b64 s[28:29], s[34:35]
	s_cbranch_execz .LBB171_183
.LBB171_205:
	s_and_b64 vcc, exec, s[0:1]
	s_cbranch_vccnz .LBB171_207
; %bb.206:
	v_lshl_add_u64 v[108:109], v[138:139], 3, v[106:107]
	global_load_dwordx2 v[108:109], v[108:109], off
	s_waitcnt vmcnt(0)
	v_mul_f64 v[108:109], s[24:25], v[108:109]
	v_cvt_f32_f64_e32 v108, v[108:109]
	s_branch .LBB171_208
.LBB171_207:
	v_mov_b32_e32 v108, 0
.LBB171_208:
	v_add_f64 v[110:111], v[30:31], v[102:103]
	v_add_f64 v[112:113], v[28:29], v[100:101]
	v_cvt_f32_f64_e32 v109, v[112:113]
	v_cvt_f32_f64_e32 v110, v[110:111]
	v_min3_f32 v109, v109, v110, v188
	v_add_f64 v[110:111], v[26:27], v[98:99]
	v_add_f64 v[112:113], v[24:25], v[96:97]
	v_cvt_f32_f64_e32 v112, v[112:113]
	v_cvt_f32_f64_e32 v110, v[110:111]
	v_min_f32_e32 v110, v112, v110
	v_min3_f32 v108, v108, v110, v109
	v_cvt_f64_f32_e32 v[108:109], v108
	v_lshl_add_u64 v[110:111], v[138:139], 3, v[104:105]
	global_store_dwordx2 v[110:111], v[108:109], off
	s_or_b64 exec, exec, s[28:29]
	s_and_b64 s[34:35], s[14:15], s[18:19]
	s_and_saveexec_b64 s[28:29], s[34:35]
	s_cbranch_execz .LBB171_184
.LBB171_209:
	s_and_b64 vcc, exec, s[0:1]
	s_cbranch_vccnz .LBB171_211
; %bb.210:
	v_lshl_add_u64 v[108:109], v[140:141], 3, v[106:107]
	global_load_dwordx2 v[108:109], v[108:109], off
	s_waitcnt vmcnt(0)
	v_mul_f64 v[108:109], s[24:25], v[108:109]
	v_cvt_f32_f64_e32 v108, v[108:109]
	s_branch .LBB171_212
.LBB171_211:
	v_mov_b32_e32 v108, 0
.LBB171_212:
	v_add_f64 v[110:111], v[22:23], v[102:103]
	v_add_f64 v[112:113], v[20:21], v[100:101]
	v_cvt_f32_f64_e32 v109, v[112:113]
	v_cvt_f32_f64_e32 v110, v[110:111]
	v_min3_f32 v109, v109, v110, v187
	v_add_f64 v[110:111], v[18:19], v[98:99]
	v_add_f64 v[112:113], v[16:17], v[96:97]
	v_cvt_f32_f64_e32 v112, v[112:113]
	v_cvt_f32_f64_e32 v110, v[110:111]
	v_min_f32_e32 v110, v112, v110
	v_min3_f32 v108, v108, v110, v109
	v_cvt_f64_f32_e32 v[108:109], v108
	v_lshl_add_u64 v[110:111], v[140:141], 3, v[104:105]
	global_store_dwordx2 v[110:111], v[108:109], off
	s_or_b64 exec, exec, s[28:29]
	s_and_b64 s[28:29], s[16:17], s[18:19]
	s_and_saveexec_b64 s[18:19], s[28:29]
	s_cbranch_execz .LBB171_217
.LBB171_213:
	s_and_b64 vcc, exec, s[0:1]
	s_cbranch_vccnz .LBB171_215
; %bb.214:
	v_lshl_add_u64 v[106:107], v[142:143], 3, v[106:107]
	global_load_dwordx2 v[106:107], v[106:107], off
	s_waitcnt vmcnt(0)
	v_mul_f64 v[106:107], s[24:25], v[106:107]
	v_cvt_f32_f64_e32 v106, v[106:107]
	s_branch .LBB171_216
.LBB171_215:
	v_mov_b32_e32 v106, 0
.LBB171_216:
	v_add_f64 v[102:103], v[6:7], v[102:103]
	v_add_f64 v[100:101], v[4:5], v[100:101]
	;; [unrolled: 1-line block ×4, first 2 shown]
	v_cvt_f32_f64_e32 v100, v[100:101]
	v_cvt_f32_f64_e32 v101, v[102:103]
	;; [unrolled: 1-line block ×4, first 2 shown]
	v_min3_f32 v100, v100, v101, v186
	v_min_f32_e32 v96, v96, v97
	v_min3_f32 v96, v106, v96, v100
	v_cvt_f64_f32_e32 v[96:97], v96
	v_lshl_add_u64 v[98:99], v[142:143], 3, v[104:105]
	global_store_dwordx2 v[98:99], v[96:97], off
.LBB171_217:
	s_or_b64 exec, exec, s[18:19]
	v_add_u32_e32 v100, 0x80, v150
	v_mad_i64_i32 v[96:97], s[28:29], v100, s31, 0
	v_cmp_gt_i32_e64 s[18:19], s21, v100
	v_lshl_add_u64 v[98:99], v[96:97], 3, s[26:27]
	v_mad_i64_i32 v[96:97], s[28:29], v100, s30, 0
	v_lshl_add_u64 v[96:97], v[96:97], 3, s[22:23]
	s_and_b64 s[34:35], s[2:3], s[18:19]
	s_and_saveexec_b64 s[28:29], s[34:35]
	s_cbranch_execnz .LBB171_225
; %bb.218:
	s_or_b64 exec, exec, s[28:29]
	s_and_b64 s[34:35], s[4:5], s[18:19]
	s_and_saveexec_b64 s[28:29], s[34:35]
	s_cbranch_execnz .LBB171_229
.LBB171_219:
	s_or_b64 exec, exec, s[28:29]
	s_and_b64 s[34:35], s[6:7], s[18:19]
	s_and_saveexec_b64 s[28:29], s[34:35]
	s_cbranch_execnz .LBB171_233
.LBB171_220:
	s_or_b64 exec, exec, s[28:29]
	s_and_b64 s[34:35], s[8:9], s[18:19]
	s_and_saveexec_b64 s[28:29], s[34:35]
	s_cbranch_execnz .LBB171_237
.LBB171_221:
	s_or_b64 exec, exec, s[28:29]
	s_and_b64 s[34:35], s[10:11], s[18:19]
	s_and_saveexec_b64 s[28:29], s[34:35]
	s_cbranch_execnz .LBB171_241
.LBB171_222:
	s_or_b64 exec, exec, s[28:29]
	s_and_b64 s[34:35], s[12:13], s[18:19]
	s_and_saveexec_b64 s[28:29], s[34:35]
	s_cbranch_execnz .LBB171_245
.LBB171_223:
	s_or_b64 exec, exec, s[28:29]
	s_and_b64 s[34:35], s[14:15], s[18:19]
	s_and_saveexec_b64 s[28:29], s[34:35]
	s_cbranch_execnz .LBB171_249
.LBB171_224:
	s_or_b64 exec, exec, s[28:29]
	s_and_b64 s[28:29], s[16:17], s[18:19]
	s_and_saveexec_b64 s[18:19], s[28:29]
	s_cbranch_execnz .LBB171_253
	s_branch .LBB171_257
.LBB171_225:
	s_and_b64 vcc, exec, s[0:1]
	s_cbranch_vccnz .LBB171_227
; %bb.226:
	v_lshl_add_u64 v[100:101], v[128:129], 3, v[98:99]
	global_load_dwordx2 v[100:101], v[100:101], off
	s_waitcnt vmcnt(0)
	v_mul_f64 v[100:101], s[24:25], v[100:101]
	v_cvt_f32_f64_e32 v100, v[100:101]
	s_branch .LBB171_228
.LBB171_227:
	v_mov_b32_e32 v100, 0
.LBB171_228:
	v_add_f64 v[102:103], v[70:71], v[94:95]
	v_add_f64 v[104:105], v[68:69], v[92:93]
	v_cvt_f32_f64_e32 v101, v[104:105]
	v_cvt_f32_f64_e32 v102, v[102:103]
	v_min3_f32 v101, v101, v102, v185
	v_add_f64 v[102:103], v[66:67], v[90:91]
	v_add_f64 v[104:105], v[64:65], v[88:89]
	v_cvt_f32_f64_e32 v104, v[104:105]
	v_cvt_f32_f64_e32 v102, v[102:103]
	v_min_f32_e32 v102, v104, v102
	v_min3_f32 v100, v100, v102, v101
	v_cvt_f64_f32_e32 v[100:101], v100
	v_lshl_add_u64 v[102:103], v[128:129], 3, v[96:97]
	global_store_dwordx2 v[102:103], v[100:101], off
	s_or_b64 exec, exec, s[28:29]
	s_and_b64 s[34:35], s[4:5], s[18:19]
	s_and_saveexec_b64 s[28:29], s[34:35]
	s_cbranch_execz .LBB171_219
.LBB171_229:
	s_and_b64 vcc, exec, s[0:1]
	s_cbranch_vccnz .LBB171_231
; %bb.230:
	v_lshl_add_u64 v[100:101], v[130:131], 3, v[98:99]
	global_load_dwordx2 v[100:101], v[100:101], off
	s_waitcnt vmcnt(0)
	v_mul_f64 v[100:101], s[24:25], v[100:101]
	v_cvt_f32_f64_e32 v100, v[100:101]
	s_branch .LBB171_232
.LBB171_231:
	v_mov_b32_e32 v100, 0
.LBB171_232:
	v_add_f64 v[102:103], v[62:63], v[94:95]
	v_add_f64 v[104:105], v[60:61], v[92:93]
	v_cvt_f32_f64_e32 v101, v[104:105]
	v_cvt_f32_f64_e32 v102, v[102:103]
	v_min3_f32 v101, v101, v102, v184
	v_add_f64 v[102:103], v[58:59], v[90:91]
	v_add_f64 v[104:105], v[56:57], v[88:89]
	v_cvt_f32_f64_e32 v104, v[104:105]
	v_cvt_f32_f64_e32 v102, v[102:103]
	v_min_f32_e32 v102, v104, v102
	v_min3_f32 v100, v100, v102, v101
	v_cvt_f64_f32_e32 v[100:101], v100
	v_lshl_add_u64 v[102:103], v[130:131], 3, v[96:97]
	global_store_dwordx2 v[102:103], v[100:101], off
	s_or_b64 exec, exec, s[28:29]
	s_and_b64 s[34:35], s[6:7], s[18:19]
	s_and_saveexec_b64 s[28:29], s[34:35]
	s_cbranch_execz .LBB171_220
.LBB171_233:
	s_and_b64 vcc, exec, s[0:1]
	s_cbranch_vccnz .LBB171_235
; %bb.234:
	v_lshl_add_u64 v[100:101], v[132:133], 3, v[98:99]
	global_load_dwordx2 v[100:101], v[100:101], off
	s_waitcnt vmcnt(0)
	v_mul_f64 v[100:101], s[24:25], v[100:101]
	v_cvt_f32_f64_e32 v100, v[100:101]
	s_branch .LBB171_236
.LBB171_235:
	v_mov_b32_e32 v100, 0
.LBB171_236:
	v_add_f64 v[102:103], v[54:55], v[94:95]
	v_add_f64 v[104:105], v[52:53], v[92:93]
	v_cvt_f32_f64_e32 v101, v[104:105]
	v_cvt_f32_f64_e32 v102, v[102:103]
	v_min3_f32 v101, v101, v102, v183
	v_add_f64 v[102:103], v[50:51], v[90:91]
	v_add_f64 v[104:105], v[48:49], v[88:89]
	v_cvt_f32_f64_e32 v104, v[104:105]
	v_cvt_f32_f64_e32 v102, v[102:103]
	v_min_f32_e32 v102, v104, v102
	v_min3_f32 v100, v100, v102, v101
	v_cvt_f64_f32_e32 v[100:101], v100
	v_lshl_add_u64 v[102:103], v[132:133], 3, v[96:97]
	global_store_dwordx2 v[102:103], v[100:101], off
	s_or_b64 exec, exec, s[28:29]
	s_and_b64 s[34:35], s[8:9], s[18:19]
	s_and_saveexec_b64 s[28:29], s[34:35]
	s_cbranch_execz .LBB171_221
.LBB171_237:
	s_and_b64 vcc, exec, s[0:1]
	s_cbranch_vccnz .LBB171_239
; %bb.238:
	v_lshl_add_u64 v[100:101], v[134:135], 3, v[98:99]
	global_load_dwordx2 v[100:101], v[100:101], off
	s_waitcnt vmcnt(0)
	v_mul_f64 v[100:101], s[24:25], v[100:101]
	v_cvt_f32_f64_e32 v100, v[100:101]
	s_branch .LBB171_240
.LBB171_239:
	v_mov_b32_e32 v100, 0
.LBB171_240:
	v_add_f64 v[102:103], v[46:47], v[94:95]
	v_add_f64 v[104:105], v[44:45], v[92:93]
	v_cvt_f32_f64_e32 v101, v[104:105]
	v_cvt_f32_f64_e32 v102, v[102:103]
	v_min3_f32 v101, v101, v102, v182
	v_add_f64 v[102:103], v[42:43], v[90:91]
	v_add_f64 v[104:105], v[40:41], v[88:89]
	v_cvt_f32_f64_e32 v104, v[104:105]
	v_cvt_f32_f64_e32 v102, v[102:103]
	v_min_f32_e32 v102, v104, v102
	v_min3_f32 v100, v100, v102, v101
	v_cvt_f64_f32_e32 v[100:101], v100
	v_lshl_add_u64 v[102:103], v[134:135], 3, v[96:97]
	global_store_dwordx2 v[102:103], v[100:101], off
	s_or_b64 exec, exec, s[28:29]
	s_and_b64 s[34:35], s[10:11], s[18:19]
	s_and_saveexec_b64 s[28:29], s[34:35]
	s_cbranch_execz .LBB171_222
.LBB171_241:
	s_and_b64 vcc, exec, s[0:1]
	s_cbranch_vccnz .LBB171_243
; %bb.242:
	v_lshl_add_u64 v[100:101], v[136:137], 3, v[98:99]
	global_load_dwordx2 v[100:101], v[100:101], off
	s_waitcnt vmcnt(0)
	v_mul_f64 v[100:101], s[24:25], v[100:101]
	v_cvt_f32_f64_e32 v100, v[100:101]
	s_branch .LBB171_244
.LBB171_243:
	v_mov_b32_e32 v100, 0
.LBB171_244:
	v_add_f64 v[102:103], v[38:39], v[94:95]
	v_add_f64 v[104:105], v[36:37], v[92:93]
	v_cvt_f32_f64_e32 v101, v[104:105]
	v_cvt_f32_f64_e32 v102, v[102:103]
	v_min3_f32 v101, v101, v102, v181
	v_add_f64 v[102:103], v[34:35], v[90:91]
	v_add_f64 v[104:105], v[32:33], v[88:89]
	v_cvt_f32_f64_e32 v104, v[104:105]
	v_cvt_f32_f64_e32 v102, v[102:103]
	v_min_f32_e32 v102, v104, v102
	v_min3_f32 v100, v100, v102, v101
	v_cvt_f64_f32_e32 v[100:101], v100
	v_lshl_add_u64 v[102:103], v[136:137], 3, v[96:97]
	global_store_dwordx2 v[102:103], v[100:101], off
	s_or_b64 exec, exec, s[28:29]
	s_and_b64 s[34:35], s[12:13], s[18:19]
	s_and_saveexec_b64 s[28:29], s[34:35]
	s_cbranch_execz .LBB171_223
.LBB171_245:
	s_and_b64 vcc, exec, s[0:1]
	s_cbranch_vccnz .LBB171_247
; %bb.246:
	v_lshl_add_u64 v[100:101], v[138:139], 3, v[98:99]
	global_load_dwordx2 v[100:101], v[100:101], off
	s_waitcnt vmcnt(0)
	v_mul_f64 v[100:101], s[24:25], v[100:101]
	v_cvt_f32_f64_e32 v100, v[100:101]
	s_branch .LBB171_248
.LBB171_247:
	v_mov_b32_e32 v100, 0
.LBB171_248:
	v_add_f64 v[102:103], v[30:31], v[94:95]
	v_add_f64 v[104:105], v[28:29], v[92:93]
	v_cvt_f32_f64_e32 v101, v[104:105]
	v_cvt_f32_f64_e32 v102, v[102:103]
	v_min3_f32 v101, v101, v102, v180
	v_add_f64 v[102:103], v[26:27], v[90:91]
	v_add_f64 v[104:105], v[24:25], v[88:89]
	v_cvt_f32_f64_e32 v104, v[104:105]
	v_cvt_f32_f64_e32 v102, v[102:103]
	v_min_f32_e32 v102, v104, v102
	v_min3_f32 v100, v100, v102, v101
	v_cvt_f64_f32_e32 v[100:101], v100
	v_lshl_add_u64 v[102:103], v[138:139], 3, v[96:97]
	global_store_dwordx2 v[102:103], v[100:101], off
	s_or_b64 exec, exec, s[28:29]
	s_and_b64 s[34:35], s[14:15], s[18:19]
	s_and_saveexec_b64 s[28:29], s[34:35]
	s_cbranch_execz .LBB171_224
.LBB171_249:
	s_and_b64 vcc, exec, s[0:1]
	s_cbranch_vccnz .LBB171_251
; %bb.250:
	v_lshl_add_u64 v[100:101], v[140:141], 3, v[98:99]
	global_load_dwordx2 v[100:101], v[100:101], off
	s_waitcnt vmcnt(0)
	v_mul_f64 v[100:101], s[24:25], v[100:101]
	v_cvt_f32_f64_e32 v100, v[100:101]
	s_branch .LBB171_252
.LBB171_251:
	v_mov_b32_e32 v100, 0
.LBB171_252:
	v_add_f64 v[102:103], v[22:23], v[94:95]
	v_add_f64 v[104:105], v[20:21], v[92:93]
	v_cvt_f32_f64_e32 v101, v[104:105]
	v_cvt_f32_f64_e32 v102, v[102:103]
	v_min3_f32 v101, v101, v102, v179
	v_add_f64 v[102:103], v[18:19], v[90:91]
	v_add_f64 v[104:105], v[16:17], v[88:89]
	v_cvt_f32_f64_e32 v104, v[104:105]
	v_cvt_f32_f64_e32 v102, v[102:103]
	v_min_f32_e32 v102, v104, v102
	v_min3_f32 v100, v100, v102, v101
	v_cvt_f64_f32_e32 v[100:101], v100
	v_lshl_add_u64 v[102:103], v[140:141], 3, v[96:97]
	global_store_dwordx2 v[102:103], v[100:101], off
	s_or_b64 exec, exec, s[28:29]
	s_and_b64 s[28:29], s[16:17], s[18:19]
	s_and_saveexec_b64 s[18:19], s[28:29]
	s_cbranch_execz .LBB171_257
.LBB171_253:
	s_and_b64 vcc, exec, s[0:1]
	s_cbranch_vccnz .LBB171_255
; %bb.254:
	v_lshl_add_u64 v[98:99], v[142:143], 3, v[98:99]
	global_load_dwordx2 v[98:99], v[98:99], off
	s_waitcnt vmcnt(0)
	v_mul_f64 v[98:99], s[24:25], v[98:99]
	v_cvt_f32_f64_e32 v98, v[98:99]
	s_branch .LBB171_256
.LBB171_255:
	v_mov_b32_e32 v98, 0
.LBB171_256:
	v_add_f64 v[94:95], v[6:7], v[94:95]
	v_add_f64 v[92:93], v[4:5], v[92:93]
	;; [unrolled: 1-line block ×4, first 2 shown]
	v_cvt_f32_f64_e32 v92, v[92:93]
	v_cvt_f32_f64_e32 v93, v[94:95]
	;; [unrolled: 1-line block ×4, first 2 shown]
	v_min3_f32 v92, v92, v93, v178
	v_min_f32_e32 v88, v88, v89
	v_min3_f32 v88, v98, v88, v92
	v_cvt_f64_f32_e32 v[88:89], v88
	v_lshl_add_u64 v[90:91], v[142:143], 3, v[96:97]
	global_store_dwordx2 v[90:91], v[88:89], off
.LBB171_257:
	s_or_b64 exec, exec, s[18:19]
	v_add_u32_e32 v92, 0xa0, v150
	v_mad_i64_i32 v[88:89], s[28:29], v92, s31, 0
	v_cmp_gt_i32_e64 s[18:19], s21, v92
	v_lshl_add_u64 v[90:91], v[88:89], 3, s[26:27]
	v_mad_i64_i32 v[88:89], s[28:29], v92, s30, 0
	v_lshl_add_u64 v[88:89], v[88:89], 3, s[22:23]
	s_and_b64 s[34:35], s[2:3], s[18:19]
	s_and_saveexec_b64 s[28:29], s[34:35]
	s_cbranch_execnz .LBB171_265
; %bb.258:
	s_or_b64 exec, exec, s[28:29]
	s_and_b64 s[34:35], s[4:5], s[18:19]
	s_and_saveexec_b64 s[28:29], s[34:35]
	s_cbranch_execnz .LBB171_269
.LBB171_259:
	s_or_b64 exec, exec, s[28:29]
	s_and_b64 s[34:35], s[6:7], s[18:19]
	s_and_saveexec_b64 s[28:29], s[34:35]
	s_cbranch_execnz .LBB171_273
.LBB171_260:
	s_or_b64 exec, exec, s[28:29]
	s_and_b64 s[34:35], s[8:9], s[18:19]
	s_and_saveexec_b64 s[28:29], s[34:35]
	s_cbranch_execnz .LBB171_277
.LBB171_261:
	s_or_b64 exec, exec, s[28:29]
	s_and_b64 s[34:35], s[10:11], s[18:19]
	s_and_saveexec_b64 s[28:29], s[34:35]
	s_cbranch_execnz .LBB171_281
.LBB171_262:
	s_or_b64 exec, exec, s[28:29]
	s_and_b64 s[34:35], s[12:13], s[18:19]
	s_and_saveexec_b64 s[28:29], s[34:35]
	s_cbranch_execnz .LBB171_285
.LBB171_263:
	s_or_b64 exec, exec, s[28:29]
	s_and_b64 s[34:35], s[14:15], s[18:19]
	s_and_saveexec_b64 s[28:29], s[34:35]
	s_cbranch_execnz .LBB171_289
.LBB171_264:
	s_or_b64 exec, exec, s[28:29]
	s_and_b64 s[28:29], s[16:17], s[18:19]
	s_and_saveexec_b64 s[18:19], s[28:29]
	s_cbranch_execnz .LBB171_293
	s_branch .LBB171_297
.LBB171_265:
	s_and_b64 vcc, exec, s[0:1]
	s_cbranch_vccnz .LBB171_267
; %bb.266:
	v_lshl_add_u64 v[92:93], v[128:129], 3, v[90:91]
	global_load_dwordx2 v[92:93], v[92:93], off
	s_waitcnt vmcnt(0)
	v_mul_f64 v[92:93], s[24:25], v[92:93]
	v_cvt_f32_f64_e32 v92, v[92:93]
	s_branch .LBB171_268
.LBB171_267:
	v_mov_b32_e32 v92, 0
.LBB171_268:
	v_add_f64 v[94:95], v[70:71], v[86:87]
	v_add_f64 v[96:97], v[68:69], v[84:85]
	v_cvt_f32_f64_e32 v93, v[96:97]
	v_cvt_f32_f64_e32 v94, v[94:95]
	v_min3_f32 v93, v93, v94, v177
	v_add_f64 v[94:95], v[66:67], v[82:83]
	v_add_f64 v[96:97], v[64:65], v[80:81]
	v_cvt_f32_f64_e32 v96, v[96:97]
	v_cvt_f32_f64_e32 v94, v[94:95]
	v_min_f32_e32 v94, v96, v94
	v_min3_f32 v92, v92, v94, v93
	v_cvt_f64_f32_e32 v[92:93], v92
	v_lshl_add_u64 v[94:95], v[128:129], 3, v[88:89]
	global_store_dwordx2 v[94:95], v[92:93], off
	s_or_b64 exec, exec, s[28:29]
	s_and_b64 s[34:35], s[4:5], s[18:19]
	s_and_saveexec_b64 s[28:29], s[34:35]
	s_cbranch_execz .LBB171_259
.LBB171_269:
	s_and_b64 vcc, exec, s[0:1]
	s_cbranch_vccnz .LBB171_271
; %bb.270:
	v_lshl_add_u64 v[92:93], v[130:131], 3, v[90:91]
	global_load_dwordx2 v[92:93], v[92:93], off
	s_waitcnt vmcnt(0)
	v_mul_f64 v[92:93], s[24:25], v[92:93]
	v_cvt_f32_f64_e32 v92, v[92:93]
	s_branch .LBB171_272
.LBB171_271:
	v_mov_b32_e32 v92, 0
.LBB171_272:
	v_add_f64 v[94:95], v[62:63], v[86:87]
	v_add_f64 v[96:97], v[60:61], v[84:85]
	v_cvt_f32_f64_e32 v93, v[96:97]
	v_cvt_f32_f64_e32 v94, v[94:95]
	v_min3_f32 v93, v93, v94, v176
	v_add_f64 v[94:95], v[58:59], v[82:83]
	v_add_f64 v[96:97], v[56:57], v[80:81]
	v_cvt_f32_f64_e32 v96, v[96:97]
	v_cvt_f32_f64_e32 v94, v[94:95]
	v_min_f32_e32 v94, v96, v94
	v_min3_f32 v92, v92, v94, v93
	v_cvt_f64_f32_e32 v[92:93], v92
	v_lshl_add_u64 v[94:95], v[130:131], 3, v[88:89]
	global_store_dwordx2 v[94:95], v[92:93], off
	s_or_b64 exec, exec, s[28:29]
	s_and_b64 s[34:35], s[6:7], s[18:19]
	s_and_saveexec_b64 s[28:29], s[34:35]
	s_cbranch_execz .LBB171_260
.LBB171_273:
	s_and_b64 vcc, exec, s[0:1]
	s_cbranch_vccnz .LBB171_275
; %bb.274:
	v_lshl_add_u64 v[92:93], v[132:133], 3, v[90:91]
	global_load_dwordx2 v[92:93], v[92:93], off
	s_waitcnt vmcnt(0)
	v_mul_f64 v[92:93], s[24:25], v[92:93]
	v_cvt_f32_f64_e32 v92, v[92:93]
	s_branch .LBB171_276
.LBB171_275:
	v_mov_b32_e32 v92, 0
.LBB171_276:
	v_add_f64 v[94:95], v[54:55], v[86:87]
	v_add_f64 v[96:97], v[52:53], v[84:85]
	v_cvt_f32_f64_e32 v93, v[96:97]
	v_cvt_f32_f64_e32 v94, v[94:95]
	v_min3_f32 v93, v93, v94, v175
	v_add_f64 v[94:95], v[50:51], v[82:83]
	v_add_f64 v[96:97], v[48:49], v[80:81]
	v_cvt_f32_f64_e32 v96, v[96:97]
	v_cvt_f32_f64_e32 v94, v[94:95]
	v_min_f32_e32 v94, v96, v94
	v_min3_f32 v92, v92, v94, v93
	v_cvt_f64_f32_e32 v[92:93], v92
	v_lshl_add_u64 v[94:95], v[132:133], 3, v[88:89]
	global_store_dwordx2 v[94:95], v[92:93], off
	s_or_b64 exec, exec, s[28:29]
	s_and_b64 s[34:35], s[8:9], s[18:19]
	s_and_saveexec_b64 s[28:29], s[34:35]
	s_cbranch_execz .LBB171_261
.LBB171_277:
	s_and_b64 vcc, exec, s[0:1]
	s_cbranch_vccnz .LBB171_279
; %bb.278:
	v_lshl_add_u64 v[92:93], v[134:135], 3, v[90:91]
	global_load_dwordx2 v[92:93], v[92:93], off
	s_waitcnt vmcnt(0)
	v_mul_f64 v[92:93], s[24:25], v[92:93]
	v_cvt_f32_f64_e32 v92, v[92:93]
	s_branch .LBB171_280
.LBB171_279:
	v_mov_b32_e32 v92, 0
.LBB171_280:
	v_add_f64 v[94:95], v[46:47], v[86:87]
	v_add_f64 v[96:97], v[44:45], v[84:85]
	v_cvt_f32_f64_e32 v93, v[96:97]
	v_cvt_f32_f64_e32 v94, v[94:95]
	v_min3_f32 v93, v93, v94, v174
	v_add_f64 v[94:95], v[42:43], v[82:83]
	v_add_f64 v[96:97], v[40:41], v[80:81]
	v_cvt_f32_f64_e32 v96, v[96:97]
	v_cvt_f32_f64_e32 v94, v[94:95]
	v_min_f32_e32 v94, v96, v94
	v_min3_f32 v92, v92, v94, v93
	v_cvt_f64_f32_e32 v[92:93], v92
	v_lshl_add_u64 v[94:95], v[134:135], 3, v[88:89]
	global_store_dwordx2 v[94:95], v[92:93], off
	s_or_b64 exec, exec, s[28:29]
	s_and_b64 s[34:35], s[10:11], s[18:19]
	s_and_saveexec_b64 s[28:29], s[34:35]
	s_cbranch_execz .LBB171_262
.LBB171_281:
	s_and_b64 vcc, exec, s[0:1]
	s_cbranch_vccnz .LBB171_283
; %bb.282:
	v_lshl_add_u64 v[92:93], v[136:137], 3, v[90:91]
	global_load_dwordx2 v[92:93], v[92:93], off
	s_waitcnt vmcnt(0)
	v_mul_f64 v[92:93], s[24:25], v[92:93]
	v_cvt_f32_f64_e32 v92, v[92:93]
	s_branch .LBB171_284
.LBB171_283:
	v_mov_b32_e32 v92, 0
.LBB171_284:
	v_add_f64 v[94:95], v[38:39], v[86:87]
	v_add_f64 v[96:97], v[36:37], v[84:85]
	v_cvt_f32_f64_e32 v93, v[96:97]
	v_cvt_f32_f64_e32 v94, v[94:95]
	v_min3_f32 v93, v93, v94, v173
	v_add_f64 v[94:95], v[34:35], v[82:83]
	v_add_f64 v[96:97], v[32:33], v[80:81]
	v_cvt_f32_f64_e32 v96, v[96:97]
	v_cvt_f32_f64_e32 v94, v[94:95]
	v_min_f32_e32 v94, v96, v94
	v_min3_f32 v92, v92, v94, v93
	v_cvt_f64_f32_e32 v[92:93], v92
	v_lshl_add_u64 v[94:95], v[136:137], 3, v[88:89]
	global_store_dwordx2 v[94:95], v[92:93], off
	s_or_b64 exec, exec, s[28:29]
	s_and_b64 s[34:35], s[12:13], s[18:19]
	s_and_saveexec_b64 s[28:29], s[34:35]
	s_cbranch_execz .LBB171_263
.LBB171_285:
	s_and_b64 vcc, exec, s[0:1]
	s_cbranch_vccnz .LBB171_287
; %bb.286:
	v_lshl_add_u64 v[92:93], v[138:139], 3, v[90:91]
	global_load_dwordx2 v[92:93], v[92:93], off
	s_waitcnt vmcnt(0)
	v_mul_f64 v[92:93], s[24:25], v[92:93]
	v_cvt_f32_f64_e32 v92, v[92:93]
	s_branch .LBB171_288
.LBB171_287:
	v_mov_b32_e32 v92, 0
.LBB171_288:
	v_add_f64 v[94:95], v[30:31], v[86:87]
	v_add_f64 v[96:97], v[28:29], v[84:85]
	v_cvt_f32_f64_e32 v93, v[96:97]
	v_cvt_f32_f64_e32 v94, v[94:95]
	v_min3_f32 v93, v93, v94, v172
	v_add_f64 v[94:95], v[26:27], v[82:83]
	v_add_f64 v[96:97], v[24:25], v[80:81]
	v_cvt_f32_f64_e32 v96, v[96:97]
	v_cvt_f32_f64_e32 v94, v[94:95]
	v_min_f32_e32 v94, v96, v94
	v_min3_f32 v92, v92, v94, v93
	v_cvt_f64_f32_e32 v[92:93], v92
	v_lshl_add_u64 v[94:95], v[138:139], 3, v[88:89]
	global_store_dwordx2 v[94:95], v[92:93], off
	s_or_b64 exec, exec, s[28:29]
	s_and_b64 s[34:35], s[14:15], s[18:19]
	s_and_saveexec_b64 s[28:29], s[34:35]
	s_cbranch_execz .LBB171_264
.LBB171_289:
	s_and_b64 vcc, exec, s[0:1]
	s_cbranch_vccnz .LBB171_291
; %bb.290:
	v_lshl_add_u64 v[92:93], v[140:141], 3, v[90:91]
	global_load_dwordx2 v[92:93], v[92:93], off
	s_waitcnt vmcnt(0)
	v_mul_f64 v[92:93], s[24:25], v[92:93]
	v_cvt_f32_f64_e32 v92, v[92:93]
	s_branch .LBB171_292
.LBB171_291:
	v_mov_b32_e32 v92, 0
.LBB171_292:
	v_add_f64 v[94:95], v[22:23], v[86:87]
	v_add_f64 v[96:97], v[20:21], v[84:85]
	v_cvt_f32_f64_e32 v93, v[96:97]
	v_cvt_f32_f64_e32 v94, v[94:95]
	v_min3_f32 v93, v93, v94, v171
	v_add_f64 v[94:95], v[18:19], v[82:83]
	v_add_f64 v[96:97], v[16:17], v[80:81]
	v_cvt_f32_f64_e32 v96, v[96:97]
	v_cvt_f32_f64_e32 v94, v[94:95]
	v_min_f32_e32 v94, v96, v94
	v_min3_f32 v92, v92, v94, v93
	v_cvt_f64_f32_e32 v[92:93], v92
	v_lshl_add_u64 v[94:95], v[140:141], 3, v[88:89]
	global_store_dwordx2 v[94:95], v[92:93], off
	s_or_b64 exec, exec, s[28:29]
	s_and_b64 s[28:29], s[16:17], s[18:19]
	s_and_saveexec_b64 s[18:19], s[28:29]
	s_cbranch_execz .LBB171_297
.LBB171_293:
	s_and_b64 vcc, exec, s[0:1]
	s_cbranch_vccnz .LBB171_295
; %bb.294:
	v_lshl_add_u64 v[90:91], v[142:143], 3, v[90:91]
	global_load_dwordx2 v[90:91], v[90:91], off
	s_waitcnt vmcnt(0)
	v_mul_f64 v[90:91], s[24:25], v[90:91]
	v_cvt_f32_f64_e32 v90, v[90:91]
	s_branch .LBB171_296
.LBB171_295:
	v_mov_b32_e32 v90, 0
.LBB171_296:
	v_add_f64 v[86:87], v[6:7], v[86:87]
	v_add_f64 v[84:85], v[4:5], v[84:85]
	;; [unrolled: 1-line block ×4, first 2 shown]
	v_cvt_f32_f64_e32 v84, v[84:85]
	v_cvt_f32_f64_e32 v85, v[86:87]
	;; [unrolled: 1-line block ×4, first 2 shown]
	v_min3_f32 v84, v84, v85, v170
	v_min_f32_e32 v80, v80, v81
	v_min3_f32 v80, v90, v80, v84
	v_cvt_f64_f32_e32 v[80:81], v80
	v_lshl_add_u64 v[82:83], v[142:143], 3, v[88:89]
	global_store_dwordx2 v[82:83], v[80:81], off
.LBB171_297:
	s_or_b64 exec, exec, s[18:19]
	v_add_u32_e32 v84, 0xc0, v150
	v_mad_i64_i32 v[80:81], s[28:29], v84, s31, 0
	v_cmp_gt_i32_e64 s[18:19], s21, v84
	v_lshl_add_u64 v[82:83], v[80:81], 3, s[26:27]
	v_mad_i64_i32 v[80:81], s[28:29], v84, s30, 0
	v_lshl_add_u64 v[80:81], v[80:81], 3, s[22:23]
	s_and_b64 s[34:35], s[2:3], s[18:19]
	s_and_saveexec_b64 s[28:29], s[34:35]
	s_cbranch_execnz .LBB171_305
; %bb.298:
	s_or_b64 exec, exec, s[28:29]
	s_and_b64 s[34:35], s[4:5], s[18:19]
	s_and_saveexec_b64 s[28:29], s[34:35]
	s_cbranch_execnz .LBB171_309
.LBB171_299:
	s_or_b64 exec, exec, s[28:29]
	s_and_b64 s[34:35], s[6:7], s[18:19]
	s_and_saveexec_b64 s[28:29], s[34:35]
	s_cbranch_execnz .LBB171_313
.LBB171_300:
	s_or_b64 exec, exec, s[28:29]
	s_and_b64 s[34:35], s[8:9], s[18:19]
	s_and_saveexec_b64 s[28:29], s[34:35]
	s_cbranch_execnz .LBB171_317
.LBB171_301:
	s_or_b64 exec, exec, s[28:29]
	s_and_b64 s[34:35], s[10:11], s[18:19]
	s_and_saveexec_b64 s[28:29], s[34:35]
	s_cbranch_execnz .LBB171_321
.LBB171_302:
	s_or_b64 exec, exec, s[28:29]
	s_and_b64 s[34:35], s[12:13], s[18:19]
	s_and_saveexec_b64 s[28:29], s[34:35]
	s_cbranch_execnz .LBB171_325
.LBB171_303:
	s_or_b64 exec, exec, s[28:29]
	s_and_b64 s[34:35], s[14:15], s[18:19]
	s_and_saveexec_b64 s[28:29], s[34:35]
	s_cbranch_execnz .LBB171_329
.LBB171_304:
	s_or_b64 exec, exec, s[28:29]
	s_and_b64 s[28:29], s[16:17], s[18:19]
	s_and_saveexec_b64 s[18:19], s[28:29]
	s_cbranch_execnz .LBB171_333
	s_branch .LBB171_337
.LBB171_305:
	s_and_b64 vcc, exec, s[0:1]
	s_cbranch_vccnz .LBB171_307
; %bb.306:
	v_lshl_add_u64 v[84:85], v[128:129], 3, v[82:83]
	global_load_dwordx2 v[84:85], v[84:85], off
	s_waitcnt vmcnt(0)
	v_mul_f64 v[84:85], s[24:25], v[84:85]
	v_cvt_f32_f64_e32 v84, v[84:85]
	s_branch .LBB171_308
.LBB171_307:
	v_mov_b32_e32 v84, 0
.LBB171_308:
	v_add_f64 v[86:87], v[70:71], v[78:79]
	v_add_f64 v[88:89], v[68:69], v[76:77]
	v_cvt_f32_f64_e32 v85, v[88:89]
	v_cvt_f32_f64_e32 v86, v[86:87]
	v_min3_f32 v85, v85, v86, v169
	v_add_f64 v[86:87], v[66:67], v[74:75]
	v_add_f64 v[88:89], v[64:65], v[72:73]
	v_cvt_f32_f64_e32 v88, v[88:89]
	v_cvt_f32_f64_e32 v86, v[86:87]
	v_min_f32_e32 v86, v88, v86
	v_min3_f32 v84, v84, v86, v85
	v_cvt_f64_f32_e32 v[84:85], v84
	v_lshl_add_u64 v[86:87], v[128:129], 3, v[80:81]
	global_store_dwordx2 v[86:87], v[84:85], off
	s_or_b64 exec, exec, s[28:29]
	s_and_b64 s[34:35], s[4:5], s[18:19]
	s_and_saveexec_b64 s[28:29], s[34:35]
	s_cbranch_execz .LBB171_299
.LBB171_309:
	s_and_b64 vcc, exec, s[0:1]
	s_cbranch_vccnz .LBB171_311
; %bb.310:
	v_lshl_add_u64 v[84:85], v[130:131], 3, v[82:83]
	global_load_dwordx2 v[84:85], v[84:85], off
	s_waitcnt vmcnt(0)
	v_mul_f64 v[84:85], s[24:25], v[84:85]
	v_cvt_f32_f64_e32 v84, v[84:85]
	s_branch .LBB171_312
.LBB171_311:
	v_mov_b32_e32 v84, 0
.LBB171_312:
	v_add_f64 v[86:87], v[62:63], v[78:79]
	v_add_f64 v[88:89], v[60:61], v[76:77]
	v_cvt_f32_f64_e32 v85, v[88:89]
	v_cvt_f32_f64_e32 v86, v[86:87]
	v_min3_f32 v85, v85, v86, v167
	v_add_f64 v[86:87], v[58:59], v[74:75]
	v_add_f64 v[88:89], v[56:57], v[72:73]
	v_cvt_f32_f64_e32 v88, v[88:89]
	v_cvt_f32_f64_e32 v86, v[86:87]
	v_min_f32_e32 v86, v88, v86
	v_min3_f32 v84, v84, v86, v85
	v_cvt_f64_f32_e32 v[84:85], v84
	v_lshl_add_u64 v[86:87], v[130:131], 3, v[80:81]
	global_store_dwordx2 v[86:87], v[84:85], off
	s_or_b64 exec, exec, s[28:29]
	s_and_b64 s[34:35], s[6:7], s[18:19]
	s_and_saveexec_b64 s[28:29], s[34:35]
	s_cbranch_execz .LBB171_300
.LBB171_313:
	s_and_b64 vcc, exec, s[0:1]
	s_cbranch_vccnz .LBB171_315
; %bb.314:
	v_lshl_add_u64 v[84:85], v[132:133], 3, v[82:83]
	global_load_dwordx2 v[84:85], v[84:85], off
	s_waitcnt vmcnt(0)
	v_mul_f64 v[84:85], s[24:25], v[84:85]
	v_cvt_f32_f64_e32 v84, v[84:85]
	s_branch .LBB171_316
.LBB171_315:
	v_mov_b32_e32 v84, 0
.LBB171_316:
	v_add_f64 v[86:87], v[54:55], v[78:79]
	v_add_f64 v[88:89], v[52:53], v[76:77]
	v_cvt_f32_f64_e32 v85, v[88:89]
	v_cvt_f32_f64_e32 v86, v[86:87]
	v_min3_f32 v85, v85, v86, v166
	v_add_f64 v[86:87], v[50:51], v[74:75]
	v_add_f64 v[88:89], v[48:49], v[72:73]
	v_cvt_f32_f64_e32 v88, v[88:89]
	v_cvt_f32_f64_e32 v86, v[86:87]
	v_min_f32_e32 v86, v88, v86
	v_min3_f32 v84, v84, v86, v85
	v_cvt_f64_f32_e32 v[84:85], v84
	v_lshl_add_u64 v[86:87], v[132:133], 3, v[80:81]
	global_store_dwordx2 v[86:87], v[84:85], off
	s_or_b64 exec, exec, s[28:29]
	s_and_b64 s[34:35], s[8:9], s[18:19]
	s_and_saveexec_b64 s[28:29], s[34:35]
	s_cbranch_execz .LBB171_301
.LBB171_317:
	s_and_b64 vcc, exec, s[0:1]
	s_cbranch_vccnz .LBB171_319
; %bb.318:
	v_lshl_add_u64 v[84:85], v[134:135], 3, v[82:83]
	global_load_dwordx2 v[84:85], v[84:85], off
	s_waitcnt vmcnt(0)
	v_mul_f64 v[84:85], s[24:25], v[84:85]
	v_cvt_f32_f64_e32 v84, v[84:85]
	s_branch .LBB171_320
.LBB171_319:
	v_mov_b32_e32 v84, 0
.LBB171_320:
	v_add_f64 v[86:87], v[46:47], v[78:79]
	v_add_f64 v[88:89], v[44:45], v[76:77]
	v_cvt_f32_f64_e32 v85, v[88:89]
	v_cvt_f32_f64_e32 v86, v[86:87]
	v_min3_f32 v85, v85, v86, v165
	v_add_f64 v[86:87], v[42:43], v[74:75]
	v_add_f64 v[88:89], v[40:41], v[72:73]
	v_cvt_f32_f64_e32 v88, v[88:89]
	v_cvt_f32_f64_e32 v86, v[86:87]
	v_min_f32_e32 v86, v88, v86
	v_min3_f32 v84, v84, v86, v85
	v_cvt_f64_f32_e32 v[84:85], v84
	v_lshl_add_u64 v[86:87], v[134:135], 3, v[80:81]
	global_store_dwordx2 v[86:87], v[84:85], off
	s_or_b64 exec, exec, s[28:29]
	s_and_b64 s[34:35], s[10:11], s[18:19]
	s_and_saveexec_b64 s[28:29], s[34:35]
	s_cbranch_execz .LBB171_302
.LBB171_321:
	s_and_b64 vcc, exec, s[0:1]
	s_cbranch_vccnz .LBB171_323
; %bb.322:
	v_lshl_add_u64 v[84:85], v[136:137], 3, v[82:83]
	global_load_dwordx2 v[84:85], v[84:85], off
	s_waitcnt vmcnt(0)
	v_mul_f64 v[84:85], s[24:25], v[84:85]
	v_cvt_f32_f64_e32 v84, v[84:85]
	s_branch .LBB171_324
.LBB171_323:
	v_mov_b32_e32 v84, 0
.LBB171_324:
	v_add_f64 v[86:87], v[38:39], v[78:79]
	v_add_f64 v[88:89], v[36:37], v[76:77]
	v_cvt_f32_f64_e32 v85, v[88:89]
	v_cvt_f32_f64_e32 v86, v[86:87]
	v_min3_f32 v85, v85, v86, v164
	v_add_f64 v[86:87], v[34:35], v[74:75]
	v_add_f64 v[88:89], v[32:33], v[72:73]
	v_cvt_f32_f64_e32 v88, v[88:89]
	v_cvt_f32_f64_e32 v86, v[86:87]
	v_min_f32_e32 v86, v88, v86
	v_min3_f32 v84, v84, v86, v85
	v_cvt_f64_f32_e32 v[84:85], v84
	v_lshl_add_u64 v[86:87], v[136:137], 3, v[80:81]
	global_store_dwordx2 v[86:87], v[84:85], off
	s_or_b64 exec, exec, s[28:29]
	s_and_b64 s[34:35], s[12:13], s[18:19]
	s_and_saveexec_b64 s[28:29], s[34:35]
	s_cbranch_execz .LBB171_303
.LBB171_325:
	s_and_b64 vcc, exec, s[0:1]
	s_cbranch_vccnz .LBB171_327
; %bb.326:
	v_lshl_add_u64 v[84:85], v[138:139], 3, v[82:83]
	global_load_dwordx2 v[84:85], v[84:85], off
	s_waitcnt vmcnt(0)
	v_mul_f64 v[84:85], s[24:25], v[84:85]
	v_cvt_f32_f64_e32 v84, v[84:85]
	s_branch .LBB171_328
.LBB171_327:
	v_mov_b32_e32 v84, 0
.LBB171_328:
	v_add_f64 v[86:87], v[30:31], v[78:79]
	v_add_f64 v[88:89], v[28:29], v[76:77]
	v_cvt_f32_f64_e32 v85, v[88:89]
	v_cvt_f32_f64_e32 v86, v[86:87]
	v_min3_f32 v85, v85, v86, v163
	v_add_f64 v[86:87], v[26:27], v[74:75]
	v_add_f64 v[88:89], v[24:25], v[72:73]
	v_cvt_f32_f64_e32 v88, v[88:89]
	v_cvt_f32_f64_e32 v86, v[86:87]
	v_min_f32_e32 v86, v88, v86
	v_min3_f32 v84, v84, v86, v85
	v_cvt_f64_f32_e32 v[84:85], v84
	v_lshl_add_u64 v[86:87], v[138:139], 3, v[80:81]
	global_store_dwordx2 v[86:87], v[84:85], off
	s_or_b64 exec, exec, s[28:29]
	s_and_b64 s[34:35], s[14:15], s[18:19]
	s_and_saveexec_b64 s[28:29], s[34:35]
	s_cbranch_execz .LBB171_304
.LBB171_329:
	s_and_b64 vcc, exec, s[0:1]
	s_cbranch_vccnz .LBB171_331
; %bb.330:
	v_lshl_add_u64 v[84:85], v[140:141], 3, v[82:83]
	global_load_dwordx2 v[84:85], v[84:85], off
	s_waitcnt vmcnt(0)
	v_mul_f64 v[84:85], s[24:25], v[84:85]
	v_cvt_f32_f64_e32 v84, v[84:85]
	s_branch .LBB171_332
.LBB171_331:
	v_mov_b32_e32 v84, 0
.LBB171_332:
	v_add_f64 v[86:87], v[22:23], v[78:79]
	v_add_f64 v[88:89], v[20:21], v[76:77]
	v_cvt_f32_f64_e32 v85, v[88:89]
	v_cvt_f32_f64_e32 v86, v[86:87]
	v_min3_f32 v85, v85, v86, v160
	v_add_f64 v[86:87], v[18:19], v[74:75]
	v_add_f64 v[88:89], v[16:17], v[72:73]
	v_cvt_f32_f64_e32 v88, v[88:89]
	v_cvt_f32_f64_e32 v86, v[86:87]
	v_min_f32_e32 v86, v88, v86
	v_min3_f32 v84, v84, v86, v85
	v_cvt_f64_f32_e32 v[84:85], v84
	v_lshl_add_u64 v[86:87], v[140:141], 3, v[80:81]
	global_store_dwordx2 v[86:87], v[84:85], off
	s_or_b64 exec, exec, s[28:29]
	s_and_b64 s[28:29], s[16:17], s[18:19]
	s_and_saveexec_b64 s[18:19], s[28:29]
	s_cbranch_execz .LBB171_337
.LBB171_333:
	s_and_b64 vcc, exec, s[0:1]
	s_cbranch_vccnz .LBB171_335
; %bb.334:
	v_lshl_add_u64 v[82:83], v[142:143], 3, v[82:83]
	global_load_dwordx2 v[82:83], v[82:83], off
	s_waitcnt vmcnt(0)
	v_mul_f64 v[82:83], s[24:25], v[82:83]
	v_cvt_f32_f64_e32 v82, v[82:83]
	s_branch .LBB171_336
.LBB171_335:
	v_mov_b32_e32 v82, 0
.LBB171_336:
	v_add_f64 v[78:79], v[6:7], v[78:79]
	v_add_f64 v[76:77], v[4:5], v[76:77]
	;; [unrolled: 1-line block ×4, first 2 shown]
	v_cvt_f32_f64_e32 v76, v[76:77]
	v_cvt_f32_f64_e32 v77, v[78:79]
	;; [unrolled: 1-line block ×4, first 2 shown]
	v_min3_f32 v76, v76, v77, v159
	v_min_f32_e32 v72, v72, v73
	v_min3_f32 v72, v82, v72, v76
	v_cvt_f64_f32_e32 v[72:73], v72
	v_lshl_add_u64 v[74:75], v[142:143], 3, v[80:81]
	global_store_dwordx2 v[74:75], v[72:73], off
.LBB171_337:
	s_or_b64 exec, exec, s[18:19]
	v_add_u32_e32 v76, 0xe0, v150
	v_cmp_gt_i32_e64 s[18:19], s21, v76
	v_mad_i64_i32 v[72:73], s[20:21], v76, s31, 0
	v_lshl_add_u64 v[74:75], v[72:73], 3, s[26:27]
	v_mad_i64_i32 v[72:73], s[20:21], v76, s30, 0
	v_lshl_add_u64 v[72:73], v[72:73], 3, s[22:23]
	s_and_b64 s[20:21], s[2:3], s[18:19]
	s_and_saveexec_b64 s[2:3], s[20:21]
	s_cbranch_execnz .LBB171_346
; %bb.338:
	s_or_b64 exec, exec, s[2:3]
	s_and_b64 s[4:5], s[4:5], s[18:19]
	s_and_saveexec_b64 s[2:3], s[4:5]
	s_cbranch_execnz .LBB171_350
.LBB171_339:
	s_or_b64 exec, exec, s[2:3]
	s_and_b64 s[4:5], s[6:7], s[18:19]
	s_and_saveexec_b64 s[2:3], s[4:5]
	s_cbranch_execnz .LBB171_354
.LBB171_340:
	s_or_b64 exec, exec, s[2:3]
	s_and_b64 s[4:5], s[8:9], s[18:19]
	s_and_saveexec_b64 s[2:3], s[4:5]
	s_cbranch_execnz .LBB171_358
.LBB171_341:
	s_or_b64 exec, exec, s[2:3]
	s_and_b64 s[4:5], s[10:11], s[18:19]
	s_and_saveexec_b64 s[2:3], s[4:5]
	s_cbranch_execnz .LBB171_362
.LBB171_342:
	s_or_b64 exec, exec, s[2:3]
	s_and_b64 s[4:5], s[12:13], s[18:19]
	s_and_saveexec_b64 s[2:3], s[4:5]
	s_cbranch_execnz .LBB171_366
.LBB171_343:
	s_or_b64 exec, exec, s[2:3]
	s_and_b64 s[4:5], s[14:15], s[18:19]
	s_and_saveexec_b64 s[2:3], s[4:5]
	s_cbranch_execnz .LBB171_370
.LBB171_344:
	s_or_b64 exec, exec, s[2:3]
	s_and_b64 s[2:3], s[16:17], s[18:19]
	s_and_saveexec_b64 s[4:5], s[2:3]
	s_cbranch_execnz .LBB171_374
.LBB171_345:
	s_endpgm
.LBB171_346:
	s_and_b64 vcc, exec, s[0:1]
	s_cbranch_vccnz .LBB171_348
; %bb.347:
	v_lshl_add_u64 v[76:77], v[128:129], 3, v[74:75]
	global_load_dwordx2 v[76:77], v[76:77], off
	s_waitcnt vmcnt(0)
	v_mul_f64 v[76:77], s[24:25], v[76:77]
	v_cvt_f32_f64_e32 v76, v[76:77]
	s_branch .LBB171_349
.LBB171_348:
	v_mov_b32_e32 v76, 0
.LBB171_349:
	v_add_f64 v[70:71], v[70:71], v[14:15]
	v_add_f64 v[68:69], v[68:69], v[12:13]
	;; [unrolled: 1-line block ×4, first 2 shown]
	v_cvt_f32_f64_e32 v68, v[68:69]
	v_cvt_f32_f64_e32 v69, v[70:71]
	;; [unrolled: 1-line block ×4, first 2 shown]
	v_min3_f32 v68, v68, v69, v157
	v_min_f32_e32 v64, v64, v65
	v_min3_f32 v64, v76, v64, v68
	v_cvt_f64_f32_e32 v[64:65], v64
	v_lshl_add_u64 v[66:67], v[128:129], 3, v[72:73]
	global_store_dwordx2 v[66:67], v[64:65], off
	s_or_b64 exec, exec, s[2:3]
	s_and_b64 s[4:5], s[4:5], s[18:19]
	s_and_saveexec_b64 s[2:3], s[4:5]
	s_cbranch_execz .LBB171_339
.LBB171_350:
	s_and_b64 vcc, exec, s[0:1]
	s_cbranch_vccnz .LBB171_352
; %bb.351:
	v_lshl_add_u64 v[64:65], v[130:131], 3, v[74:75]
	global_load_dwordx2 v[64:65], v[64:65], off
	s_waitcnt vmcnt(0)
	v_mul_f64 v[64:65], s[24:25], v[64:65]
	v_cvt_f32_f64_e32 v64, v[64:65]
	s_branch .LBB171_353
.LBB171_352:
	v_mov_b32_e32 v64, 0
.LBB171_353:
	v_add_f64 v[62:63], v[62:63], v[14:15]
	v_add_f64 v[60:61], v[60:61], v[12:13]
	;; [unrolled: 1-line block ×4, first 2 shown]
	v_cvt_f32_f64_e32 v60, v[60:61]
	v_cvt_f32_f64_e32 v61, v[62:63]
	;; [unrolled: 1-line block ×4, first 2 shown]
	v_min3_f32 v60, v60, v61, v156
	v_min_f32_e32 v56, v56, v57
	v_min3_f32 v56, v64, v56, v60
	v_cvt_f64_f32_e32 v[56:57], v56
	v_lshl_add_u64 v[58:59], v[130:131], 3, v[72:73]
	global_store_dwordx2 v[58:59], v[56:57], off
	s_or_b64 exec, exec, s[2:3]
	s_and_b64 s[4:5], s[6:7], s[18:19]
	s_and_saveexec_b64 s[2:3], s[4:5]
	s_cbranch_execz .LBB171_340
.LBB171_354:
	s_and_b64 vcc, exec, s[0:1]
	s_cbranch_vccnz .LBB171_356
; %bb.355:
	v_lshl_add_u64 v[56:57], v[132:133], 3, v[74:75]
	global_load_dwordx2 v[56:57], v[56:57], off
	s_waitcnt vmcnt(0)
	v_mul_f64 v[56:57], s[24:25], v[56:57]
	v_cvt_f32_f64_e32 v56, v[56:57]
	s_branch .LBB171_357
.LBB171_356:
	v_mov_b32_e32 v56, 0
.LBB171_357:
	v_add_f64 v[54:55], v[54:55], v[14:15]
	v_add_f64 v[52:53], v[52:53], v[12:13]
	;; [unrolled: 1-line block ×4, first 2 shown]
	v_cvt_f32_f64_e32 v52, v[52:53]
	v_cvt_f32_f64_e32 v53, v[54:55]
	;; [unrolled: 1-line block ×4, first 2 shown]
	v_min3_f32 v52, v52, v53, v155
	v_min_f32_e32 v48, v48, v49
	v_min3_f32 v48, v56, v48, v52
	v_cvt_f64_f32_e32 v[48:49], v48
	v_lshl_add_u64 v[50:51], v[132:133], 3, v[72:73]
	global_store_dwordx2 v[50:51], v[48:49], off
	s_or_b64 exec, exec, s[2:3]
	s_and_b64 s[4:5], s[8:9], s[18:19]
	s_and_saveexec_b64 s[2:3], s[4:5]
	s_cbranch_execz .LBB171_341
.LBB171_358:
	s_and_b64 vcc, exec, s[0:1]
	s_cbranch_vccnz .LBB171_360
; %bb.359:
	v_lshl_add_u64 v[48:49], v[134:135], 3, v[74:75]
	global_load_dwordx2 v[48:49], v[48:49], off
	s_waitcnt vmcnt(0)
	v_mul_f64 v[48:49], s[24:25], v[48:49]
	v_cvt_f32_f64_e32 v48, v[48:49]
	s_branch .LBB171_361
.LBB171_360:
	v_mov_b32_e32 v48, 0
.LBB171_361:
	v_add_f64 v[46:47], v[46:47], v[14:15]
	v_add_f64 v[44:45], v[44:45], v[12:13]
	;; [unrolled: 1-line block ×4, first 2 shown]
	v_cvt_f32_f64_e32 v44, v[44:45]
	v_cvt_f32_f64_e32 v45, v[46:47]
	v_cvt_f32_f64_e32 v40, v[40:41]
	v_cvt_f32_f64_e32 v41, v[42:43]
	v_min3_f32 v44, v44, v45, v154
	v_min_f32_e32 v40, v40, v41
	v_min3_f32 v40, v48, v40, v44
	v_cvt_f64_f32_e32 v[40:41], v40
	v_lshl_add_u64 v[42:43], v[134:135], 3, v[72:73]
	global_store_dwordx2 v[42:43], v[40:41], off
	s_or_b64 exec, exec, s[2:3]
	s_and_b64 s[4:5], s[10:11], s[18:19]
	s_and_saveexec_b64 s[2:3], s[4:5]
	s_cbranch_execz .LBB171_342
.LBB171_362:
	s_and_b64 vcc, exec, s[0:1]
	s_cbranch_vccnz .LBB171_364
; %bb.363:
	v_lshl_add_u64 v[40:41], v[136:137], 3, v[74:75]
	global_load_dwordx2 v[40:41], v[40:41], off
	s_waitcnt vmcnt(0)
	v_mul_f64 v[40:41], s[24:25], v[40:41]
	v_cvt_f32_f64_e32 v40, v[40:41]
	s_branch .LBB171_365
.LBB171_364:
	v_mov_b32_e32 v40, 0
.LBB171_365:
	v_add_f64 v[38:39], v[38:39], v[14:15]
	v_add_f64 v[36:37], v[36:37], v[12:13]
	;; [unrolled: 1-line block ×4, first 2 shown]
	v_cvt_f32_f64_e32 v36, v[36:37]
	v_cvt_f32_f64_e32 v37, v[38:39]
	;; [unrolled: 1-line block ×4, first 2 shown]
	v_min3_f32 v36, v36, v37, v153
	v_min_f32_e32 v32, v32, v33
	v_min3_f32 v32, v40, v32, v36
	v_cvt_f64_f32_e32 v[32:33], v32
	v_lshl_add_u64 v[34:35], v[136:137], 3, v[72:73]
	global_store_dwordx2 v[34:35], v[32:33], off
	s_or_b64 exec, exec, s[2:3]
	s_and_b64 s[4:5], s[12:13], s[18:19]
	s_and_saveexec_b64 s[2:3], s[4:5]
	s_cbranch_execz .LBB171_343
.LBB171_366:
	s_and_b64 vcc, exec, s[0:1]
	s_cbranch_vccnz .LBB171_368
; %bb.367:
	v_lshl_add_u64 v[32:33], v[138:139], 3, v[74:75]
	global_load_dwordx2 v[32:33], v[32:33], off
	s_waitcnt vmcnt(0)
	v_mul_f64 v[32:33], s[24:25], v[32:33]
	v_cvt_f32_f64_e32 v32, v[32:33]
	s_branch .LBB171_369
.LBB171_368:
	v_mov_b32_e32 v32, 0
.LBB171_369:
	v_add_f64 v[30:31], v[30:31], v[14:15]
	v_add_f64 v[28:29], v[28:29], v[12:13]
	;; [unrolled: 1-line block ×4, first 2 shown]
	v_cvt_f32_f64_e32 v28, v[28:29]
	v_cvt_f32_f64_e32 v29, v[30:31]
	;; [unrolled: 1-line block ×4, first 2 shown]
	v_min3_f32 v28, v28, v29, v152
	v_min_f32_e32 v24, v24, v25
	v_min3_f32 v24, v32, v24, v28
	v_cvt_f64_f32_e32 v[24:25], v24
	v_lshl_add_u64 v[26:27], v[138:139], 3, v[72:73]
	global_store_dwordx2 v[26:27], v[24:25], off
	s_or_b64 exec, exec, s[2:3]
	s_and_b64 s[4:5], s[14:15], s[18:19]
	s_and_saveexec_b64 s[2:3], s[4:5]
	s_cbranch_execz .LBB171_344
.LBB171_370:
	s_and_b64 vcc, exec, s[0:1]
	s_cbranch_vccnz .LBB171_372
; %bb.371:
	v_lshl_add_u64 v[24:25], v[140:141], 3, v[74:75]
	global_load_dwordx2 v[24:25], v[24:25], off
	s_waitcnt vmcnt(0)
	v_mul_f64 v[24:25], s[24:25], v[24:25]
	v_cvt_f32_f64_e32 v24, v[24:25]
	s_branch .LBB171_373
.LBB171_372:
	v_mov_b32_e32 v24, 0
.LBB171_373:
	v_add_f64 v[22:23], v[22:23], v[14:15]
	v_add_f64 v[20:21], v[20:21], v[12:13]
	;; [unrolled: 1-line block ×4, first 2 shown]
	v_cvt_f32_f64_e32 v20, v[20:21]
	v_cvt_f32_f64_e32 v21, v[22:23]
	;; [unrolled: 1-line block ×4, first 2 shown]
	v_min3_f32 v20, v20, v21, v149
	v_min_f32_e32 v16, v16, v17
	v_min3_f32 v16, v24, v16, v20
	v_cvt_f64_f32_e32 v[16:17], v16
	v_lshl_add_u64 v[18:19], v[140:141], 3, v[72:73]
	global_store_dwordx2 v[18:19], v[16:17], off
	s_or_b64 exec, exec, s[2:3]
	s_and_b64 s[2:3], s[16:17], s[18:19]
	s_and_saveexec_b64 s[4:5], s[2:3]
	s_cbranch_execz .LBB171_345
.LBB171_374:
	s_and_b64 vcc, exec, s[0:1]
	s_cbranch_vccnz .LBB171_376
; %bb.375:
	v_lshl_add_u64 v[16:17], v[142:143], 3, v[74:75]
	global_load_dwordx2 v[16:17], v[16:17], off
	s_waitcnt vmcnt(0)
	v_mul_f64 v[16:17], s[24:25], v[16:17]
	v_cvt_f32_f64_e32 v16, v[16:17]
	s_branch .LBB171_377
.LBB171_376:
	v_mov_b32_e32 v16, 0
.LBB171_377:
	v_add_f64 v[6:7], v[6:7], v[14:15]
	v_add_f64 v[4:5], v[4:5], v[12:13]
	;; [unrolled: 1-line block ×4, first 2 shown]
	v_cvt_f32_f64_e32 v4, v[4:5]
	v_cvt_f32_f64_e32 v5, v[6:7]
	;; [unrolled: 1-line block ×4, first 2 shown]
	v_min3_f32 v4, v4, v5, v148
	v_min_f32_e32 v0, v0, v1
	v_min3_f32 v0, v16, v0, v4
	v_cvt_f64_f32_e32 v[0:1], v0
	v_lshl_add_u64 v[2:3], v[142:143], 3, v[72:73]
	global_store_dwordx2 v[2:3], v[0:1], off
	s_endpgm
	.section	.rodata,"a",@progbits
	.p2align	6, 0x0
	.amdhsa_kernel _ZN12_GLOBAL__N_120geam_min_plus_kernelId15HIP_vector_typeIdLj2EEdLi8ELi32ELi64ELi256ELi4ELi64ELi4ELi64ELi4ELc78ELc84ELb0ELb1ELb1EPKdS3_dEEviiiT16_PT17_ilS7_ilS5_S7_ilPT18_ili26rocblas_geam_ex_operation_
		.amdhsa_group_segment_fixed_size 20480
		.amdhsa_private_segment_fixed_size 0
		.amdhsa_kernarg_size 136
		.amdhsa_user_sgpr_count 2
		.amdhsa_user_sgpr_dispatch_ptr 0
		.amdhsa_user_sgpr_queue_ptr 0
		.amdhsa_user_sgpr_kernarg_segment_ptr 1
		.amdhsa_user_sgpr_dispatch_id 0
		.amdhsa_user_sgpr_kernarg_preload_length 0
		.amdhsa_user_sgpr_kernarg_preload_offset 0
		.amdhsa_user_sgpr_private_segment_size 0
		.amdhsa_uses_dynamic_stack 0
		.amdhsa_enable_private_segment 0
		.amdhsa_system_sgpr_workgroup_id_x 1
		.amdhsa_system_sgpr_workgroup_id_y 0
		.amdhsa_system_sgpr_workgroup_id_z 1
		.amdhsa_system_sgpr_workgroup_info 0
		.amdhsa_system_vgpr_workitem_id 1
		.amdhsa_next_free_vgpr 228
		.amdhsa_next_free_sgpr 46
		.amdhsa_accum_offset 228
		.amdhsa_reserve_vcc 1
		.amdhsa_float_round_mode_32 0
		.amdhsa_float_round_mode_16_64 0
		.amdhsa_float_denorm_mode_32 3
		.amdhsa_float_denorm_mode_16_64 3
		.amdhsa_dx10_clamp 1
		.amdhsa_ieee_mode 1
		.amdhsa_fp16_overflow 0
		.amdhsa_tg_split 0
		.amdhsa_exception_fp_ieee_invalid_op 0
		.amdhsa_exception_fp_denorm_src 0
		.amdhsa_exception_fp_ieee_div_zero 0
		.amdhsa_exception_fp_ieee_overflow 0
		.amdhsa_exception_fp_ieee_underflow 0
		.amdhsa_exception_fp_ieee_inexact 0
		.amdhsa_exception_int_div_zero 0
	.end_amdhsa_kernel
	.section	.text._ZN12_GLOBAL__N_120geam_min_plus_kernelId15HIP_vector_typeIdLj2EEdLi8ELi32ELi64ELi256ELi4ELi64ELi4ELi64ELi4ELc78ELc84ELb0ELb1ELb1EPKdS3_dEEviiiT16_PT17_ilS7_ilS5_S7_ilPT18_ili26rocblas_geam_ex_operation_,"axG",@progbits,_ZN12_GLOBAL__N_120geam_min_plus_kernelId15HIP_vector_typeIdLj2EEdLi8ELi32ELi64ELi256ELi4ELi64ELi4ELi64ELi4ELc78ELc84ELb0ELb1ELb1EPKdS3_dEEviiiT16_PT17_ilS7_ilS5_S7_ilPT18_ili26rocblas_geam_ex_operation_,comdat
.Lfunc_end171:
	.size	_ZN12_GLOBAL__N_120geam_min_plus_kernelId15HIP_vector_typeIdLj2EEdLi8ELi32ELi64ELi256ELi4ELi64ELi4ELi64ELi4ELc78ELc84ELb0ELb1ELb1EPKdS3_dEEviiiT16_PT17_ilS7_ilS5_S7_ilPT18_ili26rocblas_geam_ex_operation_, .Lfunc_end171-_ZN12_GLOBAL__N_120geam_min_plus_kernelId15HIP_vector_typeIdLj2EEdLi8ELi32ELi64ELi256ELi4ELi64ELi4ELi64ELi4ELc78ELc84ELb0ELb1ELb1EPKdS3_dEEviiiT16_PT17_ilS7_ilS5_S7_ilPT18_ili26rocblas_geam_ex_operation_
                                        ; -- End function
	.set _ZN12_GLOBAL__N_120geam_min_plus_kernelId15HIP_vector_typeIdLj2EEdLi8ELi32ELi64ELi256ELi4ELi64ELi4ELi64ELi4ELc78ELc84ELb0ELb1ELb1EPKdS3_dEEviiiT16_PT17_ilS7_ilS5_S7_ilPT18_ili26rocblas_geam_ex_operation_.num_vgpr, 228
	.set _ZN12_GLOBAL__N_120geam_min_plus_kernelId15HIP_vector_typeIdLj2EEdLi8ELi32ELi64ELi256ELi4ELi64ELi4ELi64ELi4ELc78ELc84ELb0ELb1ELb1EPKdS3_dEEviiiT16_PT17_ilS7_ilS5_S7_ilPT18_ili26rocblas_geam_ex_operation_.num_agpr, 0
	.set _ZN12_GLOBAL__N_120geam_min_plus_kernelId15HIP_vector_typeIdLj2EEdLi8ELi32ELi64ELi256ELi4ELi64ELi4ELi64ELi4ELc78ELc84ELb0ELb1ELb1EPKdS3_dEEviiiT16_PT17_ilS7_ilS5_S7_ilPT18_ili26rocblas_geam_ex_operation_.numbered_sgpr, 46
	.set _ZN12_GLOBAL__N_120geam_min_plus_kernelId15HIP_vector_typeIdLj2EEdLi8ELi32ELi64ELi256ELi4ELi64ELi4ELi64ELi4ELc78ELc84ELb0ELb1ELb1EPKdS3_dEEviiiT16_PT17_ilS7_ilS5_S7_ilPT18_ili26rocblas_geam_ex_operation_.num_named_barrier, 0
	.set _ZN12_GLOBAL__N_120geam_min_plus_kernelId15HIP_vector_typeIdLj2EEdLi8ELi32ELi64ELi256ELi4ELi64ELi4ELi64ELi4ELc78ELc84ELb0ELb1ELb1EPKdS3_dEEviiiT16_PT17_ilS7_ilS5_S7_ilPT18_ili26rocblas_geam_ex_operation_.private_seg_size, 0
	.set _ZN12_GLOBAL__N_120geam_min_plus_kernelId15HIP_vector_typeIdLj2EEdLi8ELi32ELi64ELi256ELi4ELi64ELi4ELi64ELi4ELc78ELc84ELb0ELb1ELb1EPKdS3_dEEviiiT16_PT17_ilS7_ilS5_S7_ilPT18_ili26rocblas_geam_ex_operation_.uses_vcc, 1
	.set _ZN12_GLOBAL__N_120geam_min_plus_kernelId15HIP_vector_typeIdLj2EEdLi8ELi32ELi64ELi256ELi4ELi64ELi4ELi64ELi4ELc78ELc84ELb0ELb1ELb1EPKdS3_dEEviiiT16_PT17_ilS7_ilS5_S7_ilPT18_ili26rocblas_geam_ex_operation_.uses_flat_scratch, 0
	.set _ZN12_GLOBAL__N_120geam_min_plus_kernelId15HIP_vector_typeIdLj2EEdLi8ELi32ELi64ELi256ELi4ELi64ELi4ELi64ELi4ELc78ELc84ELb0ELb1ELb1EPKdS3_dEEviiiT16_PT17_ilS7_ilS5_S7_ilPT18_ili26rocblas_geam_ex_operation_.has_dyn_sized_stack, 0
	.set _ZN12_GLOBAL__N_120geam_min_plus_kernelId15HIP_vector_typeIdLj2EEdLi8ELi32ELi64ELi256ELi4ELi64ELi4ELi64ELi4ELc78ELc84ELb0ELb1ELb1EPKdS3_dEEviiiT16_PT17_ilS7_ilS5_S7_ilPT18_ili26rocblas_geam_ex_operation_.has_recursion, 0
	.set _ZN12_GLOBAL__N_120geam_min_plus_kernelId15HIP_vector_typeIdLj2EEdLi8ELi32ELi64ELi256ELi4ELi64ELi4ELi64ELi4ELc78ELc84ELb0ELb1ELb1EPKdS3_dEEviiiT16_PT17_ilS7_ilS5_S7_ilPT18_ili26rocblas_geam_ex_operation_.has_indirect_call, 0
	.section	.AMDGPU.csdata,"",@progbits
; Kernel info:
; codeLenInByte = 26948
; TotalNumSgprs: 52
; NumVgprs: 228
; NumAgprs: 0
; TotalNumVgprs: 228
; ScratchSize: 0
; MemoryBound: 0
; FloatMode: 240
; IeeeMode: 1
; LDSByteSize: 20480 bytes/workgroup (compile time only)
; SGPRBlocks: 6
; VGPRBlocks: 28
; NumSGPRsForWavesPerEU: 52
; NumVGPRsForWavesPerEU: 228
; AccumOffset: 228
; Occupancy: 2
; WaveLimiterHint : 0
; COMPUTE_PGM_RSRC2:SCRATCH_EN: 0
; COMPUTE_PGM_RSRC2:USER_SGPR: 2
; COMPUTE_PGM_RSRC2:TRAP_HANDLER: 0
; COMPUTE_PGM_RSRC2:TGID_X_EN: 1
; COMPUTE_PGM_RSRC2:TGID_Y_EN: 0
; COMPUTE_PGM_RSRC2:TGID_Z_EN: 1
; COMPUTE_PGM_RSRC2:TIDIG_COMP_CNT: 1
; COMPUTE_PGM_RSRC3_GFX90A:ACCUM_OFFSET: 56
; COMPUTE_PGM_RSRC3_GFX90A:TG_SPLIT: 0
	.section	.text._ZN12_GLOBAL__N_120geam_min_plus_kernelId15HIP_vector_typeIdLj2EEdLi8ELi32ELi64ELi256ELi4ELi64ELi4ELi64ELi4ELc78ELc84ELb1ELb1ELb1EdKddEEviiiT16_PT17_ilS6_ilS4_S6_ilPT18_ili26rocblas_geam_ex_operation_,"axG",@progbits,_ZN12_GLOBAL__N_120geam_min_plus_kernelId15HIP_vector_typeIdLj2EEdLi8ELi32ELi64ELi256ELi4ELi64ELi4ELi64ELi4ELc78ELc84ELb1ELb1ELb1EdKddEEviiiT16_PT17_ilS6_ilS4_S6_ilPT18_ili26rocblas_geam_ex_operation_,comdat
	.globl	_ZN12_GLOBAL__N_120geam_min_plus_kernelId15HIP_vector_typeIdLj2EEdLi8ELi32ELi64ELi256ELi4ELi64ELi4ELi64ELi4ELc78ELc84ELb1ELb1ELb1EdKddEEviiiT16_PT17_ilS6_ilS4_S6_ilPT18_ili26rocblas_geam_ex_operation_ ; -- Begin function _ZN12_GLOBAL__N_120geam_min_plus_kernelId15HIP_vector_typeIdLj2EEdLi8ELi32ELi64ELi256ELi4ELi64ELi4ELi64ELi4ELc78ELc84ELb1ELb1ELb1EdKddEEviiiT16_PT17_ilS6_ilS4_S6_ilPT18_ili26rocblas_geam_ex_operation_
	.p2align	8
	.type	_ZN12_GLOBAL__N_120geam_min_plus_kernelId15HIP_vector_typeIdLj2EEdLi8ELi32ELi64ELi256ELi4ELi64ELi4ELi64ELi4ELc78ELc84ELb1ELb1ELb1EdKddEEviiiT16_PT17_ilS6_ilS4_S6_ilPT18_ili26rocblas_geam_ex_operation_,@function
_ZN12_GLOBAL__N_120geam_min_plus_kernelId15HIP_vector_typeIdLj2EEdLi8ELi32ELi64ELi256ELi4ELi64ELi4ELi64ELi4ELc78ELc84ELb1ELb1ELb1EdKddEEviiiT16_PT17_ilS6_ilS4_S6_ilPT18_ili26rocblas_geam_ex_operation_: ; @_ZN12_GLOBAL__N_120geam_min_plus_kernelId15HIP_vector_typeIdLj2EEdLi8ELi32ELi64ELi256ELi4ELi64ELi4ELi64ELi4ELc78ELc84ELb1ELb1ELb1EdKddEEviiiT16_PT17_ilS6_ilS4_S6_ilPT18_ili26rocblas_geam_ex_operation_
; %bb.0:
	s_load_dwordx4 s[8:11], s[0:1], 0x10
	s_load_dwordx4 s[4:7], s[0:1], 0x28
	s_mov_b64 s[18:19], 0
	s_waitcnt lgkmcnt(0)
	v_cmp_eq_f64_e64 s[8:9], s[8:9], 0
	s_and_b64 vcc, exec, s[8:9]
	s_cbranch_vccnz .LBB172_2
; %bb.1:
	s_mul_i32 s5, s5, s3
	s_mul_hi_u32 s12, s4, s3
	s_add_i32 s5, s12, s5
	s_mul_i32 s4, s4, s3
	s_lshl_b64 s[4:5], s[4:5], 3
	s_add_u32 s18, s10, s4
	s_addc_u32 s19, s11, s5
.LBB172_2:
	s_load_dwordx4 s[20:23], s[0:1], 0x40
	s_load_dwordx2 s[4:5], s[0:1], 0x50
	s_andn2_b64 vcc, exec, s[8:9]
	s_mov_b64 s[8:9], -1
	s_cbranch_vccnz .LBB172_4
; %bb.3:
	s_mov_b64 s[8:9], 0
.LBB172_4:
	s_mov_b64 s[28:29], 0
	s_andn2_b64 vcc, exec, s[8:9]
	s_mov_b64 s[30:31], 0
	s_cbranch_vccnz .LBB172_6
; %bb.5:
	s_waitcnt lgkmcnt(0)
	s_mul_i32 s8, s21, s3
	s_mul_hi_u32 s9, s20, s3
	s_add_i32 s9, s9, s8
	s_mul_i32 s8, s20, s3
	s_lshl_b64 s[8:9], s[8:9], 3
	s_add_u32 s30, s6, s8
	s_addc_u32 s31, s7, s9
.LBB172_6:
	s_load_dwordx4 s[12:15], s[0:1], 0x60
	s_waitcnt lgkmcnt(0)
	v_cmp_eq_f64_e64 s[6:7], s[22:23], 0
	v_cmp_neq_f64_e64 s[16:17], s[22:23], 0
	s_and_b64 vcc, exec, s[6:7]
	s_cbranch_vccnz .LBB172_8
; %bb.7:
	s_mul_i32 s6, s13, s3
	s_mul_hi_u32 s7, s12, s3
	s_add_i32 s7, s7, s6
	s_mul_i32 s6, s12, s3
	s_lshl_b64 s[6:7], s[6:7], 3
	s_add_u32 s28, s4, s6
	s_addc_u32 s29, s5, s7
.LBB172_8:
	s_load_dwordx4 s[24:27], s[0:1], 0x0
	s_load_dword s20, s[0:1], 0x20
	v_and_b32_e32 v129, 0x3ff, v0
	v_bfe_u32 v158, v0, 10, 10
	v_lshl_add_u32 v3, v158, 3, v129
	s_waitcnt lgkmcnt(0)
	s_add_i32 s4, s24, -1
	s_ashr_i32 s5, s4, 31
	s_lshr_b32 s5, s5, 26
	s_add_i32 s4, s4, s5
	s_ashr_i32 s4, s4, 6
	s_add_i32 s5, s4, 1
	v_cvt_f32_u32_e32 v2, s5
	s_not_b32 s4, s4
	s_ashr_i32 s21, s20, 31
	v_and_b32_e32 v10, 63, v3
	v_rcp_iflag_f32_e32 v2, v2
	v_lshrrev_b32_e32 v128, 6, v3
	v_mov_b32_e32 v0, -1
	v_mov_b32_e32 v1, 0x7fefffff
	v_mul_f32_e32 v2, 0x4f7ffffe, v2
	v_cvt_u32_f32_e32 v2, v2
	v_cmp_le_i32_e64 s[10:11], s26, v128
	v_mov_b64_e32 v[12:13], v[0:1]
	v_readfirstlane_b32 s6, v2
	s_mul_i32 s4, s4, s6
	s_mul_hi_u32 s4, s6, s4
	s_add_i32 s6, s6, s4
	s_mul_hi_u32 s4, s2, s6
	s_mul_i32 s6, s4, s5
	s_sub_i32 s6, s2, s6
	s_add_i32 s7, s4, 1
	s_sub_i32 s8, s6, s5
	s_cmp_ge_u32 s6, s5
	s_cselect_b32 s4, s7, s4
	s_cselect_b32 s6, s8, s6
	s_add_i32 s7, s4, 1
	s_cmp_ge_u32 s6, s5
	s_cselect_b32 s6, s7, s4
	s_mul_i32 s4, s6, s5
	s_sub_i32 s2, s2, s4
	s_lshl_b32 s2, s2, 6
	v_or_b32_e32 v100, s2, v10
	v_cmp_le_i32_e32 vcc, s24, v100
	s_nor_b64 s[8:9], vcc, s[10:11]
	v_ashrrev_i32_e32 v101, 31, v100
	s_and_saveexec_b64 s[4:5], s[8:9]
	s_cbranch_execz .LBB172_10
; %bb.9:
	v_mad_i64_i32 v[2:3], s[8:9], s20, v128, 0
	v_lshl_add_u64 v[2:3], v[2:3], 3, s[18:19]
	v_lshl_add_u64 v[2:3], v[100:101], 3, v[2:3]
	global_load_dwordx2 v[12:13], v[2:3], off
.LBB172_10:
	s_or_b64 exec, exec, s[4:5]
	s_load_dword s34, s[0:1], 0x38
	s_lshl_b32 s27, s6, 8
	v_or_b32_e32 v102, s27, v10
	v_cmp_le_i32_e64 s[12:13], s25, v102
	s_nor_b64 s[6:7], s[12:13], s[10:11]
	s_waitcnt lgkmcnt(0)
	v_mad_i64_i32 v[2:3], s[4:5], v128, s34, 0
	v_lshl_add_u64 v[8:9], v[2:3], 3, s[30:31]
	v_ashrrev_i32_e32 v103, 31, v102
	s_and_saveexec_b64 s[4:5], s[6:7]
	s_cbranch_execz .LBB172_12
; %bb.11:
	v_lshl_add_u64 v[0:1], v[102:103], 3, v[8:9]
	global_load_dwordx2 v[0:1], v[0:1], off
.LBB172_12:
	s_or_b64 exec, exec, s[4:5]
	v_or_b32_e32 v2, 64, v102
	v_cmp_le_i32_e64 s[4:5], s25, v2
	v_mov_b32_e32 v2, -1
	v_mov_b32_e32 v3, 0x7fefffff
	s_nor_b64 s[8:9], s[4:5], s[10:11]
	v_mov_b64_e32 v[4:5], v[2:3]
	s_and_saveexec_b64 s[6:7], s[8:9]
	s_cbranch_execz .LBB172_14
; %bb.13:
	v_lshl_add_u64 v[4:5], v[102:103], 3, v[8:9]
	global_load_dwordx2 v[4:5], v[4:5], off offset:512
.LBB172_14:
	s_or_b64 exec, exec, s[6:7]
	v_or_b32_e32 v6, 0x80, v102
	v_cmp_le_i32_e64 s[6:7], s25, v6
	s_ashr_i32 s35, s34, 31
	s_nor_b64 s[36:37], s[6:7], s[10:11]
	s_and_saveexec_b64 s[8:9], s[36:37]
	s_cbranch_execz .LBB172_16
; %bb.15:
	v_lshl_add_u64 v[2:3], v[102:103], 3, v[8:9]
	global_load_dwordx2 v[2:3], v[2:3], off offset:1024
.LBB172_16:
	s_or_b64 exec, exec, s[8:9]
	v_or_b32_e32 v6, 0xc0, v102
	v_cmp_le_i32_e64 s[8:9], s25, v6
	v_mov_b32_e32 v104, -1
	v_mov_b32_e32 v105, 0x7fefffff
	s_nor_b64 s[36:37], s[8:9], s[10:11]
	v_mov_b64_e32 v[6:7], v[104:105]
	s_and_saveexec_b64 s[10:11], s[36:37]
	s_cbranch_execz .LBB172_18
; %bb.17:
	v_lshl_add_u64 v[6:7], v[102:103], 3, v[8:9]
	global_load_dwordx2 v[6:7], v[6:7], off offset:1536
.LBB172_18:
	s_or_b64 exec, exec, s[10:11]
	v_add_u32_e32 v8, 4, v128
	v_cmp_le_i32_e64 s[10:11], s26, v8
	s_nor_b64 s[38:39], vcc, s[10:11]
	s_and_saveexec_b64 s[36:37], s[38:39]
	s_cbranch_execz .LBB172_20
; %bb.19:
	v_mad_u64_u32 v[14:15], s[38:39], s20, v8, 0
	v_mov_b32_e32 v16, v15
	v_mad_u64_u32 v[16:17], s[38:39], s21, v8, v[16:17]
	v_mov_b32_e32 v15, v16
	v_lshl_add_u64 v[14:15], v[14:15], 3, s[18:19]
	v_lshl_add_u64 v[14:15], v[100:101], 3, v[14:15]
	global_load_dwordx2 v[104:105], v[14:15], off
.LBB172_20:
	s_or_b64 exec, exec, s[36:37]
	v_mad_u64_u32 v[14:15], s[36:37], v8, s34, 0
	v_mov_b32_e32 v16, v15
	v_mad_u64_u32 v[8:9], s[36:37], v8, s35, v[16:17]
	v_mov_b32_e32 v15, v8
	v_mov_b32_e32 v106, -1
	v_mov_b32_e32 v107, 0x7fefffff
	v_lshl_add_u64 v[8:9], v[14:15], 3, s[30:31]
	s_nor_b64 s[38:39], s[12:13], s[10:11]
	v_mov_b64_e32 v[108:109], v[106:107]
	s_and_saveexec_b64 s[36:37], s[38:39]
	s_cbranch_execz .LBB172_22
; %bb.21:
	v_lshl_add_u64 v[14:15], v[102:103], 3, v[8:9]
	global_load_dwordx2 v[108:109], v[14:15], off
.LBB172_22:
	s_or_b64 exec, exec, s[36:37]
	s_nor_b64 s[38:39], s[4:5], s[10:11]
	s_and_saveexec_b64 s[36:37], s[38:39]
	s_cbranch_execz .LBB172_24
; %bb.23:
	v_lshl_add_u64 v[14:15], v[102:103], 3, v[8:9]
	global_load_dwordx2 v[106:107], v[14:15], off offset:512
.LBB172_24:
	s_or_b64 exec, exec, s[36:37]
	v_mov_b32_e32 v110, -1
	v_mov_b32_e32 v111, 0x7fefffff
	s_nor_b64 s[38:39], s[6:7], s[10:11]
	v_mov_b64_e32 v[112:113], v[110:111]
	s_and_saveexec_b64 s[36:37], s[38:39]
	s_cbranch_execz .LBB172_26
; %bb.25:
	v_lshl_add_u64 v[14:15], v[102:103], 3, v[8:9]
	global_load_dwordx2 v[112:113], v[14:15], off offset:1024
.LBB172_26:
	s_or_b64 exec, exec, s[36:37]
	s_nor_b64 s[36:37], s[8:9], s[10:11]
	s_and_saveexec_b64 s[10:11], s[36:37]
	s_cbranch_execz .LBB172_28
; %bb.27:
	v_lshl_add_u64 v[8:9], v[102:103], 3, v[8:9]
	global_load_dwordx2 v[110:111], v[8:9], off offset:1536
.LBB172_28:
	s_or_b64 exec, exec, s[10:11]
	v_lshlrev_b32_e32 v8, 5, v10
	v_lshl_add_u32 v172, v128, 3, v8
	v_lshlrev_b32_e32 v166, 5, v129
	s_waitcnt vmcnt(0)
	ds_write_b64 v172, v[12:13] offset:16384
	ds_write2st64_b64 v172, v[0:1], v[4:5] offset1:4
	ds_write2st64_b64 v172, v[2:3], v[6:7] offset0:8 offset1:12
	s_waitcnt lgkmcnt(0)
	s_barrier
	v_lshlrev_b32_e32 v165, 5, v158
	ds_read_b128 v[32:35], v166 offset:16640
	ds_read_b128 v[28:31], v166 offset:16896
	;; [unrolled: 1-line block ×13, first 2 shown]
	ds_read_b128 v[96:99], v165
	ds_read_b128 v[44:47], v165 offset:6144
	ds_read_b128 v[36:39], v165 offset:7168
	;; [unrolled: 1-line block ×4, first 2 shown]
	s_waitcnt lgkmcnt(5)
	v_add_f64 v[116:117], v[42:43], v[94:95]
	v_add_f64 v[118:119], v[40:41], v[92:93]
	s_mov_b32 s10, 0x7f800000
	v_cvt_f32_f64_e32 v115, v[118:119]
	v_cvt_f32_f64_e32 v116, v[116:117]
	v_min3_f32 v178, v115, v116, s10
	v_add_f64 v[116:117], v[34:35], v[94:95]
	v_add_f64 v[118:119], v[32:33], v[92:93]
	v_cvt_f32_f64_e32 v115, v[118:119]
	v_cvt_f32_f64_e32 v116, v[116:117]
	v_min3_f32 v179, v115, v116, s10
	v_add_f64 v[116:117], v[30:31], v[94:95]
	v_add_f64 v[118:119], v[28:29], v[92:93]
	;; [unrolled: 5-line block ×34, first 2 shown]
	v_cvt_f32_f64_e32 v115, v[118:119]
	v_cvt_f32_f64_e32 v116, v[116:117]
	v_min3_f32 v121, v115, v116, s10
	s_waitcnt lgkmcnt(3)
	v_add_f64 v[116:117], v[42:43], v[46:47]
	v_add_f64 v[168:169], v[40:41], v[44:45]
	v_cvt_f32_f64_e32 v115, v[168:169]
	v_cvt_f32_f64_e32 v116, v[116:117]
	v_min3_f32 v127, v115, v116, s10
	v_add_f64 v[116:117], v[34:35], v[46:47]
	v_add_f64 v[168:169], v[32:33], v[44:45]
	v_cvt_f32_f64_e32 v115, v[168:169]
	v_cvt_f32_f64_e32 v116, v[116:117]
	v_min3_f32 v124, v115, v116, s10
	v_add_f64 v[116:117], v[30:31], v[46:47]
	v_add_f64 v[168:169], v[28:29], v[44:45]
	v_cvt_f32_f64_e32 v115, v[168:169]
	v_cvt_f32_f64_e32 v116, v[116:117]
	v_add_f64 v[56:57], v[42:43], v[98:99]
	v_add_f64 v[58:59], v[40:41], v[96:97]
	v_min3_f32 v122, v115, v116, s10
	v_add_f64 v[116:117], v[26:27], v[46:47]
	v_add_f64 v[168:169], v[24:25], v[44:45]
	v_cvt_f32_f64_e32 v58, v[58:59]
	v_cvt_f32_f64_e32 v56, v[56:57]
	;; [unrolled: 1-line block ×4, first 2 shown]
	v_min3_f32 v114, v58, v56, s10
	ds_read_b128 v[56:59], v166 offset:16656
	v_add_f64 v[60:61], v[34:35], v[98:99]
	v_add_f64 v[62:63], v[32:33], v[96:97]
	v_min3_f32 v120, v115, v116, s10
	v_add_f64 v[116:117], v[22:23], v[46:47]
	v_add_f64 v[168:169], v[20:21], v[44:45]
	v_cvt_f32_f64_e32 v62, v[62:63]
	v_cvt_f32_f64_e32 v60, v[60:61]
	;; [unrolled: 1-line block ×4, first 2 shown]
	v_add_f64 v[168:169], v[16:17], v[44:45]
	v_min3_f32 v164, v62, v60, s10
	ds_read_b128 v[60:63], v166 offset:16912
	v_add_f64 v[64:65], v[30:31], v[98:99]
	v_add_f64 v[66:67], v[28:29], v[96:97]
	;; [unrolled: 1-line block ×22, first 2 shown]
	v_min3_f32 v118, v115, v116, s10
	v_add_f64 v[116:117], v[18:19], v[46:47]
	v_cvt_f32_f64_e32 v115, v[168:169]
	v_add_f64 v[168:169], v[14:15], v[46:47]
	v_add_f64 v[170:171], v[12:13], v[44:45]
	;; [unrolled: 1-line block ×4, first 2 shown]
	s_waitcnt lgkmcnt(4)
	v_add_f64 v[14:15], v[14:15], v[38:39]
	v_add_f64 v[12:13], v[12:13], v[36:37]
	;; [unrolled: 1-line block ×4, first 2 shown]
	v_cvt_f32_f64_e32 v66, v[66:67]
	v_cvt_f32_f64_e32 v64, v[64:65]
	;; [unrolled: 1-line block ×7, first 2 shown]
	s_waitcnt lgkmcnt(2)
	v_add_f64 v[10:11], v[2:3], v[6:7]
	v_add_f64 v[14:15], v[0:1], v[4:5]
	v_min3_f32 v167, v66, v64, s10
	ds_read_b128 v[64:67], v166 offset:17168
	v_min3_f32 v117, v115, v116, s10
	v_cvt_f32_f64_e32 v115, v[170:171]
	v_cvt_f32_f64_e32 v116, v[168:169]
	;; [unrolled: 1-line block ×4, first 2 shown]
	v_min3_f32 v8, v8, v9, s10
	v_cvt_f32_f64_e32 v9, v[14:15]
	v_cvt_f32_f64_e32 v10, v[10:11]
	;; [unrolled: 1-line block ×4, first 2 shown]
	v_min3_f32 v116, v115, v116, s10
	v_min3_f32 v115, v44, v45, s10
	ds_read_b128 v[44:47], v165 offset:7184
	v_min3_f32 v227, v9, v10, v114
	s_waitcnt lgkmcnt(3)
	v_add_f64 v[10:11], v[58:59], v[6:7]
	v_add_f64 v[14:15], v[56:57], v[4:5]
	v_min3_f32 v173, v70, v68, s10
	ds_read_b128 v[68:71], v166 offset:17424
	v_cvt_f32_f64_e32 v9, v[14:15]
	v_cvt_f32_f64_e32 v10, v[10:11]
	;; [unrolled: 1-line block ×4, first 2 shown]
	v_min3_f32 v226, v9, v10, v164
	s_waitcnt lgkmcnt(3)
	v_add_f64 v[10:11], v[62:63], v[6:7]
	v_add_f64 v[14:15], v[60:61], v[4:5]
	v_min3_f32 v174, v74, v72, s10
	ds_read_b128 v[72:75], v166 offset:17680
	v_cvt_f32_f64_e32 v9, v[14:15]
	v_cvt_f32_f64_e32 v10, v[10:11]
	;; [unrolled: 1-line block ×6, first 2 shown]
	v_min3_f32 v225, v9, v10, v167
	s_waitcnt lgkmcnt(3)
	v_add_f64 v[10:11], v[66:67], v[6:7]
	v_add_f64 v[14:15], v[64:65], v[4:5]
	v_min3_f32 v175, v78, v76, s10
	ds_read_b128 v[76:79], v166 offset:17936
	v_min3_f32 v176, v82, v80, s10
	ds_read_b128 v[80:83], v166 offset:18192
	v_cvt_f32_f64_e32 v9, v[14:15]
	v_cvt_f32_f64_e32 v10, v[10:11]
	;; [unrolled: 1-line block ×4, first 2 shown]
	v_min3_f32 v224, v9, v10, v173
	s_waitcnt lgkmcnt(3)
	v_add_f64 v[10:11], v[70:71], v[6:7]
	v_add_f64 v[14:15], v[68:69], v[4:5]
	v_min3_f32 v177, v96, v97, s10
	ds_read_b128 v[96:99], v165 offset:1040
	v_cvt_f32_f64_e32 v9, v[14:15]
	v_cvt_f32_f64_e32 v10, v[10:11]
	v_min3_f32 v223, v9, v10, v174
	s_waitcnt lgkmcnt(3)
	v_add_f64 v[10:11], v[74:75], v[6:7]
	v_add_f64 v[14:15], v[72:73], v[4:5]
	v_cvt_f32_f64_e32 v9, v[14:15]
	v_cvt_f32_f64_e32 v10, v[10:11]
	v_min3_f32 v216, v9, v10, v175
	s_waitcnt lgkmcnt(2)
	v_add_f64 v[10:11], v[78:79], v[6:7]
	v_add_f64 v[14:15], v[76:77], v[4:5]
	s_waitcnt lgkmcnt(1)
	v_add_f64 v[6:7], v[82:83], v[6:7]
	v_add_f64 v[4:5], v[80:81], v[4:5]
	v_cvt_f32_f64_e32 v92, v[92:93]
	v_cvt_f32_f64_e32 v93, v[94:95]
	;; [unrolled: 1-line block ×4, first 2 shown]
	v_min3_f32 v152, v92, v93, s10
	ds_read_b128 v[92:95], v165 offset:2064
	v_min3_f32 v214, v4, v5, v177
	s_waitcnt lgkmcnt(1)
	v_add_f64 v[4:5], v[2:3], v[98:99]
	v_add_f64 v[6:7], v[0:1], v[96:97]
	v_cvt_f32_f64_e32 v6, v[6:7]
	v_cvt_f32_f64_e32 v4, v[4:5]
	v_min3_f32 v213, v6, v4, v178
	v_add_f64 v[4:5], v[58:59], v[98:99]
	v_add_f64 v[6:7], v[56:57], v[96:97]
	v_cvt_f32_f64_e32 v6, v[6:7]
	v_cvt_f32_f64_e32 v4, v[4:5]
	v_min3_f32 v212, v6, v4, v179
	;; [unrolled: 5-line block ×8, first 2 shown]
	s_waitcnt lgkmcnt(0)
	v_add_f64 v[4:5], v[2:3], v[94:95]
	v_add_f64 v[6:7], v[0:1], v[92:93]
	v_cvt_f32_f64_e32 v6, v[6:7]
	v_cvt_f32_f64_e32 v4, v[4:5]
	v_min3_f32 v205, v6, v4, v161
	v_add_f64 v[4:5], v[58:59], v[94:95]
	v_add_f64 v[6:7], v[56:57], v[92:93]
	v_cvt_f32_f64_e32 v6, v[6:7]
	v_cvt_f32_f64_e32 v4, v[4:5]
	v_min3_f32 v204, v6, v4, v159
	v_add_f64 v[4:5], v[62:63], v[94:95]
	v_add_f64 v[6:7], v[60:61], v[92:93]
	v_cvt_f32_f64_e32 v6, v[6:7]
	v_cvt_f32_f64_e32 v4, v[4:5]
	v_min3_f32 v203, v6, v4, v156
	v_add_f64 v[4:5], v[66:67], v[94:95]
	v_add_f64 v[6:7], v[64:65], v[92:93]
	v_cvt_f32_f64_e32 v6, v[6:7]
	v_cvt_f32_f64_e32 v4, v[4:5]
	v_min3_f32 v202, v6, v4, v154
	v_add_f64 v[4:5], v[70:71], v[94:95]
	v_add_f64 v[6:7], v[68:69], v[92:93]
	v_cvt_f32_f64_e32 v6, v[6:7]
	v_cvt_f32_f64_e32 v4, v[4:5]
	;; [unrolled: 1-line block ×4, first 2 shown]
	v_min3_f32 v201, v6, v4, v151
	v_add_f64 v[4:5], v[74:75], v[94:95]
	v_add_f64 v[6:7], v[72:73], v[92:93]
	v_min3_f32 v144, v88, v89, s10
	ds_read_b128 v[88:91], v165 offset:3088
	v_cvt_f32_f64_e32 v6, v[6:7]
	v_cvt_f32_f64_e32 v4, v[4:5]
	v_min3_f32 v200, v6, v4, v149
	v_add_f64 v[4:5], v[78:79], v[94:95]
	v_add_f64 v[6:7], v[76:77], v[92:93]
	v_cvt_f32_f64_e32 v6, v[6:7]
	v_cvt_f32_f64_e32 v4, v[4:5]
	v_min3_f32 v199, v6, v4, v147
	v_add_f64 v[4:5], v[82:83], v[94:95]
	v_add_f64 v[6:7], v[80:81], v[92:93]
	v_cvt_f32_f64_e32 v84, v[84:85]
	v_cvt_f32_f64_e32 v85, v[86:87]
	;; [unrolled: 1-line block ×4, first 2 shown]
	v_min3_f32 v136, v84, v85, s10
	ds_read_b128 v[84:87], v165 offset:4112
	v_min3_f32 v198, v6, v4, v144
	s_waitcnt lgkmcnt(1)
	v_add_f64 v[4:5], v[2:3], v[90:91]
	v_add_f64 v[6:7], v[0:1], v[88:89]
	v_cvt_f32_f64_e32 v6, v[6:7]
	v_cvt_f32_f64_e32 v4, v[4:5]
	v_min3_f32 v197, v6, v4, v153
	v_add_f64 v[4:5], v[58:59], v[90:91]
	v_add_f64 v[6:7], v[56:57], v[88:89]
	v_cvt_f32_f64_e32 v6, v[6:7]
	v_cvt_f32_f64_e32 v4, v[4:5]
	v_min3_f32 v196, v6, v4, v150
	;; [unrolled: 5-line block ×8, first 2 shown]
	s_waitcnt lgkmcnt(0)
	v_add_f64 v[4:5], v[2:3], v[86:87]
	v_add_f64 v[6:7], v[0:1], v[84:85]
	v_cvt_f32_f64_e32 v6, v[6:7]
	v_cvt_f32_f64_e32 v4, v[4:5]
	v_min3_f32 v189, v6, v4, v145
	v_add_f64 v[4:5], v[58:59], v[86:87]
	v_add_f64 v[6:7], v[56:57], v[84:85]
	v_cvt_f32_f64_e32 v6, v[6:7]
	v_cvt_f32_f64_e32 v4, v[4:5]
	v_min3_f32 v188, v6, v4, v142
	;; [unrolled: 5-line block ×4, first 2 shown]
	v_add_f64 v[4:5], v[70:71], v[86:87]
	v_add_f64 v[6:7], v[68:69], v[84:85]
	v_cvt_f32_f64_e32 v6, v[6:7]
	v_cvt_f32_f64_e32 v4, v[4:5]
	;; [unrolled: 1-line block ×4, first 2 shown]
	v_min3_f32 v185, v6, v4, v135
	v_add_f64 v[4:5], v[74:75], v[86:87]
	v_add_f64 v[6:7], v[72:73], v[84:85]
	v_min3_f32 v126, v52, v53, s10
	ds_read_b128 v[52:55], v165 offset:5136
	v_cvt_f32_f64_e32 v6, v[6:7]
	v_cvt_f32_f64_e32 v4, v[4:5]
	v_min3_f32 v184, v6, v4, v133
	v_add_f64 v[4:5], v[78:79], v[86:87]
	v_add_f64 v[6:7], v[76:77], v[84:85]
	v_cvt_f32_f64_e32 v6, v[6:7]
	v_cvt_f32_f64_e32 v4, v[4:5]
	v_min3_f32 v183, v6, v4, v131
	v_add_f64 v[4:5], v[82:83], v[86:87]
	v_add_f64 v[6:7], v[80:81], v[84:85]
	v_cvt_f32_f64_e32 v48, v[48:49]
	v_cvt_f32_f64_e32 v49, v[50:51]
	;; [unrolled: 1-line block ×4, first 2 shown]
	v_min3_f32 v119, v48, v49, s10
	ds_read_b128 v[48:51], v165 offset:6160
	v_min3_f32 v182, v6, v4, v126
	s_waitcnt lgkmcnt(1)
	v_add_f64 v[4:5], v[2:3], v[54:55]
	v_add_f64 v[6:7], v[0:1], v[52:53]
	v_cvt_f32_f64_e32 v6, v[6:7]
	v_cvt_f32_f64_e32 v4, v[4:5]
	v_min3_f32 v181, v6, v4, v137
	v_add_f64 v[4:5], v[58:59], v[54:55]
	v_add_f64 v[6:7], v[56:57], v[52:53]
	v_cvt_f32_f64_e32 v6, v[6:7]
	v_cvt_f32_f64_e32 v4, v[4:5]
	v_min3_f32 v180, v6, v4, v134
	;; [unrolled: 5-line block ×5, first 2 shown]
	v_add_f64 v[4:5], v[74:75], v[54:55]
	v_add_f64 v[6:7], v[72:73], v[52:53]
	v_cvt_f32_f64_e32 v9, v[14:15]
	v_cvt_f32_f64_e32 v10, v[10:11]
	;; [unrolled: 1-line block ×4, first 2 shown]
	v_min3_f32 v215, v9, v10, v176
	v_min3_f32 v176, v6, v4, v123
	v_add_f64 v[4:5], v[78:79], v[54:55]
	v_add_f64 v[6:7], v[76:77], v[52:53]
	v_cvt_f32_f64_e32 v6, v[6:7]
	v_cvt_f32_f64_e32 v4, v[4:5]
	v_min3_f32 v175, v6, v4, v121
	v_add_f64 v[4:5], v[82:83], v[54:55]
	v_add_f64 v[6:7], v[80:81], v[52:53]
	;; [unrolled: 1-line block ×4, first 2 shown]
	v_cvt_f32_f64_e32 v6, v[6:7]
	v_cvt_f32_f64_e32 v4, v[4:5]
	;; [unrolled: 1-line block ×4, first 2 shown]
	v_min3_f32 v174, v6, v4, v119
	s_waitcnt lgkmcnt(0)
	v_add_f64 v[4:5], v[2:3], v[50:51]
	v_add_f64 v[6:7], v[0:1], v[48:49]
	;; [unrolled: 1-line block ×4, first 2 shown]
	v_min3_f32 v40, v40, v41, s10
	v_add_f64 v[34:35], v[34:35], v[38:39]
	v_add_f64 v[32:33], v[32:33], v[36:37]
	v_cvt_f32_f64_e32 v6, v[6:7]
	v_cvt_f32_f64_e32 v4, v[4:5]
	v_cvt_f32_f64_e32 v0, v[0:1]
	v_cvt_f32_f64_e32 v1, v[2:3]
	v_cvt_f32_f64_e32 v32, v[32:33]
	v_cvt_f32_f64_e32 v33, v[34:35]
	v_min3_f32 v173, v6, v4, v127
	v_add_f64 v[4:5], v[58:59], v[50:51]
	v_add_f64 v[6:7], v[56:57], v[48:49]
	v_min3_f32 v162, v0, v1, v40
	v_add_f64 v[0:1], v[58:59], v[46:47]
	v_add_f64 v[2:3], v[56:57], v[44:45]
	v_min3_f32 v32, v32, v33, s10
	v_add_f64 v[30:31], v[30:31], v[38:39]
	v_add_f64 v[28:29], v[28:29], v[36:37]
	v_cvt_f32_f64_e32 v6, v[6:7]
	v_cvt_f32_f64_e32 v4, v[4:5]
	v_cvt_f32_f64_e32 v2, v[2:3]
	v_cvt_f32_f64_e32 v0, v[0:1]
	v_cvt_f32_f64_e32 v28, v[28:29]
	v_cvt_f32_f64_e32 v29, v[30:31]
	v_min3_f32 v171, v6, v4, v124
	v_add_f64 v[4:5], v[62:63], v[50:51]
	v_add_f64 v[6:7], v[60:61], v[48:49]
	v_min3_f32 v161, v2, v0, v32
	v_add_f64 v[0:1], v[62:63], v[46:47]
	v_add_f64 v[2:3], v[60:61], v[44:45]
	;; [unrolled: 15-line block ×5, first 2 shown]
	v_min3_f32 v16, v16, v17, s10
	v_cvt_f32_f64_e32 v6, v[6:7]
	v_cvt_f32_f64_e32 v4, v[4:5]
	;; [unrolled: 1-line block ×4, first 2 shown]
	v_min3_f32 v167, v6, v4, v117
	v_add_f64 v[4:5], v[78:79], v[50:51]
	v_add_f64 v[6:7], v[76:77], v[48:49]
	v_min3_f32 v156, v2, v0, v16
	v_add_f64 v[0:1], v[78:79], v[46:47]
	v_add_f64 v[2:3], v[76:77], v[44:45]
	v_min3_f32 v12, v12, v13, s10
	v_cvt_f32_f64_e32 v6, v[6:7]
	v_cvt_f32_f64_e32 v4, v[4:5]
	;; [unrolled: 1-line block ×4, first 2 shown]
	v_min3_f32 v164, v6, v4, v116
	v_add_f64 v[4:5], v[82:83], v[50:51]
	v_add_f64 v[6:7], v[80:81], v[48:49]
	v_min3_f32 v155, v2, v0, v12
	v_add_f64 v[0:1], v[82:83], v[46:47]
	v_add_f64 v[2:3], v[80:81], v[44:45]
	v_cvt_f32_f64_e32 v6, v[6:7]
	v_cvt_f32_f64_e32 v4, v[4:5]
	v_cvt_f32_f64_e32 v2, v[2:3]
	v_cvt_f32_f64_e32 v0, v[0:1]
	v_min3_f32 v163, v6, v4, v115
	v_min3_f32 v154, v2, v0, v8
	s_cmp_lt_i32 s26, 9
	ds_write_b64 v172, v[104:105] offset:18432
	ds_write2st64_b64 v172, v[108:109], v[106:107] offset0:16 offset1:20
	ds_write2st64_b64 v172, v[112:113], v[110:111] offset0:24 offset1:28
	s_waitcnt lgkmcnt(0)
	s_barrier
	s_cbranch_scc1 .LBB172_51
; %bb.29:
	v_mov_b32_e32 v0, 0x4800
	v_lshl_add_u32 v221, v129, 5, v0
	v_mov_b32_e32 v0, 0x2000
	v_add_u32_e32 v2, 8, v128
	v_lshl_add_u32 v222, v158, 5, v0
	v_mad_i64_i32 v[0:1], s[10:11], v2, s20, 0
	v_lshlrev_b64 v[132:133], 3, v[0:1]
	v_mad_i64_i32 v[0:1], s[10:11], v2, s34, 0
	v_add_u32_e32 v2, 12, v128
	v_lshl_add_u64 v[136:137], v[0:1], 3, s[30:31]
	v_mad_i64_i32 v[0:1], s[10:11], v2, s34, 0
	v_lshl_add_u64 v[138:139], v[0:1], 3, s[30:31]
	v_mad_i64_i32 v[0:1], s[10:11], v2, s20, 0
	v_or_b32_e32 v217, 0x4000, v172
	v_add_u32_e32 v218, 0x4000, v166
	v_add_u32_e32 v219, 0x4800, v172
	v_or_b32_e32 v220, 0x2000, v172
	s_add_i32 s33, s26, -8
	v_lshl_add_u64 v[130:131], v[100:101], 3, s[18:19]
	s_lshl_b64 s[18:19], s[20:21], 6
	v_lshlrev_b64 v[134:135], 3, v[102:103]
	s_lshl_b64 s[36:37], s[34:35], 6
	v_lshlrev_b64 v[140:141], 3, v[0:1]
	s_mov_b32 s30, 0
	v_mov_b32_e32 v142, -1
	v_mov_b32_e32 v143, 0x7fefffff
	s_branch .LBB172_31
.LBB172_30:                             ;   in Loop: Header=BB172_31 Depth=1
	s_or_b64 exec, exec, s[10:11]
	v_add_f64 v[152:153], v[98:99], v[126:127]
	v_add_f64 v[230:231], v[96:97], v[124:125]
	v_cvt_f32_f64_e32 v230, v[230:231]
	v_cvt_f32_f64_e32 v152, v[152:153]
	v_min3_f32 v232, v230, v152, v227
	v_add_f64 v[152:153], v[94:95], v[126:127]
	v_add_f64 v[230:231], v[92:93], v[124:125]
	v_cvt_f32_f64_e32 v227, v[230:231]
	v_cvt_f32_f64_e32 v152, v[152:153]
	v_min3_f32 v230, v227, v152, v226
	;; [unrolled: 5-line block ×6, first 2 shown]
	v_add_f64 v[152:153], v[70:71], v[126:127]
	v_add_f64 v[224:225], v[68:69], v[124:125]
	v_add_f64 v[126:127], v[66:67], v[126:127]
	v_add_f64 v[124:125], v[64:65], v[124:125]
	v_cvt_f32_f64_e32 v124, v[124:125]
	v_cvt_f32_f64_e32 v125, v[126:127]
	v_cvt_f32_f64_e32 v152, v[152:153]
	v_min3_f32 v153, v124, v125, v214
	v_add_f64 v[124:125], v[98:99], v[122:123]
	v_add_f64 v[126:127], v[96:97], v[120:121]
	v_cvt_f32_f64_e32 v126, v[126:127]
	v_cvt_f32_f64_e32 v124, v[124:125]
	v_min3_f32 v213, v126, v124, v213
	v_add_f64 v[124:125], v[94:95], v[122:123]
	v_add_f64 v[126:127], v[92:93], v[120:121]
	v_cvt_f32_f64_e32 v126, v[126:127]
	v_cvt_f32_f64_e32 v124, v[124:125]
	;; [unrolled: 5-line block ×6, first 2 shown]
	v_min3_f32 v208, v126, v124, v208
	v_add_f64 v[124:125], v[70:71], v[122:123]
	v_add_f64 v[126:127], v[68:69], v[120:121]
	v_add_f64 v[122:123], v[66:67], v[122:123]
	v_add_f64 v[120:121], v[64:65], v[120:121]
	v_cvt_f32_f64_e32 v120, v[120:121]
	v_cvt_f32_f64_e32 v121, v[122:123]
	v_cvt_f32_f64_e32 v124, v[124:125]
	v_min3_f32 v125, v120, v121, v206
	v_add_f64 v[120:121], v[98:99], v[118:119]
	v_add_f64 v[122:123], v[96:97], v[116:117]
	v_cvt_f32_f64_e32 v126, v[126:127]
	v_cvt_f32_f64_e32 v122, v[122:123]
	;; [unrolled: 1-line block ×3, first 2 shown]
	v_min3_f32 v124, v126, v124, v207
	v_min3_f32 v126, v122, v120, v205
	v_add_f64 v[120:121], v[94:95], v[118:119]
	v_add_f64 v[122:123], v[92:93], v[116:117]
	v_cvt_f32_f64_e32 v122, v[122:123]
	v_cvt_f32_f64_e32 v120, v[120:121]
	v_min3_f32 v127, v122, v120, v204
	v_add_f64 v[120:121], v[90:91], v[118:119]
	v_add_f64 v[122:123], v[88:89], v[116:117]
	v_cvt_f32_f64_e32 v122, v[122:123]
	v_cvt_f32_f64_e32 v120, v[120:121]
	;; [unrolled: 5-line block ×5, first 2 shown]
	v_min3_f32 v200, v122, v120, v200
	v_add_f64 v[120:121], v[70:71], v[118:119]
	v_add_f64 v[122:123], v[68:69], v[116:117]
	;; [unrolled: 1-line block ×4, first 2 shown]
	v_cvt_f32_f64_e32 v116, v[116:117]
	v_cvt_f32_f64_e32 v117, v[118:119]
	;; [unrolled: 1-line block ×3, first 2 shown]
	v_min3_f32 v121, v116, v117, v198
	v_add_f64 v[116:117], v[98:99], v[114:115]
	v_add_f64 v[118:119], v[96:97], v[112:113]
	v_cvt_f32_f64_e32 v122, v[122:123]
	v_cvt_f32_f64_e32 v118, v[118:119]
	;; [unrolled: 1-line block ×3, first 2 shown]
	v_min3_f32 v120, v122, v120, v199
	v_min3_f32 v122, v118, v116, v197
	v_add_f64 v[116:117], v[94:95], v[114:115]
	v_add_f64 v[118:119], v[92:93], v[112:113]
	v_cvt_f32_f64_e32 v118, v[118:119]
	v_cvt_f32_f64_e32 v116, v[116:117]
	v_min3_f32 v123, v118, v116, v196
	v_add_f64 v[116:117], v[90:91], v[114:115]
	v_add_f64 v[118:119], v[88:89], v[112:113]
	v_cvt_f32_f64_e32 v118, v[118:119]
	v_cvt_f32_f64_e32 v116, v[116:117]
	v_min3_f32 v195, v118, v116, v195
	v_add_f64 v[116:117], v[82:83], v[114:115]
	v_add_f64 v[118:119], v[80:81], v[112:113]
	v_cvt_f32_f64_e32 v118, v[118:119]
	v_cvt_f32_f64_e32 v116, v[116:117]
	v_min3_f32 v194, v118, v116, v194
	v_add_f64 v[116:117], v[78:79], v[114:115]
	v_add_f64 v[118:119], v[76:77], v[112:113]
	v_cvt_f32_f64_e32 v118, v[118:119]
	v_cvt_f32_f64_e32 v116, v[116:117]
	v_min3_f32 v193, v118, v116, v193
	v_add_f64 v[116:117], v[74:75], v[114:115]
	v_add_f64 v[118:119], v[72:73], v[112:113]
	v_cvt_f32_f64_e32 v118, v[118:119]
	v_cvt_f32_f64_e32 v116, v[116:117]
	v_min3_f32 v192, v118, v116, v192
	v_add_f64 v[116:117], v[70:71], v[114:115]
	v_add_f64 v[118:119], v[68:69], v[112:113]
	v_add_f64 v[114:115], v[66:67], v[114:115]
	v_add_f64 v[112:113], v[64:65], v[112:113]
	v_cvt_f32_f64_e32 v112, v[112:113]
	v_cvt_f32_f64_e32 v113, v[114:115]
	v_min3_f32 v190, v112, v113, v190
	v_add_f64 v[112:113], v[98:99], v[110:111]
	v_add_f64 v[114:115], v[96:97], v[108:109]
	v_cvt_f32_f64_e32 v114, v[114:115]
	v_cvt_f32_f64_e32 v112, v[112:113]
	v_min3_f32 v189, v114, v112, v189
	v_add_f64 v[112:113], v[94:95], v[110:111]
	v_add_f64 v[114:115], v[92:93], v[108:109]
	v_cvt_f32_f64_e32 v114, v[114:115]
	v_cvt_f32_f64_e32 v112, v[112:113]
	v_min3_f32 v188, v114, v112, v188
	v_add_f64 v[112:113], v[90:91], v[110:111]
	v_add_f64 v[114:115], v[88:89], v[108:109]
	v_cvt_f32_f64_e32 v114, v[114:115]
	v_cvt_f32_f64_e32 v112, v[112:113]
	v_min3_f32 v187, v114, v112, v187
	v_add_f64 v[112:113], v[82:83], v[110:111]
	v_add_f64 v[114:115], v[80:81], v[108:109]
	v_cvt_f32_f64_e32 v114, v[114:115]
	v_cvt_f32_f64_e32 v112, v[112:113]
	v_min3_f32 v186, v114, v112, v186
	v_add_f64 v[112:113], v[78:79], v[110:111]
	v_add_f64 v[114:115], v[76:77], v[108:109]
	v_cvt_f32_f64_e32 v114, v[114:115]
	v_cvt_f32_f64_e32 v112, v[112:113]
	v_min3_f32 v185, v114, v112, v185
	v_add_f64 v[112:113], v[74:75], v[110:111]
	v_add_f64 v[114:115], v[72:73], v[108:109]
	v_cvt_f32_f64_e32 v114, v[114:115]
	v_cvt_f32_f64_e32 v112, v[112:113]
	v_min3_f32 v184, v114, v112, v184
	v_add_f64 v[112:113], v[70:71], v[110:111]
	v_add_f64 v[114:115], v[68:69], v[108:109]
	v_add_f64 v[110:111], v[66:67], v[110:111]
	v_add_f64 v[108:109], v[64:65], v[108:109]
	v_cvt_f32_f64_e32 v108, v[108:109]
	v_cvt_f32_f64_e32 v109, v[110:111]
	v_min3_f32 v182, v108, v109, v182
	v_add_f64 v[108:109], v[98:99], v[106:107]
	v_add_f64 v[110:111], v[96:97], v[104:105]
	v_cvt_f32_f64_e32 v110, v[110:111]
	v_cvt_f32_f64_e32 v108, v[108:109]
	;; [unrolled: 37-line block ×3, first 2 shown]
	v_min3_f32 v173, v106, v104, v173
	v_add_f64 v[104:105], v[94:95], v[102:103]
	v_add_f64 v[106:107], v[92:93], v[100:101]
	v_cvt_f32_f64_e32 v106, v[106:107]
	v_cvt_f32_f64_e32 v104, v[104:105]
	v_min3_f32 v171, v106, v104, v171
	v_add_f64 v[104:105], v[90:91], v[102:103]
	v_add_f64 v[106:107], v[88:89], v[100:101]
	v_cvt_f32_f64_e32 v106, v[106:107]
	v_cvt_f32_f64_e32 v104, v[104:105]
	;; [unrolled: 5-line block ×5, first 2 shown]
	v_min3_f32 v198, v106, v104, v167
	v_add_f64 v[104:105], v[70:71], v[102:103]
	v_add_f64 v[106:107], v[68:69], v[100:101]
	;; [unrolled: 1-line block ×8, first 2 shown]
	v_cvt_f32_f64_e32 v76, v[76:77]
	v_cvt_f32_f64_e32 v77, v[78:79]
	;; [unrolled: 1-line block ×4, first 2 shown]
	v_min3_f32 v76, v76, v77, v157
	v_min3_f32 v77, v64, v65, v154
	v_add_f64 v[64:65], v[34:35], v[62:63]
	v_add_f64 v[66:67], v[32:33], v[60:61]
	v_cvt_f32_f64_e32 v66, v[66:67]
	v_cvt_f32_f64_e32 v64, v[64:65]
	v_add_f64 v[70:71], v[70:71], v[86:87]
	v_add_f64 v[68:69], v[68:69], v[84:85]
	v_min3_f32 v205, v66, v64, v232
	v_add_f64 v[64:65], v[30:31], v[62:63]
	v_add_f64 v[66:67], v[28:29], v[60:61]
	;; [unrolled: 1-line block ×4, first 2 shown]
	v_cvt_f32_f64_e32 v68, v[68:69]
	v_cvt_f32_f64_e32 v69, v[70:71]
	;; [unrolled: 1-line block ×6, first 2 shown]
	v_min3_f32 v75, v68, v69, v155
	v_min3_f32 v64, v66, v64, v230
	v_add_f64 v[66:67], v[26:27], v[62:63]
	v_add_f64 v[68:69], v[24:25], v[60:61]
	v_cvt_f32_f64_e32 v65, v[68:69]
	v_cvt_f32_f64_e32 v66, v[66:67]
	v_min3_f32 v65, v65, v66, v231
	v_add_f64 v[66:67], v[18:19], v[62:63]
	v_add_f64 v[68:69], v[16:17], v[60:61]
	v_cvt_f32_f64_e32 v68, v[68:69]
	v_cvt_f32_f64_e32 v66, v[66:67]
	v_min3_f32 v66, v68, v66, v226
	v_add_f64 v[68:69], v[14:15], v[62:63]
	v_add_f64 v[70:71], v[12:13], v[60:61]
	v_cvt_f32_f64_e32 v67, v[70:71]
	v_cvt_f32_f64_e32 v68, v[68:69]
	v_min3_f32 v67, v67, v68, v223
	v_add_f64 v[68:69], v[10:11], v[62:63]
	v_add_f64 v[70:71], v[8:9], v[60:61]
	v_cvt_f32_f64_e32 v70, v[70:71]
	v_cvt_f32_f64_e32 v68, v[68:69]
	v_min3_f32 v74, v72, v73, v156
	v_min3_f32 v68, v70, v68, v216
	v_add_f64 v[70:71], v[6:7], v[62:63]
	v_add_f64 v[72:73], v[4:5], v[60:61]
	v_add_f64 v[62:63], v[2:3], v[62:63]
	v_add_f64 v[60:61], v[0:1], v[60:61]
	v_cvt_f32_f64_e32 v100, v[100:101]
	v_cvt_f32_f64_e32 v101, v[102:103]
	v_cvt_f32_f64_e32 v60, v[60:61]
	v_cvt_f32_f64_e32 v61, v[62:63]
	v_min3_f32 v204, v100, v101, v163
	v_min3_f32 v100, v60, v61, v153
	v_add_f64 v[60:61], v[34:35], v[58:59]
	v_add_f64 v[62:63], v[32:33], v[56:57]
	v_cvt_f32_f64_e32 v62, v[62:63]
	v_cvt_f32_f64_e32 v60, v[60:61]
	v_min3_f32 v101, v62, v60, v213
	v_add_f64 v[60:61], v[30:31], v[58:59]
	v_add_f64 v[62:63], v[28:29], v[56:57]
	v_cvt_f32_f64_e32 v62, v[62:63]
	v_cvt_f32_f64_e32 v60, v[60:61]
	v_min3_f32 v102, v62, v60, v212
	v_add_f64 v[60:61], v[26:27], v[58:59]
	v_add_f64 v[62:63], v[24:25], v[56:57]
	v_cvt_f32_f64_e32 v62, v[62:63]
	v_cvt_f32_f64_e32 v60, v[60:61]
	v_min3_f32 v103, v62, v60, v211
	v_add_f64 v[60:61], v[18:19], v[58:59]
	v_add_f64 v[62:63], v[16:17], v[56:57]
	v_cvt_f32_f64_e32 v106, v[106:107]
	v_cvt_f32_f64_e32 v104, v[104:105]
	v_cvt_f32_f64_e32 v62, v[62:63]
	v_cvt_f32_f64_e32 v60, v[60:61]
	v_min3_f32 v199, v106, v104, v164
	v_min3_f32 v104, v62, v60, v210
	v_add_f64 v[60:61], v[14:15], v[58:59]
	v_add_f64 v[62:63], v[12:13], v[56:57]
	v_cvt_f32_f64_e32 v62, v[62:63]
	v_cvt_f32_f64_e32 v60, v[60:61]
	v_min3_f32 v105, v62, v60, v209
	v_add_f64 v[60:61], v[10:11], v[58:59]
	v_add_f64 v[62:63], v[8:9], v[56:57]
	v_cvt_f32_f64_e32 v62, v[62:63]
	v_cvt_f32_f64_e32 v60, v[60:61]
	v_min3_f32 v106, v62, v60, v208
	v_add_f64 v[60:61], v[6:7], v[58:59]
	v_add_f64 v[62:63], v[4:5], v[56:57]
	v_add_f64 v[58:59], v[2:3], v[58:59]
	v_add_f64 v[56:57], v[0:1], v[56:57]
	v_cvt_f32_f64_e32 v110, v[110:111]
	v_cvt_f32_f64_e32 v108, v[108:109]
	v_cvt_f32_f64_e32 v56, v[56:57]
	v_cvt_f32_f64_e32 v57, v[58:59]
	v_min3_f32 v175, v110, v108, v175
	v_min3_f32 v108, v56, v57, v125
	v_add_f64 v[56:57], v[34:35], v[54:55]
	v_add_f64 v[58:59], v[32:33], v[52:53]
	v_cvt_f32_f64_e32 v58, v[58:59]
	v_cvt_f32_f64_e32 v56, v[56:57]
	v_min3_f32 v109, v58, v56, v126
	v_add_f64 v[56:57], v[30:31], v[54:55]
	v_add_f64 v[58:59], v[28:29], v[52:53]
	v_cvt_f32_f64_e32 v58, v[58:59]
	v_cvt_f32_f64_e32 v56, v[56:57]
	v_min3_f32 v110, v58, v56, v127
	v_add_f64 v[56:57], v[26:27], v[54:55]
	v_add_f64 v[58:59], v[24:25], v[52:53]
	v_cvt_f32_f64_e32 v58, v[58:59]
	v_cvt_f32_f64_e32 v56, v[56:57]
	v_min3_f32 v111, v58, v56, v203
	v_add_f64 v[56:57], v[18:19], v[54:55]
	v_add_f64 v[58:59], v[16:17], v[52:53]
	v_cvt_f32_f64_e32 v114, v[114:115]
	v_cvt_f32_f64_e32 v112, v[112:113]
	v_cvt_f32_f64_e32 v58, v[58:59]
	v_cvt_f32_f64_e32 v56, v[56:57]
	v_min3_f32 v183, v114, v112, v183
	v_min3_f32 v112, v58, v56, v202
	v_add_f64 v[56:57], v[14:15], v[54:55]
	v_add_f64 v[58:59], v[12:13], v[52:53]
	v_cvt_f32_f64_e32 v58, v[58:59]
	v_cvt_f32_f64_e32 v56, v[56:57]
	v_min3_f32 v113, v58, v56, v201
	v_add_f64 v[56:57], v[10:11], v[54:55]
	v_add_f64 v[58:59], v[8:9], v[52:53]
	v_cvt_f32_f64_e32 v58, v[58:59]
	v_cvt_f32_f64_e32 v56, v[56:57]
	;; [unrolled: 43-line block ×3, first 2 shown]
	v_min3_f32 v122, v54, v52, v192
	v_add_f64 v[52:53], v[6:7], v[50:51]
	v_add_f64 v[54:55], v[4:5], v[48:49]
	;; [unrolled: 1-line block ×4, first 2 shown]
	v_cvt_f32_f64_e32 v62, v[62:63]
	v_cvt_f32_f64_e32 v60, v[60:61]
	;; [unrolled: 1-line block ×4, first 2 shown]
	v_min3_f32 v107, v62, v60, v124
	v_min3_f32 v124, v48, v49, v190
	v_add_f64 v[48:49], v[34:35], v[46:47]
	v_add_f64 v[50:51], v[32:33], v[44:45]
	v_cvt_f32_f64_e32 v50, v[50:51]
	v_cvt_f32_f64_e32 v48, v[48:49]
	v_min3_f32 v125, v50, v48, v189
	v_add_f64 v[48:49], v[30:31], v[46:47]
	v_add_f64 v[50:51], v[28:29], v[44:45]
	v_cvt_f32_f64_e32 v50, v[50:51]
	v_cvt_f32_f64_e32 v48, v[48:49]
	;; [unrolled: 5-line block ×3, first 2 shown]
	v_cvt_f32_f64_e32 v224, v[224:225]
	v_min3_f32 v127, v50, v48, v187
	v_add_f64 v[48:49], v[18:19], v[46:47]
	v_add_f64 v[50:51], v[16:17], v[44:45]
	v_min3_f32 v152, v224, v152, v215
	v_cvt_f32_f64_e32 v69, v[72:73]
	v_cvt_f32_f64_e32 v70, v[70:71]
	;; [unrolled: 1-line block ×4, first 2 shown]
	v_min3_f32 v69, v69, v70, v152
	v_min3_f32 v152, v50, v48, v186
	v_add_f64 v[48:49], v[14:15], v[46:47]
	v_add_f64 v[50:51], v[12:13], v[44:45]
	v_cvt_f32_f64_e32 v50, v[50:51]
	v_cvt_f32_f64_e32 v48, v[48:49]
	v_min3_f32 v153, v50, v48, v185
	v_add_f64 v[48:49], v[10:11], v[46:47]
	v_add_f64 v[50:51], v[8:9], v[44:45]
	v_cvt_f32_f64_e32 v50, v[50:51]
	v_cvt_f32_f64_e32 v48, v[48:49]
	v_min3_f32 v154, v50, v48, v184
	v_add_f64 v[48:49], v[6:7], v[46:47]
	v_add_f64 v[50:51], v[4:5], v[44:45]
	;; [unrolled: 1-line block ×4, first 2 shown]
	v_cvt_f32_f64_e32 v44, v[44:45]
	v_cvt_f32_f64_e32 v45, v[46:47]
	v_min3_f32 v156, v44, v45, v182
	v_add_f64 v[44:45], v[34:35], v[42:43]
	v_add_f64 v[46:47], v[32:33], v[40:41]
	v_cvt_f32_f64_e32 v46, v[46:47]
	v_cvt_f32_f64_e32 v44, v[44:45]
	v_add_f64 v[82:83], v[82:83], v[86:87]
	v_add_f64 v[80:81], v[80:81], v[84:85]
	v_min3_f32 v157, v46, v44, v181
	v_add_f64 v[44:45], v[30:31], v[42:43]
	v_add_f64 v[46:47], v[28:29], v[40:41]
	v_cvt_f32_f64_e32 v80, v[80:81]
	v_cvt_f32_f64_e32 v81, v[82:83]
	v_cvt_f32_f64_e32 v46, v[46:47]
	v_cvt_f32_f64_e32 v44, v[44:45]
	v_add_f64 v[90:91], v[90:91], v[86:87]
	v_add_f64 v[88:89], v[88:89], v[84:85]
	v_min3_f32 v80, v80, v81, v159
	v_min3_f32 v159, v46, v44, v180
	v_add_f64 v[44:45], v[26:27], v[42:43]
	v_add_f64 v[46:47], v[24:25], v[40:41]
	v_cvt_f32_f64_e32 v88, v[88:89]
	v_cvt_f32_f64_e32 v89, v[90:91]
	v_cvt_f32_f64_e32 v46, v[46:47]
	v_cvt_f32_f64_e32 v44, v[44:45]
	v_add_f64 v[94:95], v[94:95], v[86:87]
	v_add_f64 v[92:93], v[92:93], v[84:85]
	v_min3_f32 v88, v88, v89, v160
	;; [unrolled: 10-line block ×3, first 2 shown]
	v_min3_f32 v161, v46, v44, v178
	v_add_f64 v[44:45], v[14:15], v[42:43]
	v_add_f64 v[46:47], v[12:13], v[40:41]
	v_cvt_f32_f64_e32 v96, v[96:97]
	v_cvt_f32_f64_e32 v97, v[98:99]
	;; [unrolled: 1-line block ×4, first 2 shown]
	v_min3_f32 v96, v96, v97, v162
	v_min3_f32 v162, v46, v44, v177
	v_add_f64 v[44:45], v[10:11], v[42:43]
	v_add_f64 v[46:47], v[8:9], v[40:41]
	v_cvt_f32_f64_e32 v46, v[46:47]
	v_cvt_f32_f64_e32 v44, v[44:45]
	v_min3_f32 v163, v46, v44, v176
	v_add_f64 v[44:45], v[6:7], v[42:43]
	v_add_f64 v[46:47], v[4:5], v[40:41]
	;; [unrolled: 1-line block ×4, first 2 shown]
	v_cvt_f32_f64_e32 v40, v[40:41]
	v_cvt_f32_f64_e32 v41, v[42:43]
	v_min3_f32 v167, v40, v41, v174
	v_add_f64 v[40:41], v[34:35], v[38:39]
	v_add_f64 v[42:43], v[32:33], v[36:37]
	v_cvt_f32_f64_e32 v42, v[42:43]
	v_cvt_f32_f64_e32 v40, v[40:41]
	v_min3_f32 v168, v42, v40, v173
	v_add_f64 v[40:41], v[30:31], v[38:39]
	v_add_f64 v[42:43], v[28:29], v[36:37]
	;; [unrolled: 5-line block ×7, first 2 shown]
	v_add_f64 v[38:39], v[2:3], v[38:39]
	v_add_f64 v[36:37], v[0:1], v[36:37]
	;; [unrolled: 1-line block ×18, first 2 shown]
	v_cvt_f32_f64_e32 v54, v[54:55]
	v_cvt_f32_f64_e32 v52, v[52:53]
	;; [unrolled: 1-line block ×24, first 2 shown]
	v_min3_f32 v123, v54, v52, v191
	v_min3_f32 v155, v50, v48, v183
	;; [unrolled: 1-line block ×12, first 2 shown]
	ds_read_b128 v[36:39], v218 offset:256
	ds_read_b128 v[32:35], v218 offset:512
	;; [unrolled: 1-line block ×12, first 2 shown]
	ds_read_b128 v[96:99], v165
	ds_read_b128 v[48:51], v218
	ds_read_b128 v[72:75], v165 offset:6144
	ds_read_b128 v[24:27], v165 offset:7168
	;; [unrolled: 1-line block ×4, first 2 shown]
	s_waitcnt lgkmcnt(5)
	v_add_f64 v[44:45], v[38:39], v[98:99]
	v_add_f64 v[46:47], v[36:37], v[96:97]
	v_add_f64 v[52:53], v[34:35], v[98:99]
	v_add_f64 v[54:55], v[32:33], v[96:97]
	v_add_f64 v[56:57], v[30:31], v[98:99]
	v_add_f64 v[58:59], v[28:29], v[96:97]
	v_add_f64 v[60:61], v[22:23], v[98:99]
	v_add_f64 v[62:63], v[20:21], v[96:97]
	v_cvt_f32_f64_e32 v46, v[46:47]
	v_cvt_f32_f64_e32 v44, v[44:45]
	;; [unrolled: 1-line block ×10, first 2 shown]
	v_min3_f32 v190, v46, v44, v64
	v_min3_f32 v191, v54, v52, v65
	;; [unrolled: 1-line block ×4, first 2 shown]
	v_add_f64 v[64:65], v[18:19], v[98:99]
	v_add_f64 v[66:67], v[16:17], v[96:97]
	v_min3_f32 v175, v42, v40, v199
	s_waitcnt lgkmcnt(4)
	v_add_f64 v[40:41], v[50:51], v[98:99]
	v_add_f64 v[42:43], v[48:49], v[96:97]
	v_cvt_f32_f64_e32 v66, v[66:67]
	v_cvt_f32_f64_e32 v64, v[64:65]
	v_add_f64 v[70:71], v[14:15], v[98:99]
	v_add_f64 v[186:187], v[12:13], v[96:97]
	;; [unrolled: 1-line block ×4, first 2 shown]
	v_min3_f32 v194, v66, v64, v68
	v_cvt_f32_f64_e32 v68, v[186:187]
	v_cvt_f32_f64_e32 v96, v[96:97]
	;; [unrolled: 1-line block ×3, first 2 shown]
	v_add_f64 v[186:187], v[50:51], v[94:95]
	v_add_f64 v[188:189], v[48:49], v[92:93]
	v_min3_f32 v196, v96, v97, v100
	v_cvt_f32_f64_e32 v100, v[188:189]
	v_cvt_f32_f64_e32 v186, v[186:187]
	v_min3_f32 v188, v100, v186, v101
	v_add_f64 v[100:101], v[38:39], v[94:95]
	v_add_f64 v[186:187], v[36:37], v[92:93]
	v_cvt_f32_f64_e32 v186, v[186:187]
	v_cvt_f32_f64_e32 v100, v[100:101]
	v_min3_f32 v189, v186, v100, v102
	v_add_f64 v[100:101], v[34:35], v[94:95]
	v_add_f64 v[186:187], v[32:33], v[92:93]
	;; [unrolled: 5-line block ×34, first 2 shown]
	v_cvt_f32_f64_e32 v102, v[102:103]
	v_cvt_f32_f64_e32 v100, v[100:101]
	v_min3_f32 v164, v102, v100, v164
	s_waitcnt lgkmcnt(3)
	v_add_f64 v[100:101], v[50:51], v[74:75]
	v_add_f64 v[102:103], v[48:49], v[72:73]
	v_cvt_f32_f64_e32 v102, v[102:103]
	v_cvt_f32_f64_e32 v100, v[100:101]
	v_min3_f32 v168, v102, v100, v168
	v_add_f64 v[100:101], v[38:39], v[74:75]
	v_add_f64 v[102:103], v[36:37], v[72:73]
	v_cvt_f32_f64_e32 v102, v[102:103]
	v_cvt_f32_f64_e32 v100, v[100:101]
	v_min3_f32 v169, v102, v100, v169
	;; [unrolled: 5-line block ×4, first 2 shown]
	v_add_f64 v[100:101], v[22:23], v[74:75]
	v_add_f64 v[102:103], v[20:21], v[72:73]
	v_cvt_f32_f64_e32 v102, v[102:103]
	v_cvt_f32_f64_e32 v100, v[100:101]
	;; [unrolled: 1-line block ×4, first 2 shown]
	v_min3_f32 v231, v102, v100, v173
	v_add_f64 v[100:101], v[18:19], v[74:75]
	v_add_f64 v[102:103], v[16:17], v[72:73]
	v_min3_f32 v185, v42, v40, v205
	ds_read_b128 v[40:43], v218 offset:272
	v_cvt_f32_f64_e32 v102, v[102:103]
	v_cvt_f32_f64_e32 v100, v[100:101]
	v_add_f64 v[94:95], v[10:11], v[94:95]
	v_add_f64 v[92:93], v[8:9], v[92:93]
	;; [unrolled: 1-line block ×10, first 2 shown]
	v_min3_f32 v232, v102, v100, v174
	v_add_f64 v[100:101], v[14:15], v[74:75]
	v_add_f64 v[102:103], v[12:13], v[72:73]
	;; [unrolled: 1-line block ×4, first 2 shown]
	s_waitcnt lgkmcnt(3)
	v_add_f64 v[14:15], v[14:15], v[26:27]
	v_add_f64 v[12:13], v[12:13], v[24:25]
	;; [unrolled: 1-line block ×4, first 2 shown]
	ds_read_b128 v[44:47], v218 offset:528
	ds_read_b128 v[52:55], v218 offset:784
	v_cvt_f32_f64_e32 v12, v[12:13]
	v_cvt_f32_f64_e32 v13, v[14:15]
	;; [unrolled: 1-line block ×4, first 2 shown]
	v_min3_f32 v12, v12, v13, v183
	v_min3_f32 v13, v8, v9, v184
	s_waitcnt lgkmcnt(3)
	v_add_f64 v[8:9], v[2:3], v[6:7]
	v_add_f64 v[10:11], v[0:1], v[4:5]
	v_cvt_f32_f64_e32 v72, v[72:73]
	v_cvt_f32_f64_e32 v73, v[74:75]
	;; [unrolled: 1-line block ×5, first 2 shown]
	v_min3_f32 v101, v72, v73, v176
	ds_read_b128 v[72:75], v165 offset:7184
	v_min3_f32 v227, v10, v8, v185
	s_waitcnt lgkmcnt(3)
	v_add_f64 v[8:9], v[42:43], v[6:7]
	v_add_f64 v[10:11], v[40:41], v[4:5]
	ds_read_b128 v[56:59], v218 offset:1040
	ds_read_b128 v[60:63], v218 offset:1296
	v_cvt_f32_f64_e32 v10, v[10:11]
	v_cvt_f32_f64_e32 v8, v[8:9]
	v_min3_f32 v226, v10, v8, v190
	s_waitcnt lgkmcnt(4)
	v_add_f64 v[8:9], v[46:47], v[6:7]
	v_add_f64 v[10:11], v[44:45], v[4:5]
	v_cvt_f32_f64_e32 v10, v[10:11]
	v_cvt_f32_f64_e32 v8, v[8:9]
	;; [unrolled: 1-line block ×3, first 2 shown]
	v_min3_f32 v225, v10, v8, v191
	s_waitcnt lgkmcnt(3)
	v_add_f64 v[8:9], v[54:55], v[6:7]
	v_add_f64 v[10:11], v[52:53], v[4:5]
	ds_read_b128 v[64:67], v218 offset:1552
	v_min3_f32 v195, v68, v70, v69
	ds_read_b128 v[68:71], v218 offset:1808
	v_cvt_f32_f64_e32 v10, v[10:11]
	v_cvt_f32_f64_e32 v8, v[8:9]
	v_min3_f32 v224, v10, v8, v192
	s_waitcnt lgkmcnt(3)
	v_add_f64 v[8:9], v[58:59], v[6:7]
	v_add_f64 v[10:11], v[56:57], v[4:5]
	ds_read_b128 v[96:99], v165 offset:1040
	v_cvt_f32_f64_e32 v10, v[10:11]
	v_cvt_f32_f64_e32 v8, v[8:9]
	v_min3_f32 v223, v10, v8, v193
	s_waitcnt lgkmcnt(3)
	v_add_f64 v[8:9], v[62:63], v[6:7]
	v_add_f64 v[10:11], v[60:61], v[4:5]
	v_cvt_f32_f64_e32 v10, v[10:11]
	v_cvt_f32_f64_e32 v8, v[8:9]
	v_min3_f32 v216, v10, v8, v194
	s_waitcnt lgkmcnt(2)
	v_add_f64 v[8:9], v[66:67], v[6:7]
	v_add_f64 v[10:11], v[64:65], v[4:5]
	s_waitcnt lgkmcnt(1)
	v_add_f64 v[6:7], v[70:71], v[6:7]
	v_add_f64 v[4:5], v[68:69], v[4:5]
	v_cvt_f32_f64_e32 v92, v[92:93]
	v_cvt_f32_f64_e32 v93, v[94:95]
	;; [unrolled: 1-line block ×4, first 2 shown]
	v_min3_f32 v108, v92, v93, v108
	ds_read_b128 v[92:95], v165 offset:2064
	v_min3_f32 v214, v4, v5, v196
	s_waitcnt lgkmcnt(1)
	v_add_f64 v[4:5], v[2:3], v[98:99]
	v_add_f64 v[6:7], v[0:1], v[96:97]
	v_cvt_f32_f64_e32 v6, v[6:7]
	v_cvt_f32_f64_e32 v4, v[4:5]
	v_min3_f32 v213, v6, v4, v188
	v_add_f64 v[4:5], v[42:43], v[98:99]
	v_add_f64 v[6:7], v[40:41], v[96:97]
	v_cvt_f32_f64_e32 v6, v[6:7]
	v_cvt_f32_f64_e32 v4, v[4:5]
	v_min3_f32 v212, v6, v4, v189
	;; [unrolled: 5-line block ×8, first 2 shown]
	s_waitcnt lgkmcnt(0)
	v_add_f64 v[4:5], v[2:3], v[94:95]
	v_add_f64 v[6:7], v[0:1], v[92:93]
	v_cvt_f32_f64_e32 v6, v[6:7]
	v_cvt_f32_f64_e32 v4, v[4:5]
	v_min3_f32 v205, v6, v4, v109
	v_add_f64 v[4:5], v[42:43], v[94:95]
	v_add_f64 v[6:7], v[40:41], v[92:93]
	v_cvt_f32_f64_e32 v6, v[6:7]
	v_cvt_f32_f64_e32 v4, v[4:5]
	v_min3_f32 v204, v6, v4, v110
	;; [unrolled: 5-line block ×4, first 2 shown]
	v_add_f64 v[4:5], v[58:59], v[94:95]
	v_add_f64 v[6:7], v[56:57], v[92:93]
	v_cvt_f32_f64_e32 v6, v[6:7]
	v_cvt_f32_f64_e32 v4, v[4:5]
	;; [unrolled: 1-line block ×4, first 2 shown]
	v_min3_f32 v201, v6, v4, v113
	v_add_f64 v[4:5], v[62:63], v[94:95]
	v_add_f64 v[6:7], v[60:61], v[92:93]
	v_min3_f32 v116, v88, v89, v116
	ds_read_b128 v[88:91], v165 offset:3088
	v_cvt_f32_f64_e32 v6, v[6:7]
	v_cvt_f32_f64_e32 v4, v[4:5]
	v_min3_f32 v200, v6, v4, v114
	v_add_f64 v[4:5], v[66:67], v[94:95]
	v_add_f64 v[6:7], v[64:65], v[92:93]
	v_cvt_f32_f64_e32 v6, v[6:7]
	v_cvt_f32_f64_e32 v4, v[4:5]
	v_min3_f32 v199, v6, v4, v115
	v_add_f64 v[4:5], v[70:71], v[94:95]
	v_add_f64 v[6:7], v[68:69], v[92:93]
	v_cvt_f32_f64_e32 v84, v[84:85]
	v_cvt_f32_f64_e32 v85, v[86:87]
	;; [unrolled: 1-line block ×4, first 2 shown]
	v_min3_f32 v124, v84, v85, v124
	ds_read_b128 v[84:87], v165 offset:4112
	v_min3_f32 v198, v6, v4, v116
	s_waitcnt lgkmcnt(1)
	v_add_f64 v[4:5], v[2:3], v[90:91]
	v_add_f64 v[6:7], v[0:1], v[88:89]
	v_cvt_f32_f64_e32 v6, v[6:7]
	v_cvt_f32_f64_e32 v4, v[4:5]
	v_min3_f32 v197, v6, v4, v117
	v_add_f64 v[4:5], v[42:43], v[90:91]
	v_add_f64 v[6:7], v[40:41], v[88:89]
	v_cvt_f32_f64_e32 v6, v[6:7]
	v_cvt_f32_f64_e32 v4, v[4:5]
	v_min3_f32 v196, v6, v4, v118
	v_add_f64 v[4:5], v[46:47], v[90:91]
	v_add_f64 v[6:7], v[44:45], v[88:89]
	v_cvt_f32_f64_e32 v10, v[10:11]
	v_cvt_f32_f64_e32 v8, v[8:9]
	;; [unrolled: 1-line block ×4, first 2 shown]
	v_min3_f32 v215, v10, v8, v195
	v_min3_f32 v195, v6, v4, v119
	v_add_f64 v[4:5], v[54:55], v[90:91]
	v_add_f64 v[6:7], v[52:53], v[88:89]
	v_cvt_f32_f64_e32 v6, v[6:7]
	v_cvt_f32_f64_e32 v4, v[4:5]
	v_min3_f32 v194, v6, v4, v120
	v_add_f64 v[4:5], v[58:59], v[90:91]
	v_add_f64 v[6:7], v[56:57], v[88:89]
	v_cvt_f32_f64_e32 v6, v[6:7]
	v_cvt_f32_f64_e32 v4, v[4:5]
	;; [unrolled: 5-line block ×5, first 2 shown]
	v_min3_f32 v190, v6, v4, v124
	s_waitcnt lgkmcnt(0)
	v_add_f64 v[4:5], v[2:3], v[86:87]
	v_add_f64 v[6:7], v[0:1], v[84:85]
	v_cvt_f32_f64_e32 v6, v[6:7]
	v_cvt_f32_f64_e32 v4, v[4:5]
	v_min3_f32 v189, v6, v4, v125
	v_add_f64 v[4:5], v[42:43], v[86:87]
	v_add_f64 v[6:7], v[40:41], v[84:85]
	v_cvt_f32_f64_e32 v6, v[6:7]
	v_cvt_f32_f64_e32 v4, v[4:5]
	v_min3_f32 v188, v6, v4, v126
	;; [unrolled: 5-line block ×4, first 2 shown]
	v_add_f64 v[4:5], v[58:59], v[86:87]
	v_add_f64 v[6:7], v[56:57], v[84:85]
	v_cvt_f32_f64_e32 v6, v[6:7]
	v_cvt_f32_f64_e32 v4, v[4:5]
	;; [unrolled: 1-line block ×4, first 2 shown]
	v_min3_f32 v185, v6, v4, v153
	v_add_f64 v[4:5], v[62:63], v[86:87]
	v_add_f64 v[6:7], v[60:61], v[84:85]
	v_min3_f32 v156, v80, v81, v156
	ds_read_b128 v[80:83], v165 offset:5136
	v_cvt_f32_f64_e32 v6, v[6:7]
	v_cvt_f32_f64_e32 v4, v[4:5]
	v_min3_f32 v184, v6, v4, v154
	v_add_f64 v[4:5], v[66:67], v[86:87]
	v_add_f64 v[6:7], v[64:65], v[84:85]
	v_cvt_f32_f64_e32 v6, v[6:7]
	v_cvt_f32_f64_e32 v4, v[4:5]
	v_add_f64 v[18:19], v[18:19], v[26:27]
	v_add_f64 v[16:17], v[16:17], v[24:25]
	v_min3_f32 v183, v6, v4, v155
	v_add_f64 v[4:5], v[70:71], v[86:87]
	v_add_f64 v[6:7], v[68:69], v[84:85]
	v_cvt_f32_f64_e32 v76, v[76:77]
	v_cvt_f32_f64_e32 v77, v[78:79]
	;; [unrolled: 1-line block ×6, first 2 shown]
	v_min3_f32 v167, v76, v77, v167
	ds_read_b128 v[76:79], v165 offset:6160
	v_add_f64 v[22:23], v[22:23], v[26:27]
	v_add_f64 v[20:21], v[20:21], v[24:25]
	v_min3_f32 v16, v16, v17, v182
	v_min3_f32 v182, v6, v4, v156
	s_waitcnt lgkmcnt(1)
	v_add_f64 v[4:5], v[2:3], v[82:83]
	v_add_f64 v[6:7], v[0:1], v[80:81]
	v_cvt_f32_f64_e32 v20, v[20:21]
	v_cvt_f32_f64_e32 v21, v[22:23]
	v_cvt_f32_f64_e32 v6, v[6:7]
	v_cvt_f32_f64_e32 v4, v[4:5]
	v_add_f64 v[30:31], v[30:31], v[26:27]
	v_add_f64 v[28:29], v[28:29], v[24:25]
	v_min3_f32 v20, v20, v21, v181
	v_min3_f32 v181, v6, v4, v157
	v_add_f64 v[4:5], v[42:43], v[82:83]
	v_add_f64 v[6:7], v[40:41], v[80:81]
	v_cvt_f32_f64_e32 v28, v[28:29]
	v_cvt_f32_f64_e32 v29, v[30:31]
	v_cvt_f32_f64_e32 v6, v[6:7]
	v_cvt_f32_f64_e32 v4, v[4:5]
	v_add_f64 v[34:35], v[34:35], v[26:27]
	v_add_f64 v[32:33], v[32:33], v[24:25]
	v_min3_f32 v28, v28, v29, v180
	v_min3_f32 v180, v6, v4, v159
	;; [unrolled: 10-line block ×4, first 2 shown]
	v_add_f64 v[4:5], v[58:59], v[82:83]
	v_add_f64 v[6:7], v[56:57], v[80:81]
	v_cvt_f32_f64_e32 v48, v[48:49]
	v_cvt_f32_f64_e32 v49, v[50:51]
	;; [unrolled: 1-line block ×4, first 2 shown]
	v_min3_f32 v48, v48, v49, v177
	v_min3_f32 v177, v6, v4, v162
	v_add_f64 v[4:5], v[62:63], v[82:83]
	v_add_f64 v[6:7], v[60:61], v[80:81]
	v_cvt_f32_f64_e32 v6, v[6:7]
	v_cvt_f32_f64_e32 v4, v[4:5]
	v_min3_f32 v176, v6, v4, v163
	v_add_f64 v[4:5], v[66:67], v[82:83]
	v_add_f64 v[6:7], v[64:65], v[80:81]
	v_cvt_f32_f64_e32 v102, v[102:103]
	v_cvt_f32_f64_e32 v6, v[6:7]
	;; [unrolled: 1-line block ×3, first 2 shown]
	v_min3_f32 v100, v102, v100, v175
	v_min3_f32 v175, v6, v4, v164
	v_add_f64 v[4:5], v[70:71], v[82:83]
	v_add_f64 v[6:7], v[68:69], v[80:81]
	v_cvt_f32_f64_e32 v6, v[6:7]
	v_cvt_f32_f64_e32 v4, v[4:5]
	v_min3_f32 v174, v6, v4, v167
	s_waitcnt lgkmcnt(0)
	v_add_f64 v[4:5], v[2:3], v[78:79]
	v_add_f64 v[6:7], v[0:1], v[76:77]
	v_add_f64 v[2:3], v[2:3], v[74:75]
	v_add_f64 v[0:1], v[0:1], v[72:73]
	v_cvt_f32_f64_e32 v6, v[6:7]
	v_cvt_f32_f64_e32 v4, v[4:5]
	v_cvt_f32_f64_e32 v0, v[0:1]
	v_cvt_f32_f64_e32 v1, v[2:3]
	v_min3_f32 v173, v6, v4, v168
	v_add_f64 v[4:5], v[42:43], v[78:79]
	v_add_f64 v[6:7], v[40:41], v[76:77]
	v_min3_f32 v162, v0, v1, v48
	v_add_f64 v[0:1], v[42:43], v[74:75]
	v_add_f64 v[2:3], v[40:41], v[72:73]
	v_cvt_f32_f64_e32 v6, v[6:7]
	v_cvt_f32_f64_e32 v4, v[4:5]
	v_cvt_f32_f64_e32 v2, v[2:3]
	v_cvt_f32_f64_e32 v0, v[0:1]
	v_min3_f32 v171, v6, v4, v169
	v_add_f64 v[4:5], v[46:47], v[78:79]
	v_add_f64 v[6:7], v[44:45], v[76:77]
	v_min3_f32 v161, v2, v0, v36
	v_add_f64 v[0:1], v[46:47], v[74:75]
	v_add_f64 v[2:3], v[44:45], v[72:73]
	;; [unrolled: 10-line block ×7, first 2 shown]
	v_cvt_f32_f64_e32 v6, v[6:7]
	v_cvt_f32_f64_e32 v4, v[4:5]
	;; [unrolled: 1-line block ×4, first 2 shown]
	s_add_i32 s30, s30, 8
	v_min3_f32 v163, v6, v4, v101
	v_min3_f32 v154, v2, v0, v13
	v_lshl_add_u64 v[130:131], v[130:131], 0, s[18:19]
	v_lshl_add_u64 v[136:137], v[136:137], 0, s[36:37]
	s_cmp_ge_i32 s30, s33
	v_lshl_add_u64 v[138:139], v[138:139], 0, s[36:37]
	s_waitcnt vmcnt(0)
	ds_write_b64 v219, v[228:229]
	ds_write2st64_b64 v220, v[144:145], v[146:147] offset1:4
	ds_write2st64_b64 v220, v[148:149], v[150:151] offset0:8 offset1:12
	s_waitcnt lgkmcnt(0)
	s_barrier
	s_cbranch_scc1 .LBB172_51
.LBB172_31:                             ; =>This Inner Loop Header: Depth=1
	v_add_u32_e32 v152, s30, v128
	v_add_u32_e32 v0, 8, v152
	v_cmp_le_i32_e64 s[10:11], s26, v0
	s_nor_b64 s[34:35], vcc, s[10:11]
	v_mov_b64_e32 v[228:229], v[142:143]
	s_and_saveexec_b64 s[20:21], s[34:35]
	s_cbranch_execz .LBB172_33
; %bb.32:                               ;   in Loop: Header=BB172_31 Depth=1
	v_lshl_add_u64 v[0:1], v[130:131], 0, v[132:133]
	global_load_dwordx2 v[228:229], v[0:1], off
.LBB172_33:                             ;   in Loop: Header=BB172_31 Depth=1
	s_or_b64 exec, exec, s[20:21]
	s_nor_b64 s[34:35], s[12:13], s[10:11]
	v_lshl_add_u64 v[0:1], v[136:137], 0, v[134:135]
	v_mov_b64_e32 v[144:145], v[142:143]
	s_and_saveexec_b64 s[20:21], s[34:35]
	s_cbranch_execz .LBB172_35
; %bb.34:                               ;   in Loop: Header=BB172_31 Depth=1
	global_load_dwordx2 v[144:145], v[0:1], off
.LBB172_35:                             ;   in Loop: Header=BB172_31 Depth=1
	s_or_b64 exec, exec, s[20:21]
	s_nor_b64 s[34:35], s[4:5], s[10:11]
	v_mov_b64_e32 v[146:147], v[142:143]
	s_and_saveexec_b64 s[20:21], s[34:35]
	s_cbranch_execz .LBB172_37
; %bb.36:                               ;   in Loop: Header=BB172_31 Depth=1
	global_load_dwordx2 v[146:147], v[0:1], off offset:512
.LBB172_37:                             ;   in Loop: Header=BB172_31 Depth=1
	s_or_b64 exec, exec, s[20:21]
	s_nor_b64 s[34:35], s[6:7], s[10:11]
	v_mov_b64_e32 v[148:149], v[142:143]
	s_and_saveexec_b64 s[20:21], s[34:35]
	s_cbranch_execz .LBB172_39
; %bb.38:                               ;   in Loop: Header=BB172_31 Depth=1
	global_load_dwordx2 v[148:149], v[0:1], off offset:1024
.LBB172_39:                             ;   in Loop: Header=BB172_31 Depth=1
	;; [unrolled: 8-line block ×3, first 2 shown]
	s_or_b64 exec, exec, s[10:11]
	ds_read_b128 v[124:127], v222
	ds_read_b128 v[60:63], v222 offset:16
	ds_read_b128 v[96:99], v221
	ds_read_b128 v[32:35], v221 offset:16
	ds_read_b128 v[92:95], v221 offset:256
	;; [unrolled: 1-line block ×29, first 2 shown]
	s_waitcnt vmcnt(0)
	ds_write_b64 v217, v[228:229]
	ds_write2st64_b64 v172, v[144:145], v[146:147] offset1:4
	ds_write2st64_b64 v172, v[148:149], v[150:151] offset0:8 offset1:12
	v_add_u32_e32 v144, 12, v152
	v_cmp_le_i32_e64 s[10:11], s26, v144
	s_nor_b64 s[34:35], vcc, s[10:11]
	v_mov_b64_e32 v[228:229], v[142:143]
	s_waitcnt lgkmcnt(0)
	s_barrier
	s_and_saveexec_b64 s[20:21], s[34:35]
	s_cbranch_execz .LBB172_43
; %bb.42:                               ;   in Loop: Header=BB172_31 Depth=1
	v_lshl_add_u64 v[144:145], v[130:131], 0, v[140:141]
	global_load_dwordx2 v[228:229], v[144:145], off
.LBB172_43:                             ;   in Loop: Header=BB172_31 Depth=1
	s_or_b64 exec, exec, s[20:21]
	s_nor_b64 s[34:35], s[12:13], s[10:11]
	v_lshl_add_u64 v[152:153], v[138:139], 0, v[134:135]
	v_mov_b64_e32 v[144:145], v[142:143]
	s_and_saveexec_b64 s[20:21], s[34:35]
	s_cbranch_execz .LBB172_45
; %bb.44:                               ;   in Loop: Header=BB172_31 Depth=1
	global_load_dwordx2 v[144:145], v[152:153], off
.LBB172_45:                             ;   in Loop: Header=BB172_31 Depth=1
	s_or_b64 exec, exec, s[20:21]
	s_nor_b64 s[34:35], s[4:5], s[10:11]
	v_mov_b64_e32 v[146:147], v[142:143]
	s_and_saveexec_b64 s[20:21], s[34:35]
	s_cbranch_execz .LBB172_47
; %bb.46:                               ;   in Loop: Header=BB172_31 Depth=1
	global_load_dwordx2 v[146:147], v[152:153], off offset:512
.LBB172_47:                             ;   in Loop: Header=BB172_31 Depth=1
	s_or_b64 exec, exec, s[20:21]
	s_nor_b64 s[34:35], s[6:7], s[10:11]
	v_mov_b64_e32 v[148:149], v[142:143]
	s_and_saveexec_b64 s[20:21], s[34:35]
	s_cbranch_execz .LBB172_49
; %bb.48:                               ;   in Loop: Header=BB172_31 Depth=1
	global_load_dwordx2 v[148:149], v[152:153], off offset:1024
.LBB172_49:                             ;   in Loop: Header=BB172_31 Depth=1
	s_or_b64 exec, exec, s[20:21]
	s_nor_b64 s[20:21], s[8:9], s[10:11]
	v_mov_b64_e32 v[150:151], v[142:143]
	s_and_saveexec_b64 s[10:11], s[20:21]
	s_cbranch_execz .LBB172_30
; %bb.50:                               ;   in Loop: Header=BB172_31 Depth=1
	global_load_dwordx2 v[150:151], v[152:153], off offset:1536
	s_branch .LBB172_30
.LBB172_51:
	s_load_dwordx2 s[4:5], s[0:1], 0x78
	s_load_dword s31, s[0:1], 0x58
	s_load_dword s30, s[0:1], 0x70
	ds_read_b128 v[68:71], v166 offset:18432
	ds_read_b128 v[64:67], v166 offset:18448
	;; [unrolled: 1-line block ×32, first 2 shown]
	v_add_u32_e32 v148, s27, v158
	s_waitcnt lgkmcnt(0)
	s_mul_i32 s1, s5, s3
	s_mul_hi_u32 s5, s4, s3
	s_mul_i32 s0, s4, s3
	s_add_i32 s1, s5, s1
	s_lshl_b64 s[0:1], s[0:1], 3
	s_add_u32 s20, s14, s0
	s_addc_u32 s21, s15, s1
	v_mad_i64_i32 v[130:131], s[0:1], v148, s31, 0
	v_add_u32_e32 v128, s2, v129
	v_lshl_add_u64 v[146:147], v[130:131], 3, s[28:29]
	v_mad_i64_i32 v[130:131], s[0:1], v148, s30, 0
	v_cmp_gt_i32_e64 s[2:3], s24, v128
	v_cmp_gt_i32_e64 s[18:19], s25, v148
	v_lshl_add_u64 v[144:145], v[130:131], 3, s[20:21]
	v_cndmask_b32_e64 v130, 0, 1, s[16:17]
	v_ashrrev_i32_e32 v129, 31, v128
	s_and_b64 s[6:7], s[2:3], s[18:19]
	v_cmp_ne_u32_e64 s[0:1], 1, v130
	s_and_saveexec_b64 s[4:5], s[6:7]
	s_cbranch_execz .LBB172_56
; %bb.52:
	s_and_b64 vcc, exec, s[0:1]
	s_cbranch_vccnz .LBB172_54
; %bb.53:
	v_lshl_add_u64 v[130:131], v[128:129], 3, v[146:147]
	global_load_dwordx2 v[130:131], v[130:131], off
	s_waitcnt vmcnt(0)
	v_mul_f64 v[130:131], s[22:23], v[130:131]
	v_cvt_f32_f64_e32 v130, v[130:131]
	s_branch .LBB172_55
.LBB172_54:
	v_mov_b32_e32 v130, 0
.LBB172_55:
	v_add_f64 v[132:133], v[70:71], v[126:127]
	v_add_f64 v[134:135], v[68:69], v[124:125]
	v_cvt_f32_f64_e32 v131, v[134:135]
	v_cvt_f32_f64_e32 v132, v[132:133]
	v_min3_f32 v131, v131, v132, v227
	v_add_f64 v[132:133], v[66:67], v[122:123]
	v_add_f64 v[134:135], v[64:65], v[120:121]
	v_cvt_f32_f64_e32 v134, v[134:135]
	v_cvt_f32_f64_e32 v132, v[132:133]
	v_min_f32_e32 v132, v134, v132
	v_min3_f32 v130, v130, v132, v131
	v_cvt_f64_f32_e32 v[130:131], v130
	v_lshl_add_u64 v[132:133], v[128:129], 3, v[144:145]
	global_store_dwordx2 v[132:133], v[130:131], off
.LBB172_56:
	s_or_b64 exec, exec, s[4:5]
	v_add_u32_e32 v130, 8, v128
	v_cmp_gt_i32_e64 s[4:5], s24, v130
	v_ashrrev_i32_e32 v131, 31, v130
	s_and_b64 s[8:9], s[4:5], s[18:19]
	s_and_saveexec_b64 s[6:7], s[8:9]
	s_cbranch_execz .LBB172_61
; %bb.57:
	s_and_b64 vcc, exec, s[0:1]
	s_cbranch_vccnz .LBB172_59
; %bb.58:
	v_lshl_add_u64 v[132:133], v[130:131], 3, v[146:147]
	global_load_dwordx2 v[132:133], v[132:133], off
	s_waitcnt vmcnt(0)
	v_mul_f64 v[132:133], s[22:23], v[132:133]
	v_cvt_f32_f64_e32 v132, v[132:133]
	s_branch .LBB172_60
.LBB172_59:
	v_mov_b32_e32 v132, 0
.LBB172_60:
	v_add_f64 v[134:135], v[62:63], v[126:127]
	v_add_f64 v[136:137], v[60:61], v[124:125]
	v_cvt_f32_f64_e32 v133, v[136:137]
	v_cvt_f32_f64_e32 v134, v[134:135]
	v_min3_f32 v133, v133, v134, v226
	v_add_f64 v[134:135], v[58:59], v[122:123]
	v_add_f64 v[136:137], v[56:57], v[120:121]
	v_cvt_f32_f64_e32 v136, v[136:137]
	v_cvt_f32_f64_e32 v134, v[134:135]
	v_min_f32_e32 v134, v136, v134
	v_min3_f32 v132, v132, v134, v133
	v_cvt_f64_f32_e32 v[132:133], v132
	v_lshl_add_u64 v[134:135], v[130:131], 3, v[144:145]
	global_store_dwordx2 v[134:135], v[132:133], off
.LBB172_61:
	s_or_b64 exec, exec, s[6:7]
	v_add_u32_e32 v132, 16, v128
	v_cmp_gt_i32_e64 s[6:7], s24, v132
	v_ashrrev_i32_e32 v133, 31, v132
	s_and_b64 s[10:11], s[6:7], s[18:19]
	;; [unrolled: 35-line block ×6, first 2 shown]
	s_and_saveexec_b64 s[16:17], s[26:27]
	s_cbranch_execz .LBB172_86
; %bb.82:
	s_and_b64 vcc, exec, s[0:1]
	s_cbranch_vccnz .LBB172_84
; %bb.83:
	v_lshl_add_u64 v[142:143], v[140:141], 3, v[146:147]
	global_load_dwordx2 v[142:143], v[142:143], off
	s_waitcnt vmcnt(0)
	v_mul_f64 v[142:143], s[22:23], v[142:143]
	v_cvt_f32_f64_e32 v142, v[142:143]
	s_branch .LBB172_85
.LBB172_84:
	v_mov_b32_e32 v142, 0
.LBB172_85:
	v_add_f64 v[150:151], v[22:23], v[126:127]
	v_add_f64 v[152:153], v[20:21], v[124:125]
	v_cvt_f32_f64_e32 v143, v[152:153]
	v_cvt_f32_f64_e32 v149, v[150:151]
	v_add_f64 v[150:151], v[18:19], v[122:123]
	v_add_f64 v[152:153], v[16:17], v[120:121]
	v_min3_f32 v143, v143, v149, v215
	v_cvt_f32_f64_e32 v149, v[152:153]
	v_cvt_f32_f64_e32 v150, v[150:151]
	v_min_f32_e32 v149, v149, v150
	v_min3_f32 v142, v142, v149, v143
	v_cvt_f64_f32_e32 v[142:143], v142
	v_lshl_add_u64 v[150:151], v[140:141], 3, v[144:145]
	global_store_dwordx2 v[150:151], v[142:143], off
.LBB172_86:
	s_or_b64 exec, exec, s[16:17]
	v_add_u32_e32 v142, 56, v128
	v_cmp_gt_i32_e64 s[16:17], s24, v142
	v_ashrrev_i32_e32 v143, 31, v142
	s_and_b64 s[26:27], s[16:17], s[18:19]
	s_and_saveexec_b64 s[18:19], s[26:27]
	s_cbranch_execz .LBB172_91
; %bb.87:
	s_and_b64 vcc, exec, s[0:1]
	s_cbranch_vccnz .LBB172_89
; %bb.88:
	v_lshl_add_u64 v[146:147], v[142:143], 3, v[146:147]
	global_load_dwordx2 v[146:147], v[146:147], off
	s_waitcnt vmcnt(0)
	v_mul_f64 v[146:147], s[22:23], v[146:147]
	v_cvt_f32_f64_e32 v146, v[146:147]
	s_branch .LBB172_90
.LBB172_89:
	v_mov_b32_e32 v146, 0
.LBB172_90:
	v_add_f64 v[126:127], v[6:7], v[126:127]
	v_add_f64 v[124:125], v[4:5], v[124:125]
	v_add_f64 v[122:123], v[2:3], v[122:123]
	v_add_f64 v[120:121], v[0:1], v[120:121]
	v_cvt_f32_f64_e32 v124, v[124:125]
	v_cvt_f32_f64_e32 v125, v[126:127]
	;; [unrolled: 1-line block ×4, first 2 shown]
	v_min3_f32 v124, v124, v125, v214
	v_min_f32_e32 v120, v120, v121
	v_min3_f32 v120, v146, v120, v124
	v_cvt_f64_f32_e32 v[120:121], v120
	v_lshl_add_u64 v[122:123], v[142:143], 3, v[144:145]
	global_store_dwordx2 v[122:123], v[120:121], off
.LBB172_91:
	s_or_b64 exec, exec, s[18:19]
	v_add_u32_e32 v124, 32, v148
	v_mad_i64_i32 v[120:121], s[26:27], v124, s31, 0
	v_cmp_gt_i32_e64 s[18:19], s25, v124
	v_lshl_add_u64 v[122:123], v[120:121], 3, s[28:29]
	v_mad_i64_i32 v[120:121], s[26:27], v124, s30, 0
	v_lshl_add_u64 v[120:121], v[120:121], 3, s[20:21]
	s_and_b64 s[34:35], s[2:3], s[18:19]
	s_and_saveexec_b64 s[26:27], s[34:35]
	s_cbranch_execnz .LBB172_99
; %bb.92:
	s_or_b64 exec, exec, s[26:27]
	s_and_b64 s[34:35], s[4:5], s[18:19]
	s_and_saveexec_b64 s[26:27], s[34:35]
	s_cbranch_execnz .LBB172_103
.LBB172_93:
	s_or_b64 exec, exec, s[26:27]
	s_and_b64 s[34:35], s[6:7], s[18:19]
	s_and_saveexec_b64 s[26:27], s[34:35]
	s_cbranch_execnz .LBB172_107
.LBB172_94:
	s_or_b64 exec, exec, s[26:27]
	s_and_b64 s[34:35], s[8:9], s[18:19]
	s_and_saveexec_b64 s[26:27], s[34:35]
	s_cbranch_execnz .LBB172_111
.LBB172_95:
	s_or_b64 exec, exec, s[26:27]
	s_and_b64 s[34:35], s[10:11], s[18:19]
	s_and_saveexec_b64 s[26:27], s[34:35]
	s_cbranch_execnz .LBB172_115
.LBB172_96:
	s_or_b64 exec, exec, s[26:27]
	s_and_b64 s[34:35], s[12:13], s[18:19]
	s_and_saveexec_b64 s[26:27], s[34:35]
	s_cbranch_execnz .LBB172_119
.LBB172_97:
	s_or_b64 exec, exec, s[26:27]
	s_and_b64 s[34:35], s[14:15], s[18:19]
	s_and_saveexec_b64 s[26:27], s[34:35]
	s_cbranch_execnz .LBB172_123
.LBB172_98:
	s_or_b64 exec, exec, s[26:27]
	s_and_b64 s[26:27], s[16:17], s[18:19]
	s_and_saveexec_b64 s[18:19], s[26:27]
	s_cbranch_execnz .LBB172_127
	s_branch .LBB172_131
.LBB172_99:
	s_and_b64 vcc, exec, s[0:1]
	s_cbranch_vccnz .LBB172_101
; %bb.100:
	v_lshl_add_u64 v[124:125], v[128:129], 3, v[122:123]
	global_load_dwordx2 v[124:125], v[124:125], off
	s_waitcnt vmcnt(0)
	v_mul_f64 v[124:125], s[22:23], v[124:125]
	v_cvt_f32_f64_e32 v124, v[124:125]
	s_branch .LBB172_102
.LBB172_101:
	v_mov_b32_e32 v124, 0
.LBB172_102:
	v_add_f64 v[126:127], v[70:71], v[118:119]
	v_add_f64 v[144:145], v[68:69], v[116:117]
	v_cvt_f32_f64_e32 v125, v[144:145]
	v_cvt_f32_f64_e32 v126, v[126:127]
	v_min3_f32 v125, v125, v126, v213
	v_add_f64 v[126:127], v[66:67], v[114:115]
	v_add_f64 v[144:145], v[64:65], v[112:113]
	v_cvt_f32_f64_e32 v144, v[144:145]
	v_cvt_f32_f64_e32 v126, v[126:127]
	v_min_f32_e32 v126, v144, v126
	v_min3_f32 v124, v124, v126, v125
	v_cvt_f64_f32_e32 v[124:125], v124
	v_lshl_add_u64 v[126:127], v[128:129], 3, v[120:121]
	global_store_dwordx2 v[126:127], v[124:125], off
	s_or_b64 exec, exec, s[26:27]
	s_and_b64 s[34:35], s[4:5], s[18:19]
	s_and_saveexec_b64 s[26:27], s[34:35]
	s_cbranch_execz .LBB172_93
.LBB172_103:
	s_and_b64 vcc, exec, s[0:1]
	s_cbranch_vccnz .LBB172_105
; %bb.104:
	v_lshl_add_u64 v[124:125], v[130:131], 3, v[122:123]
	global_load_dwordx2 v[124:125], v[124:125], off
	s_waitcnt vmcnt(0)
	v_mul_f64 v[124:125], s[22:23], v[124:125]
	v_cvt_f32_f64_e32 v124, v[124:125]
	s_branch .LBB172_106
.LBB172_105:
	v_mov_b32_e32 v124, 0
.LBB172_106:
	v_add_f64 v[126:127], v[62:63], v[118:119]
	v_add_f64 v[144:145], v[60:61], v[116:117]
	v_cvt_f32_f64_e32 v125, v[144:145]
	v_cvt_f32_f64_e32 v126, v[126:127]
	v_min3_f32 v125, v125, v126, v212
	v_add_f64 v[126:127], v[58:59], v[114:115]
	v_add_f64 v[144:145], v[56:57], v[112:113]
	v_cvt_f32_f64_e32 v144, v[144:145]
	v_cvt_f32_f64_e32 v126, v[126:127]
	v_min_f32_e32 v126, v144, v126
	v_min3_f32 v124, v124, v126, v125
	v_cvt_f64_f32_e32 v[124:125], v124
	v_lshl_add_u64 v[126:127], v[130:131], 3, v[120:121]
	global_store_dwordx2 v[126:127], v[124:125], off
	s_or_b64 exec, exec, s[26:27]
	s_and_b64 s[34:35], s[6:7], s[18:19]
	s_and_saveexec_b64 s[26:27], s[34:35]
	s_cbranch_execz .LBB172_94
.LBB172_107:
	s_and_b64 vcc, exec, s[0:1]
	s_cbranch_vccnz .LBB172_109
; %bb.108:
	v_lshl_add_u64 v[124:125], v[132:133], 3, v[122:123]
	global_load_dwordx2 v[124:125], v[124:125], off
	s_waitcnt vmcnt(0)
	v_mul_f64 v[124:125], s[22:23], v[124:125]
	v_cvt_f32_f64_e32 v124, v[124:125]
	s_branch .LBB172_110
.LBB172_109:
	v_mov_b32_e32 v124, 0
.LBB172_110:
	v_add_f64 v[126:127], v[54:55], v[118:119]
	v_add_f64 v[144:145], v[52:53], v[116:117]
	v_cvt_f32_f64_e32 v125, v[144:145]
	v_cvt_f32_f64_e32 v126, v[126:127]
	v_min3_f32 v125, v125, v126, v211
	v_add_f64 v[126:127], v[50:51], v[114:115]
	v_add_f64 v[144:145], v[48:49], v[112:113]
	v_cvt_f32_f64_e32 v144, v[144:145]
	v_cvt_f32_f64_e32 v126, v[126:127]
	v_min_f32_e32 v126, v144, v126
	v_min3_f32 v124, v124, v126, v125
	v_cvt_f64_f32_e32 v[124:125], v124
	v_lshl_add_u64 v[126:127], v[132:133], 3, v[120:121]
	global_store_dwordx2 v[126:127], v[124:125], off
	s_or_b64 exec, exec, s[26:27]
	s_and_b64 s[34:35], s[8:9], s[18:19]
	s_and_saveexec_b64 s[26:27], s[34:35]
	s_cbranch_execz .LBB172_95
.LBB172_111:
	s_and_b64 vcc, exec, s[0:1]
	s_cbranch_vccnz .LBB172_113
; %bb.112:
	v_lshl_add_u64 v[124:125], v[134:135], 3, v[122:123]
	global_load_dwordx2 v[124:125], v[124:125], off
	s_waitcnt vmcnt(0)
	v_mul_f64 v[124:125], s[22:23], v[124:125]
	v_cvt_f32_f64_e32 v124, v[124:125]
	s_branch .LBB172_114
.LBB172_113:
	v_mov_b32_e32 v124, 0
.LBB172_114:
	v_add_f64 v[126:127], v[46:47], v[118:119]
	v_add_f64 v[144:145], v[44:45], v[116:117]
	v_cvt_f32_f64_e32 v125, v[144:145]
	v_cvt_f32_f64_e32 v126, v[126:127]
	v_min3_f32 v125, v125, v126, v210
	v_add_f64 v[126:127], v[42:43], v[114:115]
	v_add_f64 v[144:145], v[40:41], v[112:113]
	v_cvt_f32_f64_e32 v144, v[144:145]
	v_cvt_f32_f64_e32 v126, v[126:127]
	v_min_f32_e32 v126, v144, v126
	v_min3_f32 v124, v124, v126, v125
	v_cvt_f64_f32_e32 v[124:125], v124
	v_lshl_add_u64 v[126:127], v[134:135], 3, v[120:121]
	global_store_dwordx2 v[126:127], v[124:125], off
	s_or_b64 exec, exec, s[26:27]
	s_and_b64 s[34:35], s[10:11], s[18:19]
	s_and_saveexec_b64 s[26:27], s[34:35]
	s_cbranch_execz .LBB172_96
.LBB172_115:
	s_and_b64 vcc, exec, s[0:1]
	s_cbranch_vccnz .LBB172_117
; %bb.116:
	v_lshl_add_u64 v[124:125], v[136:137], 3, v[122:123]
	global_load_dwordx2 v[124:125], v[124:125], off
	s_waitcnt vmcnt(0)
	v_mul_f64 v[124:125], s[22:23], v[124:125]
	v_cvt_f32_f64_e32 v124, v[124:125]
	s_branch .LBB172_118
.LBB172_117:
	v_mov_b32_e32 v124, 0
.LBB172_118:
	v_add_f64 v[126:127], v[38:39], v[118:119]
	v_add_f64 v[144:145], v[36:37], v[116:117]
	v_cvt_f32_f64_e32 v125, v[144:145]
	v_cvt_f32_f64_e32 v126, v[126:127]
	v_min3_f32 v125, v125, v126, v209
	v_add_f64 v[126:127], v[34:35], v[114:115]
	v_add_f64 v[144:145], v[32:33], v[112:113]
	v_cvt_f32_f64_e32 v144, v[144:145]
	v_cvt_f32_f64_e32 v126, v[126:127]
	v_min_f32_e32 v126, v144, v126
	v_min3_f32 v124, v124, v126, v125
	v_cvt_f64_f32_e32 v[124:125], v124
	v_lshl_add_u64 v[126:127], v[136:137], 3, v[120:121]
	global_store_dwordx2 v[126:127], v[124:125], off
	s_or_b64 exec, exec, s[26:27]
	s_and_b64 s[34:35], s[12:13], s[18:19]
	s_and_saveexec_b64 s[26:27], s[34:35]
	s_cbranch_execz .LBB172_97
.LBB172_119:
	s_and_b64 vcc, exec, s[0:1]
	s_cbranch_vccnz .LBB172_121
; %bb.120:
	v_lshl_add_u64 v[124:125], v[138:139], 3, v[122:123]
	global_load_dwordx2 v[124:125], v[124:125], off
	s_waitcnt vmcnt(0)
	v_mul_f64 v[124:125], s[22:23], v[124:125]
	v_cvt_f32_f64_e32 v124, v[124:125]
	s_branch .LBB172_122
.LBB172_121:
	v_mov_b32_e32 v124, 0
.LBB172_122:
	v_add_f64 v[126:127], v[30:31], v[118:119]
	v_add_f64 v[144:145], v[28:29], v[116:117]
	v_cvt_f32_f64_e32 v125, v[144:145]
	v_cvt_f32_f64_e32 v126, v[126:127]
	v_min3_f32 v125, v125, v126, v208
	v_add_f64 v[126:127], v[26:27], v[114:115]
	v_add_f64 v[144:145], v[24:25], v[112:113]
	v_cvt_f32_f64_e32 v144, v[144:145]
	v_cvt_f32_f64_e32 v126, v[126:127]
	v_min_f32_e32 v126, v144, v126
	v_min3_f32 v124, v124, v126, v125
	v_cvt_f64_f32_e32 v[124:125], v124
	v_lshl_add_u64 v[126:127], v[138:139], 3, v[120:121]
	global_store_dwordx2 v[126:127], v[124:125], off
	s_or_b64 exec, exec, s[26:27]
	s_and_b64 s[34:35], s[14:15], s[18:19]
	s_and_saveexec_b64 s[26:27], s[34:35]
	s_cbranch_execz .LBB172_98
.LBB172_123:
	s_and_b64 vcc, exec, s[0:1]
	s_cbranch_vccnz .LBB172_125
; %bb.124:
	v_lshl_add_u64 v[124:125], v[140:141], 3, v[122:123]
	global_load_dwordx2 v[124:125], v[124:125], off
	s_waitcnt vmcnt(0)
	v_mul_f64 v[124:125], s[22:23], v[124:125]
	v_cvt_f32_f64_e32 v124, v[124:125]
	s_branch .LBB172_126
.LBB172_125:
	v_mov_b32_e32 v124, 0
.LBB172_126:
	v_add_f64 v[126:127], v[22:23], v[118:119]
	v_add_f64 v[144:145], v[20:21], v[116:117]
	v_cvt_f32_f64_e32 v125, v[144:145]
	v_cvt_f32_f64_e32 v126, v[126:127]
	v_min3_f32 v125, v125, v126, v207
	v_add_f64 v[126:127], v[18:19], v[114:115]
	v_add_f64 v[144:145], v[16:17], v[112:113]
	v_cvt_f32_f64_e32 v144, v[144:145]
	v_cvt_f32_f64_e32 v126, v[126:127]
	v_min_f32_e32 v126, v144, v126
	v_min3_f32 v124, v124, v126, v125
	v_cvt_f64_f32_e32 v[124:125], v124
	v_lshl_add_u64 v[126:127], v[140:141], 3, v[120:121]
	global_store_dwordx2 v[126:127], v[124:125], off
	s_or_b64 exec, exec, s[26:27]
	s_and_b64 s[26:27], s[16:17], s[18:19]
	s_and_saveexec_b64 s[18:19], s[26:27]
	s_cbranch_execz .LBB172_131
.LBB172_127:
	s_and_b64 vcc, exec, s[0:1]
	s_cbranch_vccnz .LBB172_129
; %bb.128:
	v_lshl_add_u64 v[122:123], v[142:143], 3, v[122:123]
	global_load_dwordx2 v[122:123], v[122:123], off
	s_waitcnt vmcnt(0)
	v_mul_f64 v[122:123], s[22:23], v[122:123]
	v_cvt_f32_f64_e32 v122, v[122:123]
	s_branch .LBB172_130
.LBB172_129:
	v_mov_b32_e32 v122, 0
.LBB172_130:
	v_add_f64 v[118:119], v[6:7], v[118:119]
	v_add_f64 v[116:117], v[4:5], v[116:117]
	;; [unrolled: 1-line block ×4, first 2 shown]
	v_cvt_f32_f64_e32 v116, v[116:117]
	v_cvt_f32_f64_e32 v117, v[118:119]
	;; [unrolled: 1-line block ×4, first 2 shown]
	v_min3_f32 v116, v116, v117, v206
	v_min_f32_e32 v112, v112, v113
	v_min3_f32 v112, v122, v112, v116
	v_cvt_f64_f32_e32 v[112:113], v112
	v_lshl_add_u64 v[114:115], v[142:143], 3, v[120:121]
	global_store_dwordx2 v[114:115], v[112:113], off
.LBB172_131:
	s_or_b64 exec, exec, s[18:19]
	v_add_u32_e32 v116, 64, v148
	v_mad_i64_i32 v[112:113], s[26:27], v116, s31, 0
	v_cmp_gt_i32_e64 s[18:19], s25, v116
	v_lshl_add_u64 v[114:115], v[112:113], 3, s[28:29]
	v_mad_i64_i32 v[112:113], s[26:27], v116, s30, 0
	v_lshl_add_u64 v[112:113], v[112:113], 3, s[20:21]
	s_and_b64 s[34:35], s[2:3], s[18:19]
	s_and_saveexec_b64 s[26:27], s[34:35]
	s_cbranch_execnz .LBB172_139
; %bb.132:
	s_or_b64 exec, exec, s[26:27]
	s_and_b64 s[34:35], s[4:5], s[18:19]
	s_and_saveexec_b64 s[26:27], s[34:35]
	s_cbranch_execnz .LBB172_143
.LBB172_133:
	s_or_b64 exec, exec, s[26:27]
	s_and_b64 s[34:35], s[6:7], s[18:19]
	s_and_saveexec_b64 s[26:27], s[34:35]
	s_cbranch_execnz .LBB172_147
.LBB172_134:
	s_or_b64 exec, exec, s[26:27]
	s_and_b64 s[34:35], s[8:9], s[18:19]
	s_and_saveexec_b64 s[26:27], s[34:35]
	s_cbranch_execnz .LBB172_151
.LBB172_135:
	s_or_b64 exec, exec, s[26:27]
	s_and_b64 s[34:35], s[10:11], s[18:19]
	s_and_saveexec_b64 s[26:27], s[34:35]
	s_cbranch_execnz .LBB172_155
.LBB172_136:
	s_or_b64 exec, exec, s[26:27]
	s_and_b64 s[34:35], s[12:13], s[18:19]
	s_and_saveexec_b64 s[26:27], s[34:35]
	s_cbranch_execnz .LBB172_159
.LBB172_137:
	s_or_b64 exec, exec, s[26:27]
	s_and_b64 s[34:35], s[14:15], s[18:19]
	s_and_saveexec_b64 s[26:27], s[34:35]
	s_cbranch_execnz .LBB172_163
.LBB172_138:
	s_or_b64 exec, exec, s[26:27]
	s_and_b64 s[26:27], s[16:17], s[18:19]
	s_and_saveexec_b64 s[18:19], s[26:27]
	s_cbranch_execnz .LBB172_167
	s_branch .LBB172_171
.LBB172_139:
	s_and_b64 vcc, exec, s[0:1]
	s_cbranch_vccnz .LBB172_141
; %bb.140:
	v_lshl_add_u64 v[116:117], v[128:129], 3, v[114:115]
	global_load_dwordx2 v[116:117], v[116:117], off
	s_waitcnt vmcnt(0)
	v_mul_f64 v[116:117], s[22:23], v[116:117]
	v_cvt_f32_f64_e32 v116, v[116:117]
	s_branch .LBB172_142
.LBB172_141:
	v_mov_b32_e32 v116, 0
.LBB172_142:
	v_add_f64 v[118:119], v[70:71], v[110:111]
	v_add_f64 v[120:121], v[68:69], v[108:109]
	v_cvt_f32_f64_e32 v117, v[120:121]
	v_cvt_f32_f64_e32 v118, v[118:119]
	v_min3_f32 v117, v117, v118, v205
	v_add_f64 v[118:119], v[66:67], v[106:107]
	v_add_f64 v[120:121], v[64:65], v[104:105]
	v_cvt_f32_f64_e32 v120, v[120:121]
	v_cvt_f32_f64_e32 v118, v[118:119]
	v_min_f32_e32 v118, v120, v118
	v_min3_f32 v116, v116, v118, v117
	v_cvt_f64_f32_e32 v[116:117], v116
	v_lshl_add_u64 v[118:119], v[128:129], 3, v[112:113]
	global_store_dwordx2 v[118:119], v[116:117], off
	s_or_b64 exec, exec, s[26:27]
	s_and_b64 s[34:35], s[4:5], s[18:19]
	s_and_saveexec_b64 s[26:27], s[34:35]
	s_cbranch_execz .LBB172_133
.LBB172_143:
	s_and_b64 vcc, exec, s[0:1]
	s_cbranch_vccnz .LBB172_145
; %bb.144:
	v_lshl_add_u64 v[116:117], v[130:131], 3, v[114:115]
	global_load_dwordx2 v[116:117], v[116:117], off
	s_waitcnt vmcnt(0)
	v_mul_f64 v[116:117], s[22:23], v[116:117]
	v_cvt_f32_f64_e32 v116, v[116:117]
	s_branch .LBB172_146
.LBB172_145:
	v_mov_b32_e32 v116, 0
.LBB172_146:
	v_add_f64 v[118:119], v[62:63], v[110:111]
	v_add_f64 v[120:121], v[60:61], v[108:109]
	v_cvt_f32_f64_e32 v117, v[120:121]
	v_cvt_f32_f64_e32 v118, v[118:119]
	v_min3_f32 v117, v117, v118, v204
	v_add_f64 v[118:119], v[58:59], v[106:107]
	v_add_f64 v[120:121], v[56:57], v[104:105]
	v_cvt_f32_f64_e32 v120, v[120:121]
	v_cvt_f32_f64_e32 v118, v[118:119]
	v_min_f32_e32 v118, v120, v118
	v_min3_f32 v116, v116, v118, v117
	v_cvt_f64_f32_e32 v[116:117], v116
	v_lshl_add_u64 v[118:119], v[130:131], 3, v[112:113]
	global_store_dwordx2 v[118:119], v[116:117], off
	s_or_b64 exec, exec, s[26:27]
	s_and_b64 s[34:35], s[6:7], s[18:19]
	s_and_saveexec_b64 s[26:27], s[34:35]
	s_cbranch_execz .LBB172_134
.LBB172_147:
	s_and_b64 vcc, exec, s[0:1]
	s_cbranch_vccnz .LBB172_149
; %bb.148:
	v_lshl_add_u64 v[116:117], v[132:133], 3, v[114:115]
	global_load_dwordx2 v[116:117], v[116:117], off
	s_waitcnt vmcnt(0)
	v_mul_f64 v[116:117], s[22:23], v[116:117]
	v_cvt_f32_f64_e32 v116, v[116:117]
	s_branch .LBB172_150
.LBB172_149:
	v_mov_b32_e32 v116, 0
.LBB172_150:
	v_add_f64 v[118:119], v[54:55], v[110:111]
	v_add_f64 v[120:121], v[52:53], v[108:109]
	v_cvt_f32_f64_e32 v117, v[120:121]
	v_cvt_f32_f64_e32 v118, v[118:119]
	v_min3_f32 v117, v117, v118, v203
	v_add_f64 v[118:119], v[50:51], v[106:107]
	v_add_f64 v[120:121], v[48:49], v[104:105]
	v_cvt_f32_f64_e32 v120, v[120:121]
	v_cvt_f32_f64_e32 v118, v[118:119]
	v_min_f32_e32 v118, v120, v118
	v_min3_f32 v116, v116, v118, v117
	v_cvt_f64_f32_e32 v[116:117], v116
	v_lshl_add_u64 v[118:119], v[132:133], 3, v[112:113]
	global_store_dwordx2 v[118:119], v[116:117], off
	s_or_b64 exec, exec, s[26:27]
	s_and_b64 s[34:35], s[8:9], s[18:19]
	s_and_saveexec_b64 s[26:27], s[34:35]
	s_cbranch_execz .LBB172_135
.LBB172_151:
	s_and_b64 vcc, exec, s[0:1]
	s_cbranch_vccnz .LBB172_153
; %bb.152:
	v_lshl_add_u64 v[116:117], v[134:135], 3, v[114:115]
	global_load_dwordx2 v[116:117], v[116:117], off
	s_waitcnt vmcnt(0)
	v_mul_f64 v[116:117], s[22:23], v[116:117]
	v_cvt_f32_f64_e32 v116, v[116:117]
	s_branch .LBB172_154
.LBB172_153:
	v_mov_b32_e32 v116, 0
.LBB172_154:
	v_add_f64 v[118:119], v[46:47], v[110:111]
	v_add_f64 v[120:121], v[44:45], v[108:109]
	v_cvt_f32_f64_e32 v117, v[120:121]
	v_cvt_f32_f64_e32 v118, v[118:119]
	v_min3_f32 v117, v117, v118, v202
	v_add_f64 v[118:119], v[42:43], v[106:107]
	v_add_f64 v[120:121], v[40:41], v[104:105]
	v_cvt_f32_f64_e32 v120, v[120:121]
	v_cvt_f32_f64_e32 v118, v[118:119]
	v_min_f32_e32 v118, v120, v118
	v_min3_f32 v116, v116, v118, v117
	v_cvt_f64_f32_e32 v[116:117], v116
	v_lshl_add_u64 v[118:119], v[134:135], 3, v[112:113]
	global_store_dwordx2 v[118:119], v[116:117], off
	s_or_b64 exec, exec, s[26:27]
	s_and_b64 s[34:35], s[10:11], s[18:19]
	s_and_saveexec_b64 s[26:27], s[34:35]
	s_cbranch_execz .LBB172_136
.LBB172_155:
	s_and_b64 vcc, exec, s[0:1]
	s_cbranch_vccnz .LBB172_157
; %bb.156:
	v_lshl_add_u64 v[116:117], v[136:137], 3, v[114:115]
	global_load_dwordx2 v[116:117], v[116:117], off
	s_waitcnt vmcnt(0)
	v_mul_f64 v[116:117], s[22:23], v[116:117]
	v_cvt_f32_f64_e32 v116, v[116:117]
	s_branch .LBB172_158
.LBB172_157:
	v_mov_b32_e32 v116, 0
.LBB172_158:
	v_add_f64 v[118:119], v[38:39], v[110:111]
	v_add_f64 v[120:121], v[36:37], v[108:109]
	v_cvt_f32_f64_e32 v117, v[120:121]
	v_cvt_f32_f64_e32 v118, v[118:119]
	v_min3_f32 v117, v117, v118, v201
	v_add_f64 v[118:119], v[34:35], v[106:107]
	v_add_f64 v[120:121], v[32:33], v[104:105]
	v_cvt_f32_f64_e32 v120, v[120:121]
	v_cvt_f32_f64_e32 v118, v[118:119]
	v_min_f32_e32 v118, v120, v118
	v_min3_f32 v116, v116, v118, v117
	v_cvt_f64_f32_e32 v[116:117], v116
	v_lshl_add_u64 v[118:119], v[136:137], 3, v[112:113]
	global_store_dwordx2 v[118:119], v[116:117], off
	s_or_b64 exec, exec, s[26:27]
	s_and_b64 s[34:35], s[12:13], s[18:19]
	s_and_saveexec_b64 s[26:27], s[34:35]
	s_cbranch_execz .LBB172_137
.LBB172_159:
	s_and_b64 vcc, exec, s[0:1]
	s_cbranch_vccnz .LBB172_161
; %bb.160:
	v_lshl_add_u64 v[116:117], v[138:139], 3, v[114:115]
	global_load_dwordx2 v[116:117], v[116:117], off
	s_waitcnt vmcnt(0)
	v_mul_f64 v[116:117], s[22:23], v[116:117]
	v_cvt_f32_f64_e32 v116, v[116:117]
	s_branch .LBB172_162
.LBB172_161:
	v_mov_b32_e32 v116, 0
.LBB172_162:
	v_add_f64 v[118:119], v[30:31], v[110:111]
	v_add_f64 v[120:121], v[28:29], v[108:109]
	v_cvt_f32_f64_e32 v117, v[120:121]
	v_cvt_f32_f64_e32 v118, v[118:119]
	v_min3_f32 v117, v117, v118, v200
	v_add_f64 v[118:119], v[26:27], v[106:107]
	v_add_f64 v[120:121], v[24:25], v[104:105]
	v_cvt_f32_f64_e32 v120, v[120:121]
	v_cvt_f32_f64_e32 v118, v[118:119]
	v_min_f32_e32 v118, v120, v118
	v_min3_f32 v116, v116, v118, v117
	v_cvt_f64_f32_e32 v[116:117], v116
	v_lshl_add_u64 v[118:119], v[138:139], 3, v[112:113]
	global_store_dwordx2 v[118:119], v[116:117], off
	s_or_b64 exec, exec, s[26:27]
	s_and_b64 s[34:35], s[14:15], s[18:19]
	s_and_saveexec_b64 s[26:27], s[34:35]
	s_cbranch_execz .LBB172_138
.LBB172_163:
	s_and_b64 vcc, exec, s[0:1]
	s_cbranch_vccnz .LBB172_165
; %bb.164:
	v_lshl_add_u64 v[116:117], v[140:141], 3, v[114:115]
	global_load_dwordx2 v[116:117], v[116:117], off
	s_waitcnt vmcnt(0)
	v_mul_f64 v[116:117], s[22:23], v[116:117]
	v_cvt_f32_f64_e32 v116, v[116:117]
	s_branch .LBB172_166
.LBB172_165:
	v_mov_b32_e32 v116, 0
.LBB172_166:
	v_add_f64 v[118:119], v[22:23], v[110:111]
	v_add_f64 v[120:121], v[20:21], v[108:109]
	v_cvt_f32_f64_e32 v117, v[120:121]
	v_cvt_f32_f64_e32 v118, v[118:119]
	v_min3_f32 v117, v117, v118, v199
	v_add_f64 v[118:119], v[18:19], v[106:107]
	v_add_f64 v[120:121], v[16:17], v[104:105]
	v_cvt_f32_f64_e32 v120, v[120:121]
	v_cvt_f32_f64_e32 v118, v[118:119]
	v_min_f32_e32 v118, v120, v118
	v_min3_f32 v116, v116, v118, v117
	v_cvt_f64_f32_e32 v[116:117], v116
	v_lshl_add_u64 v[118:119], v[140:141], 3, v[112:113]
	global_store_dwordx2 v[118:119], v[116:117], off
	s_or_b64 exec, exec, s[26:27]
	s_and_b64 s[26:27], s[16:17], s[18:19]
	s_and_saveexec_b64 s[18:19], s[26:27]
	s_cbranch_execz .LBB172_171
.LBB172_167:
	s_and_b64 vcc, exec, s[0:1]
	s_cbranch_vccnz .LBB172_169
; %bb.168:
	v_lshl_add_u64 v[114:115], v[142:143], 3, v[114:115]
	global_load_dwordx2 v[114:115], v[114:115], off
	s_waitcnt vmcnt(0)
	v_mul_f64 v[114:115], s[22:23], v[114:115]
	v_cvt_f32_f64_e32 v114, v[114:115]
	s_branch .LBB172_170
.LBB172_169:
	v_mov_b32_e32 v114, 0
.LBB172_170:
	v_add_f64 v[110:111], v[6:7], v[110:111]
	v_add_f64 v[108:109], v[4:5], v[108:109]
	;; [unrolled: 1-line block ×4, first 2 shown]
	v_cvt_f32_f64_e32 v108, v[108:109]
	v_cvt_f32_f64_e32 v109, v[110:111]
	;; [unrolled: 1-line block ×4, first 2 shown]
	v_min3_f32 v108, v108, v109, v198
	v_min_f32_e32 v104, v104, v105
	v_min3_f32 v104, v114, v104, v108
	v_cvt_f64_f32_e32 v[104:105], v104
	v_lshl_add_u64 v[106:107], v[142:143], 3, v[112:113]
	global_store_dwordx2 v[106:107], v[104:105], off
.LBB172_171:
	s_or_b64 exec, exec, s[18:19]
	v_add_u32_e32 v108, 0x60, v148
	v_mad_i64_i32 v[104:105], s[26:27], v108, s31, 0
	v_cmp_gt_i32_e64 s[18:19], s25, v108
	v_lshl_add_u64 v[106:107], v[104:105], 3, s[28:29]
	v_mad_i64_i32 v[104:105], s[26:27], v108, s30, 0
	v_lshl_add_u64 v[104:105], v[104:105], 3, s[20:21]
	s_and_b64 s[34:35], s[2:3], s[18:19]
	s_and_saveexec_b64 s[26:27], s[34:35]
	s_cbranch_execnz .LBB172_179
; %bb.172:
	s_or_b64 exec, exec, s[26:27]
	s_and_b64 s[34:35], s[4:5], s[18:19]
	s_and_saveexec_b64 s[26:27], s[34:35]
	s_cbranch_execnz .LBB172_183
.LBB172_173:
	s_or_b64 exec, exec, s[26:27]
	s_and_b64 s[34:35], s[6:7], s[18:19]
	s_and_saveexec_b64 s[26:27], s[34:35]
	s_cbranch_execnz .LBB172_187
.LBB172_174:
	s_or_b64 exec, exec, s[26:27]
	s_and_b64 s[34:35], s[8:9], s[18:19]
	s_and_saveexec_b64 s[26:27], s[34:35]
	s_cbranch_execnz .LBB172_191
.LBB172_175:
	s_or_b64 exec, exec, s[26:27]
	s_and_b64 s[34:35], s[10:11], s[18:19]
	s_and_saveexec_b64 s[26:27], s[34:35]
	s_cbranch_execnz .LBB172_195
.LBB172_176:
	s_or_b64 exec, exec, s[26:27]
	s_and_b64 s[34:35], s[12:13], s[18:19]
	s_and_saveexec_b64 s[26:27], s[34:35]
	s_cbranch_execnz .LBB172_199
.LBB172_177:
	s_or_b64 exec, exec, s[26:27]
	s_and_b64 s[34:35], s[14:15], s[18:19]
	s_and_saveexec_b64 s[26:27], s[34:35]
	s_cbranch_execnz .LBB172_203
.LBB172_178:
	s_or_b64 exec, exec, s[26:27]
	s_and_b64 s[26:27], s[16:17], s[18:19]
	s_and_saveexec_b64 s[18:19], s[26:27]
	s_cbranch_execnz .LBB172_207
	s_branch .LBB172_211
.LBB172_179:
	s_and_b64 vcc, exec, s[0:1]
	s_cbranch_vccnz .LBB172_181
; %bb.180:
	v_lshl_add_u64 v[108:109], v[128:129], 3, v[106:107]
	global_load_dwordx2 v[108:109], v[108:109], off
	s_waitcnt vmcnt(0)
	v_mul_f64 v[108:109], s[22:23], v[108:109]
	v_cvt_f32_f64_e32 v108, v[108:109]
	s_branch .LBB172_182
.LBB172_181:
	v_mov_b32_e32 v108, 0
.LBB172_182:
	v_add_f64 v[110:111], v[70:71], v[102:103]
	v_add_f64 v[112:113], v[68:69], v[100:101]
	v_cvt_f32_f64_e32 v109, v[112:113]
	v_cvt_f32_f64_e32 v110, v[110:111]
	v_min3_f32 v109, v109, v110, v197
	v_add_f64 v[110:111], v[66:67], v[98:99]
	v_add_f64 v[112:113], v[64:65], v[96:97]
	v_cvt_f32_f64_e32 v112, v[112:113]
	v_cvt_f32_f64_e32 v110, v[110:111]
	v_min_f32_e32 v110, v112, v110
	v_min3_f32 v108, v108, v110, v109
	v_cvt_f64_f32_e32 v[108:109], v108
	v_lshl_add_u64 v[110:111], v[128:129], 3, v[104:105]
	global_store_dwordx2 v[110:111], v[108:109], off
	s_or_b64 exec, exec, s[26:27]
	s_and_b64 s[34:35], s[4:5], s[18:19]
	s_and_saveexec_b64 s[26:27], s[34:35]
	s_cbranch_execz .LBB172_173
.LBB172_183:
	s_and_b64 vcc, exec, s[0:1]
	s_cbranch_vccnz .LBB172_185
; %bb.184:
	v_lshl_add_u64 v[108:109], v[130:131], 3, v[106:107]
	global_load_dwordx2 v[108:109], v[108:109], off
	s_waitcnt vmcnt(0)
	v_mul_f64 v[108:109], s[22:23], v[108:109]
	v_cvt_f32_f64_e32 v108, v[108:109]
	s_branch .LBB172_186
.LBB172_185:
	v_mov_b32_e32 v108, 0
.LBB172_186:
	v_add_f64 v[110:111], v[62:63], v[102:103]
	v_add_f64 v[112:113], v[60:61], v[100:101]
	v_cvt_f32_f64_e32 v109, v[112:113]
	v_cvt_f32_f64_e32 v110, v[110:111]
	v_min3_f32 v109, v109, v110, v196
	v_add_f64 v[110:111], v[58:59], v[98:99]
	v_add_f64 v[112:113], v[56:57], v[96:97]
	v_cvt_f32_f64_e32 v112, v[112:113]
	v_cvt_f32_f64_e32 v110, v[110:111]
	v_min_f32_e32 v110, v112, v110
	v_min3_f32 v108, v108, v110, v109
	v_cvt_f64_f32_e32 v[108:109], v108
	v_lshl_add_u64 v[110:111], v[130:131], 3, v[104:105]
	global_store_dwordx2 v[110:111], v[108:109], off
	s_or_b64 exec, exec, s[26:27]
	s_and_b64 s[34:35], s[6:7], s[18:19]
	s_and_saveexec_b64 s[26:27], s[34:35]
	s_cbranch_execz .LBB172_174
.LBB172_187:
	s_and_b64 vcc, exec, s[0:1]
	s_cbranch_vccnz .LBB172_189
; %bb.188:
	v_lshl_add_u64 v[108:109], v[132:133], 3, v[106:107]
	global_load_dwordx2 v[108:109], v[108:109], off
	s_waitcnt vmcnt(0)
	v_mul_f64 v[108:109], s[22:23], v[108:109]
	v_cvt_f32_f64_e32 v108, v[108:109]
	s_branch .LBB172_190
.LBB172_189:
	v_mov_b32_e32 v108, 0
.LBB172_190:
	v_add_f64 v[110:111], v[54:55], v[102:103]
	v_add_f64 v[112:113], v[52:53], v[100:101]
	v_cvt_f32_f64_e32 v109, v[112:113]
	v_cvt_f32_f64_e32 v110, v[110:111]
	v_min3_f32 v109, v109, v110, v195
	v_add_f64 v[110:111], v[50:51], v[98:99]
	v_add_f64 v[112:113], v[48:49], v[96:97]
	v_cvt_f32_f64_e32 v112, v[112:113]
	v_cvt_f32_f64_e32 v110, v[110:111]
	v_min_f32_e32 v110, v112, v110
	v_min3_f32 v108, v108, v110, v109
	v_cvt_f64_f32_e32 v[108:109], v108
	v_lshl_add_u64 v[110:111], v[132:133], 3, v[104:105]
	global_store_dwordx2 v[110:111], v[108:109], off
	s_or_b64 exec, exec, s[26:27]
	s_and_b64 s[34:35], s[8:9], s[18:19]
	s_and_saveexec_b64 s[26:27], s[34:35]
	s_cbranch_execz .LBB172_175
.LBB172_191:
	s_and_b64 vcc, exec, s[0:1]
	s_cbranch_vccnz .LBB172_193
; %bb.192:
	v_lshl_add_u64 v[108:109], v[134:135], 3, v[106:107]
	global_load_dwordx2 v[108:109], v[108:109], off
	s_waitcnt vmcnt(0)
	v_mul_f64 v[108:109], s[22:23], v[108:109]
	v_cvt_f32_f64_e32 v108, v[108:109]
	s_branch .LBB172_194
.LBB172_193:
	v_mov_b32_e32 v108, 0
.LBB172_194:
	v_add_f64 v[110:111], v[46:47], v[102:103]
	v_add_f64 v[112:113], v[44:45], v[100:101]
	v_cvt_f32_f64_e32 v109, v[112:113]
	v_cvt_f32_f64_e32 v110, v[110:111]
	v_min3_f32 v109, v109, v110, v194
	v_add_f64 v[110:111], v[42:43], v[98:99]
	v_add_f64 v[112:113], v[40:41], v[96:97]
	v_cvt_f32_f64_e32 v112, v[112:113]
	v_cvt_f32_f64_e32 v110, v[110:111]
	v_min_f32_e32 v110, v112, v110
	v_min3_f32 v108, v108, v110, v109
	v_cvt_f64_f32_e32 v[108:109], v108
	v_lshl_add_u64 v[110:111], v[134:135], 3, v[104:105]
	global_store_dwordx2 v[110:111], v[108:109], off
	s_or_b64 exec, exec, s[26:27]
	s_and_b64 s[34:35], s[10:11], s[18:19]
	s_and_saveexec_b64 s[26:27], s[34:35]
	s_cbranch_execz .LBB172_176
.LBB172_195:
	s_and_b64 vcc, exec, s[0:1]
	s_cbranch_vccnz .LBB172_197
; %bb.196:
	v_lshl_add_u64 v[108:109], v[136:137], 3, v[106:107]
	global_load_dwordx2 v[108:109], v[108:109], off
	s_waitcnt vmcnt(0)
	v_mul_f64 v[108:109], s[22:23], v[108:109]
	v_cvt_f32_f64_e32 v108, v[108:109]
	s_branch .LBB172_198
.LBB172_197:
	v_mov_b32_e32 v108, 0
.LBB172_198:
	v_add_f64 v[110:111], v[38:39], v[102:103]
	v_add_f64 v[112:113], v[36:37], v[100:101]
	v_cvt_f32_f64_e32 v109, v[112:113]
	v_cvt_f32_f64_e32 v110, v[110:111]
	v_min3_f32 v109, v109, v110, v193
	v_add_f64 v[110:111], v[34:35], v[98:99]
	v_add_f64 v[112:113], v[32:33], v[96:97]
	v_cvt_f32_f64_e32 v112, v[112:113]
	v_cvt_f32_f64_e32 v110, v[110:111]
	v_min_f32_e32 v110, v112, v110
	v_min3_f32 v108, v108, v110, v109
	v_cvt_f64_f32_e32 v[108:109], v108
	v_lshl_add_u64 v[110:111], v[136:137], 3, v[104:105]
	global_store_dwordx2 v[110:111], v[108:109], off
	s_or_b64 exec, exec, s[26:27]
	s_and_b64 s[34:35], s[12:13], s[18:19]
	s_and_saveexec_b64 s[26:27], s[34:35]
	s_cbranch_execz .LBB172_177
.LBB172_199:
	s_and_b64 vcc, exec, s[0:1]
	s_cbranch_vccnz .LBB172_201
; %bb.200:
	v_lshl_add_u64 v[108:109], v[138:139], 3, v[106:107]
	global_load_dwordx2 v[108:109], v[108:109], off
	s_waitcnt vmcnt(0)
	v_mul_f64 v[108:109], s[22:23], v[108:109]
	v_cvt_f32_f64_e32 v108, v[108:109]
	s_branch .LBB172_202
.LBB172_201:
	v_mov_b32_e32 v108, 0
.LBB172_202:
	v_add_f64 v[110:111], v[30:31], v[102:103]
	v_add_f64 v[112:113], v[28:29], v[100:101]
	v_cvt_f32_f64_e32 v109, v[112:113]
	v_cvt_f32_f64_e32 v110, v[110:111]
	v_min3_f32 v109, v109, v110, v192
	v_add_f64 v[110:111], v[26:27], v[98:99]
	v_add_f64 v[112:113], v[24:25], v[96:97]
	v_cvt_f32_f64_e32 v112, v[112:113]
	v_cvt_f32_f64_e32 v110, v[110:111]
	v_min_f32_e32 v110, v112, v110
	v_min3_f32 v108, v108, v110, v109
	v_cvt_f64_f32_e32 v[108:109], v108
	v_lshl_add_u64 v[110:111], v[138:139], 3, v[104:105]
	global_store_dwordx2 v[110:111], v[108:109], off
	s_or_b64 exec, exec, s[26:27]
	s_and_b64 s[34:35], s[14:15], s[18:19]
	s_and_saveexec_b64 s[26:27], s[34:35]
	s_cbranch_execz .LBB172_178
.LBB172_203:
	s_and_b64 vcc, exec, s[0:1]
	s_cbranch_vccnz .LBB172_205
; %bb.204:
	v_lshl_add_u64 v[108:109], v[140:141], 3, v[106:107]
	global_load_dwordx2 v[108:109], v[108:109], off
	s_waitcnt vmcnt(0)
	v_mul_f64 v[108:109], s[22:23], v[108:109]
	v_cvt_f32_f64_e32 v108, v[108:109]
	s_branch .LBB172_206
.LBB172_205:
	v_mov_b32_e32 v108, 0
.LBB172_206:
	v_add_f64 v[110:111], v[22:23], v[102:103]
	v_add_f64 v[112:113], v[20:21], v[100:101]
	v_cvt_f32_f64_e32 v109, v[112:113]
	v_cvt_f32_f64_e32 v110, v[110:111]
	v_min3_f32 v109, v109, v110, v191
	v_add_f64 v[110:111], v[18:19], v[98:99]
	v_add_f64 v[112:113], v[16:17], v[96:97]
	v_cvt_f32_f64_e32 v112, v[112:113]
	v_cvt_f32_f64_e32 v110, v[110:111]
	v_min_f32_e32 v110, v112, v110
	v_min3_f32 v108, v108, v110, v109
	v_cvt_f64_f32_e32 v[108:109], v108
	v_lshl_add_u64 v[110:111], v[140:141], 3, v[104:105]
	global_store_dwordx2 v[110:111], v[108:109], off
	s_or_b64 exec, exec, s[26:27]
	s_and_b64 s[26:27], s[16:17], s[18:19]
	s_and_saveexec_b64 s[18:19], s[26:27]
	s_cbranch_execz .LBB172_211
.LBB172_207:
	s_and_b64 vcc, exec, s[0:1]
	s_cbranch_vccnz .LBB172_209
; %bb.208:
	v_lshl_add_u64 v[106:107], v[142:143], 3, v[106:107]
	global_load_dwordx2 v[106:107], v[106:107], off
	s_waitcnt vmcnt(0)
	v_mul_f64 v[106:107], s[22:23], v[106:107]
	v_cvt_f32_f64_e32 v106, v[106:107]
	s_branch .LBB172_210
.LBB172_209:
	v_mov_b32_e32 v106, 0
.LBB172_210:
	v_add_f64 v[102:103], v[6:7], v[102:103]
	v_add_f64 v[100:101], v[4:5], v[100:101]
	v_add_f64 v[98:99], v[2:3], v[98:99]
	v_add_f64 v[96:97], v[0:1], v[96:97]
	v_cvt_f32_f64_e32 v100, v[100:101]
	v_cvt_f32_f64_e32 v101, v[102:103]
	;; [unrolled: 1-line block ×4, first 2 shown]
	v_min3_f32 v100, v100, v101, v190
	v_min_f32_e32 v96, v96, v97
	v_min3_f32 v96, v106, v96, v100
	v_cvt_f64_f32_e32 v[96:97], v96
	v_lshl_add_u64 v[98:99], v[142:143], 3, v[104:105]
	global_store_dwordx2 v[98:99], v[96:97], off
.LBB172_211:
	s_or_b64 exec, exec, s[18:19]
	v_add_u32_e32 v100, 0x80, v148
	v_mad_i64_i32 v[96:97], s[26:27], v100, s31, 0
	v_cmp_gt_i32_e64 s[18:19], s25, v100
	v_lshl_add_u64 v[98:99], v[96:97], 3, s[28:29]
	v_mad_i64_i32 v[96:97], s[26:27], v100, s30, 0
	v_lshl_add_u64 v[96:97], v[96:97], 3, s[20:21]
	s_and_b64 s[34:35], s[2:3], s[18:19]
	s_and_saveexec_b64 s[26:27], s[34:35]
	s_cbranch_execnz .LBB172_219
; %bb.212:
	s_or_b64 exec, exec, s[26:27]
	s_and_b64 s[34:35], s[4:5], s[18:19]
	s_and_saveexec_b64 s[26:27], s[34:35]
	s_cbranch_execnz .LBB172_223
.LBB172_213:
	s_or_b64 exec, exec, s[26:27]
	s_and_b64 s[34:35], s[6:7], s[18:19]
	s_and_saveexec_b64 s[26:27], s[34:35]
	s_cbranch_execnz .LBB172_227
.LBB172_214:
	s_or_b64 exec, exec, s[26:27]
	s_and_b64 s[34:35], s[8:9], s[18:19]
	s_and_saveexec_b64 s[26:27], s[34:35]
	s_cbranch_execnz .LBB172_231
.LBB172_215:
	s_or_b64 exec, exec, s[26:27]
	s_and_b64 s[34:35], s[10:11], s[18:19]
	s_and_saveexec_b64 s[26:27], s[34:35]
	s_cbranch_execnz .LBB172_235
.LBB172_216:
	s_or_b64 exec, exec, s[26:27]
	s_and_b64 s[34:35], s[12:13], s[18:19]
	s_and_saveexec_b64 s[26:27], s[34:35]
	s_cbranch_execnz .LBB172_239
.LBB172_217:
	s_or_b64 exec, exec, s[26:27]
	s_and_b64 s[34:35], s[14:15], s[18:19]
	s_and_saveexec_b64 s[26:27], s[34:35]
	s_cbranch_execnz .LBB172_243
.LBB172_218:
	s_or_b64 exec, exec, s[26:27]
	s_and_b64 s[26:27], s[16:17], s[18:19]
	s_and_saveexec_b64 s[18:19], s[26:27]
	s_cbranch_execnz .LBB172_247
	s_branch .LBB172_251
.LBB172_219:
	s_and_b64 vcc, exec, s[0:1]
	s_cbranch_vccnz .LBB172_221
; %bb.220:
	v_lshl_add_u64 v[100:101], v[128:129], 3, v[98:99]
	global_load_dwordx2 v[100:101], v[100:101], off
	s_waitcnt vmcnt(0)
	v_mul_f64 v[100:101], s[22:23], v[100:101]
	v_cvt_f32_f64_e32 v100, v[100:101]
	s_branch .LBB172_222
.LBB172_221:
	v_mov_b32_e32 v100, 0
.LBB172_222:
	v_add_f64 v[102:103], v[70:71], v[94:95]
	v_add_f64 v[104:105], v[68:69], v[92:93]
	v_cvt_f32_f64_e32 v101, v[104:105]
	v_cvt_f32_f64_e32 v102, v[102:103]
	v_min3_f32 v101, v101, v102, v189
	v_add_f64 v[102:103], v[66:67], v[90:91]
	v_add_f64 v[104:105], v[64:65], v[88:89]
	v_cvt_f32_f64_e32 v104, v[104:105]
	v_cvt_f32_f64_e32 v102, v[102:103]
	v_min_f32_e32 v102, v104, v102
	v_min3_f32 v100, v100, v102, v101
	v_cvt_f64_f32_e32 v[100:101], v100
	v_lshl_add_u64 v[102:103], v[128:129], 3, v[96:97]
	global_store_dwordx2 v[102:103], v[100:101], off
	s_or_b64 exec, exec, s[26:27]
	s_and_b64 s[34:35], s[4:5], s[18:19]
	s_and_saveexec_b64 s[26:27], s[34:35]
	s_cbranch_execz .LBB172_213
.LBB172_223:
	s_and_b64 vcc, exec, s[0:1]
	s_cbranch_vccnz .LBB172_225
; %bb.224:
	v_lshl_add_u64 v[100:101], v[130:131], 3, v[98:99]
	global_load_dwordx2 v[100:101], v[100:101], off
	s_waitcnt vmcnt(0)
	v_mul_f64 v[100:101], s[22:23], v[100:101]
	v_cvt_f32_f64_e32 v100, v[100:101]
	s_branch .LBB172_226
.LBB172_225:
	v_mov_b32_e32 v100, 0
.LBB172_226:
	v_add_f64 v[102:103], v[62:63], v[94:95]
	v_add_f64 v[104:105], v[60:61], v[92:93]
	v_cvt_f32_f64_e32 v101, v[104:105]
	v_cvt_f32_f64_e32 v102, v[102:103]
	v_min3_f32 v101, v101, v102, v188
	v_add_f64 v[102:103], v[58:59], v[90:91]
	v_add_f64 v[104:105], v[56:57], v[88:89]
	v_cvt_f32_f64_e32 v104, v[104:105]
	v_cvt_f32_f64_e32 v102, v[102:103]
	v_min_f32_e32 v102, v104, v102
	v_min3_f32 v100, v100, v102, v101
	v_cvt_f64_f32_e32 v[100:101], v100
	v_lshl_add_u64 v[102:103], v[130:131], 3, v[96:97]
	global_store_dwordx2 v[102:103], v[100:101], off
	s_or_b64 exec, exec, s[26:27]
	s_and_b64 s[34:35], s[6:7], s[18:19]
	s_and_saveexec_b64 s[26:27], s[34:35]
	s_cbranch_execz .LBB172_214
.LBB172_227:
	s_and_b64 vcc, exec, s[0:1]
	s_cbranch_vccnz .LBB172_229
; %bb.228:
	v_lshl_add_u64 v[100:101], v[132:133], 3, v[98:99]
	global_load_dwordx2 v[100:101], v[100:101], off
	s_waitcnt vmcnt(0)
	v_mul_f64 v[100:101], s[22:23], v[100:101]
	v_cvt_f32_f64_e32 v100, v[100:101]
	s_branch .LBB172_230
.LBB172_229:
	v_mov_b32_e32 v100, 0
.LBB172_230:
	v_add_f64 v[102:103], v[54:55], v[94:95]
	v_add_f64 v[104:105], v[52:53], v[92:93]
	v_cvt_f32_f64_e32 v101, v[104:105]
	v_cvt_f32_f64_e32 v102, v[102:103]
	v_min3_f32 v101, v101, v102, v187
	v_add_f64 v[102:103], v[50:51], v[90:91]
	v_add_f64 v[104:105], v[48:49], v[88:89]
	v_cvt_f32_f64_e32 v104, v[104:105]
	v_cvt_f32_f64_e32 v102, v[102:103]
	v_min_f32_e32 v102, v104, v102
	v_min3_f32 v100, v100, v102, v101
	v_cvt_f64_f32_e32 v[100:101], v100
	v_lshl_add_u64 v[102:103], v[132:133], 3, v[96:97]
	global_store_dwordx2 v[102:103], v[100:101], off
	s_or_b64 exec, exec, s[26:27]
	s_and_b64 s[34:35], s[8:9], s[18:19]
	s_and_saveexec_b64 s[26:27], s[34:35]
	s_cbranch_execz .LBB172_215
.LBB172_231:
	s_and_b64 vcc, exec, s[0:1]
	s_cbranch_vccnz .LBB172_233
; %bb.232:
	v_lshl_add_u64 v[100:101], v[134:135], 3, v[98:99]
	global_load_dwordx2 v[100:101], v[100:101], off
	s_waitcnt vmcnt(0)
	v_mul_f64 v[100:101], s[22:23], v[100:101]
	v_cvt_f32_f64_e32 v100, v[100:101]
	s_branch .LBB172_234
.LBB172_233:
	v_mov_b32_e32 v100, 0
.LBB172_234:
	v_add_f64 v[102:103], v[46:47], v[94:95]
	v_add_f64 v[104:105], v[44:45], v[92:93]
	v_cvt_f32_f64_e32 v101, v[104:105]
	v_cvt_f32_f64_e32 v102, v[102:103]
	v_min3_f32 v101, v101, v102, v186
	v_add_f64 v[102:103], v[42:43], v[90:91]
	v_add_f64 v[104:105], v[40:41], v[88:89]
	v_cvt_f32_f64_e32 v104, v[104:105]
	v_cvt_f32_f64_e32 v102, v[102:103]
	v_min_f32_e32 v102, v104, v102
	v_min3_f32 v100, v100, v102, v101
	v_cvt_f64_f32_e32 v[100:101], v100
	v_lshl_add_u64 v[102:103], v[134:135], 3, v[96:97]
	global_store_dwordx2 v[102:103], v[100:101], off
	s_or_b64 exec, exec, s[26:27]
	s_and_b64 s[34:35], s[10:11], s[18:19]
	s_and_saveexec_b64 s[26:27], s[34:35]
	s_cbranch_execz .LBB172_216
.LBB172_235:
	s_and_b64 vcc, exec, s[0:1]
	s_cbranch_vccnz .LBB172_237
; %bb.236:
	v_lshl_add_u64 v[100:101], v[136:137], 3, v[98:99]
	global_load_dwordx2 v[100:101], v[100:101], off
	s_waitcnt vmcnt(0)
	v_mul_f64 v[100:101], s[22:23], v[100:101]
	v_cvt_f32_f64_e32 v100, v[100:101]
	s_branch .LBB172_238
.LBB172_237:
	v_mov_b32_e32 v100, 0
.LBB172_238:
	v_add_f64 v[102:103], v[38:39], v[94:95]
	v_add_f64 v[104:105], v[36:37], v[92:93]
	v_cvt_f32_f64_e32 v101, v[104:105]
	v_cvt_f32_f64_e32 v102, v[102:103]
	v_min3_f32 v101, v101, v102, v185
	v_add_f64 v[102:103], v[34:35], v[90:91]
	v_add_f64 v[104:105], v[32:33], v[88:89]
	v_cvt_f32_f64_e32 v104, v[104:105]
	v_cvt_f32_f64_e32 v102, v[102:103]
	v_min_f32_e32 v102, v104, v102
	v_min3_f32 v100, v100, v102, v101
	v_cvt_f64_f32_e32 v[100:101], v100
	v_lshl_add_u64 v[102:103], v[136:137], 3, v[96:97]
	global_store_dwordx2 v[102:103], v[100:101], off
	s_or_b64 exec, exec, s[26:27]
	s_and_b64 s[34:35], s[12:13], s[18:19]
	s_and_saveexec_b64 s[26:27], s[34:35]
	s_cbranch_execz .LBB172_217
.LBB172_239:
	s_and_b64 vcc, exec, s[0:1]
	s_cbranch_vccnz .LBB172_241
; %bb.240:
	v_lshl_add_u64 v[100:101], v[138:139], 3, v[98:99]
	global_load_dwordx2 v[100:101], v[100:101], off
	s_waitcnt vmcnt(0)
	v_mul_f64 v[100:101], s[22:23], v[100:101]
	v_cvt_f32_f64_e32 v100, v[100:101]
	s_branch .LBB172_242
.LBB172_241:
	v_mov_b32_e32 v100, 0
.LBB172_242:
	v_add_f64 v[102:103], v[30:31], v[94:95]
	v_add_f64 v[104:105], v[28:29], v[92:93]
	v_cvt_f32_f64_e32 v101, v[104:105]
	v_cvt_f32_f64_e32 v102, v[102:103]
	v_min3_f32 v101, v101, v102, v184
	v_add_f64 v[102:103], v[26:27], v[90:91]
	v_add_f64 v[104:105], v[24:25], v[88:89]
	v_cvt_f32_f64_e32 v104, v[104:105]
	v_cvt_f32_f64_e32 v102, v[102:103]
	v_min_f32_e32 v102, v104, v102
	v_min3_f32 v100, v100, v102, v101
	v_cvt_f64_f32_e32 v[100:101], v100
	v_lshl_add_u64 v[102:103], v[138:139], 3, v[96:97]
	global_store_dwordx2 v[102:103], v[100:101], off
	s_or_b64 exec, exec, s[26:27]
	s_and_b64 s[34:35], s[14:15], s[18:19]
	s_and_saveexec_b64 s[26:27], s[34:35]
	s_cbranch_execz .LBB172_218
.LBB172_243:
	s_and_b64 vcc, exec, s[0:1]
	s_cbranch_vccnz .LBB172_245
; %bb.244:
	v_lshl_add_u64 v[100:101], v[140:141], 3, v[98:99]
	global_load_dwordx2 v[100:101], v[100:101], off
	s_waitcnt vmcnt(0)
	v_mul_f64 v[100:101], s[22:23], v[100:101]
	v_cvt_f32_f64_e32 v100, v[100:101]
	s_branch .LBB172_246
.LBB172_245:
	v_mov_b32_e32 v100, 0
.LBB172_246:
	v_add_f64 v[102:103], v[22:23], v[94:95]
	v_add_f64 v[104:105], v[20:21], v[92:93]
	v_cvt_f32_f64_e32 v101, v[104:105]
	v_cvt_f32_f64_e32 v102, v[102:103]
	v_min3_f32 v101, v101, v102, v183
	v_add_f64 v[102:103], v[18:19], v[90:91]
	v_add_f64 v[104:105], v[16:17], v[88:89]
	v_cvt_f32_f64_e32 v104, v[104:105]
	v_cvt_f32_f64_e32 v102, v[102:103]
	v_min_f32_e32 v102, v104, v102
	v_min3_f32 v100, v100, v102, v101
	v_cvt_f64_f32_e32 v[100:101], v100
	v_lshl_add_u64 v[102:103], v[140:141], 3, v[96:97]
	global_store_dwordx2 v[102:103], v[100:101], off
	s_or_b64 exec, exec, s[26:27]
	s_and_b64 s[26:27], s[16:17], s[18:19]
	s_and_saveexec_b64 s[18:19], s[26:27]
	s_cbranch_execz .LBB172_251
.LBB172_247:
	s_and_b64 vcc, exec, s[0:1]
	s_cbranch_vccnz .LBB172_249
; %bb.248:
	v_lshl_add_u64 v[98:99], v[142:143], 3, v[98:99]
	global_load_dwordx2 v[98:99], v[98:99], off
	s_waitcnt vmcnt(0)
	v_mul_f64 v[98:99], s[22:23], v[98:99]
	v_cvt_f32_f64_e32 v98, v[98:99]
	s_branch .LBB172_250
.LBB172_249:
	v_mov_b32_e32 v98, 0
.LBB172_250:
	v_add_f64 v[94:95], v[6:7], v[94:95]
	v_add_f64 v[92:93], v[4:5], v[92:93]
	;; [unrolled: 1-line block ×4, first 2 shown]
	v_cvt_f32_f64_e32 v92, v[92:93]
	v_cvt_f32_f64_e32 v93, v[94:95]
	;; [unrolled: 1-line block ×4, first 2 shown]
	v_min3_f32 v92, v92, v93, v182
	v_min_f32_e32 v88, v88, v89
	v_min3_f32 v88, v98, v88, v92
	v_cvt_f64_f32_e32 v[88:89], v88
	v_lshl_add_u64 v[90:91], v[142:143], 3, v[96:97]
	global_store_dwordx2 v[90:91], v[88:89], off
.LBB172_251:
	s_or_b64 exec, exec, s[18:19]
	v_add_u32_e32 v92, 0xa0, v148
	v_mad_i64_i32 v[88:89], s[26:27], v92, s31, 0
	v_cmp_gt_i32_e64 s[18:19], s25, v92
	v_lshl_add_u64 v[90:91], v[88:89], 3, s[28:29]
	v_mad_i64_i32 v[88:89], s[26:27], v92, s30, 0
	v_lshl_add_u64 v[88:89], v[88:89], 3, s[20:21]
	s_and_b64 s[34:35], s[2:3], s[18:19]
	s_and_saveexec_b64 s[26:27], s[34:35]
	s_cbranch_execnz .LBB172_259
; %bb.252:
	s_or_b64 exec, exec, s[26:27]
	s_and_b64 s[34:35], s[4:5], s[18:19]
	s_and_saveexec_b64 s[26:27], s[34:35]
	s_cbranch_execnz .LBB172_263
.LBB172_253:
	s_or_b64 exec, exec, s[26:27]
	s_and_b64 s[34:35], s[6:7], s[18:19]
	s_and_saveexec_b64 s[26:27], s[34:35]
	s_cbranch_execnz .LBB172_267
.LBB172_254:
	s_or_b64 exec, exec, s[26:27]
	s_and_b64 s[34:35], s[8:9], s[18:19]
	s_and_saveexec_b64 s[26:27], s[34:35]
	s_cbranch_execnz .LBB172_271
.LBB172_255:
	s_or_b64 exec, exec, s[26:27]
	s_and_b64 s[34:35], s[10:11], s[18:19]
	s_and_saveexec_b64 s[26:27], s[34:35]
	s_cbranch_execnz .LBB172_275
.LBB172_256:
	s_or_b64 exec, exec, s[26:27]
	s_and_b64 s[34:35], s[12:13], s[18:19]
	s_and_saveexec_b64 s[26:27], s[34:35]
	s_cbranch_execnz .LBB172_279
.LBB172_257:
	s_or_b64 exec, exec, s[26:27]
	s_and_b64 s[34:35], s[14:15], s[18:19]
	s_and_saveexec_b64 s[26:27], s[34:35]
	s_cbranch_execnz .LBB172_283
.LBB172_258:
	s_or_b64 exec, exec, s[26:27]
	s_and_b64 s[26:27], s[16:17], s[18:19]
	s_and_saveexec_b64 s[18:19], s[26:27]
	s_cbranch_execnz .LBB172_287
	s_branch .LBB172_291
.LBB172_259:
	s_and_b64 vcc, exec, s[0:1]
	s_cbranch_vccnz .LBB172_261
; %bb.260:
	v_lshl_add_u64 v[92:93], v[128:129], 3, v[90:91]
	global_load_dwordx2 v[92:93], v[92:93], off
	s_waitcnt vmcnt(0)
	v_mul_f64 v[92:93], s[22:23], v[92:93]
	v_cvt_f32_f64_e32 v92, v[92:93]
	s_branch .LBB172_262
.LBB172_261:
	v_mov_b32_e32 v92, 0
.LBB172_262:
	v_add_f64 v[94:95], v[70:71], v[86:87]
	v_add_f64 v[96:97], v[68:69], v[84:85]
	v_cvt_f32_f64_e32 v93, v[96:97]
	v_cvt_f32_f64_e32 v94, v[94:95]
	v_min3_f32 v93, v93, v94, v181
	v_add_f64 v[94:95], v[66:67], v[82:83]
	v_add_f64 v[96:97], v[64:65], v[80:81]
	v_cvt_f32_f64_e32 v96, v[96:97]
	v_cvt_f32_f64_e32 v94, v[94:95]
	v_min_f32_e32 v94, v96, v94
	v_min3_f32 v92, v92, v94, v93
	v_cvt_f64_f32_e32 v[92:93], v92
	v_lshl_add_u64 v[94:95], v[128:129], 3, v[88:89]
	global_store_dwordx2 v[94:95], v[92:93], off
	s_or_b64 exec, exec, s[26:27]
	s_and_b64 s[34:35], s[4:5], s[18:19]
	s_and_saveexec_b64 s[26:27], s[34:35]
	s_cbranch_execz .LBB172_253
.LBB172_263:
	s_and_b64 vcc, exec, s[0:1]
	s_cbranch_vccnz .LBB172_265
; %bb.264:
	v_lshl_add_u64 v[92:93], v[130:131], 3, v[90:91]
	global_load_dwordx2 v[92:93], v[92:93], off
	s_waitcnt vmcnt(0)
	v_mul_f64 v[92:93], s[22:23], v[92:93]
	v_cvt_f32_f64_e32 v92, v[92:93]
	s_branch .LBB172_266
.LBB172_265:
	v_mov_b32_e32 v92, 0
.LBB172_266:
	v_add_f64 v[94:95], v[62:63], v[86:87]
	v_add_f64 v[96:97], v[60:61], v[84:85]
	v_cvt_f32_f64_e32 v93, v[96:97]
	v_cvt_f32_f64_e32 v94, v[94:95]
	v_min3_f32 v93, v93, v94, v180
	v_add_f64 v[94:95], v[58:59], v[82:83]
	v_add_f64 v[96:97], v[56:57], v[80:81]
	v_cvt_f32_f64_e32 v96, v[96:97]
	v_cvt_f32_f64_e32 v94, v[94:95]
	v_min_f32_e32 v94, v96, v94
	v_min3_f32 v92, v92, v94, v93
	v_cvt_f64_f32_e32 v[92:93], v92
	v_lshl_add_u64 v[94:95], v[130:131], 3, v[88:89]
	global_store_dwordx2 v[94:95], v[92:93], off
	s_or_b64 exec, exec, s[26:27]
	s_and_b64 s[34:35], s[6:7], s[18:19]
	s_and_saveexec_b64 s[26:27], s[34:35]
	s_cbranch_execz .LBB172_254
.LBB172_267:
	s_and_b64 vcc, exec, s[0:1]
	s_cbranch_vccnz .LBB172_269
; %bb.268:
	v_lshl_add_u64 v[92:93], v[132:133], 3, v[90:91]
	global_load_dwordx2 v[92:93], v[92:93], off
	s_waitcnt vmcnt(0)
	v_mul_f64 v[92:93], s[22:23], v[92:93]
	v_cvt_f32_f64_e32 v92, v[92:93]
	s_branch .LBB172_270
.LBB172_269:
	v_mov_b32_e32 v92, 0
.LBB172_270:
	v_add_f64 v[94:95], v[54:55], v[86:87]
	v_add_f64 v[96:97], v[52:53], v[84:85]
	v_cvt_f32_f64_e32 v93, v[96:97]
	v_cvt_f32_f64_e32 v94, v[94:95]
	v_min3_f32 v93, v93, v94, v179
	v_add_f64 v[94:95], v[50:51], v[82:83]
	v_add_f64 v[96:97], v[48:49], v[80:81]
	v_cvt_f32_f64_e32 v96, v[96:97]
	v_cvt_f32_f64_e32 v94, v[94:95]
	v_min_f32_e32 v94, v96, v94
	v_min3_f32 v92, v92, v94, v93
	v_cvt_f64_f32_e32 v[92:93], v92
	v_lshl_add_u64 v[94:95], v[132:133], 3, v[88:89]
	global_store_dwordx2 v[94:95], v[92:93], off
	s_or_b64 exec, exec, s[26:27]
	s_and_b64 s[34:35], s[8:9], s[18:19]
	s_and_saveexec_b64 s[26:27], s[34:35]
	s_cbranch_execz .LBB172_255
.LBB172_271:
	s_and_b64 vcc, exec, s[0:1]
	s_cbranch_vccnz .LBB172_273
; %bb.272:
	v_lshl_add_u64 v[92:93], v[134:135], 3, v[90:91]
	global_load_dwordx2 v[92:93], v[92:93], off
	s_waitcnt vmcnt(0)
	v_mul_f64 v[92:93], s[22:23], v[92:93]
	v_cvt_f32_f64_e32 v92, v[92:93]
	s_branch .LBB172_274
.LBB172_273:
	v_mov_b32_e32 v92, 0
.LBB172_274:
	v_add_f64 v[94:95], v[46:47], v[86:87]
	v_add_f64 v[96:97], v[44:45], v[84:85]
	v_cvt_f32_f64_e32 v93, v[96:97]
	v_cvt_f32_f64_e32 v94, v[94:95]
	v_min3_f32 v93, v93, v94, v178
	v_add_f64 v[94:95], v[42:43], v[82:83]
	v_add_f64 v[96:97], v[40:41], v[80:81]
	v_cvt_f32_f64_e32 v96, v[96:97]
	v_cvt_f32_f64_e32 v94, v[94:95]
	v_min_f32_e32 v94, v96, v94
	v_min3_f32 v92, v92, v94, v93
	v_cvt_f64_f32_e32 v[92:93], v92
	v_lshl_add_u64 v[94:95], v[134:135], 3, v[88:89]
	global_store_dwordx2 v[94:95], v[92:93], off
	s_or_b64 exec, exec, s[26:27]
	s_and_b64 s[34:35], s[10:11], s[18:19]
	s_and_saveexec_b64 s[26:27], s[34:35]
	s_cbranch_execz .LBB172_256
.LBB172_275:
	s_and_b64 vcc, exec, s[0:1]
	s_cbranch_vccnz .LBB172_277
; %bb.276:
	v_lshl_add_u64 v[92:93], v[136:137], 3, v[90:91]
	global_load_dwordx2 v[92:93], v[92:93], off
	s_waitcnt vmcnt(0)
	v_mul_f64 v[92:93], s[22:23], v[92:93]
	v_cvt_f32_f64_e32 v92, v[92:93]
	s_branch .LBB172_278
.LBB172_277:
	v_mov_b32_e32 v92, 0
.LBB172_278:
	v_add_f64 v[94:95], v[38:39], v[86:87]
	v_add_f64 v[96:97], v[36:37], v[84:85]
	v_cvt_f32_f64_e32 v93, v[96:97]
	v_cvt_f32_f64_e32 v94, v[94:95]
	v_min3_f32 v93, v93, v94, v177
	v_add_f64 v[94:95], v[34:35], v[82:83]
	v_add_f64 v[96:97], v[32:33], v[80:81]
	v_cvt_f32_f64_e32 v96, v[96:97]
	v_cvt_f32_f64_e32 v94, v[94:95]
	v_min_f32_e32 v94, v96, v94
	v_min3_f32 v92, v92, v94, v93
	v_cvt_f64_f32_e32 v[92:93], v92
	v_lshl_add_u64 v[94:95], v[136:137], 3, v[88:89]
	global_store_dwordx2 v[94:95], v[92:93], off
	s_or_b64 exec, exec, s[26:27]
	s_and_b64 s[34:35], s[12:13], s[18:19]
	s_and_saveexec_b64 s[26:27], s[34:35]
	s_cbranch_execz .LBB172_257
.LBB172_279:
	s_and_b64 vcc, exec, s[0:1]
	s_cbranch_vccnz .LBB172_281
; %bb.280:
	v_lshl_add_u64 v[92:93], v[138:139], 3, v[90:91]
	global_load_dwordx2 v[92:93], v[92:93], off
	s_waitcnt vmcnt(0)
	v_mul_f64 v[92:93], s[22:23], v[92:93]
	v_cvt_f32_f64_e32 v92, v[92:93]
	s_branch .LBB172_282
.LBB172_281:
	v_mov_b32_e32 v92, 0
.LBB172_282:
	v_add_f64 v[94:95], v[30:31], v[86:87]
	v_add_f64 v[96:97], v[28:29], v[84:85]
	v_cvt_f32_f64_e32 v93, v[96:97]
	v_cvt_f32_f64_e32 v94, v[94:95]
	v_min3_f32 v93, v93, v94, v176
	v_add_f64 v[94:95], v[26:27], v[82:83]
	v_add_f64 v[96:97], v[24:25], v[80:81]
	v_cvt_f32_f64_e32 v96, v[96:97]
	v_cvt_f32_f64_e32 v94, v[94:95]
	v_min_f32_e32 v94, v96, v94
	v_min3_f32 v92, v92, v94, v93
	v_cvt_f64_f32_e32 v[92:93], v92
	v_lshl_add_u64 v[94:95], v[138:139], 3, v[88:89]
	global_store_dwordx2 v[94:95], v[92:93], off
	s_or_b64 exec, exec, s[26:27]
	s_and_b64 s[34:35], s[14:15], s[18:19]
	s_and_saveexec_b64 s[26:27], s[34:35]
	s_cbranch_execz .LBB172_258
.LBB172_283:
	s_and_b64 vcc, exec, s[0:1]
	s_cbranch_vccnz .LBB172_285
; %bb.284:
	v_lshl_add_u64 v[92:93], v[140:141], 3, v[90:91]
	global_load_dwordx2 v[92:93], v[92:93], off
	s_waitcnt vmcnt(0)
	v_mul_f64 v[92:93], s[22:23], v[92:93]
	v_cvt_f32_f64_e32 v92, v[92:93]
	s_branch .LBB172_286
.LBB172_285:
	v_mov_b32_e32 v92, 0
.LBB172_286:
	v_add_f64 v[94:95], v[22:23], v[86:87]
	v_add_f64 v[96:97], v[20:21], v[84:85]
	v_cvt_f32_f64_e32 v93, v[96:97]
	v_cvt_f32_f64_e32 v94, v[94:95]
	v_min3_f32 v93, v93, v94, v175
	v_add_f64 v[94:95], v[18:19], v[82:83]
	v_add_f64 v[96:97], v[16:17], v[80:81]
	v_cvt_f32_f64_e32 v96, v[96:97]
	v_cvt_f32_f64_e32 v94, v[94:95]
	v_min_f32_e32 v94, v96, v94
	v_min3_f32 v92, v92, v94, v93
	v_cvt_f64_f32_e32 v[92:93], v92
	v_lshl_add_u64 v[94:95], v[140:141], 3, v[88:89]
	global_store_dwordx2 v[94:95], v[92:93], off
	s_or_b64 exec, exec, s[26:27]
	s_and_b64 s[26:27], s[16:17], s[18:19]
	s_and_saveexec_b64 s[18:19], s[26:27]
	s_cbranch_execz .LBB172_291
.LBB172_287:
	s_and_b64 vcc, exec, s[0:1]
	s_cbranch_vccnz .LBB172_289
; %bb.288:
	v_lshl_add_u64 v[90:91], v[142:143], 3, v[90:91]
	global_load_dwordx2 v[90:91], v[90:91], off
	s_waitcnt vmcnt(0)
	v_mul_f64 v[90:91], s[22:23], v[90:91]
	v_cvt_f32_f64_e32 v90, v[90:91]
	s_branch .LBB172_290
.LBB172_289:
	v_mov_b32_e32 v90, 0
.LBB172_290:
	v_add_f64 v[86:87], v[6:7], v[86:87]
	v_add_f64 v[84:85], v[4:5], v[84:85]
	;; [unrolled: 1-line block ×4, first 2 shown]
	v_cvt_f32_f64_e32 v84, v[84:85]
	v_cvt_f32_f64_e32 v85, v[86:87]
	;; [unrolled: 1-line block ×4, first 2 shown]
	v_min3_f32 v84, v84, v85, v174
	v_min_f32_e32 v80, v80, v81
	v_min3_f32 v80, v90, v80, v84
	v_cvt_f64_f32_e32 v[80:81], v80
	v_lshl_add_u64 v[82:83], v[142:143], 3, v[88:89]
	global_store_dwordx2 v[82:83], v[80:81], off
.LBB172_291:
	s_or_b64 exec, exec, s[18:19]
	v_add_u32_e32 v84, 0xc0, v148
	v_mad_i64_i32 v[80:81], s[26:27], v84, s31, 0
	v_cmp_gt_i32_e64 s[18:19], s25, v84
	v_lshl_add_u64 v[82:83], v[80:81], 3, s[28:29]
	v_mad_i64_i32 v[80:81], s[26:27], v84, s30, 0
	v_lshl_add_u64 v[80:81], v[80:81], 3, s[20:21]
	s_and_b64 s[34:35], s[2:3], s[18:19]
	s_and_saveexec_b64 s[26:27], s[34:35]
	s_cbranch_execnz .LBB172_299
; %bb.292:
	s_or_b64 exec, exec, s[26:27]
	s_and_b64 s[34:35], s[4:5], s[18:19]
	s_and_saveexec_b64 s[26:27], s[34:35]
	s_cbranch_execnz .LBB172_303
.LBB172_293:
	s_or_b64 exec, exec, s[26:27]
	s_and_b64 s[34:35], s[6:7], s[18:19]
	s_and_saveexec_b64 s[26:27], s[34:35]
	s_cbranch_execnz .LBB172_307
.LBB172_294:
	s_or_b64 exec, exec, s[26:27]
	s_and_b64 s[34:35], s[8:9], s[18:19]
	s_and_saveexec_b64 s[26:27], s[34:35]
	s_cbranch_execnz .LBB172_311
.LBB172_295:
	s_or_b64 exec, exec, s[26:27]
	s_and_b64 s[34:35], s[10:11], s[18:19]
	s_and_saveexec_b64 s[26:27], s[34:35]
	s_cbranch_execnz .LBB172_315
.LBB172_296:
	s_or_b64 exec, exec, s[26:27]
	s_and_b64 s[34:35], s[12:13], s[18:19]
	s_and_saveexec_b64 s[26:27], s[34:35]
	s_cbranch_execnz .LBB172_319
.LBB172_297:
	s_or_b64 exec, exec, s[26:27]
	s_and_b64 s[34:35], s[14:15], s[18:19]
	s_and_saveexec_b64 s[26:27], s[34:35]
	s_cbranch_execnz .LBB172_323
.LBB172_298:
	s_or_b64 exec, exec, s[26:27]
	s_and_b64 s[26:27], s[16:17], s[18:19]
	s_and_saveexec_b64 s[18:19], s[26:27]
	s_cbranch_execnz .LBB172_327
	s_branch .LBB172_331
.LBB172_299:
	s_and_b64 vcc, exec, s[0:1]
	s_cbranch_vccnz .LBB172_301
; %bb.300:
	v_lshl_add_u64 v[84:85], v[128:129], 3, v[82:83]
	global_load_dwordx2 v[84:85], v[84:85], off
	s_waitcnt vmcnt(0)
	v_mul_f64 v[84:85], s[22:23], v[84:85]
	v_cvt_f32_f64_e32 v84, v[84:85]
	s_branch .LBB172_302
.LBB172_301:
	v_mov_b32_e32 v84, 0
.LBB172_302:
	v_add_f64 v[86:87], v[70:71], v[78:79]
	v_add_f64 v[88:89], v[68:69], v[76:77]
	v_cvt_f32_f64_e32 v85, v[88:89]
	v_cvt_f32_f64_e32 v86, v[86:87]
	v_min3_f32 v85, v85, v86, v173
	v_add_f64 v[86:87], v[66:67], v[74:75]
	v_add_f64 v[88:89], v[64:65], v[72:73]
	v_cvt_f32_f64_e32 v88, v[88:89]
	v_cvt_f32_f64_e32 v86, v[86:87]
	v_min_f32_e32 v86, v88, v86
	v_min3_f32 v84, v84, v86, v85
	v_cvt_f64_f32_e32 v[84:85], v84
	v_lshl_add_u64 v[86:87], v[128:129], 3, v[80:81]
	global_store_dwordx2 v[86:87], v[84:85], off
	s_or_b64 exec, exec, s[26:27]
	s_and_b64 s[34:35], s[4:5], s[18:19]
	s_and_saveexec_b64 s[26:27], s[34:35]
	s_cbranch_execz .LBB172_293
.LBB172_303:
	s_and_b64 vcc, exec, s[0:1]
	s_cbranch_vccnz .LBB172_305
; %bb.304:
	v_lshl_add_u64 v[84:85], v[130:131], 3, v[82:83]
	global_load_dwordx2 v[84:85], v[84:85], off
	s_waitcnt vmcnt(0)
	v_mul_f64 v[84:85], s[22:23], v[84:85]
	v_cvt_f32_f64_e32 v84, v[84:85]
	s_branch .LBB172_306
.LBB172_305:
	v_mov_b32_e32 v84, 0
.LBB172_306:
	v_add_f64 v[86:87], v[62:63], v[78:79]
	v_add_f64 v[88:89], v[60:61], v[76:77]
	v_cvt_f32_f64_e32 v85, v[88:89]
	v_cvt_f32_f64_e32 v86, v[86:87]
	v_min3_f32 v85, v85, v86, v171
	v_add_f64 v[86:87], v[58:59], v[74:75]
	v_add_f64 v[88:89], v[56:57], v[72:73]
	v_cvt_f32_f64_e32 v88, v[88:89]
	v_cvt_f32_f64_e32 v86, v[86:87]
	v_min_f32_e32 v86, v88, v86
	v_min3_f32 v84, v84, v86, v85
	v_cvt_f64_f32_e32 v[84:85], v84
	v_lshl_add_u64 v[86:87], v[130:131], 3, v[80:81]
	global_store_dwordx2 v[86:87], v[84:85], off
	s_or_b64 exec, exec, s[26:27]
	s_and_b64 s[34:35], s[6:7], s[18:19]
	s_and_saveexec_b64 s[26:27], s[34:35]
	s_cbranch_execz .LBB172_294
.LBB172_307:
	s_and_b64 vcc, exec, s[0:1]
	s_cbranch_vccnz .LBB172_309
; %bb.308:
	v_lshl_add_u64 v[84:85], v[132:133], 3, v[82:83]
	global_load_dwordx2 v[84:85], v[84:85], off
	s_waitcnt vmcnt(0)
	v_mul_f64 v[84:85], s[22:23], v[84:85]
	v_cvt_f32_f64_e32 v84, v[84:85]
	s_branch .LBB172_310
.LBB172_309:
	v_mov_b32_e32 v84, 0
.LBB172_310:
	v_add_f64 v[86:87], v[54:55], v[78:79]
	v_add_f64 v[88:89], v[52:53], v[76:77]
	v_cvt_f32_f64_e32 v85, v[88:89]
	v_cvt_f32_f64_e32 v86, v[86:87]
	v_min3_f32 v85, v85, v86, v170
	v_add_f64 v[86:87], v[50:51], v[74:75]
	v_add_f64 v[88:89], v[48:49], v[72:73]
	v_cvt_f32_f64_e32 v88, v[88:89]
	v_cvt_f32_f64_e32 v86, v[86:87]
	v_min_f32_e32 v86, v88, v86
	v_min3_f32 v84, v84, v86, v85
	v_cvt_f64_f32_e32 v[84:85], v84
	v_lshl_add_u64 v[86:87], v[132:133], 3, v[80:81]
	global_store_dwordx2 v[86:87], v[84:85], off
	s_or_b64 exec, exec, s[26:27]
	s_and_b64 s[34:35], s[8:9], s[18:19]
	s_and_saveexec_b64 s[26:27], s[34:35]
	s_cbranch_execz .LBB172_295
.LBB172_311:
	s_and_b64 vcc, exec, s[0:1]
	s_cbranch_vccnz .LBB172_313
; %bb.312:
	v_lshl_add_u64 v[84:85], v[134:135], 3, v[82:83]
	global_load_dwordx2 v[84:85], v[84:85], off
	s_waitcnt vmcnt(0)
	v_mul_f64 v[84:85], s[22:23], v[84:85]
	v_cvt_f32_f64_e32 v84, v[84:85]
	s_branch .LBB172_314
.LBB172_313:
	v_mov_b32_e32 v84, 0
.LBB172_314:
	v_add_f64 v[86:87], v[46:47], v[78:79]
	v_add_f64 v[88:89], v[44:45], v[76:77]
	v_cvt_f32_f64_e32 v85, v[88:89]
	v_cvt_f32_f64_e32 v86, v[86:87]
	v_min3_f32 v85, v85, v86, v169
	v_add_f64 v[86:87], v[42:43], v[74:75]
	v_add_f64 v[88:89], v[40:41], v[72:73]
	v_cvt_f32_f64_e32 v88, v[88:89]
	v_cvt_f32_f64_e32 v86, v[86:87]
	v_min_f32_e32 v86, v88, v86
	v_min3_f32 v84, v84, v86, v85
	v_cvt_f64_f32_e32 v[84:85], v84
	v_lshl_add_u64 v[86:87], v[134:135], 3, v[80:81]
	global_store_dwordx2 v[86:87], v[84:85], off
	s_or_b64 exec, exec, s[26:27]
	s_and_b64 s[34:35], s[10:11], s[18:19]
	s_and_saveexec_b64 s[26:27], s[34:35]
	s_cbranch_execz .LBB172_296
.LBB172_315:
	s_and_b64 vcc, exec, s[0:1]
	s_cbranch_vccnz .LBB172_317
; %bb.316:
	v_lshl_add_u64 v[84:85], v[136:137], 3, v[82:83]
	global_load_dwordx2 v[84:85], v[84:85], off
	s_waitcnt vmcnt(0)
	v_mul_f64 v[84:85], s[22:23], v[84:85]
	v_cvt_f32_f64_e32 v84, v[84:85]
	s_branch .LBB172_318
.LBB172_317:
	v_mov_b32_e32 v84, 0
.LBB172_318:
	v_add_f64 v[86:87], v[38:39], v[78:79]
	v_add_f64 v[88:89], v[36:37], v[76:77]
	v_cvt_f32_f64_e32 v85, v[88:89]
	v_cvt_f32_f64_e32 v86, v[86:87]
	v_min3_f32 v85, v85, v86, v168
	v_add_f64 v[86:87], v[34:35], v[74:75]
	v_add_f64 v[88:89], v[32:33], v[72:73]
	v_cvt_f32_f64_e32 v88, v[88:89]
	v_cvt_f32_f64_e32 v86, v[86:87]
	v_min_f32_e32 v86, v88, v86
	v_min3_f32 v84, v84, v86, v85
	v_cvt_f64_f32_e32 v[84:85], v84
	v_lshl_add_u64 v[86:87], v[136:137], 3, v[80:81]
	global_store_dwordx2 v[86:87], v[84:85], off
	s_or_b64 exec, exec, s[26:27]
	s_and_b64 s[34:35], s[12:13], s[18:19]
	s_and_saveexec_b64 s[26:27], s[34:35]
	s_cbranch_execz .LBB172_297
.LBB172_319:
	s_and_b64 vcc, exec, s[0:1]
	s_cbranch_vccnz .LBB172_321
; %bb.320:
	v_lshl_add_u64 v[84:85], v[138:139], 3, v[82:83]
	global_load_dwordx2 v[84:85], v[84:85], off
	s_waitcnt vmcnt(0)
	v_mul_f64 v[84:85], s[22:23], v[84:85]
	v_cvt_f32_f64_e32 v84, v[84:85]
	s_branch .LBB172_322
.LBB172_321:
	v_mov_b32_e32 v84, 0
.LBB172_322:
	v_add_f64 v[86:87], v[30:31], v[78:79]
	v_add_f64 v[88:89], v[28:29], v[76:77]
	v_cvt_f32_f64_e32 v85, v[88:89]
	v_cvt_f32_f64_e32 v86, v[86:87]
	v_min3_f32 v85, v85, v86, v167
	v_add_f64 v[86:87], v[26:27], v[74:75]
	v_add_f64 v[88:89], v[24:25], v[72:73]
	v_cvt_f32_f64_e32 v88, v[88:89]
	v_cvt_f32_f64_e32 v86, v[86:87]
	v_min_f32_e32 v86, v88, v86
	v_min3_f32 v84, v84, v86, v85
	v_cvt_f64_f32_e32 v[84:85], v84
	v_lshl_add_u64 v[86:87], v[138:139], 3, v[80:81]
	global_store_dwordx2 v[86:87], v[84:85], off
	s_or_b64 exec, exec, s[26:27]
	s_and_b64 s[34:35], s[14:15], s[18:19]
	s_and_saveexec_b64 s[26:27], s[34:35]
	s_cbranch_execz .LBB172_298
.LBB172_323:
	s_and_b64 vcc, exec, s[0:1]
	s_cbranch_vccnz .LBB172_325
; %bb.324:
	v_lshl_add_u64 v[84:85], v[140:141], 3, v[82:83]
	global_load_dwordx2 v[84:85], v[84:85], off
	s_waitcnt vmcnt(0)
	v_mul_f64 v[84:85], s[22:23], v[84:85]
	v_cvt_f32_f64_e32 v84, v[84:85]
	s_branch .LBB172_326
.LBB172_325:
	v_mov_b32_e32 v84, 0
.LBB172_326:
	v_add_f64 v[86:87], v[22:23], v[78:79]
	v_add_f64 v[88:89], v[20:21], v[76:77]
	v_cvt_f32_f64_e32 v85, v[88:89]
	v_cvt_f32_f64_e32 v86, v[86:87]
	v_min3_f32 v85, v85, v86, v164
	v_add_f64 v[86:87], v[18:19], v[74:75]
	v_add_f64 v[88:89], v[16:17], v[72:73]
	v_cvt_f32_f64_e32 v88, v[88:89]
	v_cvt_f32_f64_e32 v86, v[86:87]
	v_min_f32_e32 v86, v88, v86
	v_min3_f32 v84, v84, v86, v85
	v_cvt_f64_f32_e32 v[84:85], v84
	v_lshl_add_u64 v[86:87], v[140:141], 3, v[80:81]
	global_store_dwordx2 v[86:87], v[84:85], off
	s_or_b64 exec, exec, s[26:27]
	s_and_b64 s[26:27], s[16:17], s[18:19]
	s_and_saveexec_b64 s[18:19], s[26:27]
	s_cbranch_execz .LBB172_331
.LBB172_327:
	s_and_b64 vcc, exec, s[0:1]
	s_cbranch_vccnz .LBB172_329
; %bb.328:
	v_lshl_add_u64 v[82:83], v[142:143], 3, v[82:83]
	global_load_dwordx2 v[82:83], v[82:83], off
	s_waitcnt vmcnt(0)
	v_mul_f64 v[82:83], s[22:23], v[82:83]
	v_cvt_f32_f64_e32 v82, v[82:83]
	s_branch .LBB172_330
.LBB172_329:
	v_mov_b32_e32 v82, 0
.LBB172_330:
	v_add_f64 v[78:79], v[6:7], v[78:79]
	v_add_f64 v[76:77], v[4:5], v[76:77]
	;; [unrolled: 1-line block ×4, first 2 shown]
	v_cvt_f32_f64_e32 v76, v[76:77]
	v_cvt_f32_f64_e32 v77, v[78:79]
	;; [unrolled: 1-line block ×4, first 2 shown]
	v_min3_f32 v76, v76, v77, v163
	v_min_f32_e32 v72, v72, v73
	v_min3_f32 v72, v82, v72, v76
	v_cvt_f64_f32_e32 v[72:73], v72
	v_lshl_add_u64 v[74:75], v[142:143], 3, v[80:81]
	global_store_dwordx2 v[74:75], v[72:73], off
.LBB172_331:
	s_or_b64 exec, exec, s[18:19]
	v_add_u32_e32 v76, 0xe0, v148
	v_cmp_gt_i32_e64 s[18:19], s25, v76
	v_mad_i64_i32 v[72:73], s[24:25], v76, s31, 0
	v_lshl_add_u64 v[74:75], v[72:73], 3, s[28:29]
	v_mad_i64_i32 v[72:73], s[24:25], v76, s30, 0
	v_lshl_add_u64 v[72:73], v[72:73], 3, s[20:21]
	s_and_b64 s[20:21], s[2:3], s[18:19]
	s_and_saveexec_b64 s[2:3], s[20:21]
	s_cbranch_execnz .LBB172_340
; %bb.332:
	s_or_b64 exec, exec, s[2:3]
	s_and_b64 s[4:5], s[4:5], s[18:19]
	s_and_saveexec_b64 s[2:3], s[4:5]
	s_cbranch_execnz .LBB172_344
.LBB172_333:
	s_or_b64 exec, exec, s[2:3]
	s_and_b64 s[4:5], s[6:7], s[18:19]
	s_and_saveexec_b64 s[2:3], s[4:5]
	s_cbranch_execnz .LBB172_348
.LBB172_334:
	s_or_b64 exec, exec, s[2:3]
	s_and_b64 s[4:5], s[8:9], s[18:19]
	s_and_saveexec_b64 s[2:3], s[4:5]
	s_cbranch_execnz .LBB172_352
.LBB172_335:
	s_or_b64 exec, exec, s[2:3]
	s_and_b64 s[4:5], s[10:11], s[18:19]
	s_and_saveexec_b64 s[2:3], s[4:5]
	s_cbranch_execnz .LBB172_356
.LBB172_336:
	s_or_b64 exec, exec, s[2:3]
	s_and_b64 s[4:5], s[12:13], s[18:19]
	s_and_saveexec_b64 s[2:3], s[4:5]
	s_cbranch_execnz .LBB172_360
.LBB172_337:
	s_or_b64 exec, exec, s[2:3]
	s_and_b64 s[4:5], s[14:15], s[18:19]
	s_and_saveexec_b64 s[2:3], s[4:5]
	s_cbranch_execnz .LBB172_364
.LBB172_338:
	s_or_b64 exec, exec, s[2:3]
	s_and_b64 s[2:3], s[16:17], s[18:19]
	s_and_saveexec_b64 s[4:5], s[2:3]
	s_cbranch_execnz .LBB172_368
.LBB172_339:
	s_endpgm
.LBB172_340:
	s_and_b64 vcc, exec, s[0:1]
	s_cbranch_vccnz .LBB172_342
; %bb.341:
	v_lshl_add_u64 v[76:77], v[128:129], 3, v[74:75]
	global_load_dwordx2 v[76:77], v[76:77], off
	s_waitcnt vmcnt(0)
	v_mul_f64 v[76:77], s[22:23], v[76:77]
	v_cvt_f32_f64_e32 v76, v[76:77]
	s_branch .LBB172_343
.LBB172_342:
	v_mov_b32_e32 v76, 0
.LBB172_343:
	v_add_f64 v[70:71], v[70:71], v[14:15]
	v_add_f64 v[68:69], v[68:69], v[12:13]
	;; [unrolled: 1-line block ×4, first 2 shown]
	v_cvt_f32_f64_e32 v68, v[68:69]
	v_cvt_f32_f64_e32 v69, v[70:71]
	;; [unrolled: 1-line block ×4, first 2 shown]
	v_min3_f32 v68, v68, v69, v162
	v_min_f32_e32 v64, v64, v65
	v_min3_f32 v64, v76, v64, v68
	v_cvt_f64_f32_e32 v[64:65], v64
	v_lshl_add_u64 v[66:67], v[128:129], 3, v[72:73]
	global_store_dwordx2 v[66:67], v[64:65], off
	s_or_b64 exec, exec, s[2:3]
	s_and_b64 s[4:5], s[4:5], s[18:19]
	s_and_saveexec_b64 s[2:3], s[4:5]
	s_cbranch_execz .LBB172_333
.LBB172_344:
	s_and_b64 vcc, exec, s[0:1]
	s_cbranch_vccnz .LBB172_346
; %bb.345:
	v_lshl_add_u64 v[64:65], v[130:131], 3, v[74:75]
	global_load_dwordx2 v[64:65], v[64:65], off
	s_waitcnt vmcnt(0)
	v_mul_f64 v[64:65], s[22:23], v[64:65]
	v_cvt_f32_f64_e32 v64, v[64:65]
	s_branch .LBB172_347
.LBB172_346:
	v_mov_b32_e32 v64, 0
.LBB172_347:
	v_add_f64 v[62:63], v[62:63], v[14:15]
	v_add_f64 v[60:61], v[60:61], v[12:13]
	;; [unrolled: 1-line block ×4, first 2 shown]
	v_cvt_f32_f64_e32 v60, v[60:61]
	v_cvt_f32_f64_e32 v61, v[62:63]
	;; [unrolled: 1-line block ×4, first 2 shown]
	v_min3_f32 v60, v60, v61, v161
	v_min_f32_e32 v56, v56, v57
	v_min3_f32 v56, v64, v56, v60
	v_cvt_f64_f32_e32 v[56:57], v56
	v_lshl_add_u64 v[58:59], v[130:131], 3, v[72:73]
	global_store_dwordx2 v[58:59], v[56:57], off
	s_or_b64 exec, exec, s[2:3]
	s_and_b64 s[4:5], s[6:7], s[18:19]
	s_and_saveexec_b64 s[2:3], s[4:5]
	s_cbranch_execz .LBB172_334
.LBB172_348:
	s_and_b64 vcc, exec, s[0:1]
	s_cbranch_vccnz .LBB172_350
; %bb.349:
	v_lshl_add_u64 v[56:57], v[132:133], 3, v[74:75]
	global_load_dwordx2 v[56:57], v[56:57], off
	s_waitcnt vmcnt(0)
	v_mul_f64 v[56:57], s[22:23], v[56:57]
	v_cvt_f32_f64_e32 v56, v[56:57]
	s_branch .LBB172_351
.LBB172_350:
	v_mov_b32_e32 v56, 0
.LBB172_351:
	v_add_f64 v[54:55], v[54:55], v[14:15]
	v_add_f64 v[52:53], v[52:53], v[12:13]
	;; [unrolled: 1-line block ×4, first 2 shown]
	v_cvt_f32_f64_e32 v52, v[52:53]
	v_cvt_f32_f64_e32 v53, v[54:55]
	;; [unrolled: 1-line block ×4, first 2 shown]
	v_min3_f32 v52, v52, v53, v160
	v_min_f32_e32 v48, v48, v49
	v_min3_f32 v48, v56, v48, v52
	v_cvt_f64_f32_e32 v[48:49], v48
	v_lshl_add_u64 v[50:51], v[132:133], 3, v[72:73]
	global_store_dwordx2 v[50:51], v[48:49], off
	s_or_b64 exec, exec, s[2:3]
	s_and_b64 s[4:5], s[8:9], s[18:19]
	s_and_saveexec_b64 s[2:3], s[4:5]
	s_cbranch_execz .LBB172_335
.LBB172_352:
	s_and_b64 vcc, exec, s[0:1]
	s_cbranch_vccnz .LBB172_354
; %bb.353:
	v_lshl_add_u64 v[48:49], v[134:135], 3, v[74:75]
	global_load_dwordx2 v[48:49], v[48:49], off
	s_waitcnt vmcnt(0)
	v_mul_f64 v[48:49], s[22:23], v[48:49]
	v_cvt_f32_f64_e32 v48, v[48:49]
	s_branch .LBB172_355
.LBB172_354:
	v_mov_b32_e32 v48, 0
.LBB172_355:
	v_add_f64 v[46:47], v[46:47], v[14:15]
	v_add_f64 v[44:45], v[44:45], v[12:13]
	;; [unrolled: 1-line block ×4, first 2 shown]
	v_cvt_f32_f64_e32 v44, v[44:45]
	v_cvt_f32_f64_e32 v45, v[46:47]
	;; [unrolled: 1-line block ×4, first 2 shown]
	v_min3_f32 v44, v44, v45, v159
	v_min_f32_e32 v40, v40, v41
	v_min3_f32 v40, v48, v40, v44
	v_cvt_f64_f32_e32 v[40:41], v40
	v_lshl_add_u64 v[42:43], v[134:135], 3, v[72:73]
	global_store_dwordx2 v[42:43], v[40:41], off
	s_or_b64 exec, exec, s[2:3]
	s_and_b64 s[4:5], s[10:11], s[18:19]
	s_and_saveexec_b64 s[2:3], s[4:5]
	s_cbranch_execz .LBB172_336
.LBB172_356:
	s_and_b64 vcc, exec, s[0:1]
	s_cbranch_vccnz .LBB172_358
; %bb.357:
	v_lshl_add_u64 v[40:41], v[136:137], 3, v[74:75]
	global_load_dwordx2 v[40:41], v[40:41], off
	s_waitcnt vmcnt(0)
	v_mul_f64 v[40:41], s[22:23], v[40:41]
	v_cvt_f32_f64_e32 v40, v[40:41]
	s_branch .LBB172_359
.LBB172_358:
	v_mov_b32_e32 v40, 0
.LBB172_359:
	v_add_f64 v[38:39], v[38:39], v[14:15]
	v_add_f64 v[36:37], v[36:37], v[12:13]
	;; [unrolled: 1-line block ×4, first 2 shown]
	v_cvt_f32_f64_e32 v36, v[36:37]
	v_cvt_f32_f64_e32 v37, v[38:39]
	;; [unrolled: 1-line block ×4, first 2 shown]
	v_min3_f32 v36, v36, v37, v157
	v_min_f32_e32 v32, v32, v33
	v_min3_f32 v32, v40, v32, v36
	v_cvt_f64_f32_e32 v[32:33], v32
	v_lshl_add_u64 v[34:35], v[136:137], 3, v[72:73]
	global_store_dwordx2 v[34:35], v[32:33], off
	s_or_b64 exec, exec, s[2:3]
	s_and_b64 s[4:5], s[12:13], s[18:19]
	s_and_saveexec_b64 s[2:3], s[4:5]
	s_cbranch_execz .LBB172_337
.LBB172_360:
	s_and_b64 vcc, exec, s[0:1]
	s_cbranch_vccnz .LBB172_362
; %bb.361:
	v_lshl_add_u64 v[32:33], v[138:139], 3, v[74:75]
	global_load_dwordx2 v[32:33], v[32:33], off
	s_waitcnt vmcnt(0)
	v_mul_f64 v[32:33], s[22:23], v[32:33]
	v_cvt_f32_f64_e32 v32, v[32:33]
	s_branch .LBB172_363
.LBB172_362:
	v_mov_b32_e32 v32, 0
.LBB172_363:
	v_add_f64 v[30:31], v[30:31], v[14:15]
	v_add_f64 v[28:29], v[28:29], v[12:13]
	;; [unrolled: 1-line block ×4, first 2 shown]
	v_cvt_f32_f64_e32 v28, v[28:29]
	v_cvt_f32_f64_e32 v29, v[30:31]
	;; [unrolled: 1-line block ×4, first 2 shown]
	v_min3_f32 v28, v28, v29, v156
	v_min_f32_e32 v24, v24, v25
	v_min3_f32 v24, v32, v24, v28
	v_cvt_f64_f32_e32 v[24:25], v24
	v_lshl_add_u64 v[26:27], v[138:139], 3, v[72:73]
	global_store_dwordx2 v[26:27], v[24:25], off
	s_or_b64 exec, exec, s[2:3]
	s_and_b64 s[4:5], s[14:15], s[18:19]
	s_and_saveexec_b64 s[2:3], s[4:5]
	s_cbranch_execz .LBB172_338
.LBB172_364:
	s_and_b64 vcc, exec, s[0:1]
	s_cbranch_vccnz .LBB172_366
; %bb.365:
	v_lshl_add_u64 v[24:25], v[140:141], 3, v[74:75]
	global_load_dwordx2 v[24:25], v[24:25], off
	s_waitcnt vmcnt(0)
	v_mul_f64 v[24:25], s[22:23], v[24:25]
	v_cvt_f32_f64_e32 v24, v[24:25]
	s_branch .LBB172_367
.LBB172_366:
	v_mov_b32_e32 v24, 0
.LBB172_367:
	v_add_f64 v[22:23], v[22:23], v[14:15]
	v_add_f64 v[20:21], v[20:21], v[12:13]
	;; [unrolled: 1-line block ×4, first 2 shown]
	v_cvt_f32_f64_e32 v20, v[20:21]
	v_cvt_f32_f64_e32 v21, v[22:23]
	v_cvt_f32_f64_e32 v16, v[16:17]
	v_cvt_f32_f64_e32 v17, v[18:19]
	v_min3_f32 v20, v20, v21, v155
	v_min_f32_e32 v16, v16, v17
	v_min3_f32 v16, v24, v16, v20
	v_cvt_f64_f32_e32 v[16:17], v16
	v_lshl_add_u64 v[18:19], v[140:141], 3, v[72:73]
	global_store_dwordx2 v[18:19], v[16:17], off
	s_or_b64 exec, exec, s[2:3]
	s_and_b64 s[2:3], s[16:17], s[18:19]
	s_and_saveexec_b64 s[4:5], s[2:3]
	s_cbranch_execz .LBB172_339
.LBB172_368:
	s_and_b64 vcc, exec, s[0:1]
	s_cbranch_vccnz .LBB172_370
; %bb.369:
	v_lshl_add_u64 v[16:17], v[142:143], 3, v[74:75]
	global_load_dwordx2 v[16:17], v[16:17], off
	s_waitcnt vmcnt(0)
	v_mul_f64 v[16:17], s[22:23], v[16:17]
	v_cvt_f32_f64_e32 v16, v[16:17]
	s_branch .LBB172_371
.LBB172_370:
	v_mov_b32_e32 v16, 0
.LBB172_371:
	v_add_f64 v[6:7], v[6:7], v[14:15]
	v_add_f64 v[4:5], v[4:5], v[12:13]
	;; [unrolled: 1-line block ×4, first 2 shown]
	v_cvt_f32_f64_e32 v4, v[4:5]
	v_cvt_f32_f64_e32 v5, v[6:7]
	;; [unrolled: 1-line block ×4, first 2 shown]
	v_min3_f32 v4, v4, v5, v154
	v_min_f32_e32 v0, v0, v1
	v_min3_f32 v0, v16, v0, v4
	v_cvt_f64_f32_e32 v[0:1], v0
	v_lshl_add_u64 v[2:3], v[142:143], 3, v[72:73]
	global_store_dwordx2 v[2:3], v[0:1], off
	s_endpgm
	.section	.rodata,"a",@progbits
	.p2align	6, 0x0
	.amdhsa_kernel _ZN12_GLOBAL__N_120geam_min_plus_kernelId15HIP_vector_typeIdLj2EEdLi8ELi32ELi64ELi256ELi4ELi64ELi4ELi64ELi4ELc78ELc84ELb1ELb1ELb1EdKddEEviiiT16_PT17_ilS6_ilS4_S6_ilPT18_ili26rocblas_geam_ex_operation_
		.amdhsa_group_segment_fixed_size 20480
		.amdhsa_private_segment_fixed_size 0
		.amdhsa_kernarg_size 136
		.amdhsa_user_sgpr_count 2
		.amdhsa_user_sgpr_dispatch_ptr 0
		.amdhsa_user_sgpr_queue_ptr 0
		.amdhsa_user_sgpr_kernarg_segment_ptr 1
		.amdhsa_user_sgpr_dispatch_id 0
		.amdhsa_user_sgpr_kernarg_preload_length 0
		.amdhsa_user_sgpr_kernarg_preload_offset 0
		.amdhsa_user_sgpr_private_segment_size 0
		.amdhsa_uses_dynamic_stack 0
		.amdhsa_enable_private_segment 0
		.amdhsa_system_sgpr_workgroup_id_x 1
		.amdhsa_system_sgpr_workgroup_id_y 0
		.amdhsa_system_sgpr_workgroup_id_z 1
		.amdhsa_system_sgpr_workgroup_info 0
		.amdhsa_system_vgpr_workitem_id 1
		.amdhsa_next_free_vgpr 233
		.amdhsa_next_free_sgpr 40
		.amdhsa_accum_offset 236
		.amdhsa_reserve_vcc 1
		.amdhsa_float_round_mode_32 0
		.amdhsa_float_round_mode_16_64 0
		.amdhsa_float_denorm_mode_32 3
		.amdhsa_float_denorm_mode_16_64 3
		.amdhsa_dx10_clamp 1
		.amdhsa_ieee_mode 1
		.amdhsa_fp16_overflow 0
		.amdhsa_tg_split 0
		.amdhsa_exception_fp_ieee_invalid_op 0
		.amdhsa_exception_fp_denorm_src 0
		.amdhsa_exception_fp_ieee_div_zero 0
		.amdhsa_exception_fp_ieee_overflow 0
		.amdhsa_exception_fp_ieee_underflow 0
		.amdhsa_exception_fp_ieee_inexact 0
		.amdhsa_exception_int_div_zero 0
	.end_amdhsa_kernel
	.section	.text._ZN12_GLOBAL__N_120geam_min_plus_kernelId15HIP_vector_typeIdLj2EEdLi8ELi32ELi64ELi256ELi4ELi64ELi4ELi64ELi4ELc78ELc84ELb1ELb1ELb1EdKddEEviiiT16_PT17_ilS6_ilS4_S6_ilPT18_ili26rocblas_geam_ex_operation_,"axG",@progbits,_ZN12_GLOBAL__N_120geam_min_plus_kernelId15HIP_vector_typeIdLj2EEdLi8ELi32ELi64ELi256ELi4ELi64ELi4ELi64ELi4ELc78ELc84ELb1ELb1ELb1EdKddEEviiiT16_PT17_ilS6_ilS4_S6_ilPT18_ili26rocblas_geam_ex_operation_,comdat
.Lfunc_end172:
	.size	_ZN12_GLOBAL__N_120geam_min_plus_kernelId15HIP_vector_typeIdLj2EEdLi8ELi32ELi64ELi256ELi4ELi64ELi4ELi64ELi4ELc78ELc84ELb1ELb1ELb1EdKddEEviiiT16_PT17_ilS6_ilS4_S6_ilPT18_ili26rocblas_geam_ex_operation_, .Lfunc_end172-_ZN12_GLOBAL__N_120geam_min_plus_kernelId15HIP_vector_typeIdLj2EEdLi8ELi32ELi64ELi256ELi4ELi64ELi4ELi64ELi4ELc78ELc84ELb1ELb1ELb1EdKddEEviiiT16_PT17_ilS6_ilS4_S6_ilPT18_ili26rocblas_geam_ex_operation_
                                        ; -- End function
	.set _ZN12_GLOBAL__N_120geam_min_plus_kernelId15HIP_vector_typeIdLj2EEdLi8ELi32ELi64ELi256ELi4ELi64ELi4ELi64ELi4ELc78ELc84ELb1ELb1ELb1EdKddEEviiiT16_PT17_ilS6_ilS4_S6_ilPT18_ili26rocblas_geam_ex_operation_.num_vgpr, 233
	.set _ZN12_GLOBAL__N_120geam_min_plus_kernelId15HIP_vector_typeIdLj2EEdLi8ELi32ELi64ELi256ELi4ELi64ELi4ELi64ELi4ELc78ELc84ELb1ELb1ELb1EdKddEEviiiT16_PT17_ilS6_ilS4_S6_ilPT18_ili26rocblas_geam_ex_operation_.num_agpr, 0
	.set _ZN12_GLOBAL__N_120geam_min_plus_kernelId15HIP_vector_typeIdLj2EEdLi8ELi32ELi64ELi256ELi4ELi64ELi4ELi64ELi4ELc78ELc84ELb1ELb1ELb1EdKddEEviiiT16_PT17_ilS6_ilS4_S6_ilPT18_ili26rocblas_geam_ex_operation_.numbered_sgpr, 40
	.set _ZN12_GLOBAL__N_120geam_min_plus_kernelId15HIP_vector_typeIdLj2EEdLi8ELi32ELi64ELi256ELi4ELi64ELi4ELi64ELi4ELc78ELc84ELb1ELb1ELb1EdKddEEviiiT16_PT17_ilS6_ilS4_S6_ilPT18_ili26rocblas_geam_ex_operation_.num_named_barrier, 0
	.set _ZN12_GLOBAL__N_120geam_min_plus_kernelId15HIP_vector_typeIdLj2EEdLi8ELi32ELi64ELi256ELi4ELi64ELi4ELi64ELi4ELc78ELc84ELb1ELb1ELb1EdKddEEviiiT16_PT17_ilS6_ilS4_S6_ilPT18_ili26rocblas_geam_ex_operation_.private_seg_size, 0
	.set _ZN12_GLOBAL__N_120geam_min_plus_kernelId15HIP_vector_typeIdLj2EEdLi8ELi32ELi64ELi256ELi4ELi64ELi4ELi64ELi4ELc78ELc84ELb1ELb1ELb1EdKddEEviiiT16_PT17_ilS6_ilS4_S6_ilPT18_ili26rocblas_geam_ex_operation_.uses_vcc, 1
	.set _ZN12_GLOBAL__N_120geam_min_plus_kernelId15HIP_vector_typeIdLj2EEdLi8ELi32ELi64ELi256ELi4ELi64ELi4ELi64ELi4ELc78ELc84ELb1ELb1ELb1EdKddEEviiiT16_PT17_ilS6_ilS4_S6_ilPT18_ili26rocblas_geam_ex_operation_.uses_flat_scratch, 0
	.set _ZN12_GLOBAL__N_120geam_min_plus_kernelId15HIP_vector_typeIdLj2EEdLi8ELi32ELi64ELi256ELi4ELi64ELi4ELi64ELi4ELc78ELc84ELb1ELb1ELb1EdKddEEviiiT16_PT17_ilS6_ilS4_S6_ilPT18_ili26rocblas_geam_ex_operation_.has_dyn_sized_stack, 0
	.set _ZN12_GLOBAL__N_120geam_min_plus_kernelId15HIP_vector_typeIdLj2EEdLi8ELi32ELi64ELi256ELi4ELi64ELi4ELi64ELi4ELc78ELc84ELb1ELb1ELb1EdKddEEviiiT16_PT17_ilS6_ilS4_S6_ilPT18_ili26rocblas_geam_ex_operation_.has_recursion, 0
	.set _ZN12_GLOBAL__N_120geam_min_plus_kernelId15HIP_vector_typeIdLj2EEdLi8ELi32ELi64ELi256ELi4ELi64ELi4ELi64ELi4ELc78ELc84ELb1ELb1ELb1EdKddEEviiiT16_PT17_ilS6_ilS4_S6_ilPT18_ili26rocblas_geam_ex_operation_.has_indirect_call, 0
	.section	.AMDGPU.csdata,"",@progbits
; Kernel info:
; codeLenInByte = 26300
; TotalNumSgprs: 46
; NumVgprs: 233
; NumAgprs: 0
; TotalNumVgprs: 233
; ScratchSize: 0
; MemoryBound: 0
; FloatMode: 240
; IeeeMode: 1
; LDSByteSize: 20480 bytes/workgroup (compile time only)
; SGPRBlocks: 5
; VGPRBlocks: 29
; NumSGPRsForWavesPerEU: 46
; NumVGPRsForWavesPerEU: 233
; AccumOffset: 236
; Occupancy: 2
; WaveLimiterHint : 0
; COMPUTE_PGM_RSRC2:SCRATCH_EN: 0
; COMPUTE_PGM_RSRC2:USER_SGPR: 2
; COMPUTE_PGM_RSRC2:TRAP_HANDLER: 0
; COMPUTE_PGM_RSRC2:TGID_X_EN: 1
; COMPUTE_PGM_RSRC2:TGID_Y_EN: 0
; COMPUTE_PGM_RSRC2:TGID_Z_EN: 1
; COMPUTE_PGM_RSRC2:TIDIG_COMP_CNT: 1
; COMPUTE_PGM_RSRC3_GFX90A:ACCUM_OFFSET: 58
; COMPUTE_PGM_RSRC3_GFX90A:TG_SPLIT: 0
	.section	.text._ZN12_GLOBAL__N_120geam_min_plus_kernelId15HIP_vector_typeIdLj2EEdLi8ELi32ELi64ELi256ELi4ELi64ELi4ELi64ELi4ELc78ELc84ELb0ELb1ELb1EdKddEEviiiT16_PT17_ilS6_ilS4_S6_ilPT18_ili26rocblas_geam_ex_operation_,"axG",@progbits,_ZN12_GLOBAL__N_120geam_min_plus_kernelId15HIP_vector_typeIdLj2EEdLi8ELi32ELi64ELi256ELi4ELi64ELi4ELi64ELi4ELc78ELc84ELb0ELb1ELb1EdKddEEviiiT16_PT17_ilS6_ilS4_S6_ilPT18_ili26rocblas_geam_ex_operation_,comdat
	.globl	_ZN12_GLOBAL__N_120geam_min_plus_kernelId15HIP_vector_typeIdLj2EEdLi8ELi32ELi64ELi256ELi4ELi64ELi4ELi64ELi4ELc78ELc84ELb0ELb1ELb1EdKddEEviiiT16_PT17_ilS6_ilS4_S6_ilPT18_ili26rocblas_geam_ex_operation_ ; -- Begin function _ZN12_GLOBAL__N_120geam_min_plus_kernelId15HIP_vector_typeIdLj2EEdLi8ELi32ELi64ELi256ELi4ELi64ELi4ELi64ELi4ELc78ELc84ELb0ELb1ELb1EdKddEEviiiT16_PT17_ilS6_ilS4_S6_ilPT18_ili26rocblas_geam_ex_operation_
	.p2align	8
	.type	_ZN12_GLOBAL__N_120geam_min_plus_kernelId15HIP_vector_typeIdLj2EEdLi8ELi32ELi64ELi256ELi4ELi64ELi4ELi64ELi4ELc78ELc84ELb0ELb1ELb1EdKddEEviiiT16_PT17_ilS6_ilS4_S6_ilPT18_ili26rocblas_geam_ex_operation_,@function
_ZN12_GLOBAL__N_120geam_min_plus_kernelId15HIP_vector_typeIdLj2EEdLi8ELi32ELi64ELi256ELi4ELi64ELi4ELi64ELi4ELc78ELc84ELb0ELb1ELb1EdKddEEviiiT16_PT17_ilS6_ilS4_S6_ilPT18_ili26rocblas_geam_ex_operation_: ; @_ZN12_GLOBAL__N_120geam_min_plus_kernelId15HIP_vector_typeIdLj2EEdLi8ELi32ELi64ELi256ELi4ELi64ELi4ELi64ELi4ELc78ELc84ELb0ELb1ELb1EdKddEEviiiT16_PT17_ilS6_ilS4_S6_ilPT18_ili26rocblas_geam_ex_operation_
; %bb.0:
	s_load_dwordx4 s[28:31], s[0:1], 0x10
	s_load_dwordx4 s[4:7], s[0:1], 0x28
	s_mov_b64 s[36:37], 0
	s_waitcnt lgkmcnt(0)
	v_cmp_eq_f64_e64 s[8:9], s[28:29], 0
	s_and_b64 vcc, exec, s[8:9]
	s_cbranch_vccnz .LBB173_2
; %bb.1:
	s_mul_i32 s5, s5, s3
	s_mul_hi_u32 s10, s4, s3
	s_add_i32 s5, s10, s5
	s_mul_i32 s4, s4, s3
	s_lshl_b64 s[4:5], s[4:5], 3
	s_add_u32 s36, s30, s4
	s_addc_u32 s37, s31, s5
.LBB173_2:
	s_load_dwordx4 s[20:23], s[0:1], 0x40
	s_load_dwordx2 s[4:5], s[0:1], 0x50
	s_andn2_b64 vcc, exec, s[8:9]
	s_mov_b64 s[8:9], -1
	s_cbranch_vccnz .LBB173_4
; %bb.3:
	s_mov_b64 s[8:9], 0
.LBB173_4:
	s_mov_b64 s[30:31], 0
	s_andn2_b64 vcc, exec, s[8:9]
	s_mov_b64 s[34:35], 0
	s_cbranch_vccnz .LBB173_6
; %bb.5:
	s_waitcnt lgkmcnt(0)
	s_mul_i32 s8, s21, s3
	s_mul_hi_u32 s9, s20, s3
	s_add_i32 s9, s9, s8
	s_mul_i32 s8, s20, s3
	s_lshl_b64 s[8:9], s[8:9], 3
	s_add_u32 s34, s6, s8
	s_addc_u32 s35, s7, s9
.LBB173_6:
	s_load_dwordx4 s[16:19], s[0:1], 0x60
	s_waitcnt lgkmcnt(0)
	v_cmp_eq_f64_e64 s[6:7], s[22:23], 0
	v_cmp_neq_f64_e64 s[20:21], s[22:23], 0
	s_and_b64 vcc, exec, s[6:7]
	s_cbranch_vccnz .LBB173_8
; %bb.7:
	s_mul_i32 s6, s17, s3
	s_mul_hi_u32 s7, s16, s3
	s_add_i32 s7, s7, s6
	s_mul_i32 s6, s16, s3
	s_lshl_b64 s[6:7], s[6:7], 3
	s_add_u32 s30, s4, s6
	s_addc_u32 s31, s5, s7
.LBB173_8:
	s_load_dwordx4 s[24:27], s[0:1], 0x0
	s_load_dword s38, s[0:1], 0x20
	v_and_b32_e32 v150, 0x3ff, v0
	v_bfe_u32 v151, v0, 10, 10
	v_cmp_eq_f64_e64 s[16:17], s[28:29], 0
	s_waitcnt lgkmcnt(0)
	s_add_i32 s4, s24, -1
	s_ashr_i32 s5, s4, 31
	s_lshr_b32 s5, s5, 26
	s_add_i32 s4, s4, s5
	s_ashr_i32 s4, s4, 6
	s_add_i32 s5, s4, 1
	v_cvt_f32_u32_e32 v1, s5
	s_not_b32 s4, s4
	s_ashr_i32 s39, s38, 31
                                        ; implicit-def: $sgpr9
	v_rcp_iflag_f32_e32 v0, v1
	v_lshl_add_u32 v1, v151, 3, v150
	v_and_b32_e32 v12, 63, v1
	v_lshrrev_b32_e32 v158, 6, v1
	v_mul_f32_e32 v0, 0x4f7ffffe, v0
	v_cvt_u32_f32_e32 v0, v0
	v_cmp_le_i32_e64 s[10:11], s26, v158
	v_readfirstlane_b32 s6, v0
	s_mul_i32 s4, s4, s6
	s_mul_hi_u32 s4, s6, s4
	s_add_i32 s6, s6, s4
	s_mul_hi_u32 s4, s2, s6
	s_mul_i32 s6, s4, s5
	s_sub_i32 s6, s2, s6
	s_add_i32 s7, s4, 1
	s_sub_i32 s8, s6, s5
	s_cmp_ge_u32 s6, s5
	s_cselect_b32 s4, s7, s4
	s_cselect_b32 s6, s8, s6
	s_add_i32 s7, s4, 1
	s_cmp_ge_u32 s6, s5
	s_cselect_b32 s8, s7, s4
	s_mul_i32 s4, s8, s5
	s_sub_i32 s2, s2, s4
	s_lshl_b32 s2, s2, 6
	v_or_b32_e32 v100, s2, v12
	v_cmp_le_i32_e32 vcc, s24, v100
	s_or_b64 s[4:5], vcc, s[10:11]
	s_nor_b64 s[6:7], s[16:17], s[4:5]
	v_ashrrev_i32_e32 v101, 31, v100
                                        ; implicit-def: $vgpr0_vgpr1
	s_and_saveexec_b64 s[12:13], s[6:7]
	s_xor_b64 s[6:7], exec, s[12:13]
	s_cbranch_execz .LBB173_10
; %bb.9:
	s_add_i32 s9, s26, -1
	v_min_u32_e32 v0, s9, v158
	v_mad_i64_i32 v[0:1], s[12:13], s38, v0, 0
	v_lshl_add_u64 v[0:1], v[0:1], 3, s[36:37]
	v_lshl_add_u64 v[0:1], v[100:101], 3, v[0:1]
	global_load_dwordx2 v[0:1], v[0:1], off
	s_waitcnt vmcnt(0)
	v_mul_f64 v[0:1], s[28:29], v[0:1]
.LBB173_10:
	s_or_saveexec_b64 s[6:7], s[6:7]
	v_mov_b32_e32 v2, s9
	s_xor_b64 exec, exec, s[6:7]
; %bb.11:
	v_mov_b32_e32 v0, 0x7fefffff
	v_cndmask_b32_e64 v1, 0, v0, s[4:5]
	v_cndmask_b32_e64 v0, 0, -1, s[4:5]
	s_add_i32 s4, s26, -1
	v_mov_b32_e32 v2, s4
; %bb.12:
	s_or_b64 exec, exec, s[6:7]
	s_load_dword s27, s[0:1], 0x38
	s_lshl_b32 s33, s8, 8
	v_min_i32_e32 v2, v158, v2
	v_or_b32_e32 v128, s33, v12
	v_cmp_le_i32_e64 s[14:15], s25, v128
	s_waitcnt lgkmcnt(0)
	v_mad_i64_i32 v[2:3], s[4:5], v2, s27, 0
	v_mov_b32_e32 v4, 0x7fefffff
	s_or_b64 s[4:5], s[14:15], s[10:11]
	v_lshl_add_u64 v[10:11], v[2:3], 3, s[34:35]
	v_cndmask_b32_e64 v3, 0, v4, s[4:5]
	s_nor_b64 s[6:7], s[16:17], s[4:5]
	v_cndmask_b32_e64 v2, 0, -1, s[4:5]
	v_ashrrev_i32_e32 v129, 31, v128
	s_and_saveexec_b64 s[4:5], s[6:7]
	s_cbranch_execz .LBB173_14
; %bb.13:
	v_lshl_add_u64 v[2:3], v[128:129], 3, v[10:11]
	global_load_dwordx2 v[2:3], v[2:3], off
	s_waitcnt vmcnt(0)
	v_mul_f64 v[2:3], s[28:29], v[2:3]
.LBB173_14:
	s_or_b64 exec, exec, s[4:5]
	v_or_b32_e32 v5, 64, v128
	v_cmp_le_i32_e64 s[4:5], s25, v5
	s_or_b64 s[6:7], s[4:5], s[10:11]
	v_cndmask_b32_e64 v5, 0, v4, s[6:7]
	s_nor_b64 s[8:9], s[16:17], s[6:7]
	v_cndmask_b32_e64 v4, 0, -1, s[6:7]
	s_and_saveexec_b64 s[6:7], s[8:9]
	s_cbranch_execz .LBB173_16
; %bb.15:
	v_lshl_add_u64 v[4:5], v[128:129], 3, v[10:11]
	global_load_dwordx2 v[4:5], v[4:5], off offset:512
	s_waitcnt vmcnt(0)
	v_mul_f64 v[4:5], s[28:29], v[4:5]
.LBB173_16:
	s_or_b64 exec, exec, s[6:7]
	v_or_b32_e32 v6, 0x80, v128
	v_cmp_le_i32_e64 s[6:7], s25, v6
	v_mov_b32_e32 v8, 0x7fefffff
	s_or_b64 s[8:9], s[6:7], s[10:11]
	v_cndmask_b32_e64 v7, 0, v8, s[8:9]
	s_nor_b64 s[12:13], s[16:17], s[8:9]
	v_cndmask_b32_e64 v6, 0, -1, s[8:9]
	s_and_saveexec_b64 s[8:9], s[12:13]
	s_cbranch_execz .LBB173_18
; %bb.17:
	v_lshl_add_u64 v[6:7], v[128:129], 3, v[10:11]
	global_load_dwordx2 v[6:7], v[6:7], off offset:1024
	s_waitcnt vmcnt(0)
	v_mul_f64 v[6:7], s[28:29], v[6:7]
.LBB173_18:
	s_or_b64 exec, exec, s[8:9]
	v_or_b32_e32 v9, 0xc0, v128
	v_cmp_le_i32_e64 s[8:9], s25, v9
	s_or_b64 s[10:11], s[8:9], s[10:11]
	v_cndmask_b32_e64 v9, 0, v8, s[10:11]
	s_nor_b64 s[12:13], s[16:17], s[10:11]
	v_cndmask_b32_e64 v8, 0, -1, s[10:11]
	s_and_saveexec_b64 s[10:11], s[12:13]
	s_cbranch_execz .LBB173_20
; %bb.19:
	v_lshl_add_u64 v[8:9], v[128:129], 3, v[10:11]
	global_load_dwordx2 v[8:9], v[8:9], off offset:1536
	s_waitcnt vmcnt(0)
	v_mul_f64 v[8:9], s[28:29], v[8:9]
.LBB173_20:
	s_or_b64 exec, exec, s[10:11]
	v_add_u32_e32 v10, 4, v158
	v_cmp_le_i32_e64 s[10:11], s26, v10
	s_or_b64 s[12:13], vcc, s[10:11]
	s_nor_b64 s[40:41], s[16:17], s[12:13]
                                        ; implicit-def: $vgpr102_vgpr103
                                        ; implicit-def: $sgpr42
	s_and_saveexec_b64 s[44:45], s[40:41]
	s_xor_b64 s[40:41], exec, s[44:45]
	s_cbranch_execz .LBB173_22
; %bb.21:
	s_add_i32 s42, s26, -1
	v_min_u32_e32 v11, s42, v10
	v_mad_u64_u32 v[14:15], s[44:45], s38, v11, 0
	v_mov_b32_e32 v16, v15
	v_mad_u64_u32 v[16:17], s[44:45], s39, v11, v[16:17]
	v_mov_b32_e32 v15, v16
	v_lshl_add_u64 v[14:15], v[14:15], 3, s[36:37]
	v_lshl_add_u64 v[14:15], v[100:101], 3, v[14:15]
	global_load_dwordx2 v[14:15], v[14:15], off
	s_waitcnt vmcnt(0)
	v_mul_f64 v[102:103], s[28:29], v[14:15]
.LBB173_22:
	s_or_saveexec_b64 s[40:41], s[40:41]
	v_mov_b32_e32 v11, s42
	s_xor_b64 exec, exec, s[40:41]
; %bb.23:
	v_mov_b32_e32 v11, 0x7fefffff
	v_cndmask_b32_e64 v103, 0, v11, s[12:13]
	v_cndmask_b32_e64 v102, 0, -1, s[12:13]
	s_add_i32 s12, s26, -1
	v_mov_b32_e32 v11, s12
; %bb.24:
	s_or_b64 exec, exec, s[40:41]
	v_min_i32_e32 v10, v10, v11
	v_mad_i64_i32 v[10:11], s[12:13], v10, s27, 0
	v_mov_b32_e32 v13, 0x7fefffff
	s_or_b64 s[12:13], s[14:15], s[10:11]
	v_lshl_add_u64 v[10:11], v[10:11], 3, s[34:35]
	v_cndmask_b32_e64 v105, 0, v13, s[12:13]
	s_nor_b64 s[40:41], s[16:17], s[12:13]
	v_cndmask_b32_e64 v104, 0, -1, s[12:13]
	s_and_saveexec_b64 s[12:13], s[40:41]
	s_cbranch_execz .LBB173_26
; %bb.25:
	v_lshl_add_u64 v[14:15], v[128:129], 3, v[10:11]
	global_load_dwordx2 v[14:15], v[14:15], off
	s_waitcnt vmcnt(0)
	v_mul_f64 v[104:105], s[28:29], v[14:15]
.LBB173_26:
	s_or_b64 exec, exec, s[12:13]
	s_or_b64 s[12:13], s[4:5], s[10:11]
	v_cndmask_b32_e64 v107, 0, v13, s[12:13]
	s_nor_b64 s[40:41], s[16:17], s[12:13]
	v_cndmask_b32_e64 v106, 0, -1, s[12:13]
	s_and_saveexec_b64 s[12:13], s[40:41]
	s_cbranch_execz .LBB173_28
; %bb.27:
	v_lshl_add_u64 v[14:15], v[128:129], 3, v[10:11]
	global_load_dwordx2 v[14:15], v[14:15], off offset:512
	s_waitcnt vmcnt(0)
	v_mul_f64 v[106:107], s[28:29], v[14:15]
.LBB173_28:
	s_or_b64 exec, exec, s[12:13]
	v_mov_b32_e32 v13, 0x7fefffff
	s_or_b64 s[12:13], s[6:7], s[10:11]
	v_cndmask_b32_e64 v109, 0, v13, s[12:13]
	s_nor_b64 s[40:41], s[16:17], s[12:13]
	v_cndmask_b32_e64 v108, 0, -1, s[12:13]
	s_and_saveexec_b64 s[12:13], s[40:41]
	s_cbranch_execz .LBB173_30
; %bb.29:
	v_lshl_add_u64 v[14:15], v[128:129], 3, v[10:11]
	global_load_dwordx2 v[14:15], v[14:15], off offset:1024
	s_waitcnt vmcnt(0)
	v_mul_f64 v[108:109], s[28:29], v[14:15]
.LBB173_30:
	s_or_b64 exec, exec, s[12:13]
	s_or_b64 s[10:11], s[8:9], s[10:11]
	v_cndmask_b32_e64 v111, 0, v13, s[10:11]
	s_nor_b64 s[12:13], s[16:17], s[10:11]
	v_cndmask_b32_e64 v110, 0, -1, s[10:11]
	s_and_saveexec_b64 s[10:11], s[12:13]
	s_cbranch_execz .LBB173_32
; %bb.31:
	v_lshl_add_u64 v[10:11], v[128:129], 3, v[10:11]
	global_load_dwordx2 v[10:11], v[10:11], off offset:1536
	s_waitcnt vmcnt(0)
	v_mul_f64 v[110:111], s[28:29], v[10:11]
.LBB173_32:
	s_or_b64 exec, exec, s[10:11]
	v_lshlrev_b32_e32 v10, 5, v12
	v_lshl_add_u32 v168, v158, 3, v10
	v_lshlrev_b32_e32 v162, 5, v150
	ds_write_b64 v168, v[0:1] offset:16384
	ds_write2st64_b64 v168, v[2:3], v[4:5] offset1:4
	ds_write2st64_b64 v168, v[6:7], v[8:9] offset0:8 offset1:12
	s_waitcnt lgkmcnt(0)
	s_barrier
	v_lshlrev_b32_e32 v161, 5, v151
	ds_read_b128 v[32:35], v162 offset:16640
	ds_read_b128 v[28:31], v162 offset:16896
	;; [unrolled: 1-line block ×13, first 2 shown]
	ds_read_b128 v[96:99], v161
	ds_read_b128 v[44:47], v161 offset:6144
	ds_read_b128 v[36:39], v161 offset:7168
	;; [unrolled: 1-line block ×4, first 2 shown]
	s_waitcnt lgkmcnt(5)
	v_add_f64 v[114:115], v[42:43], v[94:95]
	v_add_f64 v[116:117], v[40:41], v[92:93]
	s_mov_b32 s10, 0x7f800000
	v_cvt_f32_f64_e32 v113, v[116:117]
	v_cvt_f32_f64_e32 v114, v[114:115]
	v_min3_f32 v178, v113, v114, s10
	v_add_f64 v[114:115], v[34:35], v[94:95]
	v_add_f64 v[116:117], v[32:33], v[92:93]
	v_cvt_f32_f64_e32 v113, v[116:117]
	v_cvt_f32_f64_e32 v114, v[114:115]
	v_min3_f32 v179, v113, v114, s10
	v_add_f64 v[114:115], v[30:31], v[94:95]
	v_add_f64 v[116:117], v[28:29], v[92:93]
	;; [unrolled: 5-line block ×34, first 2 shown]
	v_cvt_f32_f64_e32 v113, v[116:117]
	v_cvt_f32_f64_e32 v114, v[114:115]
	v_min3_f32 v119, v113, v114, s10
	s_waitcnt lgkmcnt(3)
	v_add_f64 v[114:115], v[42:43], v[46:47]
	v_add_f64 v[166:167], v[40:41], v[44:45]
	v_cvt_f32_f64_e32 v113, v[166:167]
	v_cvt_f32_f64_e32 v114, v[114:115]
	v_min3_f32 v125, v113, v114, s10
	v_add_f64 v[114:115], v[34:35], v[46:47]
	v_add_f64 v[166:167], v[32:33], v[44:45]
	v_cvt_f32_f64_e32 v113, v[166:167]
	v_cvt_f32_f64_e32 v114, v[114:115]
	v_min3_f32 v122, v113, v114, s10
	v_add_f64 v[114:115], v[30:31], v[46:47]
	v_add_f64 v[166:167], v[28:29], v[44:45]
	v_cvt_f32_f64_e32 v113, v[166:167]
	v_cvt_f32_f64_e32 v114, v[114:115]
	v_add_f64 v[56:57], v[42:43], v[98:99]
	v_add_f64 v[58:59], v[40:41], v[96:97]
	v_min3_f32 v120, v113, v114, s10
	v_add_f64 v[114:115], v[26:27], v[46:47]
	v_add_f64 v[166:167], v[24:25], v[44:45]
	v_cvt_f32_f64_e32 v58, v[58:59]
	v_cvt_f32_f64_e32 v56, v[56:57]
	;; [unrolled: 1-line block ×4, first 2 shown]
	v_min3_f32 v112, v58, v56, s10
	ds_read_b128 v[56:59], v162 offset:16656
	v_add_f64 v[60:61], v[34:35], v[98:99]
	v_add_f64 v[62:63], v[32:33], v[96:97]
	v_min3_f32 v118, v113, v114, s10
	v_add_f64 v[114:115], v[22:23], v[46:47]
	v_add_f64 v[166:167], v[20:21], v[44:45]
	v_cvt_f32_f64_e32 v62, v[62:63]
	v_cvt_f32_f64_e32 v60, v[60:61]
	;; [unrolled: 1-line block ×4, first 2 shown]
	v_add_f64 v[166:167], v[16:17], v[44:45]
	v_min3_f32 v169, v62, v60, s10
	ds_read_b128 v[60:63], v162 offset:16912
	v_add_f64 v[64:65], v[30:31], v[98:99]
	v_add_f64 v[66:67], v[28:29], v[96:97]
	;; [unrolled: 1-line block ×22, first 2 shown]
	v_min3_f32 v116, v113, v114, s10
	v_add_f64 v[114:115], v[18:19], v[46:47]
	v_cvt_f32_f64_e32 v113, v[166:167]
	v_add_f64 v[166:167], v[14:15], v[46:47]
	v_add_f64 v[170:171], v[12:13], v[44:45]
	v_add_f64 v[46:47], v[10:11], v[46:47]
	v_add_f64 v[44:45], v[8:9], v[44:45]
	s_waitcnt lgkmcnt(4)
	v_add_f64 v[14:15], v[14:15], v[38:39]
	v_add_f64 v[12:13], v[12:13], v[36:37]
	;; [unrolled: 1-line block ×4, first 2 shown]
	v_cvt_f32_f64_e32 v66, v[66:67]
	v_cvt_f32_f64_e32 v64, v[64:65]
	;; [unrolled: 1-line block ×7, first 2 shown]
	s_waitcnt lgkmcnt(2)
	v_add_f64 v[10:11], v[2:3], v[6:7]
	v_add_f64 v[14:15], v[0:1], v[4:5]
	v_min3_f32 v172, v66, v64, s10
	ds_read_b128 v[64:67], v162 offset:17168
	v_min3_f32 v115, v113, v114, s10
	v_cvt_f32_f64_e32 v113, v[170:171]
	v_cvt_f32_f64_e32 v114, v[166:167]
	;; [unrolled: 1-line block ×4, first 2 shown]
	v_min3_f32 v8, v8, v9, s10
	v_cvt_f32_f64_e32 v9, v[14:15]
	v_cvt_f32_f64_e32 v10, v[10:11]
	;; [unrolled: 1-line block ×4, first 2 shown]
	v_min3_f32 v114, v113, v114, s10
	v_min3_f32 v113, v44, v45, s10
	ds_read_b128 v[44:47], v161 offset:7184
	v_min3_f32 v224, v9, v10, v112
	s_waitcnt lgkmcnt(3)
	v_add_f64 v[10:11], v[58:59], v[6:7]
	v_add_f64 v[14:15], v[56:57], v[4:5]
	v_min3_f32 v173, v70, v68, s10
	ds_read_b128 v[68:71], v162 offset:17424
	v_cvt_f32_f64_e32 v9, v[14:15]
	v_cvt_f32_f64_e32 v10, v[10:11]
	;; [unrolled: 1-line block ×4, first 2 shown]
	v_min3_f32 v223, v9, v10, v169
	s_waitcnt lgkmcnt(3)
	v_add_f64 v[10:11], v[62:63], v[6:7]
	v_add_f64 v[14:15], v[60:61], v[4:5]
	v_min3_f32 v174, v74, v72, s10
	ds_read_b128 v[72:75], v162 offset:17680
	v_cvt_f32_f64_e32 v9, v[14:15]
	v_cvt_f32_f64_e32 v10, v[10:11]
	;; [unrolled: 1-line block ×6, first 2 shown]
	v_min3_f32 v222, v9, v10, v172
	s_waitcnt lgkmcnt(3)
	v_add_f64 v[10:11], v[66:67], v[6:7]
	v_add_f64 v[14:15], v[64:65], v[4:5]
	v_min3_f32 v175, v78, v76, s10
	ds_read_b128 v[76:79], v162 offset:17936
	v_min3_f32 v176, v82, v80, s10
	ds_read_b128 v[80:83], v162 offset:18192
	v_cvt_f32_f64_e32 v9, v[14:15]
	v_cvt_f32_f64_e32 v10, v[10:11]
	;; [unrolled: 1-line block ×4, first 2 shown]
	v_min3_f32 v221, v9, v10, v173
	s_waitcnt lgkmcnt(3)
	v_add_f64 v[10:11], v[70:71], v[6:7]
	v_add_f64 v[14:15], v[68:69], v[4:5]
	v_min3_f32 v177, v96, v97, s10
	ds_read_b128 v[96:99], v161 offset:1040
	v_cvt_f32_f64_e32 v9, v[14:15]
	v_cvt_f32_f64_e32 v10, v[10:11]
	v_min3_f32 v219, v9, v10, v174
	s_waitcnt lgkmcnt(3)
	v_add_f64 v[10:11], v[74:75], v[6:7]
	v_add_f64 v[14:15], v[72:73], v[4:5]
	v_cvt_f32_f64_e32 v9, v[14:15]
	v_cvt_f32_f64_e32 v10, v[10:11]
	v_min3_f32 v212, v9, v10, v175
	s_waitcnt lgkmcnt(2)
	v_add_f64 v[10:11], v[78:79], v[6:7]
	v_add_f64 v[14:15], v[76:77], v[4:5]
	s_waitcnt lgkmcnt(1)
	v_add_f64 v[6:7], v[82:83], v[6:7]
	v_add_f64 v[4:5], v[80:81], v[4:5]
	v_cvt_f32_f64_e32 v92, v[92:93]
	v_cvt_f32_f64_e32 v93, v[94:95]
	;; [unrolled: 1-line block ×4, first 2 shown]
	v_min3_f32 v152, v92, v93, s10
	ds_read_b128 v[92:95], v161 offset:2064
	v_min3_f32 v210, v4, v5, v177
	s_waitcnt lgkmcnt(1)
	v_add_f64 v[4:5], v[2:3], v[98:99]
	v_add_f64 v[6:7], v[0:1], v[96:97]
	v_cvt_f32_f64_e32 v6, v[6:7]
	v_cvt_f32_f64_e32 v4, v[4:5]
	v_min3_f32 v209, v6, v4, v178
	v_add_f64 v[4:5], v[58:59], v[98:99]
	v_add_f64 v[6:7], v[56:57], v[96:97]
	v_cvt_f32_f64_e32 v6, v[6:7]
	v_cvt_f32_f64_e32 v4, v[4:5]
	v_min3_f32 v208, v6, v4, v179
	;; [unrolled: 5-line block ×8, first 2 shown]
	s_waitcnt lgkmcnt(0)
	v_add_f64 v[4:5], v[2:3], v[94:95]
	v_add_f64 v[6:7], v[0:1], v[92:93]
	v_cvt_f32_f64_e32 v6, v[6:7]
	v_cvt_f32_f64_e32 v4, v[4:5]
	v_min3_f32 v201, v6, v4, v163
	v_add_f64 v[4:5], v[58:59], v[94:95]
	v_add_f64 v[6:7], v[56:57], v[92:93]
	v_cvt_f32_f64_e32 v6, v[6:7]
	v_cvt_f32_f64_e32 v4, v[4:5]
	v_min3_f32 v200, v6, v4, v159
	;; [unrolled: 5-line block ×4, first 2 shown]
	v_add_f64 v[4:5], v[70:71], v[94:95]
	v_add_f64 v[6:7], v[68:69], v[92:93]
	v_cvt_f32_f64_e32 v6, v[6:7]
	v_cvt_f32_f64_e32 v4, v[4:5]
	;; [unrolled: 1-line block ×4, first 2 shown]
	v_min3_f32 v197, v6, v4, v149
	v_add_f64 v[4:5], v[74:75], v[94:95]
	v_add_f64 v[6:7], v[72:73], v[92:93]
	v_min3_f32 v142, v88, v89, s10
	ds_read_b128 v[88:91], v161 offset:3088
	v_cvt_f32_f64_e32 v6, v[6:7]
	v_cvt_f32_f64_e32 v4, v[4:5]
	v_min3_f32 v196, v6, v4, v147
	v_add_f64 v[4:5], v[78:79], v[94:95]
	v_add_f64 v[6:7], v[76:77], v[92:93]
	v_cvt_f32_f64_e32 v6, v[6:7]
	v_cvt_f32_f64_e32 v4, v[4:5]
	v_min3_f32 v195, v6, v4, v145
	v_add_f64 v[4:5], v[82:83], v[94:95]
	v_add_f64 v[6:7], v[80:81], v[92:93]
	v_cvt_f32_f64_e32 v84, v[84:85]
	v_cvt_f32_f64_e32 v85, v[86:87]
	;; [unrolled: 1-line block ×4, first 2 shown]
	v_min3_f32 v134, v84, v85, s10
	ds_read_b128 v[84:87], v161 offset:4112
	v_min3_f32 v194, v6, v4, v142
	s_waitcnt lgkmcnt(1)
	v_add_f64 v[4:5], v[2:3], v[90:91]
	v_add_f64 v[6:7], v[0:1], v[88:89]
	v_cvt_f32_f64_e32 v6, v[6:7]
	v_cvt_f32_f64_e32 v4, v[4:5]
	v_min3_f32 v193, v6, v4, v153
	v_add_f64 v[4:5], v[58:59], v[90:91]
	v_add_f64 v[6:7], v[56:57], v[88:89]
	v_cvt_f32_f64_e32 v6, v[6:7]
	v_cvt_f32_f64_e32 v4, v[4:5]
	v_min3_f32 v192, v6, v4, v148
	;; [unrolled: 5-line block ×8, first 2 shown]
	s_waitcnt lgkmcnt(0)
	v_add_f64 v[4:5], v[2:3], v[86:87]
	v_add_f64 v[6:7], v[0:1], v[84:85]
	v_cvt_f32_f64_e32 v6, v[6:7]
	v_cvt_f32_f64_e32 v4, v[4:5]
	v_min3_f32 v185, v6, v4, v143
	v_add_f64 v[4:5], v[58:59], v[86:87]
	v_add_f64 v[6:7], v[56:57], v[84:85]
	v_cvt_f32_f64_e32 v6, v[6:7]
	v_cvt_f32_f64_e32 v4, v[4:5]
	v_min3_f32 v184, v6, v4, v140
	;; [unrolled: 5-line block ×4, first 2 shown]
	v_add_f64 v[4:5], v[70:71], v[86:87]
	v_add_f64 v[6:7], v[68:69], v[84:85]
	v_cvt_f32_f64_e32 v6, v[6:7]
	v_cvt_f32_f64_e32 v4, v[4:5]
	v_cvt_f32_f64_e32 v52, v[52:53]
	v_cvt_f32_f64_e32 v53, v[54:55]
	v_min3_f32 v181, v6, v4, v133
	v_add_f64 v[4:5], v[74:75], v[86:87]
	v_add_f64 v[6:7], v[72:73], v[84:85]
	v_min3_f32 v124, v52, v53, s10
	ds_read_b128 v[52:55], v161 offset:5136
	v_cvt_f32_f64_e32 v6, v[6:7]
	v_cvt_f32_f64_e32 v4, v[4:5]
	v_min3_f32 v180, v6, v4, v131
	v_add_f64 v[4:5], v[78:79], v[86:87]
	v_add_f64 v[6:7], v[76:77], v[84:85]
	v_cvt_f32_f64_e32 v6, v[6:7]
	v_cvt_f32_f64_e32 v4, v[4:5]
	v_min3_f32 v179, v6, v4, v127
	v_add_f64 v[4:5], v[82:83], v[86:87]
	v_add_f64 v[6:7], v[80:81], v[84:85]
	v_cvt_f32_f64_e32 v48, v[48:49]
	v_cvt_f32_f64_e32 v49, v[50:51]
	;; [unrolled: 1-line block ×4, first 2 shown]
	v_min3_f32 v117, v48, v49, s10
	ds_read_b128 v[48:51], v161 offset:6160
	v_min3_f32 v178, v6, v4, v124
	s_waitcnt lgkmcnt(1)
	v_add_f64 v[4:5], v[2:3], v[54:55]
	v_add_f64 v[6:7], v[0:1], v[52:53]
	v_cvt_f32_f64_e32 v6, v[6:7]
	v_cvt_f32_f64_e32 v4, v[4:5]
	v_min3_f32 v177, v6, v4, v135
	v_add_f64 v[4:5], v[58:59], v[54:55]
	v_add_f64 v[6:7], v[56:57], v[52:53]
	v_cvt_f32_f64_e32 v9, v[14:15]
	v_cvt_f32_f64_e32 v10, v[10:11]
	;; [unrolled: 1-line block ×4, first 2 shown]
	v_min3_f32 v211, v9, v10, v176
	v_min3_f32 v176, v6, v4, v132
	v_add_f64 v[4:5], v[62:63], v[54:55]
	v_add_f64 v[6:7], v[60:61], v[52:53]
	v_cvt_f32_f64_e32 v6, v[6:7]
	v_cvt_f32_f64_e32 v4, v[4:5]
	v_min3_f32 v175, v6, v4, v130
	v_add_f64 v[4:5], v[66:67], v[54:55]
	v_add_f64 v[6:7], v[64:65], v[52:53]
	v_cvt_f32_f64_e32 v6, v[6:7]
	v_cvt_f32_f64_e32 v4, v[4:5]
	v_min3_f32 v174, v6, v4, v126
	v_add_f64 v[4:5], v[70:71], v[54:55]
	v_add_f64 v[6:7], v[68:69], v[52:53]
	v_cvt_f32_f64_e32 v6, v[6:7]
	v_cvt_f32_f64_e32 v4, v[4:5]
	v_min3_f32 v173, v6, v4, v123
	v_add_f64 v[4:5], v[74:75], v[54:55]
	v_add_f64 v[6:7], v[72:73], v[52:53]
	v_cvt_f32_f64_e32 v6, v[6:7]
	v_cvt_f32_f64_e32 v4, v[4:5]
	v_min3_f32 v172, v6, v4, v121
	v_add_f64 v[4:5], v[78:79], v[54:55]
	v_add_f64 v[6:7], v[76:77], v[52:53]
	v_cvt_f32_f64_e32 v6, v[6:7]
	v_cvt_f32_f64_e32 v4, v[4:5]
	v_min3_f32 v171, v6, v4, v119
	v_add_f64 v[4:5], v[82:83], v[54:55]
	v_add_f64 v[6:7], v[80:81], v[52:53]
	;; [unrolled: 1-line block ×4, first 2 shown]
	v_cvt_f32_f64_e32 v6, v[6:7]
	v_cvt_f32_f64_e32 v4, v[4:5]
	;; [unrolled: 1-line block ×4, first 2 shown]
	v_min3_f32 v170, v6, v4, v117
	s_waitcnt lgkmcnt(0)
	v_add_f64 v[4:5], v[2:3], v[50:51]
	v_add_f64 v[6:7], v[0:1], v[48:49]
	;; [unrolled: 1-line block ×4, first 2 shown]
	v_min3_f32 v40, v40, v41, s10
	v_add_f64 v[34:35], v[34:35], v[38:39]
	v_add_f64 v[32:33], v[32:33], v[36:37]
	v_cvt_f32_f64_e32 v6, v[6:7]
	v_cvt_f32_f64_e32 v4, v[4:5]
	v_cvt_f32_f64_e32 v0, v[0:1]
	v_cvt_f32_f64_e32 v1, v[2:3]
	v_cvt_f32_f64_e32 v32, v[32:33]
	v_cvt_f32_f64_e32 v33, v[34:35]
	v_min3_f32 v169, v6, v4, v125
	v_add_f64 v[4:5], v[58:59], v[50:51]
	v_add_f64 v[6:7], v[56:57], v[48:49]
	v_min3_f32 v157, v0, v1, v40
	v_add_f64 v[0:1], v[58:59], v[46:47]
	v_add_f64 v[2:3], v[56:57], v[44:45]
	v_min3_f32 v32, v32, v33, s10
	v_add_f64 v[30:31], v[30:31], v[38:39]
	v_add_f64 v[28:29], v[28:29], v[36:37]
	v_cvt_f32_f64_e32 v6, v[6:7]
	v_cvt_f32_f64_e32 v4, v[4:5]
	v_cvt_f32_f64_e32 v2, v[2:3]
	v_cvt_f32_f64_e32 v0, v[0:1]
	v_cvt_f32_f64_e32 v28, v[28:29]
	v_cvt_f32_f64_e32 v29, v[30:31]
	v_min3_f32 v167, v6, v4, v122
	v_add_f64 v[4:5], v[62:63], v[50:51]
	v_add_f64 v[6:7], v[60:61], v[48:49]
	v_min3_f32 v156, v2, v0, v32
	v_add_f64 v[0:1], v[62:63], v[46:47]
	v_add_f64 v[2:3], v[60:61], v[44:45]
	;; [unrolled: 15-line block ×5, first 2 shown]
	v_min3_f32 v16, v16, v17, s10
	v_cvt_f32_f64_e32 v6, v[6:7]
	v_cvt_f32_f64_e32 v4, v[4:5]
	;; [unrolled: 1-line block ×4, first 2 shown]
	v_min3_f32 v163, v6, v4, v115
	v_add_f64 v[4:5], v[78:79], v[50:51]
	v_add_f64 v[6:7], v[76:77], v[48:49]
	v_min3_f32 v152, v2, v0, v16
	v_add_f64 v[0:1], v[78:79], v[46:47]
	v_add_f64 v[2:3], v[76:77], v[44:45]
	v_min3_f32 v12, v12, v13, s10
	v_cvt_f32_f64_e32 v6, v[6:7]
	v_cvt_f32_f64_e32 v4, v[4:5]
	;; [unrolled: 1-line block ×4, first 2 shown]
	v_min3_f32 v160, v6, v4, v114
	v_add_f64 v[4:5], v[82:83], v[50:51]
	v_add_f64 v[6:7], v[80:81], v[48:49]
	v_min3_f32 v149, v2, v0, v12
	v_add_f64 v[0:1], v[82:83], v[46:47]
	v_add_f64 v[2:3], v[80:81], v[44:45]
	v_cvt_f32_f64_e32 v6, v[6:7]
	v_cvt_f32_f64_e32 v4, v[4:5]
	;; [unrolled: 1-line block ×4, first 2 shown]
	v_min3_f32 v159, v6, v4, v113
	v_min3_f32 v148, v2, v0, v8
	s_cmp_lt_i32 s26, 9
	ds_write_b64 v168, v[102:103] offset:18432
	ds_write2st64_b64 v168, v[104:105], v[106:107] offset0:16 offset1:20
	ds_write2st64_b64 v168, v[108:109], v[110:111] offset0:24 offset1:28
	s_waitcnt lgkmcnt(0)
	s_barrier
	s_cbranch_scc1 .LBB173_59
; %bb.33:
	v_mov_b32_e32 v0, 0x4800
	v_lshl_add_u32 v217, v150, 5, v0
	v_mov_b32_e32 v0, 0x2000
	v_lshl_add_u32 v218, v151, 5, v0
	v_add_u32_e32 v0, 12, v158
	v_mad_i64_i32 v[0:1], s[10:11], v0, s38, 0
	v_lshlrev_b64 v[132:133], 3, v[0:1]
	v_add_u32_e32 v0, 8, v158
	v_mad_i64_i32 v[0:1], s[10:11], v0, s38, 0
	v_or_b32_e32 v213, 0x4000, v168
	v_add_u32_e32 v214, 0x4000, v162
	v_add_u32_e32 v215, 0x4800, v168
	v_or_b32_e32 v216, 0x2000, v168
	s_add_i32 s40, s26, -8
	v_lshl_add_u64 v[130:131], v[100:101], 3, s[36:37]
	s_add_i32 s41, s26, -1
	s_lshl_b64 s[36:37], s[38:39], 6
	v_lshlrev_b64 v[134:135], 3, v[0:1]
	s_mov_b32 s42, 0
	v_mov_b32_e32 v220, 0x7fefffff
	s_branch .LBB173_35
.LBB173_34:                             ;   in Loop: Header=BB173_35 Depth=1
	s_or_b64 exec, exec, s[10:11]
	v_add_f64 v[146:147], v[98:99], v[126:127]
	v_add_f64 v[226:227], v[96:97], v[124:125]
	v_cvt_f32_f64_e32 v225, v[226:227]
	v_cvt_f32_f64_e32 v146, v[146:147]
	v_min3_f32 v226, v225, v146, v224
	v_add_f64 v[146:147], v[94:95], v[126:127]
	v_add_f64 v[224:225], v[92:93], v[124:125]
	v_cvt_f32_f64_e32 v224, v[224:225]
	v_cvt_f32_f64_e32 v146, v[146:147]
	v_min3_f32 v227, v224, v146, v223
	;; [unrolled: 5-line block ×6, first 2 shown]
	v_add_f64 v[146:147], v[70:71], v[126:127]
	v_add_f64 v[222:223], v[68:69], v[124:125]
	;; [unrolled: 1-line block ×4, first 2 shown]
	v_cvt_f32_f64_e32 v124, v[124:125]
	v_cvt_f32_f64_e32 v125, v[126:127]
	;; [unrolled: 1-line block ×3, first 2 shown]
	v_min3_f32 v147, v124, v125, v210
	v_add_f64 v[124:125], v[98:99], v[122:123]
	v_add_f64 v[126:127], v[96:97], v[120:121]
	v_cvt_f32_f64_e32 v126, v[126:127]
	v_cvt_f32_f64_e32 v124, v[124:125]
	v_min3_f32 v209, v126, v124, v209
	v_add_f64 v[124:125], v[94:95], v[122:123]
	v_add_f64 v[126:127], v[92:93], v[120:121]
	v_cvt_f32_f64_e32 v126, v[126:127]
	v_cvt_f32_f64_e32 v124, v[124:125]
	;; [unrolled: 5-line block ×6, first 2 shown]
	v_min3_f32 v204, v126, v124, v204
	v_add_f64 v[124:125], v[70:71], v[122:123]
	v_add_f64 v[126:127], v[68:69], v[120:121]
	;; [unrolled: 1-line block ×4, first 2 shown]
	v_cvt_f32_f64_e32 v120, v[120:121]
	v_cvt_f32_f64_e32 v121, v[122:123]
	v_cvt_f32_f64_e32 v124, v[124:125]
	v_min3_f32 v125, v120, v121, v202
	v_add_f64 v[120:121], v[98:99], v[118:119]
	v_add_f64 v[122:123], v[96:97], v[116:117]
	v_cvt_f32_f64_e32 v126, v[126:127]
	v_cvt_f32_f64_e32 v122, v[122:123]
	;; [unrolled: 1-line block ×3, first 2 shown]
	v_min3_f32 v124, v126, v124, v203
	v_min3_f32 v126, v122, v120, v201
	v_add_f64 v[120:121], v[94:95], v[118:119]
	v_add_f64 v[122:123], v[92:93], v[116:117]
	v_cvt_f32_f64_e32 v122, v[122:123]
	v_cvt_f32_f64_e32 v120, v[120:121]
	v_min3_f32 v127, v122, v120, v200
	v_add_f64 v[120:121], v[90:91], v[118:119]
	v_add_f64 v[122:123], v[88:89], v[116:117]
	v_cvt_f32_f64_e32 v122, v[122:123]
	v_cvt_f32_f64_e32 v120, v[120:121]
	;; [unrolled: 5-line block ×5, first 2 shown]
	v_min3_f32 v196, v122, v120, v196
	v_add_f64 v[120:121], v[70:71], v[118:119]
	v_add_f64 v[122:123], v[68:69], v[116:117]
	;; [unrolled: 1-line block ×4, first 2 shown]
	v_cvt_f32_f64_e32 v116, v[116:117]
	v_cvt_f32_f64_e32 v117, v[118:119]
	;; [unrolled: 1-line block ×3, first 2 shown]
	v_min3_f32 v121, v116, v117, v194
	v_add_f64 v[116:117], v[98:99], v[114:115]
	v_add_f64 v[118:119], v[96:97], v[112:113]
	v_cvt_f32_f64_e32 v122, v[122:123]
	v_cvt_f32_f64_e32 v118, v[118:119]
	;; [unrolled: 1-line block ×3, first 2 shown]
	v_min3_f32 v120, v122, v120, v195
	v_min3_f32 v122, v118, v116, v193
	v_add_f64 v[116:117], v[94:95], v[114:115]
	v_add_f64 v[118:119], v[92:93], v[112:113]
	v_cvt_f32_f64_e32 v118, v[118:119]
	v_cvt_f32_f64_e32 v116, v[116:117]
	v_min3_f32 v123, v118, v116, v192
	v_add_f64 v[116:117], v[90:91], v[114:115]
	v_add_f64 v[118:119], v[88:89], v[112:113]
	v_cvt_f32_f64_e32 v118, v[118:119]
	v_cvt_f32_f64_e32 v116, v[116:117]
	v_min3_f32 v191, v118, v116, v191
	v_add_f64 v[116:117], v[82:83], v[114:115]
	v_add_f64 v[118:119], v[80:81], v[112:113]
	v_cvt_f32_f64_e32 v118, v[118:119]
	v_cvt_f32_f64_e32 v116, v[116:117]
	v_min3_f32 v190, v118, v116, v190
	v_add_f64 v[116:117], v[78:79], v[114:115]
	v_add_f64 v[118:119], v[76:77], v[112:113]
	v_cvt_f32_f64_e32 v118, v[118:119]
	v_cvt_f32_f64_e32 v116, v[116:117]
	v_min3_f32 v189, v118, v116, v189
	v_add_f64 v[116:117], v[74:75], v[114:115]
	v_add_f64 v[118:119], v[72:73], v[112:113]
	v_cvt_f32_f64_e32 v118, v[118:119]
	v_cvt_f32_f64_e32 v116, v[116:117]
	v_min3_f32 v188, v118, v116, v188
	v_add_f64 v[116:117], v[70:71], v[114:115]
	v_add_f64 v[118:119], v[68:69], v[112:113]
	v_add_f64 v[114:115], v[66:67], v[114:115]
	v_add_f64 v[112:113], v[64:65], v[112:113]
	v_cvt_f32_f64_e32 v112, v[112:113]
	v_cvt_f32_f64_e32 v113, v[114:115]
	v_min3_f32 v186, v112, v113, v186
	v_add_f64 v[112:113], v[98:99], v[110:111]
	v_add_f64 v[114:115], v[96:97], v[108:109]
	v_cvt_f32_f64_e32 v114, v[114:115]
	v_cvt_f32_f64_e32 v112, v[112:113]
	v_min3_f32 v185, v114, v112, v185
	v_add_f64 v[112:113], v[94:95], v[110:111]
	v_add_f64 v[114:115], v[92:93], v[108:109]
	v_cvt_f32_f64_e32 v114, v[114:115]
	v_cvt_f32_f64_e32 v112, v[112:113]
	v_min3_f32 v184, v114, v112, v184
	v_add_f64 v[112:113], v[90:91], v[110:111]
	v_add_f64 v[114:115], v[88:89], v[108:109]
	v_cvt_f32_f64_e32 v114, v[114:115]
	v_cvt_f32_f64_e32 v112, v[112:113]
	v_min3_f32 v183, v114, v112, v183
	v_add_f64 v[112:113], v[82:83], v[110:111]
	v_add_f64 v[114:115], v[80:81], v[108:109]
	v_cvt_f32_f64_e32 v114, v[114:115]
	v_cvt_f32_f64_e32 v112, v[112:113]
	v_min3_f32 v182, v114, v112, v182
	v_add_f64 v[112:113], v[78:79], v[110:111]
	v_add_f64 v[114:115], v[76:77], v[108:109]
	v_cvt_f32_f64_e32 v114, v[114:115]
	v_cvt_f32_f64_e32 v112, v[112:113]
	v_min3_f32 v181, v114, v112, v181
	v_add_f64 v[112:113], v[74:75], v[110:111]
	v_add_f64 v[114:115], v[72:73], v[108:109]
	v_cvt_f32_f64_e32 v114, v[114:115]
	v_cvt_f32_f64_e32 v112, v[112:113]
	v_min3_f32 v180, v114, v112, v180
	v_add_f64 v[112:113], v[70:71], v[110:111]
	v_add_f64 v[114:115], v[68:69], v[108:109]
	v_add_f64 v[110:111], v[66:67], v[110:111]
	v_add_f64 v[108:109], v[64:65], v[108:109]
	v_cvt_f32_f64_e32 v108, v[108:109]
	v_cvt_f32_f64_e32 v109, v[110:111]
	v_min3_f32 v178, v108, v109, v178
	v_add_f64 v[108:109], v[98:99], v[106:107]
	v_add_f64 v[110:111], v[96:97], v[104:105]
	v_cvt_f32_f64_e32 v110, v[110:111]
	v_cvt_f32_f64_e32 v108, v[108:109]
	;; [unrolled: 37-line block ×3, first 2 shown]
	v_min3_f32 v169, v106, v104, v169
	v_add_f64 v[104:105], v[94:95], v[102:103]
	v_add_f64 v[106:107], v[92:93], v[100:101]
	v_cvt_f32_f64_e32 v106, v[106:107]
	v_cvt_f32_f64_e32 v104, v[104:105]
	v_min3_f32 v167, v106, v104, v167
	v_add_f64 v[104:105], v[90:91], v[102:103]
	v_add_f64 v[106:107], v[88:89], v[100:101]
	v_cvt_f32_f64_e32 v106, v[106:107]
	v_cvt_f32_f64_e32 v104, v[104:105]
	;; [unrolled: 5-line block ×5, first 2 shown]
	v_min3_f32 v194, v106, v104, v163
	v_add_f64 v[104:105], v[70:71], v[102:103]
	v_add_f64 v[106:107], v[68:69], v[100:101]
	v_add_f64 v[102:103], v[66:67], v[102:103]
	v_add_f64 v[100:101], v[64:65], v[100:101]
	v_add_f64 v[78:79], v[78:79], v[86:87]
	v_add_f64 v[76:77], v[76:77], v[84:85]
	v_add_f64 v[66:67], v[66:67], v[86:87]
	v_add_f64 v[64:65], v[64:65], v[84:85]
	v_cvt_f32_f64_e32 v76, v[76:77]
	v_cvt_f32_f64_e32 v77, v[78:79]
	;; [unrolled: 1-line block ×4, first 2 shown]
	v_min3_f32 v76, v76, v77, v153
	v_min3_f32 v77, v64, v65, v148
	v_add_f64 v[64:65], v[34:35], v[62:63]
	v_add_f64 v[66:67], v[32:33], v[60:61]
	v_cvt_f32_f64_e32 v66, v[66:67]
	v_cvt_f32_f64_e32 v64, v[64:65]
	v_add_f64 v[70:71], v[70:71], v[86:87]
	v_add_f64 v[68:69], v[68:69], v[84:85]
	v_min3_f32 v201, v66, v64, v226
	v_add_f64 v[64:65], v[30:31], v[62:63]
	v_add_f64 v[66:67], v[28:29], v[60:61]
	;; [unrolled: 1-line block ×4, first 2 shown]
	v_cvt_f32_f64_e32 v68, v[68:69]
	v_cvt_f32_f64_e32 v69, v[70:71]
	;; [unrolled: 1-line block ×6, first 2 shown]
	v_min3_f32 v75, v68, v69, v149
	v_min3_f32 v64, v66, v64, v227
	v_add_f64 v[66:67], v[26:27], v[62:63]
	v_add_f64 v[68:69], v[24:25], v[60:61]
	v_cvt_f32_f64_e32 v65, v[68:69]
	v_cvt_f32_f64_e32 v66, v[66:67]
	v_min3_f32 v65, v65, v66, v224
	v_add_f64 v[66:67], v[18:19], v[62:63]
	v_add_f64 v[68:69], v[16:17], v[60:61]
	v_cvt_f32_f64_e32 v68, v[68:69]
	v_cvt_f32_f64_e32 v66, v[66:67]
	;; [unrolled: 5-line block ×4, first 2 shown]
	v_min3_f32 v74, v72, v73, v152
	v_min3_f32 v68, v70, v68, v212
	v_add_f64 v[70:71], v[6:7], v[62:63]
	v_add_f64 v[72:73], v[4:5], v[60:61]
	v_add_f64 v[62:63], v[2:3], v[62:63]
	v_add_f64 v[60:61], v[0:1], v[60:61]
	v_cvt_f32_f64_e32 v100, v[100:101]
	v_cvt_f32_f64_e32 v101, v[102:103]
	v_cvt_f32_f64_e32 v60, v[60:61]
	v_cvt_f32_f64_e32 v61, v[62:63]
	v_min3_f32 v200, v100, v101, v159
	v_min3_f32 v100, v60, v61, v147
	v_add_f64 v[60:61], v[34:35], v[58:59]
	v_add_f64 v[62:63], v[32:33], v[56:57]
	v_cvt_f32_f64_e32 v62, v[62:63]
	v_cvt_f32_f64_e32 v60, v[60:61]
	v_min3_f32 v101, v62, v60, v209
	v_add_f64 v[60:61], v[30:31], v[58:59]
	v_add_f64 v[62:63], v[28:29], v[56:57]
	v_cvt_f32_f64_e32 v62, v[62:63]
	v_cvt_f32_f64_e32 v60, v[60:61]
	v_min3_f32 v102, v62, v60, v208
	v_add_f64 v[60:61], v[26:27], v[58:59]
	v_add_f64 v[62:63], v[24:25], v[56:57]
	v_cvt_f32_f64_e32 v62, v[62:63]
	v_cvt_f32_f64_e32 v60, v[60:61]
	v_min3_f32 v103, v62, v60, v207
	v_add_f64 v[60:61], v[18:19], v[58:59]
	v_add_f64 v[62:63], v[16:17], v[56:57]
	v_cvt_f32_f64_e32 v106, v[106:107]
	v_cvt_f32_f64_e32 v104, v[104:105]
	v_cvt_f32_f64_e32 v62, v[62:63]
	v_cvt_f32_f64_e32 v60, v[60:61]
	v_min3_f32 v195, v106, v104, v160
	v_min3_f32 v104, v62, v60, v206
	v_add_f64 v[60:61], v[14:15], v[58:59]
	v_add_f64 v[62:63], v[12:13], v[56:57]
	v_cvt_f32_f64_e32 v62, v[62:63]
	v_cvt_f32_f64_e32 v60, v[60:61]
	v_min3_f32 v105, v62, v60, v205
	v_add_f64 v[60:61], v[10:11], v[58:59]
	v_add_f64 v[62:63], v[8:9], v[56:57]
	v_cvt_f32_f64_e32 v62, v[62:63]
	v_cvt_f32_f64_e32 v60, v[60:61]
	v_min3_f32 v106, v62, v60, v204
	v_add_f64 v[60:61], v[6:7], v[58:59]
	v_add_f64 v[62:63], v[4:5], v[56:57]
	v_add_f64 v[58:59], v[2:3], v[58:59]
	v_add_f64 v[56:57], v[0:1], v[56:57]
	v_cvt_f32_f64_e32 v110, v[110:111]
	v_cvt_f32_f64_e32 v108, v[108:109]
	v_cvt_f32_f64_e32 v56, v[56:57]
	v_cvt_f32_f64_e32 v57, v[58:59]
	v_min3_f32 v171, v110, v108, v171
	v_min3_f32 v108, v56, v57, v125
	v_add_f64 v[56:57], v[34:35], v[54:55]
	v_add_f64 v[58:59], v[32:33], v[52:53]
	v_cvt_f32_f64_e32 v58, v[58:59]
	v_cvt_f32_f64_e32 v56, v[56:57]
	v_min3_f32 v109, v58, v56, v126
	v_add_f64 v[56:57], v[30:31], v[54:55]
	v_add_f64 v[58:59], v[28:29], v[52:53]
	v_cvt_f32_f64_e32 v58, v[58:59]
	v_cvt_f32_f64_e32 v56, v[56:57]
	v_min3_f32 v110, v58, v56, v127
	v_add_f64 v[56:57], v[26:27], v[54:55]
	v_add_f64 v[58:59], v[24:25], v[52:53]
	v_cvt_f32_f64_e32 v58, v[58:59]
	v_cvt_f32_f64_e32 v56, v[56:57]
	v_min3_f32 v111, v58, v56, v199
	v_add_f64 v[56:57], v[18:19], v[54:55]
	v_add_f64 v[58:59], v[16:17], v[52:53]
	v_cvt_f32_f64_e32 v114, v[114:115]
	v_cvt_f32_f64_e32 v112, v[112:113]
	v_cvt_f32_f64_e32 v58, v[58:59]
	v_cvt_f32_f64_e32 v56, v[56:57]
	v_min3_f32 v179, v114, v112, v179
	v_min3_f32 v112, v58, v56, v198
	v_add_f64 v[56:57], v[14:15], v[54:55]
	v_add_f64 v[58:59], v[12:13], v[52:53]
	v_cvt_f32_f64_e32 v58, v[58:59]
	v_cvt_f32_f64_e32 v56, v[56:57]
	v_min3_f32 v113, v58, v56, v197
	v_add_f64 v[56:57], v[10:11], v[54:55]
	v_add_f64 v[58:59], v[8:9], v[52:53]
	v_cvt_f32_f64_e32 v58, v[58:59]
	v_cvt_f32_f64_e32 v56, v[56:57]
	;; [unrolled: 43-line block ×3, first 2 shown]
	v_min3_f32 v122, v54, v52, v188
	v_add_f64 v[52:53], v[6:7], v[50:51]
	v_add_f64 v[54:55], v[4:5], v[48:49]
	;; [unrolled: 1-line block ×4, first 2 shown]
	v_cvt_f32_f64_e32 v62, v[62:63]
	v_cvt_f32_f64_e32 v60, v[60:61]
	;; [unrolled: 1-line block ×4, first 2 shown]
	v_min3_f32 v107, v62, v60, v124
	v_min3_f32 v124, v48, v49, v186
	v_add_f64 v[48:49], v[34:35], v[46:47]
	v_add_f64 v[50:51], v[32:33], v[44:45]
	v_cvt_f32_f64_e32 v50, v[50:51]
	v_cvt_f32_f64_e32 v48, v[48:49]
	v_min3_f32 v125, v50, v48, v185
	v_add_f64 v[48:49], v[30:31], v[46:47]
	v_add_f64 v[50:51], v[28:29], v[44:45]
	v_cvt_f32_f64_e32 v50, v[50:51]
	v_cvt_f32_f64_e32 v48, v[48:49]
	;; [unrolled: 5-line block ×3, first 2 shown]
	v_cvt_f32_f64_e32 v222, v[222:223]
	v_min3_f32 v127, v50, v48, v183
	v_add_f64 v[48:49], v[18:19], v[46:47]
	v_add_f64 v[50:51], v[16:17], v[44:45]
	v_min3_f32 v146, v222, v146, v211
	v_cvt_f32_f64_e32 v69, v[72:73]
	v_cvt_f32_f64_e32 v70, v[70:71]
	;; [unrolled: 1-line block ×4, first 2 shown]
	v_min3_f32 v69, v69, v70, v146
	v_min3_f32 v146, v50, v48, v182
	v_add_f64 v[48:49], v[14:15], v[46:47]
	v_add_f64 v[50:51], v[12:13], v[44:45]
	v_cvt_f32_f64_e32 v50, v[50:51]
	v_cvt_f32_f64_e32 v48, v[48:49]
	v_min3_f32 v147, v50, v48, v181
	v_add_f64 v[48:49], v[10:11], v[46:47]
	v_add_f64 v[50:51], v[8:9], v[44:45]
	v_cvt_f32_f64_e32 v50, v[50:51]
	v_cvt_f32_f64_e32 v48, v[48:49]
	v_min3_f32 v148, v50, v48, v180
	v_add_f64 v[48:49], v[6:7], v[46:47]
	v_add_f64 v[50:51], v[4:5], v[44:45]
	;; [unrolled: 1-line block ×4, first 2 shown]
	v_cvt_f32_f64_e32 v44, v[44:45]
	v_cvt_f32_f64_e32 v45, v[46:47]
	v_min3_f32 v152, v44, v45, v178
	v_add_f64 v[44:45], v[34:35], v[42:43]
	v_add_f64 v[46:47], v[32:33], v[40:41]
	v_cvt_f32_f64_e32 v46, v[46:47]
	v_cvt_f32_f64_e32 v44, v[44:45]
	v_add_f64 v[82:83], v[82:83], v[86:87]
	v_add_f64 v[80:81], v[80:81], v[84:85]
	v_min3_f32 v153, v46, v44, v177
	v_add_f64 v[44:45], v[30:31], v[42:43]
	v_add_f64 v[46:47], v[28:29], v[40:41]
	v_cvt_f32_f64_e32 v80, v[80:81]
	v_cvt_f32_f64_e32 v81, v[82:83]
	v_cvt_f32_f64_e32 v46, v[46:47]
	v_cvt_f32_f64_e32 v44, v[44:45]
	v_add_f64 v[90:91], v[90:91], v[86:87]
	v_add_f64 v[88:89], v[88:89], v[84:85]
	v_min3_f32 v80, v80, v81, v154
	v_min3_f32 v154, v46, v44, v176
	v_add_f64 v[44:45], v[26:27], v[42:43]
	v_add_f64 v[46:47], v[24:25], v[40:41]
	v_cvt_f32_f64_e32 v88, v[88:89]
	v_cvt_f32_f64_e32 v89, v[90:91]
	v_cvt_f32_f64_e32 v46, v[46:47]
	v_cvt_f32_f64_e32 v44, v[44:45]
	v_add_f64 v[94:95], v[94:95], v[86:87]
	v_add_f64 v[92:93], v[92:93], v[84:85]
	v_min3_f32 v88, v88, v89, v155
	;; [unrolled: 10-line block ×3, first 2 shown]
	v_min3_f32 v156, v46, v44, v174
	v_add_f64 v[44:45], v[14:15], v[42:43]
	v_add_f64 v[46:47], v[12:13], v[40:41]
	v_cvt_f32_f64_e32 v96, v[96:97]
	v_cvt_f32_f64_e32 v97, v[98:99]
	;; [unrolled: 1-line block ×4, first 2 shown]
	v_min3_f32 v96, v96, v97, v157
	v_min3_f32 v157, v46, v44, v173
	v_add_f64 v[44:45], v[10:11], v[42:43]
	v_add_f64 v[46:47], v[8:9], v[40:41]
	v_cvt_f32_f64_e32 v46, v[46:47]
	v_cvt_f32_f64_e32 v44, v[44:45]
	v_min3_f32 v159, v46, v44, v172
	v_add_f64 v[44:45], v[6:7], v[42:43]
	v_add_f64 v[46:47], v[4:5], v[40:41]
	v_add_f64 v[42:43], v[2:3], v[42:43]
	v_add_f64 v[40:41], v[0:1], v[40:41]
	v_cvt_f32_f64_e32 v40, v[40:41]
	v_cvt_f32_f64_e32 v41, v[42:43]
	v_min3_f32 v163, v40, v41, v170
	v_add_f64 v[40:41], v[34:35], v[38:39]
	v_add_f64 v[42:43], v[32:33], v[36:37]
	v_cvt_f32_f64_e32 v42, v[42:43]
	v_cvt_f32_f64_e32 v40, v[40:41]
	v_min3_f32 v164, v42, v40, v169
	v_add_f64 v[40:41], v[30:31], v[38:39]
	v_add_f64 v[42:43], v[28:29], v[36:37]
	;; [unrolled: 5-line block ×7, first 2 shown]
	v_add_f64 v[38:39], v[2:3], v[38:39]
	v_add_f64 v[36:37], v[0:1], v[36:37]
	;; [unrolled: 1-line block ×18, first 2 shown]
	v_cvt_f32_f64_e32 v54, v[54:55]
	v_cvt_f32_f64_e32 v52, v[52:53]
	;; [unrolled: 1-line block ×24, first 2 shown]
	v_min3_f32 v123, v54, v52, v187
	v_min3_f32 v149, v50, v48, v179
	;; [unrolled: 1-line block ×12, first 2 shown]
	ds_read_b128 v[36:39], v214 offset:256
	ds_read_b128 v[32:35], v214 offset:512
	;; [unrolled: 1-line block ×12, first 2 shown]
	ds_read_b128 v[96:99], v161
	ds_read_b128 v[48:51], v214
	ds_read_b128 v[72:75], v161 offset:6144
	ds_read_b128 v[24:27], v161 offset:7168
	;; [unrolled: 1-line block ×4, first 2 shown]
	s_waitcnt lgkmcnt(5)
	v_add_f64 v[44:45], v[38:39], v[98:99]
	v_add_f64 v[46:47], v[36:37], v[96:97]
	;; [unrolled: 1-line block ×8, first 2 shown]
	v_cvt_f32_f64_e32 v46, v[46:47]
	v_cvt_f32_f64_e32 v44, v[44:45]
	;; [unrolled: 1-line block ×10, first 2 shown]
	v_min3_f32 v186, v46, v44, v64
	v_min3_f32 v187, v54, v52, v65
	;; [unrolled: 1-line block ×4, first 2 shown]
	v_add_f64 v[64:65], v[18:19], v[98:99]
	v_add_f64 v[66:67], v[16:17], v[96:97]
	v_min3_f32 v171, v42, v40, v195
	s_waitcnt lgkmcnt(4)
	v_add_f64 v[40:41], v[50:51], v[98:99]
	v_add_f64 v[42:43], v[48:49], v[96:97]
	v_cvt_f32_f64_e32 v66, v[66:67]
	v_cvt_f32_f64_e32 v64, v[64:65]
	v_add_f64 v[70:71], v[14:15], v[98:99]
	v_add_f64 v[182:183], v[12:13], v[96:97]
	;; [unrolled: 1-line block ×4, first 2 shown]
	v_min3_f32 v190, v66, v64, v68
	v_cvt_f32_f64_e32 v68, v[182:183]
	v_cvt_f32_f64_e32 v96, v[96:97]
	;; [unrolled: 1-line block ×3, first 2 shown]
	v_add_f64 v[182:183], v[50:51], v[94:95]
	v_add_f64 v[184:185], v[48:49], v[92:93]
	v_min3_f32 v192, v96, v97, v100
	v_cvt_f32_f64_e32 v100, v[184:185]
	v_cvt_f32_f64_e32 v182, v[182:183]
	v_min3_f32 v184, v100, v182, v101
	v_add_f64 v[100:101], v[38:39], v[94:95]
	v_add_f64 v[182:183], v[36:37], v[92:93]
	v_cvt_f32_f64_e32 v182, v[182:183]
	v_cvt_f32_f64_e32 v100, v[100:101]
	v_min3_f32 v185, v182, v100, v102
	v_add_f64 v[100:101], v[34:35], v[94:95]
	v_add_f64 v[182:183], v[32:33], v[92:93]
	;; [unrolled: 5-line block ×34, first 2 shown]
	v_cvt_f32_f64_e32 v102, v[102:103]
	v_cvt_f32_f64_e32 v100, v[100:101]
	v_min3_f32 v160, v102, v100, v160
	s_waitcnt lgkmcnt(3)
	v_add_f64 v[100:101], v[50:51], v[74:75]
	v_add_f64 v[102:103], v[48:49], v[72:73]
	v_cvt_f32_f64_e32 v102, v[102:103]
	v_cvt_f32_f64_e32 v100, v[100:101]
	v_min3_f32 v164, v102, v100, v164
	v_add_f64 v[100:101], v[38:39], v[74:75]
	v_add_f64 v[102:103], v[36:37], v[72:73]
	v_cvt_f32_f64_e32 v102, v[102:103]
	v_cvt_f32_f64_e32 v100, v[100:101]
	v_min3_f32 v165, v102, v100, v165
	v_add_f64 v[100:101], v[34:35], v[74:75]
	v_add_f64 v[102:103], v[32:33], v[72:73]
	v_cvt_f32_f64_e32 v102, v[102:103]
	v_cvt_f32_f64_e32 v100, v[100:101]
	v_min3_f32 v166, v102, v100, v166
	v_add_f64 v[100:101], v[30:31], v[74:75]
	v_add_f64 v[102:103], v[28:29], v[72:73]
	v_cvt_f32_f64_e32 v102, v[102:103]
	v_cvt_f32_f64_e32 v100, v[100:101]
	v_min3_f32 v225, v102, v100, v167
	v_add_f64 v[100:101], v[22:23], v[74:75]
	v_add_f64 v[102:103], v[20:21], v[72:73]
	v_cvt_f32_f64_e32 v102, v[102:103]
	v_cvt_f32_f64_e32 v100, v[100:101]
	;; [unrolled: 1-line block ×4, first 2 shown]
	v_min3_f32 v226, v102, v100, v169
	v_add_f64 v[100:101], v[18:19], v[74:75]
	v_add_f64 v[102:103], v[16:17], v[72:73]
	v_min3_f32 v181, v42, v40, v201
	ds_read_b128 v[40:43], v214 offset:272
	v_cvt_f32_f64_e32 v102, v[102:103]
	v_cvt_f32_f64_e32 v100, v[100:101]
	v_add_f64 v[94:95], v[10:11], v[94:95]
	v_add_f64 v[92:93], v[8:9], v[92:93]
	;; [unrolled: 1-line block ×10, first 2 shown]
	v_min3_f32 v227, v102, v100, v170
	v_add_f64 v[100:101], v[14:15], v[74:75]
	v_add_f64 v[102:103], v[12:13], v[72:73]
	;; [unrolled: 1-line block ×4, first 2 shown]
	s_waitcnt lgkmcnt(3)
	v_add_f64 v[14:15], v[14:15], v[26:27]
	v_add_f64 v[12:13], v[12:13], v[24:25]
	;; [unrolled: 1-line block ×4, first 2 shown]
	ds_read_b128 v[44:47], v214 offset:528
	ds_read_b128 v[52:55], v214 offset:784
	v_cvt_f32_f64_e32 v12, v[12:13]
	v_cvt_f32_f64_e32 v13, v[14:15]
	;; [unrolled: 1-line block ×4, first 2 shown]
	v_min3_f32 v12, v12, v13, v179
	v_min3_f32 v13, v8, v9, v180
	s_waitcnt lgkmcnt(3)
	v_add_f64 v[8:9], v[2:3], v[6:7]
	v_add_f64 v[10:11], v[0:1], v[4:5]
	v_cvt_f32_f64_e32 v72, v[72:73]
	v_cvt_f32_f64_e32 v73, v[74:75]
	;; [unrolled: 1-line block ×5, first 2 shown]
	v_min3_f32 v101, v72, v73, v172
	ds_read_b128 v[72:75], v161 offset:7184
	v_min3_f32 v224, v10, v8, v181
	s_waitcnt lgkmcnt(3)
	v_add_f64 v[8:9], v[42:43], v[6:7]
	v_add_f64 v[10:11], v[40:41], v[4:5]
	ds_read_b128 v[56:59], v214 offset:1040
	ds_read_b128 v[60:63], v214 offset:1296
	v_cvt_f32_f64_e32 v10, v[10:11]
	v_cvt_f32_f64_e32 v8, v[8:9]
	v_min3_f32 v223, v10, v8, v186
	s_waitcnt lgkmcnt(4)
	v_add_f64 v[8:9], v[46:47], v[6:7]
	v_add_f64 v[10:11], v[44:45], v[4:5]
	v_cvt_f32_f64_e32 v10, v[10:11]
	v_cvt_f32_f64_e32 v8, v[8:9]
	;; [unrolled: 1-line block ×3, first 2 shown]
	v_min3_f32 v222, v10, v8, v187
	s_waitcnt lgkmcnt(3)
	v_add_f64 v[8:9], v[54:55], v[6:7]
	v_add_f64 v[10:11], v[52:53], v[4:5]
	ds_read_b128 v[64:67], v214 offset:1552
	v_min3_f32 v191, v68, v70, v69
	ds_read_b128 v[68:71], v214 offset:1808
	v_cvt_f32_f64_e32 v10, v[10:11]
	v_cvt_f32_f64_e32 v8, v[8:9]
	v_min3_f32 v221, v10, v8, v188
	s_waitcnt lgkmcnt(3)
	v_add_f64 v[8:9], v[58:59], v[6:7]
	v_add_f64 v[10:11], v[56:57], v[4:5]
	ds_read_b128 v[96:99], v161 offset:1040
	v_cvt_f32_f64_e32 v10, v[10:11]
	v_cvt_f32_f64_e32 v8, v[8:9]
	v_min3_f32 v219, v10, v8, v189
	s_waitcnt lgkmcnt(3)
	v_add_f64 v[8:9], v[62:63], v[6:7]
	v_add_f64 v[10:11], v[60:61], v[4:5]
	v_cvt_f32_f64_e32 v10, v[10:11]
	v_cvt_f32_f64_e32 v8, v[8:9]
	v_min3_f32 v212, v10, v8, v190
	s_waitcnt lgkmcnt(2)
	v_add_f64 v[8:9], v[66:67], v[6:7]
	v_add_f64 v[10:11], v[64:65], v[4:5]
	s_waitcnt lgkmcnt(1)
	v_add_f64 v[6:7], v[70:71], v[6:7]
	v_add_f64 v[4:5], v[68:69], v[4:5]
	v_cvt_f32_f64_e32 v92, v[92:93]
	v_cvt_f32_f64_e32 v93, v[94:95]
	;; [unrolled: 1-line block ×4, first 2 shown]
	v_min3_f32 v108, v92, v93, v108
	ds_read_b128 v[92:95], v161 offset:2064
	v_min3_f32 v210, v4, v5, v192
	s_waitcnt lgkmcnt(1)
	v_add_f64 v[4:5], v[2:3], v[98:99]
	v_add_f64 v[6:7], v[0:1], v[96:97]
	v_cvt_f32_f64_e32 v6, v[6:7]
	v_cvt_f32_f64_e32 v4, v[4:5]
	v_min3_f32 v209, v6, v4, v184
	v_add_f64 v[4:5], v[42:43], v[98:99]
	v_add_f64 v[6:7], v[40:41], v[96:97]
	v_cvt_f32_f64_e32 v6, v[6:7]
	v_cvt_f32_f64_e32 v4, v[4:5]
	v_min3_f32 v208, v6, v4, v185
	;; [unrolled: 5-line block ×8, first 2 shown]
	s_waitcnt lgkmcnt(0)
	v_add_f64 v[4:5], v[2:3], v[94:95]
	v_add_f64 v[6:7], v[0:1], v[92:93]
	v_cvt_f32_f64_e32 v6, v[6:7]
	v_cvt_f32_f64_e32 v4, v[4:5]
	v_min3_f32 v201, v6, v4, v109
	v_add_f64 v[4:5], v[42:43], v[94:95]
	v_add_f64 v[6:7], v[40:41], v[92:93]
	v_cvt_f32_f64_e32 v6, v[6:7]
	v_cvt_f32_f64_e32 v4, v[4:5]
	v_min3_f32 v200, v6, v4, v110
	;; [unrolled: 5-line block ×4, first 2 shown]
	v_add_f64 v[4:5], v[58:59], v[94:95]
	v_add_f64 v[6:7], v[56:57], v[92:93]
	v_cvt_f32_f64_e32 v6, v[6:7]
	v_cvt_f32_f64_e32 v4, v[4:5]
	;; [unrolled: 1-line block ×4, first 2 shown]
	v_min3_f32 v197, v6, v4, v113
	v_add_f64 v[4:5], v[62:63], v[94:95]
	v_add_f64 v[6:7], v[60:61], v[92:93]
	v_min3_f32 v116, v88, v89, v116
	ds_read_b128 v[88:91], v161 offset:3088
	v_cvt_f32_f64_e32 v6, v[6:7]
	v_cvt_f32_f64_e32 v4, v[4:5]
	v_min3_f32 v196, v6, v4, v114
	v_add_f64 v[4:5], v[66:67], v[94:95]
	v_add_f64 v[6:7], v[64:65], v[92:93]
	v_cvt_f32_f64_e32 v6, v[6:7]
	v_cvt_f32_f64_e32 v4, v[4:5]
	v_min3_f32 v195, v6, v4, v115
	v_add_f64 v[4:5], v[70:71], v[94:95]
	v_add_f64 v[6:7], v[68:69], v[92:93]
	v_cvt_f32_f64_e32 v84, v[84:85]
	v_cvt_f32_f64_e32 v85, v[86:87]
	;; [unrolled: 1-line block ×4, first 2 shown]
	v_min3_f32 v124, v84, v85, v124
	ds_read_b128 v[84:87], v161 offset:4112
	v_min3_f32 v194, v6, v4, v116
	s_waitcnt lgkmcnt(1)
	v_add_f64 v[4:5], v[2:3], v[90:91]
	v_add_f64 v[6:7], v[0:1], v[88:89]
	v_cvt_f32_f64_e32 v6, v[6:7]
	v_cvt_f32_f64_e32 v4, v[4:5]
	v_min3_f32 v193, v6, v4, v117
	v_add_f64 v[4:5], v[42:43], v[90:91]
	v_add_f64 v[6:7], v[40:41], v[88:89]
	v_cvt_f32_f64_e32 v6, v[6:7]
	v_cvt_f32_f64_e32 v4, v[4:5]
	v_min3_f32 v192, v6, v4, v118
	v_add_f64 v[4:5], v[46:47], v[90:91]
	v_add_f64 v[6:7], v[44:45], v[88:89]
	v_cvt_f32_f64_e32 v10, v[10:11]
	v_cvt_f32_f64_e32 v8, v[8:9]
	;; [unrolled: 1-line block ×4, first 2 shown]
	v_min3_f32 v211, v10, v8, v191
	v_min3_f32 v191, v6, v4, v119
	v_add_f64 v[4:5], v[54:55], v[90:91]
	v_add_f64 v[6:7], v[52:53], v[88:89]
	v_cvt_f32_f64_e32 v6, v[6:7]
	v_cvt_f32_f64_e32 v4, v[4:5]
	v_min3_f32 v190, v6, v4, v120
	v_add_f64 v[4:5], v[58:59], v[90:91]
	v_add_f64 v[6:7], v[56:57], v[88:89]
	v_cvt_f32_f64_e32 v6, v[6:7]
	v_cvt_f32_f64_e32 v4, v[4:5]
	;; [unrolled: 5-line block ×5, first 2 shown]
	v_min3_f32 v186, v6, v4, v124
	s_waitcnt lgkmcnt(0)
	v_add_f64 v[4:5], v[2:3], v[86:87]
	v_add_f64 v[6:7], v[0:1], v[84:85]
	v_cvt_f32_f64_e32 v6, v[6:7]
	v_cvt_f32_f64_e32 v4, v[4:5]
	v_min3_f32 v185, v6, v4, v125
	v_add_f64 v[4:5], v[42:43], v[86:87]
	v_add_f64 v[6:7], v[40:41], v[84:85]
	v_cvt_f32_f64_e32 v6, v[6:7]
	v_cvt_f32_f64_e32 v4, v[4:5]
	v_min3_f32 v184, v6, v4, v126
	;; [unrolled: 5-line block ×4, first 2 shown]
	v_add_f64 v[4:5], v[58:59], v[86:87]
	v_add_f64 v[6:7], v[56:57], v[84:85]
	v_cvt_f32_f64_e32 v6, v[6:7]
	v_cvt_f32_f64_e32 v4, v[4:5]
	;; [unrolled: 1-line block ×4, first 2 shown]
	v_min3_f32 v181, v6, v4, v147
	v_add_f64 v[4:5], v[62:63], v[86:87]
	v_add_f64 v[6:7], v[60:61], v[84:85]
	v_min3_f32 v152, v80, v81, v152
	ds_read_b128 v[80:83], v161 offset:5136
	v_cvt_f32_f64_e32 v6, v[6:7]
	v_cvt_f32_f64_e32 v4, v[4:5]
	v_min3_f32 v180, v6, v4, v148
	v_add_f64 v[4:5], v[66:67], v[86:87]
	v_add_f64 v[6:7], v[64:65], v[84:85]
	v_cvt_f32_f64_e32 v6, v[6:7]
	v_cvt_f32_f64_e32 v4, v[4:5]
	v_add_f64 v[18:19], v[18:19], v[26:27]
	v_add_f64 v[16:17], v[16:17], v[24:25]
	v_min3_f32 v179, v6, v4, v149
	v_add_f64 v[4:5], v[70:71], v[86:87]
	v_add_f64 v[6:7], v[68:69], v[84:85]
	v_cvt_f32_f64_e32 v76, v[76:77]
	v_cvt_f32_f64_e32 v77, v[78:79]
	;; [unrolled: 1-line block ×6, first 2 shown]
	v_min3_f32 v163, v76, v77, v163
	ds_read_b128 v[76:79], v161 offset:6160
	v_add_f64 v[22:23], v[22:23], v[26:27]
	v_add_f64 v[20:21], v[20:21], v[24:25]
	v_min3_f32 v16, v16, v17, v178
	v_min3_f32 v178, v6, v4, v152
	s_waitcnt lgkmcnt(1)
	v_add_f64 v[4:5], v[2:3], v[82:83]
	v_add_f64 v[6:7], v[0:1], v[80:81]
	v_cvt_f32_f64_e32 v20, v[20:21]
	v_cvt_f32_f64_e32 v21, v[22:23]
	v_cvt_f32_f64_e32 v6, v[6:7]
	v_cvt_f32_f64_e32 v4, v[4:5]
	v_add_f64 v[30:31], v[30:31], v[26:27]
	v_add_f64 v[28:29], v[28:29], v[24:25]
	v_min3_f32 v20, v20, v21, v177
	v_min3_f32 v177, v6, v4, v153
	v_add_f64 v[4:5], v[42:43], v[82:83]
	v_add_f64 v[6:7], v[40:41], v[80:81]
	v_cvt_f32_f64_e32 v28, v[28:29]
	v_cvt_f32_f64_e32 v29, v[30:31]
	v_cvt_f32_f64_e32 v6, v[6:7]
	v_cvt_f32_f64_e32 v4, v[4:5]
	v_add_f64 v[34:35], v[34:35], v[26:27]
	v_add_f64 v[32:33], v[32:33], v[24:25]
	v_min3_f32 v28, v28, v29, v176
	v_min3_f32 v176, v6, v4, v154
	;; [unrolled: 10-line block ×4, first 2 shown]
	v_add_f64 v[4:5], v[58:59], v[82:83]
	v_add_f64 v[6:7], v[56:57], v[80:81]
	v_cvt_f32_f64_e32 v48, v[48:49]
	v_cvt_f32_f64_e32 v49, v[50:51]
	;; [unrolled: 1-line block ×4, first 2 shown]
	v_min3_f32 v48, v48, v49, v173
	v_min3_f32 v173, v6, v4, v157
	v_add_f64 v[4:5], v[62:63], v[82:83]
	v_add_f64 v[6:7], v[60:61], v[80:81]
	v_cvt_f32_f64_e32 v6, v[6:7]
	v_cvt_f32_f64_e32 v4, v[4:5]
	v_min3_f32 v172, v6, v4, v159
	v_add_f64 v[4:5], v[66:67], v[82:83]
	v_add_f64 v[6:7], v[64:65], v[80:81]
	v_cvt_f32_f64_e32 v102, v[102:103]
	v_cvt_f32_f64_e32 v6, v[6:7]
	;; [unrolled: 1-line block ×3, first 2 shown]
	v_min3_f32 v100, v102, v100, v171
	v_min3_f32 v171, v6, v4, v160
	v_add_f64 v[4:5], v[70:71], v[82:83]
	v_add_f64 v[6:7], v[68:69], v[80:81]
	v_cvt_f32_f64_e32 v6, v[6:7]
	v_cvt_f32_f64_e32 v4, v[4:5]
	v_min3_f32 v170, v6, v4, v163
	s_waitcnt lgkmcnt(0)
	v_add_f64 v[4:5], v[2:3], v[78:79]
	v_add_f64 v[6:7], v[0:1], v[76:77]
	;; [unrolled: 1-line block ×4, first 2 shown]
	v_cvt_f32_f64_e32 v6, v[6:7]
	v_cvt_f32_f64_e32 v4, v[4:5]
	v_cvt_f32_f64_e32 v0, v[0:1]
	v_cvt_f32_f64_e32 v1, v[2:3]
	v_min3_f32 v169, v6, v4, v164
	v_add_f64 v[4:5], v[42:43], v[78:79]
	v_add_f64 v[6:7], v[40:41], v[76:77]
	v_min3_f32 v157, v0, v1, v48
	v_add_f64 v[0:1], v[42:43], v[74:75]
	v_add_f64 v[2:3], v[40:41], v[72:73]
	v_cvt_f32_f64_e32 v6, v[6:7]
	v_cvt_f32_f64_e32 v4, v[4:5]
	v_cvt_f32_f64_e32 v2, v[2:3]
	v_cvt_f32_f64_e32 v0, v[0:1]
	v_min3_f32 v167, v6, v4, v165
	v_add_f64 v[4:5], v[46:47], v[78:79]
	v_add_f64 v[6:7], v[44:45], v[76:77]
	v_min3_f32 v156, v2, v0, v36
	v_add_f64 v[0:1], v[46:47], v[74:75]
	v_add_f64 v[2:3], v[44:45], v[72:73]
	;; [unrolled: 10-line block ×7, first 2 shown]
	v_cvt_f32_f64_e32 v6, v[6:7]
	v_cvt_f32_f64_e32 v4, v[4:5]
	;; [unrolled: 1-line block ×4, first 2 shown]
	s_add_i32 s42, s42, 8
	v_min3_f32 v159, v6, v4, v101
	v_min3_f32 v148, v2, v0, v13
	s_cmp_ge_i32 s42, s40
	v_lshl_add_u64 v[130:131], v[130:131], 0, s[36:37]
	ds_write_b64 v215, v[136:137]
	ds_write2st64_b64 v216, v[138:139], v[140:141] offset1:4
	ds_write2st64_b64 v216, v[142:143], v[144:145] offset0:8 offset1:12
	s_waitcnt lgkmcnt(0)
	s_barrier
	s_cbranch_scc1 .LBB173_59
.LBB173_35:                             ; =>This Inner Loop Header: Depth=1
	v_add_u32_e32 v146, s42, v158
	v_add_u32_e32 v0, 8, v146
	v_cmp_le_i32_e64 s[10:11], s26, v0
	s_or_b64 s[12:13], vcc, s[10:11]
	s_nor_b64 s[38:39], s[16:17], s[12:13]
                                        ; implicit-def: $vgpr136_vgpr137
	s_and_saveexec_b64 s[44:45], s[38:39]
	s_xor_b64 s[38:39], exec, s[44:45]
	s_cbranch_execz .LBB173_37
; %bb.36:                               ;   in Loop: Header=BB173_35 Depth=1
	v_lshl_add_u64 v[2:3], v[130:131], 0, v[134:135]
	global_load_dwordx2 v[2:3], v[2:3], off
	s_waitcnt vmcnt(0)
	v_mul_f64 v[136:137], s[28:29], v[2:3]
.LBB173_37:                             ;   in Loop: Header=BB173_35 Depth=1
	s_andn2_saveexec_b64 s[38:39], s[38:39]
; %bb.38:                               ;   in Loop: Header=BB173_35 Depth=1
	v_cndmask_b32_e64 v137, 0, v220, s[12:13]
	v_cndmask_b32_e64 v136, 0, -1, s[12:13]
; %bb.39:                               ;   in Loop: Header=BB173_35 Depth=1
	s_or_b64 exec, exec, s[38:39]
	v_min_i32_e32 v0, s41, v0
	v_mad_i64_i32 v[0:1], s[12:13], v0, s27, 0
	v_lshl_add_u64 v[0:1], v[0:1], 3, s[34:35]
	s_or_b64 s[12:13], s[14:15], s[10:11]
	v_cndmask_b32_e64 v139, 0, v220, s[12:13]
	s_nor_b64 s[38:39], s[16:17], s[12:13]
	v_cndmask_b32_e64 v138, 0, -1, s[12:13]
	v_lshl_add_u64 v[0:1], v[128:129], 3, v[0:1]
	s_and_saveexec_b64 s[12:13], s[38:39]
	s_cbranch_execz .LBB173_41
; %bb.40:                               ;   in Loop: Header=BB173_35 Depth=1
	global_load_dwordx2 v[2:3], v[0:1], off
	s_waitcnt vmcnt(0)
	v_mul_f64 v[138:139], s[28:29], v[2:3]
.LBB173_41:                             ;   in Loop: Header=BB173_35 Depth=1
	s_or_b64 exec, exec, s[12:13]
	s_or_b64 s[12:13], s[4:5], s[10:11]
	v_cndmask_b32_e64 v141, 0, v220, s[12:13]
	s_nor_b64 s[38:39], s[16:17], s[12:13]
	v_cndmask_b32_e64 v140, 0, -1, s[12:13]
	s_and_saveexec_b64 s[12:13], s[38:39]
	s_cbranch_execz .LBB173_43
; %bb.42:                               ;   in Loop: Header=BB173_35 Depth=1
	global_load_dwordx2 v[2:3], v[0:1], off offset:512
	s_waitcnt vmcnt(0)
	v_mul_f64 v[140:141], s[28:29], v[2:3]
.LBB173_43:                             ;   in Loop: Header=BB173_35 Depth=1
	s_or_b64 exec, exec, s[12:13]
	s_or_b64 s[12:13], s[6:7], s[10:11]
	v_cndmask_b32_e64 v143, 0, v220, s[12:13]
	s_nor_b64 s[38:39], s[16:17], s[12:13]
	v_cndmask_b32_e64 v142, 0, -1, s[12:13]
	s_and_saveexec_b64 s[12:13], s[38:39]
	s_cbranch_execz .LBB173_45
; %bb.44:                               ;   in Loop: Header=BB173_35 Depth=1
	global_load_dwordx2 v[2:3], v[0:1], off offset:1024
	s_waitcnt vmcnt(0)
	v_mul_f64 v[142:143], s[28:29], v[2:3]
.LBB173_45:                             ;   in Loop: Header=BB173_35 Depth=1
	;; [unrolled: 12-line block ×3, first 2 shown]
	s_or_b64 exec, exec, s[10:11]
	ds_read_b128 v[124:127], v218
	ds_read_b128 v[60:63], v218 offset:16
	ds_read_b128 v[96:99], v217
	ds_read_b128 v[32:35], v217 offset:16
	ds_read_b128 v[92:95], v217 offset:256
	;; [unrolled: 1-line block ×29, first 2 shown]
	ds_write_b64 v213, v[136:137]
	ds_write2st64_b64 v168, v[138:139], v[140:141] offset1:4
	ds_write2st64_b64 v168, v[142:143], v[144:145] offset0:8 offset1:12
	v_add_u32_e32 v138, 12, v146
	v_cmp_le_i32_e64 s[10:11], s26, v138
	s_or_b64 s[12:13], vcc, s[10:11]
	s_nor_b64 s[38:39], s[16:17], s[12:13]
	s_waitcnt lgkmcnt(0)
	s_barrier
                                        ; implicit-def: $vgpr136_vgpr137
	s_and_saveexec_b64 s[44:45], s[38:39]
	s_xor_b64 s[38:39], exec, s[44:45]
	s_cbranch_execz .LBB173_49
; %bb.48:                               ;   in Loop: Header=BB173_35 Depth=1
	v_lshl_add_u64 v[136:137], v[130:131], 0, v[132:133]
	global_load_dwordx2 v[136:137], v[136:137], off
	s_waitcnt vmcnt(0)
	v_mul_f64 v[136:137], s[28:29], v[136:137]
.LBB173_49:                             ;   in Loop: Header=BB173_35 Depth=1
	s_andn2_saveexec_b64 s[38:39], s[38:39]
; %bb.50:                               ;   in Loop: Header=BB173_35 Depth=1
	v_cndmask_b32_e64 v137, 0, v220, s[12:13]
	v_cndmask_b32_e64 v136, 0, -1, s[12:13]
; %bb.51:                               ;   in Loop: Header=BB173_35 Depth=1
	s_or_b64 exec, exec, s[38:39]
	v_min_i32_e32 v138, s41, v138
	v_mad_i64_i32 v[138:139], s[12:13], v138, s27, 0
	v_lshl_add_u64 v[140:141], v[138:139], 3, s[34:35]
	s_or_b64 s[12:13], s[14:15], s[10:11]
	v_cndmask_b32_e64 v139, 0, v220, s[12:13]
	s_nor_b64 s[38:39], s[16:17], s[12:13]
	v_cndmask_b32_e64 v138, 0, -1, s[12:13]
	v_lshl_add_u64 v[146:147], v[128:129], 3, v[140:141]
	s_and_saveexec_b64 s[12:13], s[38:39]
	s_cbranch_execz .LBB173_53
; %bb.52:                               ;   in Loop: Header=BB173_35 Depth=1
	global_load_dwordx2 v[138:139], v[146:147], off
	s_waitcnt vmcnt(0)
	v_mul_f64 v[138:139], s[28:29], v[138:139]
.LBB173_53:                             ;   in Loop: Header=BB173_35 Depth=1
	s_or_b64 exec, exec, s[12:13]
	s_or_b64 s[12:13], s[4:5], s[10:11]
	v_cndmask_b32_e64 v141, 0, v220, s[12:13]
	s_nor_b64 s[38:39], s[16:17], s[12:13]
	v_cndmask_b32_e64 v140, 0, -1, s[12:13]
	s_and_saveexec_b64 s[12:13], s[38:39]
	s_cbranch_execz .LBB173_55
; %bb.54:                               ;   in Loop: Header=BB173_35 Depth=1
	global_load_dwordx2 v[140:141], v[146:147], off offset:512
	s_waitcnt vmcnt(0)
	v_mul_f64 v[140:141], s[28:29], v[140:141]
.LBB173_55:                             ;   in Loop: Header=BB173_35 Depth=1
	s_or_b64 exec, exec, s[12:13]
	s_or_b64 s[12:13], s[6:7], s[10:11]
	v_cndmask_b32_e64 v143, 0, v220, s[12:13]
	s_nor_b64 s[38:39], s[16:17], s[12:13]
	v_cndmask_b32_e64 v142, 0, -1, s[12:13]
	s_and_saveexec_b64 s[12:13], s[38:39]
	s_cbranch_execz .LBB173_57
; %bb.56:                               ;   in Loop: Header=BB173_35 Depth=1
	global_load_dwordx2 v[142:143], v[146:147], off offset:1024
	s_waitcnt vmcnt(0)
	v_mul_f64 v[142:143], s[28:29], v[142:143]
.LBB173_57:                             ;   in Loop: Header=BB173_35 Depth=1
	s_or_b64 exec, exec, s[12:13]
	s_or_b64 s[10:11], s[8:9], s[10:11]
	v_cndmask_b32_e64 v145, 0, v220, s[10:11]
	s_nor_b64 s[12:13], s[16:17], s[10:11]
	v_cndmask_b32_e64 v144, 0, -1, s[10:11]
	s_and_saveexec_b64 s[10:11], s[12:13]
	s_cbranch_execz .LBB173_34
; %bb.58:                               ;   in Loop: Header=BB173_35 Depth=1
	global_load_dwordx2 v[144:145], v[146:147], off offset:1536
	s_waitcnt vmcnt(0)
	v_mul_f64 v[144:145], s[28:29], v[144:145]
	s_branch .LBB173_34
.LBB173_59:
	s_load_dwordx2 s[4:5], s[0:1], 0x78
	s_load_dword s29, s[0:1], 0x58
	s_load_dword s28, s[0:1], 0x70
	ds_read_b128 v[68:71], v162 offset:18432
	ds_read_b128 v[64:67], v162 offset:18448
	;; [unrolled: 1-line block ×32, first 2 shown]
	v_add_u32_e32 v128, s2, v150
	s_waitcnt lgkmcnt(0)
	s_mul_i32 s1, s5, s3
	s_mul_hi_u32 s5, s4, s3
	s_mul_i32 s0, s4, s3
	s_add_i32 s1, s5, s1
	s_lshl_b64 s[0:1], s[0:1], 3
	s_add_u32 s26, s18, s0
	v_add_u32_e32 v150, s33, v151
	s_addc_u32 s27, s19, s1
	v_mad_i64_i32 v[130:131], s[0:1], v150, s29, 0
	v_lshl_add_u64 v[146:147], v[130:131], 3, s[30:31]
	v_mad_i64_i32 v[130:131], s[0:1], v150, s28, 0
	v_cmp_gt_i32_e64 s[2:3], s24, v128
	v_cmp_gt_i32_e64 s[18:19], s25, v150
	v_lshl_add_u64 v[144:145], v[130:131], 3, s[26:27]
	v_cndmask_b32_e64 v130, 0, 1, s[20:21]
	v_ashrrev_i32_e32 v129, 31, v128
	s_and_b64 s[6:7], s[2:3], s[18:19]
	v_cmp_ne_u32_e64 s[0:1], 1, v130
	s_and_saveexec_b64 s[4:5], s[6:7]
	s_cbranch_execz .LBB173_64
; %bb.60:
	s_and_b64 vcc, exec, s[0:1]
	s_cbranch_vccnz .LBB173_62
; %bb.61:
	v_lshl_add_u64 v[130:131], v[128:129], 3, v[146:147]
	global_load_dwordx2 v[130:131], v[130:131], off
	s_waitcnt vmcnt(0)
	v_mul_f64 v[130:131], s[22:23], v[130:131]
	v_cvt_f32_f64_e32 v130, v[130:131]
	s_branch .LBB173_63
.LBB173_62:
	v_mov_b32_e32 v130, 0
.LBB173_63:
	v_add_f64 v[132:133], v[70:71], v[126:127]
	v_add_f64 v[134:135], v[68:69], v[124:125]
	v_cvt_f32_f64_e32 v131, v[134:135]
	v_cvt_f32_f64_e32 v132, v[132:133]
	v_min3_f32 v131, v131, v132, v224
	v_add_f64 v[132:133], v[66:67], v[122:123]
	v_add_f64 v[134:135], v[64:65], v[120:121]
	v_cvt_f32_f64_e32 v134, v[134:135]
	v_cvt_f32_f64_e32 v132, v[132:133]
	v_min_f32_e32 v132, v134, v132
	v_min3_f32 v130, v130, v132, v131
	v_cvt_f64_f32_e32 v[130:131], v130
	v_lshl_add_u64 v[132:133], v[128:129], 3, v[144:145]
	global_store_dwordx2 v[132:133], v[130:131], off
.LBB173_64:
	s_or_b64 exec, exec, s[4:5]
	v_add_u32_e32 v130, 8, v128
	v_cmp_gt_i32_e64 s[4:5], s24, v130
	v_ashrrev_i32_e32 v131, 31, v130
	s_and_b64 s[8:9], s[4:5], s[18:19]
	s_and_saveexec_b64 s[6:7], s[8:9]
	s_cbranch_execz .LBB173_69
; %bb.65:
	s_and_b64 vcc, exec, s[0:1]
	s_cbranch_vccnz .LBB173_67
; %bb.66:
	v_lshl_add_u64 v[132:133], v[130:131], 3, v[146:147]
	global_load_dwordx2 v[132:133], v[132:133], off
	s_waitcnt vmcnt(0)
	v_mul_f64 v[132:133], s[22:23], v[132:133]
	v_cvt_f32_f64_e32 v132, v[132:133]
	s_branch .LBB173_68
.LBB173_67:
	v_mov_b32_e32 v132, 0
.LBB173_68:
	v_add_f64 v[134:135], v[62:63], v[126:127]
	v_add_f64 v[136:137], v[60:61], v[124:125]
	v_cvt_f32_f64_e32 v133, v[136:137]
	v_cvt_f32_f64_e32 v134, v[134:135]
	v_min3_f32 v133, v133, v134, v223
	v_add_f64 v[134:135], v[58:59], v[122:123]
	v_add_f64 v[136:137], v[56:57], v[120:121]
	v_cvt_f32_f64_e32 v136, v[136:137]
	v_cvt_f32_f64_e32 v134, v[134:135]
	v_min_f32_e32 v134, v136, v134
	v_min3_f32 v132, v132, v134, v133
	v_cvt_f64_f32_e32 v[132:133], v132
	v_lshl_add_u64 v[134:135], v[130:131], 3, v[144:145]
	global_store_dwordx2 v[134:135], v[132:133], off
.LBB173_69:
	s_or_b64 exec, exec, s[6:7]
	v_add_u32_e32 v132, 16, v128
	v_cmp_gt_i32_e64 s[6:7], s24, v132
	v_ashrrev_i32_e32 v133, 31, v132
	s_and_b64 s[10:11], s[6:7], s[18:19]
	;; [unrolled: 35-line block ×6, first 2 shown]
	s_and_saveexec_b64 s[16:17], s[20:21]
	s_cbranch_execz .LBB173_94
; %bb.90:
	s_and_b64 vcc, exec, s[0:1]
	s_cbranch_vccnz .LBB173_92
; %bb.91:
	v_lshl_add_u64 v[142:143], v[140:141], 3, v[146:147]
	global_load_dwordx2 v[142:143], v[142:143], off
	s_waitcnt vmcnt(0)
	v_mul_f64 v[142:143], s[22:23], v[142:143]
	v_cvt_f32_f64_e32 v142, v[142:143]
	s_branch .LBB173_93
.LBB173_92:
	v_mov_b32_e32 v142, 0
.LBB173_93:
	v_add_f64 v[212:213], v[22:23], v[126:127]
	v_add_f64 v[214:215], v[20:21], v[124:125]
	v_cvt_f32_f64_e32 v143, v[214:215]
	v_cvt_f32_f64_e32 v151, v[212:213]
	v_add_f64 v[212:213], v[18:19], v[122:123]
	v_add_f64 v[214:215], v[16:17], v[120:121]
	v_min3_f32 v143, v143, v151, v211
	v_cvt_f32_f64_e32 v151, v[214:215]
	v_cvt_f32_f64_e32 v158, v[212:213]
	v_min_f32_e32 v151, v151, v158
	v_min3_f32 v142, v142, v151, v143
	v_cvt_f64_f32_e32 v[142:143], v142
	v_lshl_add_u64 v[212:213], v[140:141], 3, v[144:145]
	global_store_dwordx2 v[212:213], v[142:143], off
.LBB173_94:
	s_or_b64 exec, exec, s[16:17]
	v_add_u32_e32 v142, 56, v128
	v_cmp_gt_i32_e64 s[16:17], s24, v142
	v_ashrrev_i32_e32 v143, 31, v142
	s_and_b64 s[20:21], s[16:17], s[18:19]
	s_and_saveexec_b64 s[18:19], s[20:21]
	s_cbranch_execz .LBB173_99
; %bb.95:
	s_and_b64 vcc, exec, s[0:1]
	s_cbranch_vccnz .LBB173_97
; %bb.96:
	v_lshl_add_u64 v[146:147], v[142:143], 3, v[146:147]
	global_load_dwordx2 v[146:147], v[146:147], off
	s_waitcnt vmcnt(0)
	v_mul_f64 v[146:147], s[22:23], v[146:147]
	v_cvt_f32_f64_e32 v146, v[146:147]
	s_branch .LBB173_98
.LBB173_97:
	v_mov_b32_e32 v146, 0
.LBB173_98:
	v_add_f64 v[126:127], v[6:7], v[126:127]
	v_add_f64 v[124:125], v[4:5], v[124:125]
	;; [unrolled: 1-line block ×4, first 2 shown]
	v_cvt_f32_f64_e32 v124, v[124:125]
	v_cvt_f32_f64_e32 v125, v[126:127]
	v_cvt_f32_f64_e32 v120, v[120:121]
	v_cvt_f32_f64_e32 v121, v[122:123]
	v_min3_f32 v124, v124, v125, v210
	v_min_f32_e32 v120, v120, v121
	v_min3_f32 v120, v146, v120, v124
	v_cvt_f64_f32_e32 v[120:121], v120
	v_lshl_add_u64 v[122:123], v[142:143], 3, v[144:145]
	global_store_dwordx2 v[122:123], v[120:121], off
.LBB173_99:
	s_or_b64 exec, exec, s[18:19]
	v_add_u32_e32 v124, 32, v150
	v_mad_i64_i32 v[120:121], s[20:21], v124, s29, 0
	v_cmp_gt_i32_e64 s[18:19], s25, v124
	v_lshl_add_u64 v[122:123], v[120:121], 3, s[30:31]
	v_mad_i64_i32 v[120:121], s[20:21], v124, s28, 0
	v_lshl_add_u64 v[120:121], v[120:121], 3, s[26:27]
	s_and_b64 s[34:35], s[2:3], s[18:19]
	s_and_saveexec_b64 s[20:21], s[34:35]
	s_cbranch_execnz .LBB173_107
; %bb.100:
	s_or_b64 exec, exec, s[20:21]
	s_and_b64 s[34:35], s[4:5], s[18:19]
	s_and_saveexec_b64 s[20:21], s[34:35]
	s_cbranch_execnz .LBB173_111
.LBB173_101:
	s_or_b64 exec, exec, s[20:21]
	s_and_b64 s[34:35], s[6:7], s[18:19]
	s_and_saveexec_b64 s[20:21], s[34:35]
	s_cbranch_execnz .LBB173_115
.LBB173_102:
	s_or_b64 exec, exec, s[20:21]
	s_and_b64 s[34:35], s[8:9], s[18:19]
	s_and_saveexec_b64 s[20:21], s[34:35]
	s_cbranch_execnz .LBB173_119
.LBB173_103:
	s_or_b64 exec, exec, s[20:21]
	s_and_b64 s[34:35], s[10:11], s[18:19]
	s_and_saveexec_b64 s[20:21], s[34:35]
	s_cbranch_execnz .LBB173_123
.LBB173_104:
	s_or_b64 exec, exec, s[20:21]
	s_and_b64 s[34:35], s[12:13], s[18:19]
	s_and_saveexec_b64 s[20:21], s[34:35]
	s_cbranch_execnz .LBB173_127
.LBB173_105:
	s_or_b64 exec, exec, s[20:21]
	s_and_b64 s[34:35], s[14:15], s[18:19]
	s_and_saveexec_b64 s[20:21], s[34:35]
	s_cbranch_execnz .LBB173_131
.LBB173_106:
	s_or_b64 exec, exec, s[20:21]
	s_and_b64 s[20:21], s[16:17], s[18:19]
	s_and_saveexec_b64 s[18:19], s[20:21]
	s_cbranch_execnz .LBB173_135
	s_branch .LBB173_139
.LBB173_107:
	s_and_b64 vcc, exec, s[0:1]
	s_cbranch_vccnz .LBB173_109
; %bb.108:
	v_lshl_add_u64 v[124:125], v[128:129], 3, v[122:123]
	global_load_dwordx2 v[124:125], v[124:125], off
	s_waitcnt vmcnt(0)
	v_mul_f64 v[124:125], s[22:23], v[124:125]
	v_cvt_f32_f64_e32 v124, v[124:125]
	s_branch .LBB173_110
.LBB173_109:
	v_mov_b32_e32 v124, 0
.LBB173_110:
	v_add_f64 v[126:127], v[70:71], v[118:119]
	v_add_f64 v[144:145], v[68:69], v[116:117]
	v_cvt_f32_f64_e32 v125, v[144:145]
	v_cvt_f32_f64_e32 v126, v[126:127]
	v_min3_f32 v125, v125, v126, v209
	v_add_f64 v[126:127], v[66:67], v[114:115]
	v_add_f64 v[144:145], v[64:65], v[112:113]
	v_cvt_f32_f64_e32 v144, v[144:145]
	v_cvt_f32_f64_e32 v126, v[126:127]
	v_min_f32_e32 v126, v144, v126
	v_min3_f32 v124, v124, v126, v125
	v_cvt_f64_f32_e32 v[124:125], v124
	v_lshl_add_u64 v[126:127], v[128:129], 3, v[120:121]
	global_store_dwordx2 v[126:127], v[124:125], off
	s_or_b64 exec, exec, s[20:21]
	s_and_b64 s[34:35], s[4:5], s[18:19]
	s_and_saveexec_b64 s[20:21], s[34:35]
	s_cbranch_execz .LBB173_101
.LBB173_111:
	s_and_b64 vcc, exec, s[0:1]
	s_cbranch_vccnz .LBB173_113
; %bb.112:
	v_lshl_add_u64 v[124:125], v[130:131], 3, v[122:123]
	global_load_dwordx2 v[124:125], v[124:125], off
	s_waitcnt vmcnt(0)
	v_mul_f64 v[124:125], s[22:23], v[124:125]
	v_cvt_f32_f64_e32 v124, v[124:125]
	s_branch .LBB173_114
.LBB173_113:
	v_mov_b32_e32 v124, 0
.LBB173_114:
	v_add_f64 v[126:127], v[62:63], v[118:119]
	v_add_f64 v[144:145], v[60:61], v[116:117]
	v_cvt_f32_f64_e32 v125, v[144:145]
	v_cvt_f32_f64_e32 v126, v[126:127]
	v_min3_f32 v125, v125, v126, v208
	v_add_f64 v[126:127], v[58:59], v[114:115]
	v_add_f64 v[144:145], v[56:57], v[112:113]
	v_cvt_f32_f64_e32 v144, v[144:145]
	v_cvt_f32_f64_e32 v126, v[126:127]
	v_min_f32_e32 v126, v144, v126
	v_min3_f32 v124, v124, v126, v125
	v_cvt_f64_f32_e32 v[124:125], v124
	v_lshl_add_u64 v[126:127], v[130:131], 3, v[120:121]
	global_store_dwordx2 v[126:127], v[124:125], off
	s_or_b64 exec, exec, s[20:21]
	s_and_b64 s[34:35], s[6:7], s[18:19]
	s_and_saveexec_b64 s[20:21], s[34:35]
	s_cbranch_execz .LBB173_102
.LBB173_115:
	s_and_b64 vcc, exec, s[0:1]
	s_cbranch_vccnz .LBB173_117
; %bb.116:
	v_lshl_add_u64 v[124:125], v[132:133], 3, v[122:123]
	global_load_dwordx2 v[124:125], v[124:125], off
	s_waitcnt vmcnt(0)
	v_mul_f64 v[124:125], s[22:23], v[124:125]
	v_cvt_f32_f64_e32 v124, v[124:125]
	s_branch .LBB173_118
.LBB173_117:
	v_mov_b32_e32 v124, 0
.LBB173_118:
	v_add_f64 v[126:127], v[54:55], v[118:119]
	v_add_f64 v[144:145], v[52:53], v[116:117]
	v_cvt_f32_f64_e32 v125, v[144:145]
	v_cvt_f32_f64_e32 v126, v[126:127]
	v_min3_f32 v125, v125, v126, v207
	v_add_f64 v[126:127], v[50:51], v[114:115]
	v_add_f64 v[144:145], v[48:49], v[112:113]
	v_cvt_f32_f64_e32 v144, v[144:145]
	v_cvt_f32_f64_e32 v126, v[126:127]
	v_min_f32_e32 v126, v144, v126
	v_min3_f32 v124, v124, v126, v125
	v_cvt_f64_f32_e32 v[124:125], v124
	v_lshl_add_u64 v[126:127], v[132:133], 3, v[120:121]
	global_store_dwordx2 v[126:127], v[124:125], off
	s_or_b64 exec, exec, s[20:21]
	s_and_b64 s[34:35], s[8:9], s[18:19]
	s_and_saveexec_b64 s[20:21], s[34:35]
	s_cbranch_execz .LBB173_103
.LBB173_119:
	s_and_b64 vcc, exec, s[0:1]
	s_cbranch_vccnz .LBB173_121
; %bb.120:
	v_lshl_add_u64 v[124:125], v[134:135], 3, v[122:123]
	global_load_dwordx2 v[124:125], v[124:125], off
	s_waitcnt vmcnt(0)
	v_mul_f64 v[124:125], s[22:23], v[124:125]
	v_cvt_f32_f64_e32 v124, v[124:125]
	s_branch .LBB173_122
.LBB173_121:
	v_mov_b32_e32 v124, 0
.LBB173_122:
	v_add_f64 v[126:127], v[46:47], v[118:119]
	v_add_f64 v[144:145], v[44:45], v[116:117]
	v_cvt_f32_f64_e32 v125, v[144:145]
	v_cvt_f32_f64_e32 v126, v[126:127]
	v_min3_f32 v125, v125, v126, v206
	v_add_f64 v[126:127], v[42:43], v[114:115]
	v_add_f64 v[144:145], v[40:41], v[112:113]
	v_cvt_f32_f64_e32 v144, v[144:145]
	v_cvt_f32_f64_e32 v126, v[126:127]
	v_min_f32_e32 v126, v144, v126
	v_min3_f32 v124, v124, v126, v125
	v_cvt_f64_f32_e32 v[124:125], v124
	v_lshl_add_u64 v[126:127], v[134:135], 3, v[120:121]
	global_store_dwordx2 v[126:127], v[124:125], off
	s_or_b64 exec, exec, s[20:21]
	s_and_b64 s[34:35], s[10:11], s[18:19]
	s_and_saveexec_b64 s[20:21], s[34:35]
	s_cbranch_execz .LBB173_104
.LBB173_123:
	s_and_b64 vcc, exec, s[0:1]
	s_cbranch_vccnz .LBB173_125
; %bb.124:
	v_lshl_add_u64 v[124:125], v[136:137], 3, v[122:123]
	global_load_dwordx2 v[124:125], v[124:125], off
	s_waitcnt vmcnt(0)
	v_mul_f64 v[124:125], s[22:23], v[124:125]
	v_cvt_f32_f64_e32 v124, v[124:125]
	s_branch .LBB173_126
.LBB173_125:
	v_mov_b32_e32 v124, 0
.LBB173_126:
	v_add_f64 v[126:127], v[38:39], v[118:119]
	v_add_f64 v[144:145], v[36:37], v[116:117]
	v_cvt_f32_f64_e32 v125, v[144:145]
	v_cvt_f32_f64_e32 v126, v[126:127]
	v_min3_f32 v125, v125, v126, v205
	v_add_f64 v[126:127], v[34:35], v[114:115]
	v_add_f64 v[144:145], v[32:33], v[112:113]
	v_cvt_f32_f64_e32 v144, v[144:145]
	v_cvt_f32_f64_e32 v126, v[126:127]
	v_min_f32_e32 v126, v144, v126
	v_min3_f32 v124, v124, v126, v125
	v_cvt_f64_f32_e32 v[124:125], v124
	v_lshl_add_u64 v[126:127], v[136:137], 3, v[120:121]
	global_store_dwordx2 v[126:127], v[124:125], off
	s_or_b64 exec, exec, s[20:21]
	s_and_b64 s[34:35], s[12:13], s[18:19]
	s_and_saveexec_b64 s[20:21], s[34:35]
	s_cbranch_execz .LBB173_105
.LBB173_127:
	s_and_b64 vcc, exec, s[0:1]
	s_cbranch_vccnz .LBB173_129
; %bb.128:
	v_lshl_add_u64 v[124:125], v[138:139], 3, v[122:123]
	global_load_dwordx2 v[124:125], v[124:125], off
	s_waitcnt vmcnt(0)
	v_mul_f64 v[124:125], s[22:23], v[124:125]
	v_cvt_f32_f64_e32 v124, v[124:125]
	s_branch .LBB173_130
.LBB173_129:
	v_mov_b32_e32 v124, 0
.LBB173_130:
	v_add_f64 v[126:127], v[30:31], v[118:119]
	v_add_f64 v[144:145], v[28:29], v[116:117]
	v_cvt_f32_f64_e32 v125, v[144:145]
	v_cvt_f32_f64_e32 v126, v[126:127]
	v_min3_f32 v125, v125, v126, v204
	v_add_f64 v[126:127], v[26:27], v[114:115]
	v_add_f64 v[144:145], v[24:25], v[112:113]
	v_cvt_f32_f64_e32 v144, v[144:145]
	v_cvt_f32_f64_e32 v126, v[126:127]
	v_min_f32_e32 v126, v144, v126
	v_min3_f32 v124, v124, v126, v125
	v_cvt_f64_f32_e32 v[124:125], v124
	v_lshl_add_u64 v[126:127], v[138:139], 3, v[120:121]
	global_store_dwordx2 v[126:127], v[124:125], off
	s_or_b64 exec, exec, s[20:21]
	s_and_b64 s[34:35], s[14:15], s[18:19]
	s_and_saveexec_b64 s[20:21], s[34:35]
	s_cbranch_execz .LBB173_106
.LBB173_131:
	s_and_b64 vcc, exec, s[0:1]
	s_cbranch_vccnz .LBB173_133
; %bb.132:
	v_lshl_add_u64 v[124:125], v[140:141], 3, v[122:123]
	global_load_dwordx2 v[124:125], v[124:125], off
	s_waitcnt vmcnt(0)
	v_mul_f64 v[124:125], s[22:23], v[124:125]
	v_cvt_f32_f64_e32 v124, v[124:125]
	s_branch .LBB173_134
.LBB173_133:
	v_mov_b32_e32 v124, 0
.LBB173_134:
	v_add_f64 v[126:127], v[22:23], v[118:119]
	v_add_f64 v[144:145], v[20:21], v[116:117]
	v_cvt_f32_f64_e32 v125, v[144:145]
	v_cvt_f32_f64_e32 v126, v[126:127]
	v_min3_f32 v125, v125, v126, v203
	v_add_f64 v[126:127], v[18:19], v[114:115]
	v_add_f64 v[144:145], v[16:17], v[112:113]
	v_cvt_f32_f64_e32 v144, v[144:145]
	v_cvt_f32_f64_e32 v126, v[126:127]
	v_min_f32_e32 v126, v144, v126
	v_min3_f32 v124, v124, v126, v125
	v_cvt_f64_f32_e32 v[124:125], v124
	v_lshl_add_u64 v[126:127], v[140:141], 3, v[120:121]
	global_store_dwordx2 v[126:127], v[124:125], off
	s_or_b64 exec, exec, s[20:21]
	s_and_b64 s[20:21], s[16:17], s[18:19]
	s_and_saveexec_b64 s[18:19], s[20:21]
	s_cbranch_execz .LBB173_139
.LBB173_135:
	s_and_b64 vcc, exec, s[0:1]
	s_cbranch_vccnz .LBB173_137
; %bb.136:
	v_lshl_add_u64 v[122:123], v[142:143], 3, v[122:123]
	global_load_dwordx2 v[122:123], v[122:123], off
	s_waitcnt vmcnt(0)
	v_mul_f64 v[122:123], s[22:23], v[122:123]
	v_cvt_f32_f64_e32 v122, v[122:123]
	s_branch .LBB173_138
.LBB173_137:
	v_mov_b32_e32 v122, 0
.LBB173_138:
	v_add_f64 v[118:119], v[6:7], v[118:119]
	v_add_f64 v[116:117], v[4:5], v[116:117]
	v_add_f64 v[114:115], v[2:3], v[114:115]
	v_add_f64 v[112:113], v[0:1], v[112:113]
	v_cvt_f32_f64_e32 v116, v[116:117]
	v_cvt_f32_f64_e32 v117, v[118:119]
	;; [unrolled: 1-line block ×4, first 2 shown]
	v_min3_f32 v116, v116, v117, v202
	v_min_f32_e32 v112, v112, v113
	v_min3_f32 v112, v122, v112, v116
	v_cvt_f64_f32_e32 v[112:113], v112
	v_lshl_add_u64 v[114:115], v[142:143], 3, v[120:121]
	global_store_dwordx2 v[114:115], v[112:113], off
.LBB173_139:
	s_or_b64 exec, exec, s[18:19]
	v_add_u32_e32 v116, 64, v150
	v_mad_i64_i32 v[112:113], s[20:21], v116, s29, 0
	v_cmp_gt_i32_e64 s[18:19], s25, v116
	v_lshl_add_u64 v[114:115], v[112:113], 3, s[30:31]
	v_mad_i64_i32 v[112:113], s[20:21], v116, s28, 0
	v_lshl_add_u64 v[112:113], v[112:113], 3, s[26:27]
	s_and_b64 s[34:35], s[2:3], s[18:19]
	s_and_saveexec_b64 s[20:21], s[34:35]
	s_cbranch_execnz .LBB173_147
; %bb.140:
	s_or_b64 exec, exec, s[20:21]
	s_and_b64 s[34:35], s[4:5], s[18:19]
	s_and_saveexec_b64 s[20:21], s[34:35]
	s_cbranch_execnz .LBB173_151
.LBB173_141:
	s_or_b64 exec, exec, s[20:21]
	s_and_b64 s[34:35], s[6:7], s[18:19]
	s_and_saveexec_b64 s[20:21], s[34:35]
	s_cbranch_execnz .LBB173_155
.LBB173_142:
	s_or_b64 exec, exec, s[20:21]
	s_and_b64 s[34:35], s[8:9], s[18:19]
	s_and_saveexec_b64 s[20:21], s[34:35]
	s_cbranch_execnz .LBB173_159
.LBB173_143:
	s_or_b64 exec, exec, s[20:21]
	s_and_b64 s[34:35], s[10:11], s[18:19]
	s_and_saveexec_b64 s[20:21], s[34:35]
	s_cbranch_execnz .LBB173_163
.LBB173_144:
	s_or_b64 exec, exec, s[20:21]
	s_and_b64 s[34:35], s[12:13], s[18:19]
	s_and_saveexec_b64 s[20:21], s[34:35]
	s_cbranch_execnz .LBB173_167
.LBB173_145:
	s_or_b64 exec, exec, s[20:21]
	s_and_b64 s[34:35], s[14:15], s[18:19]
	s_and_saveexec_b64 s[20:21], s[34:35]
	s_cbranch_execnz .LBB173_171
.LBB173_146:
	s_or_b64 exec, exec, s[20:21]
	s_and_b64 s[20:21], s[16:17], s[18:19]
	s_and_saveexec_b64 s[18:19], s[20:21]
	s_cbranch_execnz .LBB173_175
	s_branch .LBB173_179
.LBB173_147:
	s_and_b64 vcc, exec, s[0:1]
	s_cbranch_vccnz .LBB173_149
; %bb.148:
	v_lshl_add_u64 v[116:117], v[128:129], 3, v[114:115]
	global_load_dwordx2 v[116:117], v[116:117], off
	s_waitcnt vmcnt(0)
	v_mul_f64 v[116:117], s[22:23], v[116:117]
	v_cvt_f32_f64_e32 v116, v[116:117]
	s_branch .LBB173_150
.LBB173_149:
	v_mov_b32_e32 v116, 0
.LBB173_150:
	v_add_f64 v[118:119], v[70:71], v[110:111]
	v_add_f64 v[120:121], v[68:69], v[108:109]
	v_cvt_f32_f64_e32 v117, v[120:121]
	v_cvt_f32_f64_e32 v118, v[118:119]
	v_min3_f32 v117, v117, v118, v201
	v_add_f64 v[118:119], v[66:67], v[106:107]
	v_add_f64 v[120:121], v[64:65], v[104:105]
	v_cvt_f32_f64_e32 v120, v[120:121]
	v_cvt_f32_f64_e32 v118, v[118:119]
	v_min_f32_e32 v118, v120, v118
	v_min3_f32 v116, v116, v118, v117
	v_cvt_f64_f32_e32 v[116:117], v116
	v_lshl_add_u64 v[118:119], v[128:129], 3, v[112:113]
	global_store_dwordx2 v[118:119], v[116:117], off
	s_or_b64 exec, exec, s[20:21]
	s_and_b64 s[34:35], s[4:5], s[18:19]
	s_and_saveexec_b64 s[20:21], s[34:35]
	s_cbranch_execz .LBB173_141
.LBB173_151:
	s_and_b64 vcc, exec, s[0:1]
	s_cbranch_vccnz .LBB173_153
; %bb.152:
	v_lshl_add_u64 v[116:117], v[130:131], 3, v[114:115]
	global_load_dwordx2 v[116:117], v[116:117], off
	s_waitcnt vmcnt(0)
	v_mul_f64 v[116:117], s[22:23], v[116:117]
	v_cvt_f32_f64_e32 v116, v[116:117]
	s_branch .LBB173_154
.LBB173_153:
	v_mov_b32_e32 v116, 0
.LBB173_154:
	v_add_f64 v[118:119], v[62:63], v[110:111]
	v_add_f64 v[120:121], v[60:61], v[108:109]
	v_cvt_f32_f64_e32 v117, v[120:121]
	v_cvt_f32_f64_e32 v118, v[118:119]
	v_min3_f32 v117, v117, v118, v200
	v_add_f64 v[118:119], v[58:59], v[106:107]
	v_add_f64 v[120:121], v[56:57], v[104:105]
	v_cvt_f32_f64_e32 v120, v[120:121]
	v_cvt_f32_f64_e32 v118, v[118:119]
	v_min_f32_e32 v118, v120, v118
	v_min3_f32 v116, v116, v118, v117
	v_cvt_f64_f32_e32 v[116:117], v116
	v_lshl_add_u64 v[118:119], v[130:131], 3, v[112:113]
	global_store_dwordx2 v[118:119], v[116:117], off
	s_or_b64 exec, exec, s[20:21]
	s_and_b64 s[34:35], s[6:7], s[18:19]
	s_and_saveexec_b64 s[20:21], s[34:35]
	s_cbranch_execz .LBB173_142
.LBB173_155:
	s_and_b64 vcc, exec, s[0:1]
	s_cbranch_vccnz .LBB173_157
; %bb.156:
	v_lshl_add_u64 v[116:117], v[132:133], 3, v[114:115]
	global_load_dwordx2 v[116:117], v[116:117], off
	s_waitcnt vmcnt(0)
	v_mul_f64 v[116:117], s[22:23], v[116:117]
	v_cvt_f32_f64_e32 v116, v[116:117]
	s_branch .LBB173_158
.LBB173_157:
	v_mov_b32_e32 v116, 0
.LBB173_158:
	v_add_f64 v[118:119], v[54:55], v[110:111]
	v_add_f64 v[120:121], v[52:53], v[108:109]
	v_cvt_f32_f64_e32 v117, v[120:121]
	v_cvt_f32_f64_e32 v118, v[118:119]
	v_min3_f32 v117, v117, v118, v199
	v_add_f64 v[118:119], v[50:51], v[106:107]
	v_add_f64 v[120:121], v[48:49], v[104:105]
	v_cvt_f32_f64_e32 v120, v[120:121]
	v_cvt_f32_f64_e32 v118, v[118:119]
	v_min_f32_e32 v118, v120, v118
	v_min3_f32 v116, v116, v118, v117
	v_cvt_f64_f32_e32 v[116:117], v116
	v_lshl_add_u64 v[118:119], v[132:133], 3, v[112:113]
	global_store_dwordx2 v[118:119], v[116:117], off
	s_or_b64 exec, exec, s[20:21]
	s_and_b64 s[34:35], s[8:9], s[18:19]
	s_and_saveexec_b64 s[20:21], s[34:35]
	s_cbranch_execz .LBB173_143
.LBB173_159:
	s_and_b64 vcc, exec, s[0:1]
	s_cbranch_vccnz .LBB173_161
; %bb.160:
	v_lshl_add_u64 v[116:117], v[134:135], 3, v[114:115]
	global_load_dwordx2 v[116:117], v[116:117], off
	s_waitcnt vmcnt(0)
	v_mul_f64 v[116:117], s[22:23], v[116:117]
	v_cvt_f32_f64_e32 v116, v[116:117]
	s_branch .LBB173_162
.LBB173_161:
	v_mov_b32_e32 v116, 0
.LBB173_162:
	v_add_f64 v[118:119], v[46:47], v[110:111]
	v_add_f64 v[120:121], v[44:45], v[108:109]
	v_cvt_f32_f64_e32 v117, v[120:121]
	v_cvt_f32_f64_e32 v118, v[118:119]
	v_min3_f32 v117, v117, v118, v198
	v_add_f64 v[118:119], v[42:43], v[106:107]
	v_add_f64 v[120:121], v[40:41], v[104:105]
	v_cvt_f32_f64_e32 v120, v[120:121]
	v_cvt_f32_f64_e32 v118, v[118:119]
	v_min_f32_e32 v118, v120, v118
	v_min3_f32 v116, v116, v118, v117
	v_cvt_f64_f32_e32 v[116:117], v116
	v_lshl_add_u64 v[118:119], v[134:135], 3, v[112:113]
	global_store_dwordx2 v[118:119], v[116:117], off
	s_or_b64 exec, exec, s[20:21]
	s_and_b64 s[34:35], s[10:11], s[18:19]
	s_and_saveexec_b64 s[20:21], s[34:35]
	s_cbranch_execz .LBB173_144
.LBB173_163:
	s_and_b64 vcc, exec, s[0:1]
	s_cbranch_vccnz .LBB173_165
; %bb.164:
	v_lshl_add_u64 v[116:117], v[136:137], 3, v[114:115]
	global_load_dwordx2 v[116:117], v[116:117], off
	s_waitcnt vmcnt(0)
	v_mul_f64 v[116:117], s[22:23], v[116:117]
	v_cvt_f32_f64_e32 v116, v[116:117]
	s_branch .LBB173_166
.LBB173_165:
	v_mov_b32_e32 v116, 0
.LBB173_166:
	v_add_f64 v[118:119], v[38:39], v[110:111]
	v_add_f64 v[120:121], v[36:37], v[108:109]
	v_cvt_f32_f64_e32 v117, v[120:121]
	v_cvt_f32_f64_e32 v118, v[118:119]
	v_min3_f32 v117, v117, v118, v197
	v_add_f64 v[118:119], v[34:35], v[106:107]
	v_add_f64 v[120:121], v[32:33], v[104:105]
	v_cvt_f32_f64_e32 v120, v[120:121]
	v_cvt_f32_f64_e32 v118, v[118:119]
	v_min_f32_e32 v118, v120, v118
	v_min3_f32 v116, v116, v118, v117
	v_cvt_f64_f32_e32 v[116:117], v116
	v_lshl_add_u64 v[118:119], v[136:137], 3, v[112:113]
	global_store_dwordx2 v[118:119], v[116:117], off
	s_or_b64 exec, exec, s[20:21]
	s_and_b64 s[34:35], s[12:13], s[18:19]
	s_and_saveexec_b64 s[20:21], s[34:35]
	s_cbranch_execz .LBB173_145
.LBB173_167:
	s_and_b64 vcc, exec, s[0:1]
	s_cbranch_vccnz .LBB173_169
; %bb.168:
	v_lshl_add_u64 v[116:117], v[138:139], 3, v[114:115]
	global_load_dwordx2 v[116:117], v[116:117], off
	s_waitcnt vmcnt(0)
	v_mul_f64 v[116:117], s[22:23], v[116:117]
	v_cvt_f32_f64_e32 v116, v[116:117]
	s_branch .LBB173_170
.LBB173_169:
	v_mov_b32_e32 v116, 0
.LBB173_170:
	v_add_f64 v[118:119], v[30:31], v[110:111]
	v_add_f64 v[120:121], v[28:29], v[108:109]
	v_cvt_f32_f64_e32 v117, v[120:121]
	v_cvt_f32_f64_e32 v118, v[118:119]
	v_min3_f32 v117, v117, v118, v196
	v_add_f64 v[118:119], v[26:27], v[106:107]
	v_add_f64 v[120:121], v[24:25], v[104:105]
	v_cvt_f32_f64_e32 v120, v[120:121]
	v_cvt_f32_f64_e32 v118, v[118:119]
	v_min_f32_e32 v118, v120, v118
	v_min3_f32 v116, v116, v118, v117
	v_cvt_f64_f32_e32 v[116:117], v116
	v_lshl_add_u64 v[118:119], v[138:139], 3, v[112:113]
	global_store_dwordx2 v[118:119], v[116:117], off
	s_or_b64 exec, exec, s[20:21]
	s_and_b64 s[34:35], s[14:15], s[18:19]
	s_and_saveexec_b64 s[20:21], s[34:35]
	s_cbranch_execz .LBB173_146
.LBB173_171:
	s_and_b64 vcc, exec, s[0:1]
	s_cbranch_vccnz .LBB173_173
; %bb.172:
	v_lshl_add_u64 v[116:117], v[140:141], 3, v[114:115]
	global_load_dwordx2 v[116:117], v[116:117], off
	s_waitcnt vmcnt(0)
	v_mul_f64 v[116:117], s[22:23], v[116:117]
	v_cvt_f32_f64_e32 v116, v[116:117]
	s_branch .LBB173_174
.LBB173_173:
	v_mov_b32_e32 v116, 0
.LBB173_174:
	v_add_f64 v[118:119], v[22:23], v[110:111]
	v_add_f64 v[120:121], v[20:21], v[108:109]
	v_cvt_f32_f64_e32 v117, v[120:121]
	v_cvt_f32_f64_e32 v118, v[118:119]
	v_min3_f32 v117, v117, v118, v195
	v_add_f64 v[118:119], v[18:19], v[106:107]
	v_add_f64 v[120:121], v[16:17], v[104:105]
	v_cvt_f32_f64_e32 v120, v[120:121]
	v_cvt_f32_f64_e32 v118, v[118:119]
	v_min_f32_e32 v118, v120, v118
	v_min3_f32 v116, v116, v118, v117
	v_cvt_f64_f32_e32 v[116:117], v116
	v_lshl_add_u64 v[118:119], v[140:141], 3, v[112:113]
	global_store_dwordx2 v[118:119], v[116:117], off
	s_or_b64 exec, exec, s[20:21]
	s_and_b64 s[20:21], s[16:17], s[18:19]
	s_and_saveexec_b64 s[18:19], s[20:21]
	s_cbranch_execz .LBB173_179
.LBB173_175:
	s_and_b64 vcc, exec, s[0:1]
	s_cbranch_vccnz .LBB173_177
; %bb.176:
	v_lshl_add_u64 v[114:115], v[142:143], 3, v[114:115]
	global_load_dwordx2 v[114:115], v[114:115], off
	s_waitcnt vmcnt(0)
	v_mul_f64 v[114:115], s[22:23], v[114:115]
	v_cvt_f32_f64_e32 v114, v[114:115]
	s_branch .LBB173_178
.LBB173_177:
	v_mov_b32_e32 v114, 0
.LBB173_178:
	v_add_f64 v[110:111], v[6:7], v[110:111]
	v_add_f64 v[108:109], v[4:5], v[108:109]
	;; [unrolled: 1-line block ×4, first 2 shown]
	v_cvt_f32_f64_e32 v108, v[108:109]
	v_cvt_f32_f64_e32 v109, v[110:111]
	;; [unrolled: 1-line block ×4, first 2 shown]
	v_min3_f32 v108, v108, v109, v194
	v_min_f32_e32 v104, v104, v105
	v_min3_f32 v104, v114, v104, v108
	v_cvt_f64_f32_e32 v[104:105], v104
	v_lshl_add_u64 v[106:107], v[142:143], 3, v[112:113]
	global_store_dwordx2 v[106:107], v[104:105], off
.LBB173_179:
	s_or_b64 exec, exec, s[18:19]
	v_add_u32_e32 v108, 0x60, v150
	v_mad_i64_i32 v[104:105], s[20:21], v108, s29, 0
	v_cmp_gt_i32_e64 s[18:19], s25, v108
	v_lshl_add_u64 v[106:107], v[104:105], 3, s[30:31]
	v_mad_i64_i32 v[104:105], s[20:21], v108, s28, 0
	v_lshl_add_u64 v[104:105], v[104:105], 3, s[26:27]
	s_and_b64 s[34:35], s[2:3], s[18:19]
	s_and_saveexec_b64 s[20:21], s[34:35]
	s_cbranch_execnz .LBB173_187
; %bb.180:
	s_or_b64 exec, exec, s[20:21]
	s_and_b64 s[34:35], s[4:5], s[18:19]
	s_and_saveexec_b64 s[20:21], s[34:35]
	s_cbranch_execnz .LBB173_191
.LBB173_181:
	s_or_b64 exec, exec, s[20:21]
	s_and_b64 s[34:35], s[6:7], s[18:19]
	s_and_saveexec_b64 s[20:21], s[34:35]
	s_cbranch_execnz .LBB173_195
.LBB173_182:
	s_or_b64 exec, exec, s[20:21]
	s_and_b64 s[34:35], s[8:9], s[18:19]
	s_and_saveexec_b64 s[20:21], s[34:35]
	s_cbranch_execnz .LBB173_199
.LBB173_183:
	s_or_b64 exec, exec, s[20:21]
	s_and_b64 s[34:35], s[10:11], s[18:19]
	s_and_saveexec_b64 s[20:21], s[34:35]
	s_cbranch_execnz .LBB173_203
.LBB173_184:
	s_or_b64 exec, exec, s[20:21]
	s_and_b64 s[34:35], s[12:13], s[18:19]
	s_and_saveexec_b64 s[20:21], s[34:35]
	s_cbranch_execnz .LBB173_207
.LBB173_185:
	s_or_b64 exec, exec, s[20:21]
	s_and_b64 s[34:35], s[14:15], s[18:19]
	s_and_saveexec_b64 s[20:21], s[34:35]
	s_cbranch_execnz .LBB173_211
.LBB173_186:
	s_or_b64 exec, exec, s[20:21]
	s_and_b64 s[20:21], s[16:17], s[18:19]
	s_and_saveexec_b64 s[18:19], s[20:21]
	s_cbranch_execnz .LBB173_215
	s_branch .LBB173_219
.LBB173_187:
	s_and_b64 vcc, exec, s[0:1]
	s_cbranch_vccnz .LBB173_189
; %bb.188:
	v_lshl_add_u64 v[108:109], v[128:129], 3, v[106:107]
	global_load_dwordx2 v[108:109], v[108:109], off
	s_waitcnt vmcnt(0)
	v_mul_f64 v[108:109], s[22:23], v[108:109]
	v_cvt_f32_f64_e32 v108, v[108:109]
	s_branch .LBB173_190
.LBB173_189:
	v_mov_b32_e32 v108, 0
.LBB173_190:
	v_add_f64 v[110:111], v[70:71], v[102:103]
	v_add_f64 v[112:113], v[68:69], v[100:101]
	v_cvt_f32_f64_e32 v109, v[112:113]
	v_cvt_f32_f64_e32 v110, v[110:111]
	v_min3_f32 v109, v109, v110, v193
	v_add_f64 v[110:111], v[66:67], v[98:99]
	v_add_f64 v[112:113], v[64:65], v[96:97]
	v_cvt_f32_f64_e32 v112, v[112:113]
	v_cvt_f32_f64_e32 v110, v[110:111]
	v_min_f32_e32 v110, v112, v110
	v_min3_f32 v108, v108, v110, v109
	v_cvt_f64_f32_e32 v[108:109], v108
	v_lshl_add_u64 v[110:111], v[128:129], 3, v[104:105]
	global_store_dwordx2 v[110:111], v[108:109], off
	s_or_b64 exec, exec, s[20:21]
	s_and_b64 s[34:35], s[4:5], s[18:19]
	s_and_saveexec_b64 s[20:21], s[34:35]
	s_cbranch_execz .LBB173_181
.LBB173_191:
	s_and_b64 vcc, exec, s[0:1]
	s_cbranch_vccnz .LBB173_193
; %bb.192:
	v_lshl_add_u64 v[108:109], v[130:131], 3, v[106:107]
	global_load_dwordx2 v[108:109], v[108:109], off
	s_waitcnt vmcnt(0)
	v_mul_f64 v[108:109], s[22:23], v[108:109]
	v_cvt_f32_f64_e32 v108, v[108:109]
	s_branch .LBB173_194
.LBB173_193:
	v_mov_b32_e32 v108, 0
.LBB173_194:
	v_add_f64 v[110:111], v[62:63], v[102:103]
	v_add_f64 v[112:113], v[60:61], v[100:101]
	v_cvt_f32_f64_e32 v109, v[112:113]
	v_cvt_f32_f64_e32 v110, v[110:111]
	v_min3_f32 v109, v109, v110, v192
	v_add_f64 v[110:111], v[58:59], v[98:99]
	v_add_f64 v[112:113], v[56:57], v[96:97]
	v_cvt_f32_f64_e32 v112, v[112:113]
	v_cvt_f32_f64_e32 v110, v[110:111]
	v_min_f32_e32 v110, v112, v110
	v_min3_f32 v108, v108, v110, v109
	v_cvt_f64_f32_e32 v[108:109], v108
	v_lshl_add_u64 v[110:111], v[130:131], 3, v[104:105]
	global_store_dwordx2 v[110:111], v[108:109], off
	s_or_b64 exec, exec, s[20:21]
	s_and_b64 s[34:35], s[6:7], s[18:19]
	s_and_saveexec_b64 s[20:21], s[34:35]
	s_cbranch_execz .LBB173_182
.LBB173_195:
	s_and_b64 vcc, exec, s[0:1]
	s_cbranch_vccnz .LBB173_197
; %bb.196:
	v_lshl_add_u64 v[108:109], v[132:133], 3, v[106:107]
	global_load_dwordx2 v[108:109], v[108:109], off
	s_waitcnt vmcnt(0)
	v_mul_f64 v[108:109], s[22:23], v[108:109]
	v_cvt_f32_f64_e32 v108, v[108:109]
	s_branch .LBB173_198
.LBB173_197:
	v_mov_b32_e32 v108, 0
.LBB173_198:
	v_add_f64 v[110:111], v[54:55], v[102:103]
	v_add_f64 v[112:113], v[52:53], v[100:101]
	v_cvt_f32_f64_e32 v109, v[112:113]
	v_cvt_f32_f64_e32 v110, v[110:111]
	v_min3_f32 v109, v109, v110, v191
	v_add_f64 v[110:111], v[50:51], v[98:99]
	v_add_f64 v[112:113], v[48:49], v[96:97]
	v_cvt_f32_f64_e32 v112, v[112:113]
	v_cvt_f32_f64_e32 v110, v[110:111]
	v_min_f32_e32 v110, v112, v110
	v_min3_f32 v108, v108, v110, v109
	v_cvt_f64_f32_e32 v[108:109], v108
	v_lshl_add_u64 v[110:111], v[132:133], 3, v[104:105]
	global_store_dwordx2 v[110:111], v[108:109], off
	s_or_b64 exec, exec, s[20:21]
	s_and_b64 s[34:35], s[8:9], s[18:19]
	s_and_saveexec_b64 s[20:21], s[34:35]
	s_cbranch_execz .LBB173_183
.LBB173_199:
	s_and_b64 vcc, exec, s[0:1]
	s_cbranch_vccnz .LBB173_201
; %bb.200:
	v_lshl_add_u64 v[108:109], v[134:135], 3, v[106:107]
	global_load_dwordx2 v[108:109], v[108:109], off
	s_waitcnt vmcnt(0)
	v_mul_f64 v[108:109], s[22:23], v[108:109]
	v_cvt_f32_f64_e32 v108, v[108:109]
	s_branch .LBB173_202
.LBB173_201:
	v_mov_b32_e32 v108, 0
.LBB173_202:
	v_add_f64 v[110:111], v[46:47], v[102:103]
	v_add_f64 v[112:113], v[44:45], v[100:101]
	v_cvt_f32_f64_e32 v109, v[112:113]
	v_cvt_f32_f64_e32 v110, v[110:111]
	v_min3_f32 v109, v109, v110, v190
	v_add_f64 v[110:111], v[42:43], v[98:99]
	v_add_f64 v[112:113], v[40:41], v[96:97]
	v_cvt_f32_f64_e32 v112, v[112:113]
	v_cvt_f32_f64_e32 v110, v[110:111]
	v_min_f32_e32 v110, v112, v110
	v_min3_f32 v108, v108, v110, v109
	v_cvt_f64_f32_e32 v[108:109], v108
	v_lshl_add_u64 v[110:111], v[134:135], 3, v[104:105]
	global_store_dwordx2 v[110:111], v[108:109], off
	s_or_b64 exec, exec, s[20:21]
	s_and_b64 s[34:35], s[10:11], s[18:19]
	s_and_saveexec_b64 s[20:21], s[34:35]
	s_cbranch_execz .LBB173_184
.LBB173_203:
	s_and_b64 vcc, exec, s[0:1]
	s_cbranch_vccnz .LBB173_205
; %bb.204:
	v_lshl_add_u64 v[108:109], v[136:137], 3, v[106:107]
	global_load_dwordx2 v[108:109], v[108:109], off
	s_waitcnt vmcnt(0)
	v_mul_f64 v[108:109], s[22:23], v[108:109]
	v_cvt_f32_f64_e32 v108, v[108:109]
	s_branch .LBB173_206
.LBB173_205:
	v_mov_b32_e32 v108, 0
.LBB173_206:
	v_add_f64 v[110:111], v[38:39], v[102:103]
	v_add_f64 v[112:113], v[36:37], v[100:101]
	v_cvt_f32_f64_e32 v109, v[112:113]
	v_cvt_f32_f64_e32 v110, v[110:111]
	v_min3_f32 v109, v109, v110, v189
	v_add_f64 v[110:111], v[34:35], v[98:99]
	v_add_f64 v[112:113], v[32:33], v[96:97]
	v_cvt_f32_f64_e32 v112, v[112:113]
	v_cvt_f32_f64_e32 v110, v[110:111]
	v_min_f32_e32 v110, v112, v110
	v_min3_f32 v108, v108, v110, v109
	v_cvt_f64_f32_e32 v[108:109], v108
	v_lshl_add_u64 v[110:111], v[136:137], 3, v[104:105]
	global_store_dwordx2 v[110:111], v[108:109], off
	s_or_b64 exec, exec, s[20:21]
	s_and_b64 s[34:35], s[12:13], s[18:19]
	s_and_saveexec_b64 s[20:21], s[34:35]
	s_cbranch_execz .LBB173_185
.LBB173_207:
	s_and_b64 vcc, exec, s[0:1]
	s_cbranch_vccnz .LBB173_209
; %bb.208:
	v_lshl_add_u64 v[108:109], v[138:139], 3, v[106:107]
	global_load_dwordx2 v[108:109], v[108:109], off
	s_waitcnt vmcnt(0)
	v_mul_f64 v[108:109], s[22:23], v[108:109]
	v_cvt_f32_f64_e32 v108, v[108:109]
	s_branch .LBB173_210
.LBB173_209:
	v_mov_b32_e32 v108, 0
.LBB173_210:
	v_add_f64 v[110:111], v[30:31], v[102:103]
	v_add_f64 v[112:113], v[28:29], v[100:101]
	v_cvt_f32_f64_e32 v109, v[112:113]
	v_cvt_f32_f64_e32 v110, v[110:111]
	v_min3_f32 v109, v109, v110, v188
	v_add_f64 v[110:111], v[26:27], v[98:99]
	v_add_f64 v[112:113], v[24:25], v[96:97]
	v_cvt_f32_f64_e32 v112, v[112:113]
	v_cvt_f32_f64_e32 v110, v[110:111]
	v_min_f32_e32 v110, v112, v110
	v_min3_f32 v108, v108, v110, v109
	v_cvt_f64_f32_e32 v[108:109], v108
	v_lshl_add_u64 v[110:111], v[138:139], 3, v[104:105]
	global_store_dwordx2 v[110:111], v[108:109], off
	s_or_b64 exec, exec, s[20:21]
	s_and_b64 s[34:35], s[14:15], s[18:19]
	s_and_saveexec_b64 s[20:21], s[34:35]
	s_cbranch_execz .LBB173_186
.LBB173_211:
	s_and_b64 vcc, exec, s[0:1]
	s_cbranch_vccnz .LBB173_213
; %bb.212:
	v_lshl_add_u64 v[108:109], v[140:141], 3, v[106:107]
	global_load_dwordx2 v[108:109], v[108:109], off
	s_waitcnt vmcnt(0)
	v_mul_f64 v[108:109], s[22:23], v[108:109]
	v_cvt_f32_f64_e32 v108, v[108:109]
	s_branch .LBB173_214
.LBB173_213:
	v_mov_b32_e32 v108, 0
.LBB173_214:
	v_add_f64 v[110:111], v[22:23], v[102:103]
	v_add_f64 v[112:113], v[20:21], v[100:101]
	v_cvt_f32_f64_e32 v109, v[112:113]
	v_cvt_f32_f64_e32 v110, v[110:111]
	v_min3_f32 v109, v109, v110, v187
	v_add_f64 v[110:111], v[18:19], v[98:99]
	v_add_f64 v[112:113], v[16:17], v[96:97]
	v_cvt_f32_f64_e32 v112, v[112:113]
	v_cvt_f32_f64_e32 v110, v[110:111]
	v_min_f32_e32 v110, v112, v110
	v_min3_f32 v108, v108, v110, v109
	v_cvt_f64_f32_e32 v[108:109], v108
	v_lshl_add_u64 v[110:111], v[140:141], 3, v[104:105]
	global_store_dwordx2 v[110:111], v[108:109], off
	s_or_b64 exec, exec, s[20:21]
	s_and_b64 s[20:21], s[16:17], s[18:19]
	s_and_saveexec_b64 s[18:19], s[20:21]
	s_cbranch_execz .LBB173_219
.LBB173_215:
	s_and_b64 vcc, exec, s[0:1]
	s_cbranch_vccnz .LBB173_217
; %bb.216:
	v_lshl_add_u64 v[106:107], v[142:143], 3, v[106:107]
	global_load_dwordx2 v[106:107], v[106:107], off
	s_waitcnt vmcnt(0)
	v_mul_f64 v[106:107], s[22:23], v[106:107]
	v_cvt_f32_f64_e32 v106, v[106:107]
	s_branch .LBB173_218
.LBB173_217:
	v_mov_b32_e32 v106, 0
.LBB173_218:
	v_add_f64 v[102:103], v[6:7], v[102:103]
	v_add_f64 v[100:101], v[4:5], v[100:101]
	;; [unrolled: 1-line block ×4, first 2 shown]
	v_cvt_f32_f64_e32 v100, v[100:101]
	v_cvt_f32_f64_e32 v101, v[102:103]
	;; [unrolled: 1-line block ×4, first 2 shown]
	v_min3_f32 v100, v100, v101, v186
	v_min_f32_e32 v96, v96, v97
	v_min3_f32 v96, v106, v96, v100
	v_cvt_f64_f32_e32 v[96:97], v96
	v_lshl_add_u64 v[98:99], v[142:143], 3, v[104:105]
	global_store_dwordx2 v[98:99], v[96:97], off
.LBB173_219:
	s_or_b64 exec, exec, s[18:19]
	v_add_u32_e32 v100, 0x80, v150
	v_mad_i64_i32 v[96:97], s[20:21], v100, s29, 0
	v_cmp_gt_i32_e64 s[18:19], s25, v100
	v_lshl_add_u64 v[98:99], v[96:97], 3, s[30:31]
	v_mad_i64_i32 v[96:97], s[20:21], v100, s28, 0
	v_lshl_add_u64 v[96:97], v[96:97], 3, s[26:27]
	s_and_b64 s[34:35], s[2:3], s[18:19]
	s_and_saveexec_b64 s[20:21], s[34:35]
	s_cbranch_execnz .LBB173_227
; %bb.220:
	s_or_b64 exec, exec, s[20:21]
	s_and_b64 s[34:35], s[4:5], s[18:19]
	s_and_saveexec_b64 s[20:21], s[34:35]
	s_cbranch_execnz .LBB173_231
.LBB173_221:
	s_or_b64 exec, exec, s[20:21]
	s_and_b64 s[34:35], s[6:7], s[18:19]
	s_and_saveexec_b64 s[20:21], s[34:35]
	s_cbranch_execnz .LBB173_235
.LBB173_222:
	s_or_b64 exec, exec, s[20:21]
	s_and_b64 s[34:35], s[8:9], s[18:19]
	s_and_saveexec_b64 s[20:21], s[34:35]
	s_cbranch_execnz .LBB173_239
.LBB173_223:
	s_or_b64 exec, exec, s[20:21]
	s_and_b64 s[34:35], s[10:11], s[18:19]
	s_and_saveexec_b64 s[20:21], s[34:35]
	s_cbranch_execnz .LBB173_243
.LBB173_224:
	s_or_b64 exec, exec, s[20:21]
	s_and_b64 s[34:35], s[12:13], s[18:19]
	s_and_saveexec_b64 s[20:21], s[34:35]
	s_cbranch_execnz .LBB173_247
.LBB173_225:
	s_or_b64 exec, exec, s[20:21]
	s_and_b64 s[34:35], s[14:15], s[18:19]
	s_and_saveexec_b64 s[20:21], s[34:35]
	s_cbranch_execnz .LBB173_251
.LBB173_226:
	s_or_b64 exec, exec, s[20:21]
	s_and_b64 s[20:21], s[16:17], s[18:19]
	s_and_saveexec_b64 s[18:19], s[20:21]
	s_cbranch_execnz .LBB173_255
	s_branch .LBB173_259
.LBB173_227:
	s_and_b64 vcc, exec, s[0:1]
	s_cbranch_vccnz .LBB173_229
; %bb.228:
	v_lshl_add_u64 v[100:101], v[128:129], 3, v[98:99]
	global_load_dwordx2 v[100:101], v[100:101], off
	s_waitcnt vmcnt(0)
	v_mul_f64 v[100:101], s[22:23], v[100:101]
	v_cvt_f32_f64_e32 v100, v[100:101]
	s_branch .LBB173_230
.LBB173_229:
	v_mov_b32_e32 v100, 0
.LBB173_230:
	v_add_f64 v[102:103], v[70:71], v[94:95]
	v_add_f64 v[104:105], v[68:69], v[92:93]
	v_cvt_f32_f64_e32 v101, v[104:105]
	v_cvt_f32_f64_e32 v102, v[102:103]
	v_min3_f32 v101, v101, v102, v185
	v_add_f64 v[102:103], v[66:67], v[90:91]
	v_add_f64 v[104:105], v[64:65], v[88:89]
	v_cvt_f32_f64_e32 v104, v[104:105]
	v_cvt_f32_f64_e32 v102, v[102:103]
	v_min_f32_e32 v102, v104, v102
	v_min3_f32 v100, v100, v102, v101
	v_cvt_f64_f32_e32 v[100:101], v100
	v_lshl_add_u64 v[102:103], v[128:129], 3, v[96:97]
	global_store_dwordx2 v[102:103], v[100:101], off
	s_or_b64 exec, exec, s[20:21]
	s_and_b64 s[34:35], s[4:5], s[18:19]
	s_and_saveexec_b64 s[20:21], s[34:35]
	s_cbranch_execz .LBB173_221
.LBB173_231:
	s_and_b64 vcc, exec, s[0:1]
	s_cbranch_vccnz .LBB173_233
; %bb.232:
	v_lshl_add_u64 v[100:101], v[130:131], 3, v[98:99]
	global_load_dwordx2 v[100:101], v[100:101], off
	s_waitcnt vmcnt(0)
	v_mul_f64 v[100:101], s[22:23], v[100:101]
	v_cvt_f32_f64_e32 v100, v[100:101]
	s_branch .LBB173_234
.LBB173_233:
	v_mov_b32_e32 v100, 0
.LBB173_234:
	v_add_f64 v[102:103], v[62:63], v[94:95]
	v_add_f64 v[104:105], v[60:61], v[92:93]
	v_cvt_f32_f64_e32 v101, v[104:105]
	v_cvt_f32_f64_e32 v102, v[102:103]
	v_min3_f32 v101, v101, v102, v184
	v_add_f64 v[102:103], v[58:59], v[90:91]
	v_add_f64 v[104:105], v[56:57], v[88:89]
	v_cvt_f32_f64_e32 v104, v[104:105]
	v_cvt_f32_f64_e32 v102, v[102:103]
	v_min_f32_e32 v102, v104, v102
	v_min3_f32 v100, v100, v102, v101
	v_cvt_f64_f32_e32 v[100:101], v100
	v_lshl_add_u64 v[102:103], v[130:131], 3, v[96:97]
	global_store_dwordx2 v[102:103], v[100:101], off
	s_or_b64 exec, exec, s[20:21]
	s_and_b64 s[34:35], s[6:7], s[18:19]
	s_and_saveexec_b64 s[20:21], s[34:35]
	s_cbranch_execz .LBB173_222
.LBB173_235:
	s_and_b64 vcc, exec, s[0:1]
	s_cbranch_vccnz .LBB173_237
; %bb.236:
	v_lshl_add_u64 v[100:101], v[132:133], 3, v[98:99]
	global_load_dwordx2 v[100:101], v[100:101], off
	s_waitcnt vmcnt(0)
	v_mul_f64 v[100:101], s[22:23], v[100:101]
	v_cvt_f32_f64_e32 v100, v[100:101]
	s_branch .LBB173_238
.LBB173_237:
	v_mov_b32_e32 v100, 0
.LBB173_238:
	v_add_f64 v[102:103], v[54:55], v[94:95]
	v_add_f64 v[104:105], v[52:53], v[92:93]
	v_cvt_f32_f64_e32 v101, v[104:105]
	v_cvt_f32_f64_e32 v102, v[102:103]
	v_min3_f32 v101, v101, v102, v183
	v_add_f64 v[102:103], v[50:51], v[90:91]
	v_add_f64 v[104:105], v[48:49], v[88:89]
	v_cvt_f32_f64_e32 v104, v[104:105]
	v_cvt_f32_f64_e32 v102, v[102:103]
	v_min_f32_e32 v102, v104, v102
	v_min3_f32 v100, v100, v102, v101
	v_cvt_f64_f32_e32 v[100:101], v100
	v_lshl_add_u64 v[102:103], v[132:133], 3, v[96:97]
	global_store_dwordx2 v[102:103], v[100:101], off
	s_or_b64 exec, exec, s[20:21]
	s_and_b64 s[34:35], s[8:9], s[18:19]
	s_and_saveexec_b64 s[20:21], s[34:35]
	s_cbranch_execz .LBB173_223
.LBB173_239:
	s_and_b64 vcc, exec, s[0:1]
	s_cbranch_vccnz .LBB173_241
; %bb.240:
	v_lshl_add_u64 v[100:101], v[134:135], 3, v[98:99]
	global_load_dwordx2 v[100:101], v[100:101], off
	s_waitcnt vmcnt(0)
	v_mul_f64 v[100:101], s[22:23], v[100:101]
	v_cvt_f32_f64_e32 v100, v[100:101]
	s_branch .LBB173_242
.LBB173_241:
	v_mov_b32_e32 v100, 0
.LBB173_242:
	v_add_f64 v[102:103], v[46:47], v[94:95]
	v_add_f64 v[104:105], v[44:45], v[92:93]
	v_cvt_f32_f64_e32 v101, v[104:105]
	v_cvt_f32_f64_e32 v102, v[102:103]
	v_min3_f32 v101, v101, v102, v182
	v_add_f64 v[102:103], v[42:43], v[90:91]
	v_add_f64 v[104:105], v[40:41], v[88:89]
	v_cvt_f32_f64_e32 v104, v[104:105]
	v_cvt_f32_f64_e32 v102, v[102:103]
	v_min_f32_e32 v102, v104, v102
	v_min3_f32 v100, v100, v102, v101
	v_cvt_f64_f32_e32 v[100:101], v100
	v_lshl_add_u64 v[102:103], v[134:135], 3, v[96:97]
	global_store_dwordx2 v[102:103], v[100:101], off
	s_or_b64 exec, exec, s[20:21]
	s_and_b64 s[34:35], s[10:11], s[18:19]
	s_and_saveexec_b64 s[20:21], s[34:35]
	s_cbranch_execz .LBB173_224
.LBB173_243:
	s_and_b64 vcc, exec, s[0:1]
	s_cbranch_vccnz .LBB173_245
; %bb.244:
	v_lshl_add_u64 v[100:101], v[136:137], 3, v[98:99]
	global_load_dwordx2 v[100:101], v[100:101], off
	s_waitcnt vmcnt(0)
	v_mul_f64 v[100:101], s[22:23], v[100:101]
	v_cvt_f32_f64_e32 v100, v[100:101]
	s_branch .LBB173_246
.LBB173_245:
	v_mov_b32_e32 v100, 0
.LBB173_246:
	v_add_f64 v[102:103], v[38:39], v[94:95]
	v_add_f64 v[104:105], v[36:37], v[92:93]
	v_cvt_f32_f64_e32 v101, v[104:105]
	v_cvt_f32_f64_e32 v102, v[102:103]
	v_min3_f32 v101, v101, v102, v181
	v_add_f64 v[102:103], v[34:35], v[90:91]
	v_add_f64 v[104:105], v[32:33], v[88:89]
	v_cvt_f32_f64_e32 v104, v[104:105]
	v_cvt_f32_f64_e32 v102, v[102:103]
	v_min_f32_e32 v102, v104, v102
	v_min3_f32 v100, v100, v102, v101
	v_cvt_f64_f32_e32 v[100:101], v100
	v_lshl_add_u64 v[102:103], v[136:137], 3, v[96:97]
	global_store_dwordx2 v[102:103], v[100:101], off
	s_or_b64 exec, exec, s[20:21]
	s_and_b64 s[34:35], s[12:13], s[18:19]
	s_and_saveexec_b64 s[20:21], s[34:35]
	s_cbranch_execz .LBB173_225
.LBB173_247:
	s_and_b64 vcc, exec, s[0:1]
	s_cbranch_vccnz .LBB173_249
; %bb.248:
	v_lshl_add_u64 v[100:101], v[138:139], 3, v[98:99]
	global_load_dwordx2 v[100:101], v[100:101], off
	s_waitcnt vmcnt(0)
	v_mul_f64 v[100:101], s[22:23], v[100:101]
	v_cvt_f32_f64_e32 v100, v[100:101]
	s_branch .LBB173_250
.LBB173_249:
	v_mov_b32_e32 v100, 0
.LBB173_250:
	v_add_f64 v[102:103], v[30:31], v[94:95]
	v_add_f64 v[104:105], v[28:29], v[92:93]
	v_cvt_f32_f64_e32 v101, v[104:105]
	v_cvt_f32_f64_e32 v102, v[102:103]
	v_min3_f32 v101, v101, v102, v180
	v_add_f64 v[102:103], v[26:27], v[90:91]
	v_add_f64 v[104:105], v[24:25], v[88:89]
	v_cvt_f32_f64_e32 v104, v[104:105]
	v_cvt_f32_f64_e32 v102, v[102:103]
	v_min_f32_e32 v102, v104, v102
	v_min3_f32 v100, v100, v102, v101
	v_cvt_f64_f32_e32 v[100:101], v100
	v_lshl_add_u64 v[102:103], v[138:139], 3, v[96:97]
	global_store_dwordx2 v[102:103], v[100:101], off
	s_or_b64 exec, exec, s[20:21]
	s_and_b64 s[34:35], s[14:15], s[18:19]
	s_and_saveexec_b64 s[20:21], s[34:35]
	s_cbranch_execz .LBB173_226
.LBB173_251:
	s_and_b64 vcc, exec, s[0:1]
	s_cbranch_vccnz .LBB173_253
; %bb.252:
	v_lshl_add_u64 v[100:101], v[140:141], 3, v[98:99]
	global_load_dwordx2 v[100:101], v[100:101], off
	s_waitcnt vmcnt(0)
	v_mul_f64 v[100:101], s[22:23], v[100:101]
	v_cvt_f32_f64_e32 v100, v[100:101]
	s_branch .LBB173_254
.LBB173_253:
	v_mov_b32_e32 v100, 0
.LBB173_254:
	v_add_f64 v[102:103], v[22:23], v[94:95]
	v_add_f64 v[104:105], v[20:21], v[92:93]
	v_cvt_f32_f64_e32 v101, v[104:105]
	v_cvt_f32_f64_e32 v102, v[102:103]
	v_min3_f32 v101, v101, v102, v179
	v_add_f64 v[102:103], v[18:19], v[90:91]
	v_add_f64 v[104:105], v[16:17], v[88:89]
	v_cvt_f32_f64_e32 v104, v[104:105]
	v_cvt_f32_f64_e32 v102, v[102:103]
	v_min_f32_e32 v102, v104, v102
	v_min3_f32 v100, v100, v102, v101
	v_cvt_f64_f32_e32 v[100:101], v100
	v_lshl_add_u64 v[102:103], v[140:141], 3, v[96:97]
	global_store_dwordx2 v[102:103], v[100:101], off
	s_or_b64 exec, exec, s[20:21]
	s_and_b64 s[20:21], s[16:17], s[18:19]
	s_and_saveexec_b64 s[18:19], s[20:21]
	s_cbranch_execz .LBB173_259
.LBB173_255:
	s_and_b64 vcc, exec, s[0:1]
	s_cbranch_vccnz .LBB173_257
; %bb.256:
	v_lshl_add_u64 v[98:99], v[142:143], 3, v[98:99]
	global_load_dwordx2 v[98:99], v[98:99], off
	s_waitcnt vmcnt(0)
	v_mul_f64 v[98:99], s[22:23], v[98:99]
	v_cvt_f32_f64_e32 v98, v[98:99]
	s_branch .LBB173_258
.LBB173_257:
	v_mov_b32_e32 v98, 0
.LBB173_258:
	v_add_f64 v[94:95], v[6:7], v[94:95]
	v_add_f64 v[92:93], v[4:5], v[92:93]
	;; [unrolled: 1-line block ×4, first 2 shown]
	v_cvt_f32_f64_e32 v92, v[92:93]
	v_cvt_f32_f64_e32 v93, v[94:95]
	;; [unrolled: 1-line block ×4, first 2 shown]
	v_min3_f32 v92, v92, v93, v178
	v_min_f32_e32 v88, v88, v89
	v_min3_f32 v88, v98, v88, v92
	v_cvt_f64_f32_e32 v[88:89], v88
	v_lshl_add_u64 v[90:91], v[142:143], 3, v[96:97]
	global_store_dwordx2 v[90:91], v[88:89], off
.LBB173_259:
	s_or_b64 exec, exec, s[18:19]
	v_add_u32_e32 v92, 0xa0, v150
	v_mad_i64_i32 v[88:89], s[20:21], v92, s29, 0
	v_cmp_gt_i32_e64 s[18:19], s25, v92
	v_lshl_add_u64 v[90:91], v[88:89], 3, s[30:31]
	v_mad_i64_i32 v[88:89], s[20:21], v92, s28, 0
	v_lshl_add_u64 v[88:89], v[88:89], 3, s[26:27]
	s_and_b64 s[34:35], s[2:3], s[18:19]
	s_and_saveexec_b64 s[20:21], s[34:35]
	s_cbranch_execnz .LBB173_267
; %bb.260:
	s_or_b64 exec, exec, s[20:21]
	s_and_b64 s[34:35], s[4:5], s[18:19]
	s_and_saveexec_b64 s[20:21], s[34:35]
	s_cbranch_execnz .LBB173_271
.LBB173_261:
	s_or_b64 exec, exec, s[20:21]
	s_and_b64 s[34:35], s[6:7], s[18:19]
	s_and_saveexec_b64 s[20:21], s[34:35]
	s_cbranch_execnz .LBB173_275
.LBB173_262:
	s_or_b64 exec, exec, s[20:21]
	s_and_b64 s[34:35], s[8:9], s[18:19]
	s_and_saveexec_b64 s[20:21], s[34:35]
	s_cbranch_execnz .LBB173_279
.LBB173_263:
	s_or_b64 exec, exec, s[20:21]
	s_and_b64 s[34:35], s[10:11], s[18:19]
	s_and_saveexec_b64 s[20:21], s[34:35]
	s_cbranch_execnz .LBB173_283
.LBB173_264:
	s_or_b64 exec, exec, s[20:21]
	s_and_b64 s[34:35], s[12:13], s[18:19]
	s_and_saveexec_b64 s[20:21], s[34:35]
	s_cbranch_execnz .LBB173_287
.LBB173_265:
	s_or_b64 exec, exec, s[20:21]
	s_and_b64 s[34:35], s[14:15], s[18:19]
	s_and_saveexec_b64 s[20:21], s[34:35]
	s_cbranch_execnz .LBB173_291
.LBB173_266:
	s_or_b64 exec, exec, s[20:21]
	s_and_b64 s[20:21], s[16:17], s[18:19]
	s_and_saveexec_b64 s[18:19], s[20:21]
	s_cbranch_execnz .LBB173_295
	s_branch .LBB173_299
.LBB173_267:
	s_and_b64 vcc, exec, s[0:1]
	s_cbranch_vccnz .LBB173_269
; %bb.268:
	v_lshl_add_u64 v[92:93], v[128:129], 3, v[90:91]
	global_load_dwordx2 v[92:93], v[92:93], off
	s_waitcnt vmcnt(0)
	v_mul_f64 v[92:93], s[22:23], v[92:93]
	v_cvt_f32_f64_e32 v92, v[92:93]
	s_branch .LBB173_270
.LBB173_269:
	v_mov_b32_e32 v92, 0
.LBB173_270:
	v_add_f64 v[94:95], v[70:71], v[86:87]
	v_add_f64 v[96:97], v[68:69], v[84:85]
	v_cvt_f32_f64_e32 v93, v[96:97]
	v_cvt_f32_f64_e32 v94, v[94:95]
	v_min3_f32 v93, v93, v94, v177
	v_add_f64 v[94:95], v[66:67], v[82:83]
	v_add_f64 v[96:97], v[64:65], v[80:81]
	v_cvt_f32_f64_e32 v96, v[96:97]
	v_cvt_f32_f64_e32 v94, v[94:95]
	v_min_f32_e32 v94, v96, v94
	v_min3_f32 v92, v92, v94, v93
	v_cvt_f64_f32_e32 v[92:93], v92
	v_lshl_add_u64 v[94:95], v[128:129], 3, v[88:89]
	global_store_dwordx2 v[94:95], v[92:93], off
	s_or_b64 exec, exec, s[20:21]
	s_and_b64 s[34:35], s[4:5], s[18:19]
	s_and_saveexec_b64 s[20:21], s[34:35]
	s_cbranch_execz .LBB173_261
.LBB173_271:
	s_and_b64 vcc, exec, s[0:1]
	s_cbranch_vccnz .LBB173_273
; %bb.272:
	v_lshl_add_u64 v[92:93], v[130:131], 3, v[90:91]
	global_load_dwordx2 v[92:93], v[92:93], off
	s_waitcnt vmcnt(0)
	v_mul_f64 v[92:93], s[22:23], v[92:93]
	v_cvt_f32_f64_e32 v92, v[92:93]
	s_branch .LBB173_274
.LBB173_273:
	v_mov_b32_e32 v92, 0
.LBB173_274:
	v_add_f64 v[94:95], v[62:63], v[86:87]
	v_add_f64 v[96:97], v[60:61], v[84:85]
	v_cvt_f32_f64_e32 v93, v[96:97]
	v_cvt_f32_f64_e32 v94, v[94:95]
	v_min3_f32 v93, v93, v94, v176
	v_add_f64 v[94:95], v[58:59], v[82:83]
	v_add_f64 v[96:97], v[56:57], v[80:81]
	v_cvt_f32_f64_e32 v96, v[96:97]
	v_cvt_f32_f64_e32 v94, v[94:95]
	v_min_f32_e32 v94, v96, v94
	v_min3_f32 v92, v92, v94, v93
	v_cvt_f64_f32_e32 v[92:93], v92
	v_lshl_add_u64 v[94:95], v[130:131], 3, v[88:89]
	global_store_dwordx2 v[94:95], v[92:93], off
	s_or_b64 exec, exec, s[20:21]
	s_and_b64 s[34:35], s[6:7], s[18:19]
	s_and_saveexec_b64 s[20:21], s[34:35]
	s_cbranch_execz .LBB173_262
.LBB173_275:
	s_and_b64 vcc, exec, s[0:1]
	s_cbranch_vccnz .LBB173_277
; %bb.276:
	v_lshl_add_u64 v[92:93], v[132:133], 3, v[90:91]
	global_load_dwordx2 v[92:93], v[92:93], off
	s_waitcnt vmcnt(0)
	v_mul_f64 v[92:93], s[22:23], v[92:93]
	v_cvt_f32_f64_e32 v92, v[92:93]
	s_branch .LBB173_278
.LBB173_277:
	v_mov_b32_e32 v92, 0
.LBB173_278:
	v_add_f64 v[94:95], v[54:55], v[86:87]
	v_add_f64 v[96:97], v[52:53], v[84:85]
	v_cvt_f32_f64_e32 v93, v[96:97]
	v_cvt_f32_f64_e32 v94, v[94:95]
	v_min3_f32 v93, v93, v94, v175
	v_add_f64 v[94:95], v[50:51], v[82:83]
	v_add_f64 v[96:97], v[48:49], v[80:81]
	v_cvt_f32_f64_e32 v96, v[96:97]
	v_cvt_f32_f64_e32 v94, v[94:95]
	v_min_f32_e32 v94, v96, v94
	v_min3_f32 v92, v92, v94, v93
	v_cvt_f64_f32_e32 v[92:93], v92
	v_lshl_add_u64 v[94:95], v[132:133], 3, v[88:89]
	global_store_dwordx2 v[94:95], v[92:93], off
	s_or_b64 exec, exec, s[20:21]
	s_and_b64 s[34:35], s[8:9], s[18:19]
	s_and_saveexec_b64 s[20:21], s[34:35]
	s_cbranch_execz .LBB173_263
.LBB173_279:
	s_and_b64 vcc, exec, s[0:1]
	s_cbranch_vccnz .LBB173_281
; %bb.280:
	v_lshl_add_u64 v[92:93], v[134:135], 3, v[90:91]
	global_load_dwordx2 v[92:93], v[92:93], off
	s_waitcnt vmcnt(0)
	v_mul_f64 v[92:93], s[22:23], v[92:93]
	v_cvt_f32_f64_e32 v92, v[92:93]
	s_branch .LBB173_282
.LBB173_281:
	v_mov_b32_e32 v92, 0
.LBB173_282:
	v_add_f64 v[94:95], v[46:47], v[86:87]
	v_add_f64 v[96:97], v[44:45], v[84:85]
	v_cvt_f32_f64_e32 v93, v[96:97]
	v_cvt_f32_f64_e32 v94, v[94:95]
	v_min3_f32 v93, v93, v94, v174
	v_add_f64 v[94:95], v[42:43], v[82:83]
	v_add_f64 v[96:97], v[40:41], v[80:81]
	v_cvt_f32_f64_e32 v96, v[96:97]
	v_cvt_f32_f64_e32 v94, v[94:95]
	v_min_f32_e32 v94, v96, v94
	v_min3_f32 v92, v92, v94, v93
	v_cvt_f64_f32_e32 v[92:93], v92
	v_lshl_add_u64 v[94:95], v[134:135], 3, v[88:89]
	global_store_dwordx2 v[94:95], v[92:93], off
	s_or_b64 exec, exec, s[20:21]
	s_and_b64 s[34:35], s[10:11], s[18:19]
	s_and_saveexec_b64 s[20:21], s[34:35]
	s_cbranch_execz .LBB173_264
.LBB173_283:
	s_and_b64 vcc, exec, s[0:1]
	s_cbranch_vccnz .LBB173_285
; %bb.284:
	v_lshl_add_u64 v[92:93], v[136:137], 3, v[90:91]
	global_load_dwordx2 v[92:93], v[92:93], off
	s_waitcnt vmcnt(0)
	v_mul_f64 v[92:93], s[22:23], v[92:93]
	v_cvt_f32_f64_e32 v92, v[92:93]
	s_branch .LBB173_286
.LBB173_285:
	v_mov_b32_e32 v92, 0
.LBB173_286:
	v_add_f64 v[94:95], v[38:39], v[86:87]
	v_add_f64 v[96:97], v[36:37], v[84:85]
	v_cvt_f32_f64_e32 v93, v[96:97]
	v_cvt_f32_f64_e32 v94, v[94:95]
	v_min3_f32 v93, v93, v94, v173
	v_add_f64 v[94:95], v[34:35], v[82:83]
	v_add_f64 v[96:97], v[32:33], v[80:81]
	v_cvt_f32_f64_e32 v96, v[96:97]
	v_cvt_f32_f64_e32 v94, v[94:95]
	v_min_f32_e32 v94, v96, v94
	v_min3_f32 v92, v92, v94, v93
	v_cvt_f64_f32_e32 v[92:93], v92
	v_lshl_add_u64 v[94:95], v[136:137], 3, v[88:89]
	global_store_dwordx2 v[94:95], v[92:93], off
	s_or_b64 exec, exec, s[20:21]
	s_and_b64 s[34:35], s[12:13], s[18:19]
	s_and_saveexec_b64 s[20:21], s[34:35]
	s_cbranch_execz .LBB173_265
.LBB173_287:
	s_and_b64 vcc, exec, s[0:1]
	s_cbranch_vccnz .LBB173_289
; %bb.288:
	v_lshl_add_u64 v[92:93], v[138:139], 3, v[90:91]
	global_load_dwordx2 v[92:93], v[92:93], off
	s_waitcnt vmcnt(0)
	v_mul_f64 v[92:93], s[22:23], v[92:93]
	v_cvt_f32_f64_e32 v92, v[92:93]
	s_branch .LBB173_290
.LBB173_289:
	v_mov_b32_e32 v92, 0
.LBB173_290:
	v_add_f64 v[94:95], v[30:31], v[86:87]
	v_add_f64 v[96:97], v[28:29], v[84:85]
	v_cvt_f32_f64_e32 v93, v[96:97]
	v_cvt_f32_f64_e32 v94, v[94:95]
	v_min3_f32 v93, v93, v94, v172
	v_add_f64 v[94:95], v[26:27], v[82:83]
	v_add_f64 v[96:97], v[24:25], v[80:81]
	v_cvt_f32_f64_e32 v96, v[96:97]
	v_cvt_f32_f64_e32 v94, v[94:95]
	v_min_f32_e32 v94, v96, v94
	v_min3_f32 v92, v92, v94, v93
	v_cvt_f64_f32_e32 v[92:93], v92
	v_lshl_add_u64 v[94:95], v[138:139], 3, v[88:89]
	global_store_dwordx2 v[94:95], v[92:93], off
	s_or_b64 exec, exec, s[20:21]
	s_and_b64 s[34:35], s[14:15], s[18:19]
	s_and_saveexec_b64 s[20:21], s[34:35]
	s_cbranch_execz .LBB173_266
.LBB173_291:
	s_and_b64 vcc, exec, s[0:1]
	s_cbranch_vccnz .LBB173_293
; %bb.292:
	v_lshl_add_u64 v[92:93], v[140:141], 3, v[90:91]
	global_load_dwordx2 v[92:93], v[92:93], off
	s_waitcnt vmcnt(0)
	v_mul_f64 v[92:93], s[22:23], v[92:93]
	v_cvt_f32_f64_e32 v92, v[92:93]
	s_branch .LBB173_294
.LBB173_293:
	v_mov_b32_e32 v92, 0
.LBB173_294:
	v_add_f64 v[94:95], v[22:23], v[86:87]
	v_add_f64 v[96:97], v[20:21], v[84:85]
	v_cvt_f32_f64_e32 v93, v[96:97]
	v_cvt_f32_f64_e32 v94, v[94:95]
	v_min3_f32 v93, v93, v94, v171
	v_add_f64 v[94:95], v[18:19], v[82:83]
	v_add_f64 v[96:97], v[16:17], v[80:81]
	v_cvt_f32_f64_e32 v96, v[96:97]
	v_cvt_f32_f64_e32 v94, v[94:95]
	v_min_f32_e32 v94, v96, v94
	v_min3_f32 v92, v92, v94, v93
	v_cvt_f64_f32_e32 v[92:93], v92
	v_lshl_add_u64 v[94:95], v[140:141], 3, v[88:89]
	global_store_dwordx2 v[94:95], v[92:93], off
	s_or_b64 exec, exec, s[20:21]
	s_and_b64 s[20:21], s[16:17], s[18:19]
	s_and_saveexec_b64 s[18:19], s[20:21]
	s_cbranch_execz .LBB173_299
.LBB173_295:
	s_and_b64 vcc, exec, s[0:1]
	s_cbranch_vccnz .LBB173_297
; %bb.296:
	v_lshl_add_u64 v[90:91], v[142:143], 3, v[90:91]
	global_load_dwordx2 v[90:91], v[90:91], off
	s_waitcnt vmcnt(0)
	v_mul_f64 v[90:91], s[22:23], v[90:91]
	v_cvt_f32_f64_e32 v90, v[90:91]
	s_branch .LBB173_298
.LBB173_297:
	v_mov_b32_e32 v90, 0
.LBB173_298:
	v_add_f64 v[86:87], v[6:7], v[86:87]
	v_add_f64 v[84:85], v[4:5], v[84:85]
	;; [unrolled: 1-line block ×4, first 2 shown]
	v_cvt_f32_f64_e32 v84, v[84:85]
	v_cvt_f32_f64_e32 v85, v[86:87]
	;; [unrolled: 1-line block ×4, first 2 shown]
	v_min3_f32 v84, v84, v85, v170
	v_min_f32_e32 v80, v80, v81
	v_min3_f32 v80, v90, v80, v84
	v_cvt_f64_f32_e32 v[80:81], v80
	v_lshl_add_u64 v[82:83], v[142:143], 3, v[88:89]
	global_store_dwordx2 v[82:83], v[80:81], off
.LBB173_299:
	s_or_b64 exec, exec, s[18:19]
	v_add_u32_e32 v84, 0xc0, v150
	v_mad_i64_i32 v[80:81], s[20:21], v84, s29, 0
	v_cmp_gt_i32_e64 s[18:19], s25, v84
	v_lshl_add_u64 v[82:83], v[80:81], 3, s[30:31]
	v_mad_i64_i32 v[80:81], s[20:21], v84, s28, 0
	v_lshl_add_u64 v[80:81], v[80:81], 3, s[26:27]
	s_and_b64 s[34:35], s[2:3], s[18:19]
	s_and_saveexec_b64 s[20:21], s[34:35]
	s_cbranch_execnz .LBB173_307
; %bb.300:
	s_or_b64 exec, exec, s[20:21]
	s_and_b64 s[34:35], s[4:5], s[18:19]
	s_and_saveexec_b64 s[20:21], s[34:35]
	s_cbranch_execnz .LBB173_311
.LBB173_301:
	s_or_b64 exec, exec, s[20:21]
	s_and_b64 s[34:35], s[6:7], s[18:19]
	s_and_saveexec_b64 s[20:21], s[34:35]
	s_cbranch_execnz .LBB173_315
.LBB173_302:
	s_or_b64 exec, exec, s[20:21]
	s_and_b64 s[34:35], s[8:9], s[18:19]
	s_and_saveexec_b64 s[20:21], s[34:35]
	s_cbranch_execnz .LBB173_319
.LBB173_303:
	s_or_b64 exec, exec, s[20:21]
	s_and_b64 s[34:35], s[10:11], s[18:19]
	s_and_saveexec_b64 s[20:21], s[34:35]
	s_cbranch_execnz .LBB173_323
.LBB173_304:
	s_or_b64 exec, exec, s[20:21]
	s_and_b64 s[34:35], s[12:13], s[18:19]
	s_and_saveexec_b64 s[20:21], s[34:35]
	s_cbranch_execnz .LBB173_327
.LBB173_305:
	s_or_b64 exec, exec, s[20:21]
	s_and_b64 s[34:35], s[14:15], s[18:19]
	s_and_saveexec_b64 s[20:21], s[34:35]
	s_cbranch_execnz .LBB173_331
.LBB173_306:
	s_or_b64 exec, exec, s[20:21]
	s_and_b64 s[20:21], s[16:17], s[18:19]
	s_and_saveexec_b64 s[18:19], s[20:21]
	s_cbranch_execnz .LBB173_335
	s_branch .LBB173_339
.LBB173_307:
	s_and_b64 vcc, exec, s[0:1]
	s_cbranch_vccnz .LBB173_309
; %bb.308:
	v_lshl_add_u64 v[84:85], v[128:129], 3, v[82:83]
	global_load_dwordx2 v[84:85], v[84:85], off
	s_waitcnt vmcnt(0)
	v_mul_f64 v[84:85], s[22:23], v[84:85]
	v_cvt_f32_f64_e32 v84, v[84:85]
	s_branch .LBB173_310
.LBB173_309:
	v_mov_b32_e32 v84, 0
.LBB173_310:
	v_add_f64 v[86:87], v[70:71], v[78:79]
	v_add_f64 v[88:89], v[68:69], v[76:77]
	v_cvt_f32_f64_e32 v85, v[88:89]
	v_cvt_f32_f64_e32 v86, v[86:87]
	v_min3_f32 v85, v85, v86, v169
	v_add_f64 v[86:87], v[66:67], v[74:75]
	v_add_f64 v[88:89], v[64:65], v[72:73]
	v_cvt_f32_f64_e32 v88, v[88:89]
	v_cvt_f32_f64_e32 v86, v[86:87]
	v_min_f32_e32 v86, v88, v86
	v_min3_f32 v84, v84, v86, v85
	v_cvt_f64_f32_e32 v[84:85], v84
	v_lshl_add_u64 v[86:87], v[128:129], 3, v[80:81]
	global_store_dwordx2 v[86:87], v[84:85], off
	s_or_b64 exec, exec, s[20:21]
	s_and_b64 s[34:35], s[4:5], s[18:19]
	s_and_saveexec_b64 s[20:21], s[34:35]
	s_cbranch_execz .LBB173_301
.LBB173_311:
	s_and_b64 vcc, exec, s[0:1]
	s_cbranch_vccnz .LBB173_313
; %bb.312:
	v_lshl_add_u64 v[84:85], v[130:131], 3, v[82:83]
	global_load_dwordx2 v[84:85], v[84:85], off
	s_waitcnt vmcnt(0)
	v_mul_f64 v[84:85], s[22:23], v[84:85]
	v_cvt_f32_f64_e32 v84, v[84:85]
	s_branch .LBB173_314
.LBB173_313:
	v_mov_b32_e32 v84, 0
.LBB173_314:
	v_add_f64 v[86:87], v[62:63], v[78:79]
	v_add_f64 v[88:89], v[60:61], v[76:77]
	v_cvt_f32_f64_e32 v85, v[88:89]
	v_cvt_f32_f64_e32 v86, v[86:87]
	v_min3_f32 v85, v85, v86, v167
	v_add_f64 v[86:87], v[58:59], v[74:75]
	v_add_f64 v[88:89], v[56:57], v[72:73]
	v_cvt_f32_f64_e32 v88, v[88:89]
	v_cvt_f32_f64_e32 v86, v[86:87]
	v_min_f32_e32 v86, v88, v86
	v_min3_f32 v84, v84, v86, v85
	v_cvt_f64_f32_e32 v[84:85], v84
	v_lshl_add_u64 v[86:87], v[130:131], 3, v[80:81]
	global_store_dwordx2 v[86:87], v[84:85], off
	s_or_b64 exec, exec, s[20:21]
	s_and_b64 s[34:35], s[6:7], s[18:19]
	s_and_saveexec_b64 s[20:21], s[34:35]
	s_cbranch_execz .LBB173_302
.LBB173_315:
	s_and_b64 vcc, exec, s[0:1]
	s_cbranch_vccnz .LBB173_317
; %bb.316:
	v_lshl_add_u64 v[84:85], v[132:133], 3, v[82:83]
	global_load_dwordx2 v[84:85], v[84:85], off
	s_waitcnt vmcnt(0)
	v_mul_f64 v[84:85], s[22:23], v[84:85]
	v_cvt_f32_f64_e32 v84, v[84:85]
	s_branch .LBB173_318
.LBB173_317:
	v_mov_b32_e32 v84, 0
.LBB173_318:
	v_add_f64 v[86:87], v[54:55], v[78:79]
	v_add_f64 v[88:89], v[52:53], v[76:77]
	v_cvt_f32_f64_e32 v85, v[88:89]
	v_cvt_f32_f64_e32 v86, v[86:87]
	v_min3_f32 v85, v85, v86, v166
	v_add_f64 v[86:87], v[50:51], v[74:75]
	v_add_f64 v[88:89], v[48:49], v[72:73]
	v_cvt_f32_f64_e32 v88, v[88:89]
	v_cvt_f32_f64_e32 v86, v[86:87]
	v_min_f32_e32 v86, v88, v86
	v_min3_f32 v84, v84, v86, v85
	v_cvt_f64_f32_e32 v[84:85], v84
	v_lshl_add_u64 v[86:87], v[132:133], 3, v[80:81]
	global_store_dwordx2 v[86:87], v[84:85], off
	s_or_b64 exec, exec, s[20:21]
	s_and_b64 s[34:35], s[8:9], s[18:19]
	s_and_saveexec_b64 s[20:21], s[34:35]
	s_cbranch_execz .LBB173_303
.LBB173_319:
	s_and_b64 vcc, exec, s[0:1]
	s_cbranch_vccnz .LBB173_321
; %bb.320:
	v_lshl_add_u64 v[84:85], v[134:135], 3, v[82:83]
	global_load_dwordx2 v[84:85], v[84:85], off
	s_waitcnt vmcnt(0)
	v_mul_f64 v[84:85], s[22:23], v[84:85]
	v_cvt_f32_f64_e32 v84, v[84:85]
	s_branch .LBB173_322
.LBB173_321:
	v_mov_b32_e32 v84, 0
.LBB173_322:
	v_add_f64 v[86:87], v[46:47], v[78:79]
	v_add_f64 v[88:89], v[44:45], v[76:77]
	v_cvt_f32_f64_e32 v85, v[88:89]
	v_cvt_f32_f64_e32 v86, v[86:87]
	v_min3_f32 v85, v85, v86, v165
	v_add_f64 v[86:87], v[42:43], v[74:75]
	v_add_f64 v[88:89], v[40:41], v[72:73]
	v_cvt_f32_f64_e32 v88, v[88:89]
	v_cvt_f32_f64_e32 v86, v[86:87]
	v_min_f32_e32 v86, v88, v86
	v_min3_f32 v84, v84, v86, v85
	v_cvt_f64_f32_e32 v[84:85], v84
	v_lshl_add_u64 v[86:87], v[134:135], 3, v[80:81]
	global_store_dwordx2 v[86:87], v[84:85], off
	s_or_b64 exec, exec, s[20:21]
	s_and_b64 s[34:35], s[10:11], s[18:19]
	s_and_saveexec_b64 s[20:21], s[34:35]
	s_cbranch_execz .LBB173_304
.LBB173_323:
	s_and_b64 vcc, exec, s[0:1]
	s_cbranch_vccnz .LBB173_325
; %bb.324:
	v_lshl_add_u64 v[84:85], v[136:137], 3, v[82:83]
	global_load_dwordx2 v[84:85], v[84:85], off
	s_waitcnt vmcnt(0)
	v_mul_f64 v[84:85], s[22:23], v[84:85]
	v_cvt_f32_f64_e32 v84, v[84:85]
	s_branch .LBB173_326
.LBB173_325:
	v_mov_b32_e32 v84, 0
.LBB173_326:
	v_add_f64 v[86:87], v[38:39], v[78:79]
	v_add_f64 v[88:89], v[36:37], v[76:77]
	v_cvt_f32_f64_e32 v85, v[88:89]
	v_cvt_f32_f64_e32 v86, v[86:87]
	v_min3_f32 v85, v85, v86, v164
	v_add_f64 v[86:87], v[34:35], v[74:75]
	v_add_f64 v[88:89], v[32:33], v[72:73]
	v_cvt_f32_f64_e32 v88, v[88:89]
	v_cvt_f32_f64_e32 v86, v[86:87]
	v_min_f32_e32 v86, v88, v86
	v_min3_f32 v84, v84, v86, v85
	v_cvt_f64_f32_e32 v[84:85], v84
	v_lshl_add_u64 v[86:87], v[136:137], 3, v[80:81]
	global_store_dwordx2 v[86:87], v[84:85], off
	s_or_b64 exec, exec, s[20:21]
	s_and_b64 s[34:35], s[12:13], s[18:19]
	s_and_saveexec_b64 s[20:21], s[34:35]
	s_cbranch_execz .LBB173_305
.LBB173_327:
	s_and_b64 vcc, exec, s[0:1]
	s_cbranch_vccnz .LBB173_329
; %bb.328:
	v_lshl_add_u64 v[84:85], v[138:139], 3, v[82:83]
	global_load_dwordx2 v[84:85], v[84:85], off
	s_waitcnt vmcnt(0)
	v_mul_f64 v[84:85], s[22:23], v[84:85]
	v_cvt_f32_f64_e32 v84, v[84:85]
	s_branch .LBB173_330
.LBB173_329:
	v_mov_b32_e32 v84, 0
.LBB173_330:
	v_add_f64 v[86:87], v[30:31], v[78:79]
	v_add_f64 v[88:89], v[28:29], v[76:77]
	v_cvt_f32_f64_e32 v85, v[88:89]
	v_cvt_f32_f64_e32 v86, v[86:87]
	v_min3_f32 v85, v85, v86, v163
	v_add_f64 v[86:87], v[26:27], v[74:75]
	v_add_f64 v[88:89], v[24:25], v[72:73]
	v_cvt_f32_f64_e32 v88, v[88:89]
	v_cvt_f32_f64_e32 v86, v[86:87]
	v_min_f32_e32 v86, v88, v86
	v_min3_f32 v84, v84, v86, v85
	v_cvt_f64_f32_e32 v[84:85], v84
	v_lshl_add_u64 v[86:87], v[138:139], 3, v[80:81]
	global_store_dwordx2 v[86:87], v[84:85], off
	s_or_b64 exec, exec, s[20:21]
	s_and_b64 s[34:35], s[14:15], s[18:19]
	s_and_saveexec_b64 s[20:21], s[34:35]
	s_cbranch_execz .LBB173_306
.LBB173_331:
	s_and_b64 vcc, exec, s[0:1]
	s_cbranch_vccnz .LBB173_333
; %bb.332:
	v_lshl_add_u64 v[84:85], v[140:141], 3, v[82:83]
	global_load_dwordx2 v[84:85], v[84:85], off
	s_waitcnt vmcnt(0)
	v_mul_f64 v[84:85], s[22:23], v[84:85]
	v_cvt_f32_f64_e32 v84, v[84:85]
	s_branch .LBB173_334
.LBB173_333:
	v_mov_b32_e32 v84, 0
.LBB173_334:
	v_add_f64 v[86:87], v[22:23], v[78:79]
	v_add_f64 v[88:89], v[20:21], v[76:77]
	v_cvt_f32_f64_e32 v85, v[88:89]
	v_cvt_f32_f64_e32 v86, v[86:87]
	v_min3_f32 v85, v85, v86, v160
	v_add_f64 v[86:87], v[18:19], v[74:75]
	v_add_f64 v[88:89], v[16:17], v[72:73]
	v_cvt_f32_f64_e32 v88, v[88:89]
	v_cvt_f32_f64_e32 v86, v[86:87]
	v_min_f32_e32 v86, v88, v86
	v_min3_f32 v84, v84, v86, v85
	v_cvt_f64_f32_e32 v[84:85], v84
	v_lshl_add_u64 v[86:87], v[140:141], 3, v[80:81]
	global_store_dwordx2 v[86:87], v[84:85], off
	s_or_b64 exec, exec, s[20:21]
	s_and_b64 s[20:21], s[16:17], s[18:19]
	s_and_saveexec_b64 s[18:19], s[20:21]
	s_cbranch_execz .LBB173_339
.LBB173_335:
	s_and_b64 vcc, exec, s[0:1]
	s_cbranch_vccnz .LBB173_337
; %bb.336:
	v_lshl_add_u64 v[82:83], v[142:143], 3, v[82:83]
	global_load_dwordx2 v[82:83], v[82:83], off
	s_waitcnt vmcnt(0)
	v_mul_f64 v[82:83], s[22:23], v[82:83]
	v_cvt_f32_f64_e32 v82, v[82:83]
	s_branch .LBB173_338
.LBB173_337:
	v_mov_b32_e32 v82, 0
.LBB173_338:
	v_add_f64 v[78:79], v[6:7], v[78:79]
	v_add_f64 v[76:77], v[4:5], v[76:77]
	v_add_f64 v[74:75], v[2:3], v[74:75]
	v_add_f64 v[72:73], v[0:1], v[72:73]
	v_cvt_f32_f64_e32 v76, v[76:77]
	v_cvt_f32_f64_e32 v77, v[78:79]
	;; [unrolled: 1-line block ×4, first 2 shown]
	v_min3_f32 v76, v76, v77, v159
	v_min_f32_e32 v72, v72, v73
	v_min3_f32 v72, v82, v72, v76
	v_cvt_f64_f32_e32 v[72:73], v72
	v_lshl_add_u64 v[74:75], v[142:143], 3, v[80:81]
	global_store_dwordx2 v[74:75], v[72:73], off
.LBB173_339:
	s_or_b64 exec, exec, s[18:19]
	v_add_u32_e32 v76, 0xe0, v150
	v_mad_i64_i32 v[72:73], s[20:21], v76, s29, 0
	v_cmp_gt_i32_e64 s[18:19], s25, v76
	v_lshl_add_u64 v[74:75], v[72:73], 3, s[30:31]
	v_mad_i64_i32 v[72:73], s[20:21], v76, s28, 0
	v_lshl_add_u64 v[72:73], v[72:73], 3, s[26:27]
	s_and_b64 s[20:21], s[2:3], s[18:19]
	s_and_saveexec_b64 s[2:3], s[20:21]
	s_cbranch_execnz .LBB173_348
; %bb.340:
	s_or_b64 exec, exec, s[2:3]
	s_and_b64 s[4:5], s[4:5], s[18:19]
	s_and_saveexec_b64 s[2:3], s[4:5]
	s_cbranch_execnz .LBB173_352
.LBB173_341:
	s_or_b64 exec, exec, s[2:3]
	s_and_b64 s[4:5], s[6:7], s[18:19]
	s_and_saveexec_b64 s[2:3], s[4:5]
	s_cbranch_execnz .LBB173_356
.LBB173_342:
	s_or_b64 exec, exec, s[2:3]
	s_and_b64 s[4:5], s[8:9], s[18:19]
	s_and_saveexec_b64 s[2:3], s[4:5]
	s_cbranch_execnz .LBB173_360
.LBB173_343:
	s_or_b64 exec, exec, s[2:3]
	s_and_b64 s[4:5], s[10:11], s[18:19]
	s_and_saveexec_b64 s[2:3], s[4:5]
	s_cbranch_execnz .LBB173_364
.LBB173_344:
	s_or_b64 exec, exec, s[2:3]
	s_and_b64 s[4:5], s[12:13], s[18:19]
	s_and_saveexec_b64 s[2:3], s[4:5]
	s_cbranch_execnz .LBB173_368
.LBB173_345:
	s_or_b64 exec, exec, s[2:3]
	s_and_b64 s[4:5], s[14:15], s[18:19]
	s_and_saveexec_b64 s[2:3], s[4:5]
	s_cbranch_execnz .LBB173_372
.LBB173_346:
	s_or_b64 exec, exec, s[2:3]
	s_and_b64 s[2:3], s[16:17], s[18:19]
	s_and_saveexec_b64 s[4:5], s[2:3]
	s_cbranch_execnz .LBB173_376
.LBB173_347:
	s_endpgm
.LBB173_348:
	s_and_b64 vcc, exec, s[0:1]
	s_cbranch_vccnz .LBB173_350
; %bb.349:
	v_lshl_add_u64 v[76:77], v[128:129], 3, v[74:75]
	global_load_dwordx2 v[76:77], v[76:77], off
	s_waitcnt vmcnt(0)
	v_mul_f64 v[76:77], s[22:23], v[76:77]
	v_cvt_f32_f64_e32 v76, v[76:77]
	s_branch .LBB173_351
.LBB173_350:
	v_mov_b32_e32 v76, 0
.LBB173_351:
	v_add_f64 v[70:71], v[70:71], v[14:15]
	v_add_f64 v[68:69], v[68:69], v[12:13]
	;; [unrolled: 1-line block ×4, first 2 shown]
	v_cvt_f32_f64_e32 v68, v[68:69]
	v_cvt_f32_f64_e32 v69, v[70:71]
	;; [unrolled: 1-line block ×4, first 2 shown]
	v_min3_f32 v68, v68, v69, v157
	v_min_f32_e32 v64, v64, v65
	v_min3_f32 v64, v76, v64, v68
	v_cvt_f64_f32_e32 v[64:65], v64
	v_lshl_add_u64 v[66:67], v[128:129], 3, v[72:73]
	global_store_dwordx2 v[66:67], v[64:65], off
	s_or_b64 exec, exec, s[2:3]
	s_and_b64 s[4:5], s[4:5], s[18:19]
	s_and_saveexec_b64 s[2:3], s[4:5]
	s_cbranch_execz .LBB173_341
.LBB173_352:
	s_and_b64 vcc, exec, s[0:1]
	s_cbranch_vccnz .LBB173_354
; %bb.353:
	v_lshl_add_u64 v[64:65], v[130:131], 3, v[74:75]
	global_load_dwordx2 v[64:65], v[64:65], off
	s_waitcnt vmcnt(0)
	v_mul_f64 v[64:65], s[22:23], v[64:65]
	v_cvt_f32_f64_e32 v64, v[64:65]
	s_branch .LBB173_355
.LBB173_354:
	v_mov_b32_e32 v64, 0
.LBB173_355:
	v_add_f64 v[62:63], v[62:63], v[14:15]
	v_add_f64 v[60:61], v[60:61], v[12:13]
	;; [unrolled: 1-line block ×4, first 2 shown]
	v_cvt_f32_f64_e32 v60, v[60:61]
	v_cvt_f32_f64_e32 v61, v[62:63]
	;; [unrolled: 1-line block ×4, first 2 shown]
	v_min3_f32 v60, v60, v61, v156
	v_min_f32_e32 v56, v56, v57
	v_min3_f32 v56, v64, v56, v60
	v_cvt_f64_f32_e32 v[56:57], v56
	v_lshl_add_u64 v[58:59], v[130:131], 3, v[72:73]
	global_store_dwordx2 v[58:59], v[56:57], off
	s_or_b64 exec, exec, s[2:3]
	s_and_b64 s[4:5], s[6:7], s[18:19]
	s_and_saveexec_b64 s[2:3], s[4:5]
	s_cbranch_execz .LBB173_342
.LBB173_356:
	s_and_b64 vcc, exec, s[0:1]
	s_cbranch_vccnz .LBB173_358
; %bb.357:
	v_lshl_add_u64 v[56:57], v[132:133], 3, v[74:75]
	global_load_dwordx2 v[56:57], v[56:57], off
	s_waitcnt vmcnt(0)
	v_mul_f64 v[56:57], s[22:23], v[56:57]
	v_cvt_f32_f64_e32 v56, v[56:57]
	s_branch .LBB173_359
.LBB173_358:
	v_mov_b32_e32 v56, 0
.LBB173_359:
	v_add_f64 v[54:55], v[54:55], v[14:15]
	v_add_f64 v[52:53], v[52:53], v[12:13]
	;; [unrolled: 1-line block ×4, first 2 shown]
	v_cvt_f32_f64_e32 v52, v[52:53]
	v_cvt_f32_f64_e32 v53, v[54:55]
	v_cvt_f32_f64_e32 v48, v[48:49]
	v_cvt_f32_f64_e32 v49, v[50:51]
	v_min3_f32 v52, v52, v53, v155
	v_min_f32_e32 v48, v48, v49
	v_min3_f32 v48, v56, v48, v52
	v_cvt_f64_f32_e32 v[48:49], v48
	v_lshl_add_u64 v[50:51], v[132:133], 3, v[72:73]
	global_store_dwordx2 v[50:51], v[48:49], off
	s_or_b64 exec, exec, s[2:3]
	s_and_b64 s[4:5], s[8:9], s[18:19]
	s_and_saveexec_b64 s[2:3], s[4:5]
	s_cbranch_execz .LBB173_343
.LBB173_360:
	s_and_b64 vcc, exec, s[0:1]
	s_cbranch_vccnz .LBB173_362
; %bb.361:
	v_lshl_add_u64 v[48:49], v[134:135], 3, v[74:75]
	global_load_dwordx2 v[48:49], v[48:49], off
	s_waitcnt vmcnt(0)
	v_mul_f64 v[48:49], s[22:23], v[48:49]
	v_cvt_f32_f64_e32 v48, v[48:49]
	s_branch .LBB173_363
.LBB173_362:
	v_mov_b32_e32 v48, 0
.LBB173_363:
	v_add_f64 v[46:47], v[46:47], v[14:15]
	v_add_f64 v[44:45], v[44:45], v[12:13]
	;; [unrolled: 1-line block ×4, first 2 shown]
	v_cvt_f32_f64_e32 v44, v[44:45]
	v_cvt_f32_f64_e32 v45, v[46:47]
	v_cvt_f32_f64_e32 v40, v[40:41]
	v_cvt_f32_f64_e32 v41, v[42:43]
	v_min3_f32 v44, v44, v45, v154
	v_min_f32_e32 v40, v40, v41
	v_min3_f32 v40, v48, v40, v44
	v_cvt_f64_f32_e32 v[40:41], v40
	v_lshl_add_u64 v[42:43], v[134:135], 3, v[72:73]
	global_store_dwordx2 v[42:43], v[40:41], off
	s_or_b64 exec, exec, s[2:3]
	s_and_b64 s[4:5], s[10:11], s[18:19]
	s_and_saveexec_b64 s[2:3], s[4:5]
	s_cbranch_execz .LBB173_344
.LBB173_364:
	s_and_b64 vcc, exec, s[0:1]
	s_cbranch_vccnz .LBB173_366
; %bb.365:
	v_lshl_add_u64 v[40:41], v[136:137], 3, v[74:75]
	global_load_dwordx2 v[40:41], v[40:41], off
	s_waitcnt vmcnt(0)
	v_mul_f64 v[40:41], s[22:23], v[40:41]
	v_cvt_f32_f64_e32 v40, v[40:41]
	s_branch .LBB173_367
.LBB173_366:
	v_mov_b32_e32 v40, 0
.LBB173_367:
	v_add_f64 v[38:39], v[38:39], v[14:15]
	v_add_f64 v[36:37], v[36:37], v[12:13]
	;; [unrolled: 1-line block ×4, first 2 shown]
	v_cvt_f32_f64_e32 v36, v[36:37]
	v_cvt_f32_f64_e32 v37, v[38:39]
	;; [unrolled: 1-line block ×4, first 2 shown]
	v_min3_f32 v36, v36, v37, v153
	v_min_f32_e32 v32, v32, v33
	v_min3_f32 v32, v40, v32, v36
	v_cvt_f64_f32_e32 v[32:33], v32
	v_lshl_add_u64 v[34:35], v[136:137], 3, v[72:73]
	global_store_dwordx2 v[34:35], v[32:33], off
	s_or_b64 exec, exec, s[2:3]
	s_and_b64 s[4:5], s[12:13], s[18:19]
	s_and_saveexec_b64 s[2:3], s[4:5]
	s_cbranch_execz .LBB173_345
.LBB173_368:
	s_and_b64 vcc, exec, s[0:1]
	s_cbranch_vccnz .LBB173_370
; %bb.369:
	v_lshl_add_u64 v[32:33], v[138:139], 3, v[74:75]
	global_load_dwordx2 v[32:33], v[32:33], off
	s_waitcnt vmcnt(0)
	v_mul_f64 v[32:33], s[22:23], v[32:33]
	v_cvt_f32_f64_e32 v32, v[32:33]
	s_branch .LBB173_371
.LBB173_370:
	v_mov_b32_e32 v32, 0
.LBB173_371:
	v_add_f64 v[30:31], v[30:31], v[14:15]
	v_add_f64 v[28:29], v[28:29], v[12:13]
	;; [unrolled: 1-line block ×4, first 2 shown]
	v_cvt_f32_f64_e32 v28, v[28:29]
	v_cvt_f32_f64_e32 v29, v[30:31]
	;; [unrolled: 1-line block ×4, first 2 shown]
	v_min3_f32 v28, v28, v29, v152
	v_min_f32_e32 v24, v24, v25
	v_min3_f32 v24, v32, v24, v28
	v_cvt_f64_f32_e32 v[24:25], v24
	v_lshl_add_u64 v[26:27], v[138:139], 3, v[72:73]
	global_store_dwordx2 v[26:27], v[24:25], off
	s_or_b64 exec, exec, s[2:3]
	s_and_b64 s[4:5], s[14:15], s[18:19]
	s_and_saveexec_b64 s[2:3], s[4:5]
	s_cbranch_execz .LBB173_346
.LBB173_372:
	s_and_b64 vcc, exec, s[0:1]
	s_cbranch_vccnz .LBB173_374
; %bb.373:
	v_lshl_add_u64 v[24:25], v[140:141], 3, v[74:75]
	global_load_dwordx2 v[24:25], v[24:25], off
	s_waitcnt vmcnt(0)
	v_mul_f64 v[24:25], s[22:23], v[24:25]
	v_cvt_f32_f64_e32 v24, v[24:25]
	s_branch .LBB173_375
.LBB173_374:
	v_mov_b32_e32 v24, 0
.LBB173_375:
	v_add_f64 v[22:23], v[22:23], v[14:15]
	v_add_f64 v[20:21], v[20:21], v[12:13]
	;; [unrolled: 1-line block ×4, first 2 shown]
	v_cvt_f32_f64_e32 v20, v[20:21]
	v_cvt_f32_f64_e32 v21, v[22:23]
	;; [unrolled: 1-line block ×4, first 2 shown]
	v_min3_f32 v20, v20, v21, v149
	v_min_f32_e32 v16, v16, v17
	v_min3_f32 v16, v24, v16, v20
	v_cvt_f64_f32_e32 v[16:17], v16
	v_lshl_add_u64 v[18:19], v[140:141], 3, v[72:73]
	global_store_dwordx2 v[18:19], v[16:17], off
	s_or_b64 exec, exec, s[2:3]
	s_and_b64 s[2:3], s[16:17], s[18:19]
	s_and_saveexec_b64 s[4:5], s[2:3]
	s_cbranch_execz .LBB173_347
.LBB173_376:
	s_and_b64 vcc, exec, s[0:1]
	s_cbranch_vccnz .LBB173_378
; %bb.377:
	v_lshl_add_u64 v[16:17], v[142:143], 3, v[74:75]
	global_load_dwordx2 v[16:17], v[16:17], off
	s_waitcnt vmcnt(0)
	v_mul_f64 v[16:17], s[22:23], v[16:17]
	v_cvt_f32_f64_e32 v16, v[16:17]
	s_branch .LBB173_379
.LBB173_378:
	v_mov_b32_e32 v16, 0
.LBB173_379:
	v_add_f64 v[6:7], v[6:7], v[14:15]
	v_add_f64 v[4:5], v[4:5], v[12:13]
	;; [unrolled: 1-line block ×4, first 2 shown]
	v_cvt_f32_f64_e32 v4, v[4:5]
	v_cvt_f32_f64_e32 v5, v[6:7]
	;; [unrolled: 1-line block ×4, first 2 shown]
	v_min3_f32 v4, v4, v5, v148
	v_min_f32_e32 v0, v0, v1
	v_min3_f32 v0, v16, v0, v4
	v_cvt_f64_f32_e32 v[0:1], v0
	v_lshl_add_u64 v[2:3], v[142:143], 3, v[72:73]
	global_store_dwordx2 v[2:3], v[0:1], off
	s_endpgm
	.section	.rodata,"a",@progbits
	.p2align	6, 0x0
	.amdhsa_kernel _ZN12_GLOBAL__N_120geam_min_plus_kernelId15HIP_vector_typeIdLj2EEdLi8ELi32ELi64ELi256ELi4ELi64ELi4ELi64ELi4ELc78ELc84ELb0ELb1ELb1EdKddEEviiiT16_PT17_ilS6_ilS4_S6_ilPT18_ili26rocblas_geam_ex_operation_
		.amdhsa_group_segment_fixed_size 20480
		.amdhsa_private_segment_fixed_size 0
		.amdhsa_kernarg_size 136
		.amdhsa_user_sgpr_count 2
		.amdhsa_user_sgpr_dispatch_ptr 0
		.amdhsa_user_sgpr_queue_ptr 0
		.amdhsa_user_sgpr_kernarg_segment_ptr 1
		.amdhsa_user_sgpr_dispatch_id 0
		.amdhsa_user_sgpr_kernarg_preload_length 0
		.amdhsa_user_sgpr_kernarg_preload_offset 0
		.amdhsa_user_sgpr_private_segment_size 0
		.amdhsa_uses_dynamic_stack 0
		.amdhsa_enable_private_segment 0
		.amdhsa_system_sgpr_workgroup_id_x 1
		.amdhsa_system_sgpr_workgroup_id_y 0
		.amdhsa_system_sgpr_workgroup_id_z 1
		.amdhsa_system_sgpr_workgroup_info 0
		.amdhsa_system_vgpr_workitem_id 1
		.amdhsa_next_free_vgpr 228
		.amdhsa_next_free_sgpr 46
		.amdhsa_accum_offset 228
		.amdhsa_reserve_vcc 1
		.amdhsa_float_round_mode_32 0
		.amdhsa_float_round_mode_16_64 0
		.amdhsa_float_denorm_mode_32 3
		.amdhsa_float_denorm_mode_16_64 3
		.amdhsa_dx10_clamp 1
		.amdhsa_ieee_mode 1
		.amdhsa_fp16_overflow 0
		.amdhsa_tg_split 0
		.amdhsa_exception_fp_ieee_invalid_op 0
		.amdhsa_exception_fp_denorm_src 0
		.amdhsa_exception_fp_ieee_div_zero 0
		.amdhsa_exception_fp_ieee_overflow 0
		.amdhsa_exception_fp_ieee_underflow 0
		.amdhsa_exception_fp_ieee_inexact 0
		.amdhsa_exception_int_div_zero 0
	.end_amdhsa_kernel
	.section	.text._ZN12_GLOBAL__N_120geam_min_plus_kernelId15HIP_vector_typeIdLj2EEdLi8ELi32ELi64ELi256ELi4ELi64ELi4ELi64ELi4ELc78ELc84ELb0ELb1ELb1EdKddEEviiiT16_PT17_ilS6_ilS4_S6_ilPT18_ili26rocblas_geam_ex_operation_,"axG",@progbits,_ZN12_GLOBAL__N_120geam_min_plus_kernelId15HIP_vector_typeIdLj2EEdLi8ELi32ELi64ELi256ELi4ELi64ELi4ELi64ELi4ELc78ELc84ELb0ELb1ELb1EdKddEEviiiT16_PT17_ilS6_ilS4_S6_ilPT18_ili26rocblas_geam_ex_operation_,comdat
.Lfunc_end173:
	.size	_ZN12_GLOBAL__N_120geam_min_plus_kernelId15HIP_vector_typeIdLj2EEdLi8ELi32ELi64ELi256ELi4ELi64ELi4ELi64ELi4ELc78ELc84ELb0ELb1ELb1EdKddEEviiiT16_PT17_ilS6_ilS4_S6_ilPT18_ili26rocblas_geam_ex_operation_, .Lfunc_end173-_ZN12_GLOBAL__N_120geam_min_plus_kernelId15HIP_vector_typeIdLj2EEdLi8ELi32ELi64ELi256ELi4ELi64ELi4ELi64ELi4ELc78ELc84ELb0ELb1ELb1EdKddEEviiiT16_PT17_ilS6_ilS4_S6_ilPT18_ili26rocblas_geam_ex_operation_
                                        ; -- End function
	.set _ZN12_GLOBAL__N_120geam_min_plus_kernelId15HIP_vector_typeIdLj2EEdLi8ELi32ELi64ELi256ELi4ELi64ELi4ELi64ELi4ELc78ELc84ELb0ELb1ELb1EdKddEEviiiT16_PT17_ilS6_ilS4_S6_ilPT18_ili26rocblas_geam_ex_operation_.num_vgpr, 228
	.set _ZN12_GLOBAL__N_120geam_min_plus_kernelId15HIP_vector_typeIdLj2EEdLi8ELi32ELi64ELi256ELi4ELi64ELi4ELi64ELi4ELc78ELc84ELb0ELb1ELb1EdKddEEviiiT16_PT17_ilS6_ilS4_S6_ilPT18_ili26rocblas_geam_ex_operation_.num_agpr, 0
	.set _ZN12_GLOBAL__N_120geam_min_plus_kernelId15HIP_vector_typeIdLj2EEdLi8ELi32ELi64ELi256ELi4ELi64ELi4ELi64ELi4ELc78ELc84ELb0ELb1ELb1EdKddEEviiiT16_PT17_ilS6_ilS4_S6_ilPT18_ili26rocblas_geam_ex_operation_.numbered_sgpr, 46
	.set _ZN12_GLOBAL__N_120geam_min_plus_kernelId15HIP_vector_typeIdLj2EEdLi8ELi32ELi64ELi256ELi4ELi64ELi4ELi64ELi4ELc78ELc84ELb0ELb1ELb1EdKddEEviiiT16_PT17_ilS6_ilS4_S6_ilPT18_ili26rocblas_geam_ex_operation_.num_named_barrier, 0
	.set _ZN12_GLOBAL__N_120geam_min_plus_kernelId15HIP_vector_typeIdLj2EEdLi8ELi32ELi64ELi256ELi4ELi64ELi4ELi64ELi4ELc78ELc84ELb0ELb1ELb1EdKddEEviiiT16_PT17_ilS6_ilS4_S6_ilPT18_ili26rocblas_geam_ex_operation_.private_seg_size, 0
	.set _ZN12_GLOBAL__N_120geam_min_plus_kernelId15HIP_vector_typeIdLj2EEdLi8ELi32ELi64ELi256ELi4ELi64ELi4ELi64ELi4ELc78ELc84ELb0ELb1ELb1EdKddEEviiiT16_PT17_ilS6_ilS4_S6_ilPT18_ili26rocblas_geam_ex_operation_.uses_vcc, 1
	.set _ZN12_GLOBAL__N_120geam_min_plus_kernelId15HIP_vector_typeIdLj2EEdLi8ELi32ELi64ELi256ELi4ELi64ELi4ELi64ELi4ELc78ELc84ELb0ELb1ELb1EdKddEEviiiT16_PT17_ilS6_ilS4_S6_ilPT18_ili26rocblas_geam_ex_operation_.uses_flat_scratch, 0
	.set _ZN12_GLOBAL__N_120geam_min_plus_kernelId15HIP_vector_typeIdLj2EEdLi8ELi32ELi64ELi256ELi4ELi64ELi4ELi64ELi4ELc78ELc84ELb0ELb1ELb1EdKddEEviiiT16_PT17_ilS6_ilS4_S6_ilPT18_ili26rocblas_geam_ex_operation_.has_dyn_sized_stack, 0
	.set _ZN12_GLOBAL__N_120geam_min_plus_kernelId15HIP_vector_typeIdLj2EEdLi8ELi32ELi64ELi256ELi4ELi64ELi4ELi64ELi4ELc78ELc84ELb0ELb1ELb1EdKddEEviiiT16_PT17_ilS6_ilS4_S6_ilPT18_ili26rocblas_geam_ex_operation_.has_recursion, 0
	.set _ZN12_GLOBAL__N_120geam_min_plus_kernelId15HIP_vector_typeIdLj2EEdLi8ELi32ELi64ELi256ELi4ELi64ELi4ELi64ELi4ELc78ELc84ELb0ELb1ELb1EdKddEEviiiT16_PT17_ilS6_ilS4_S6_ilPT18_ili26rocblas_geam_ex_operation_.has_indirect_call, 0
	.section	.AMDGPU.csdata,"",@progbits
; Kernel info:
; codeLenInByte = 26912
; TotalNumSgprs: 52
; NumVgprs: 228
; NumAgprs: 0
; TotalNumVgprs: 228
; ScratchSize: 0
; MemoryBound: 0
; FloatMode: 240
; IeeeMode: 1
; LDSByteSize: 20480 bytes/workgroup (compile time only)
; SGPRBlocks: 6
; VGPRBlocks: 28
; NumSGPRsForWavesPerEU: 52
; NumVGPRsForWavesPerEU: 228
; AccumOffset: 228
; Occupancy: 2
; WaveLimiterHint : 0
; COMPUTE_PGM_RSRC2:SCRATCH_EN: 0
; COMPUTE_PGM_RSRC2:USER_SGPR: 2
; COMPUTE_PGM_RSRC2:TRAP_HANDLER: 0
; COMPUTE_PGM_RSRC2:TGID_X_EN: 1
; COMPUTE_PGM_RSRC2:TGID_Y_EN: 0
; COMPUTE_PGM_RSRC2:TGID_Z_EN: 1
; COMPUTE_PGM_RSRC2:TIDIG_COMP_CNT: 1
; COMPUTE_PGM_RSRC3_GFX90A:ACCUM_OFFSET: 56
; COMPUTE_PGM_RSRC3_GFX90A:TG_SPLIT: 0
	.section	.text._ZN12_GLOBAL__N_120geam_min_plus_kernelId15HIP_vector_typeIdLj2EEdLi8ELi32ELi64ELi256ELi4ELi4ELi64ELi64ELi4ELc84ELc84ELb0ELb0ELb1EPKdS3_dEEviiiT16_PT17_ilS7_ilS5_S7_ilPT18_ili26rocblas_geam_ex_operation_,"axG",@progbits,_ZN12_GLOBAL__N_120geam_min_plus_kernelId15HIP_vector_typeIdLj2EEdLi8ELi32ELi64ELi256ELi4ELi4ELi64ELi64ELi4ELc84ELc84ELb0ELb0ELb1EPKdS3_dEEviiiT16_PT17_ilS7_ilS5_S7_ilPT18_ili26rocblas_geam_ex_operation_,comdat
	.globl	_ZN12_GLOBAL__N_120geam_min_plus_kernelId15HIP_vector_typeIdLj2EEdLi8ELi32ELi64ELi256ELi4ELi4ELi64ELi64ELi4ELc84ELc84ELb0ELb0ELb1EPKdS3_dEEviiiT16_PT17_ilS7_ilS5_S7_ilPT18_ili26rocblas_geam_ex_operation_ ; -- Begin function _ZN12_GLOBAL__N_120geam_min_plus_kernelId15HIP_vector_typeIdLj2EEdLi8ELi32ELi64ELi256ELi4ELi4ELi64ELi64ELi4ELc84ELc84ELb0ELb0ELb1EPKdS3_dEEviiiT16_PT17_ilS7_ilS5_S7_ilPT18_ili26rocblas_geam_ex_operation_
	.p2align	8
	.type	_ZN12_GLOBAL__N_120geam_min_plus_kernelId15HIP_vector_typeIdLj2EEdLi8ELi32ELi64ELi256ELi4ELi4ELi64ELi64ELi4ELc84ELc84ELb0ELb0ELb1EPKdS3_dEEviiiT16_PT17_ilS7_ilS5_S7_ilPT18_ili26rocblas_geam_ex_operation_,@function
_ZN12_GLOBAL__N_120geam_min_plus_kernelId15HIP_vector_typeIdLj2EEdLi8ELi32ELi64ELi256ELi4ELi4ELi64ELi64ELi4ELc84ELc84ELb0ELb0ELb1EPKdS3_dEEviiiT16_PT17_ilS7_ilS5_S7_ilPT18_ili26rocblas_geam_ex_operation_: ; @_ZN12_GLOBAL__N_120geam_min_plus_kernelId15HIP_vector_typeIdLj2EEdLi8ELi32ELi64ELi256ELi4ELi4ELi64ELi64ELi4ELc84ELc84ELb0ELb0ELb1EPKdS3_dEEviiiT16_PT17_ilS7_ilS5_S7_ilPT18_ili26rocblas_geam_ex_operation_
; %bb.0:
	s_load_dwordx4 s[4:7], s[0:1], 0x10
	s_load_dwordx4 s[8:11], s[0:1], 0x28
	;; [unrolled: 1-line block ×3, first 2 shown]
	s_mov_b32 s18, s3
	s_mov_b32 s19, 0
	s_lshl_b64 s[16:17], s[18:19], 3
	s_waitcnt lgkmcnt(0)
	s_add_u32 s4, s4, s16
	s_addc_u32 s5, s5, s17
	s_load_dwordx2 s[20:21], s[4:5], 0x0
	s_load_dwordx2 s[26:27], s[0:1], 0x50
	s_add_u32 s14, s14, s16
	s_addc_u32 s15, s15, s17
	s_mov_b64 s[22:23], 0
	s_waitcnt lgkmcnt(0)
	v_cmp_eq_f64_e64 s[4:5], s[20:21], 0
	s_and_b64 s[4:5], exec, s[4:5]
	v_cmp_neq_f64_e64 s[28:29], s[20:21], 0
	s_mov_b64 s[24:25], 0
	s_mov_b64 vcc, s[4:5]
	s_cbranch_vccnz .LBB174_2
; %bb.1:
	s_mul_i32 s3, s9, s18
	s_mul_hi_u32 s9, s8, s18
	s_add_i32 s9, s9, s3
	s_mul_i32 s8, s8, s18
	s_lshl_b64 s[8:9], s[8:9], 3
	s_add_u32 s24, s6, s8
	s_addc_u32 s25, s7, s9
.LBB174_2:
	s_load_dwordx2 s[16:17], s[14:15], 0x0
	v_cndmask_b32_e64 v1, 0, 1, s[28:29]
	v_cmp_ne_u32_e64 s[6:7], 1, v1
	s_andn2_b64 vcc, exec, s[28:29]
	s_cbranch_vccnz .LBB174_4
; %bb.3:
	s_mul_i32 s3, s13, s18
	s_mul_hi_u32 s8, s12, s18
	s_add_i32 s9, s8, s3
	s_mul_i32 s8, s12, s18
	s_lshl_b64 s[8:9], s[8:9], 3
	s_add_u32 s22, s10, s8
	s_addc_u32 s23, s11, s9
.LBB174_4:
	s_load_dwordx4 s[12:15], s[0:1], 0x60
	s_waitcnt lgkmcnt(0)
	v_cmp_eq_f64_e64 s[8:9], s[16:17], 0
	s_and_b64 s[8:9], exec, s[8:9]
	s_mov_b64 s[10:11], 0
	s_mov_b64 vcc, s[8:9]
	s_cbranch_vccnz .LBB174_6
; %bb.5:
	s_mul_i32 s3, s13, s18
	s_mul_hi_u32 s10, s12, s18
	s_add_i32 s11, s10, s3
	s_mul_i32 s10, s12, s18
	s_lshl_b64 s[10:11], s[10:11], 3
	s_add_u32 s10, s26, s10
	s_addc_u32 s11, s27, s11
.LBB174_6:
	s_load_dword s12, s[0:1], 0x0
	s_load_dword s3, s[0:1], 0x20
	v_and_b32_e32 v152, 0x3ff, v0
	v_bfe_u32 v153, v0, 10, 10
	v_lshl_add_u32 v6, v153, 3, v152
	s_waitcnt lgkmcnt(0)
	s_add_i32 s12, s12, -1
	s_ashr_i32 s13, s12, 31
	s_lshr_b32 s13, s13, 26
	s_add_i32 s12, s12, s13
	s_ashr_i32 s12, s12, 6
	s_add_i32 s19, s12, 1
	v_cvt_f32_u32_e32 v1, s19
	s_not_b32 s12, s12
	v_and_b32_e32 v2, 3, v0
	v_lshrrev_b32_e32 v110, 2, v6
	v_rcp_iflag_f32_e32 v3, v1
	v_mov_b64_e32 v[0:1], 0
	v_lshlrev_b32_e32 v2, 3, v2
	v_mov_b64_e32 v[4:5], 0
	v_mul_f32_e32 v3, 0x4f7ffffe, v3
	v_cvt_u32_f32_e32 v3, v3
	s_nop 0
	v_readfirstlane_b32 s13, v3
	s_mul_i32 s12, s12, s13
	s_mul_hi_u32 s12, s13, s12
	s_add_i32 s13, s13, s12
	s_mul_hi_u32 s12, s2, s13
	s_mul_i32 s13, s12, s19
	s_sub_i32 s13, s2, s13
	s_add_i32 s26, s12, 1
	s_sub_i32 s27, s13, s19
	s_cmp_ge_u32 s13, s19
	s_cselect_b32 s12, s26, s12
	s_cselect_b32 s13, s27, s13
	s_add_i32 s26, s12, 1
	s_cmp_ge_u32 s13, s19
	s_cselect_b32 s13, s26, s12
	s_mul_i32 s29, s13, s19
	s_sub_i32 s12, s2, s29
	s_lshl_b32 s19, s12, 6
	s_and_b64 vcc, exec, s[6:7]
	v_add_u32_e32 v16, s19, v110
	s_cbranch_vccnz .LBB174_8
; %bb.7:
	v_mad_i64_i32 v[4:5], s[26:27], v16, s3, 0
	v_lshl_add_u64 v[4:5], v[4:5], 3, s[24:25]
	v_mov_b32_e32 v3, 0
	v_lshl_add_u64 v[4:5], v[4:5], 0, v[2:3]
	global_load_dwordx2 v[4:5], v[4:5], off
	s_waitcnt vmcnt(0)
	v_mul_f64 v[4:5], s[20:21], v[4:5]
.LBB174_8:
	s_load_dword s12, s[0:1], 0x38
	v_and_b32_e32 v112, 63, v6
	v_lshrrev_b32_e32 v111, 6, v6
	s_lshl_b32 s28, s13, 8
	v_or_b32_e32 v8, s28, v112
	s_waitcnt lgkmcnt(0)
	v_mad_i64_i32 v[6:7], s[26:27], s12, v111, 0
	v_lshl_add_u64 v[14:15], v[6:7], 3, s[22:23]
	s_and_b64 vcc, exec, s[6:7]
	v_ashrrev_i32_e32 v9, 31, v8
	v_mov_b64_e32 v[6:7], 0
	s_cbranch_vccnz .LBB174_10
; %bb.9:
	v_lshl_add_u64 v[0:1], v[8:9], 3, v[14:15]
	global_load_dwordx2 v[6:7], v[0:1], off
	global_load_dwordx2 v[10:11], v[0:1], off offset:512
	s_waitcnt vmcnt(1)
	v_mul_f64 v[6:7], s[20:21], v[6:7]
	s_waitcnt vmcnt(0)
	v_mul_f64 v[0:1], s[20:21], v[10:11]
.LBB174_10:
	s_ashr_i32 s13, s12, 31
	s_mov_b64 vcc, s[4:5]
	s_cbranch_vccz .LBB174_12
; %bb.11:
	s_mov_b32 s26, 0
	v_mov_b32_e32 v10, s26
	v_mov_b32_e32 v11, s26
	v_mov_b64_e32 v[100:101], 0
	v_mov_b64_e32 v[12:13], 0
	s_cbranch_execz .LBB174_13
	s_branch .LBB174_14
.LBB174_12:
                                        ; implicit-def: $vgpr10_vgpr11
	v_mov_b64_e32 v[100:101], 0
	v_mov_b64_e32 v[12:13], 0
.LBB174_13:
	v_lshl_add_u64 v[10:11], v[8:9], 3, v[14:15]
	global_load_dwordx2 v[12:13], v[10:11], off offset:1024
	global_load_dwordx2 v[14:15], v[10:11], off offset:1536
	s_waitcnt vmcnt(1)
	v_mul_f64 v[10:11], s[20:21], v[12:13]
	s_waitcnt vmcnt(0)
	v_mul_f64 v[12:13], s[20:21], v[14:15]
.LBB174_14:
	s_and_b64 vcc, exec, s[6:7]
	s_cbranch_vccnz .LBB174_16
; %bb.15:
	v_mad_i64_i32 v[14:15], s[26:27], v16, s3, 0
	v_lshl_add_u64 v[14:15], v[14:15], 3, s[24:25]
	v_mov_b32_e32 v3, 0
	v_lshl_add_u64 v[14:15], v[14:15], 0, v[2:3]
	global_load_dwordx2 v[14:15], v[14:15], off offset:32
	s_waitcnt vmcnt(0)
	v_mul_f64 v[100:101], s[20:21], v[14:15]
.LBB174_16:
	v_add_u32_e32 v3, 4, v111
	v_mad_i64_i32 v[14:15], s[26:27], s12, v3, 0
	s_and_b64 vcc, exec, s[6:7]
	v_lshl_add_u64 v[14:15], v[14:15], 3, s[22:23]
	s_cbranch_vccnz .LBB174_19
; %bb.17:
	v_lshl_add_u64 v[16:17], v[8:9], 3, v[14:15]
	global_load_dwordx2 v[18:19], v[16:17], off
	global_load_dwordx2 v[20:21], v[16:17], off offset:512
	s_waitcnt vmcnt(1)
	v_mul_f64 v[104:105], s[20:21], v[18:19]
	s_waitcnt vmcnt(0)
	v_mul_f64 v[102:103], s[20:21], v[20:21]
	s_mov_b64 vcc, s[4:5]
	s_cbranch_vccz .LBB174_20
.LBB174_18:
	s_mov_b32 s26, 0
	v_mov_b32_e32 v106, s26
	v_mov_b32_e32 v107, s26
	v_mov_b64_e32 v[108:109], 0
	s_cbranch_execz .LBB174_21
	s_branch .LBB174_22
.LBB174_19:
	v_mov_b64_e32 v[102:103], 0
	v_mov_b64_e32 v[104:105], v[102:103]
	s_mov_b64 vcc, s[4:5]
	s_cbranch_vccnz .LBB174_18
.LBB174_20:
                                        ; implicit-def: $vgpr106_vgpr107
	v_mov_b64_e32 v[108:109], 0
.LBB174_21:
	v_lshl_add_u64 v[8:9], v[8:9], 3, v[14:15]
	global_load_dwordx2 v[14:15], v[8:9], off offset:1024
	global_load_dwordx2 v[16:17], v[8:9], off offset:1536
	s_waitcnt vmcnt(1)
	v_mul_f64 v[106:107], s[20:21], v[14:15]
	s_waitcnt vmcnt(0)
	v_mul_f64 v[108:109], s[20:21], v[16:17]
.LBB174_22:
	v_lshl_or_b32 v113, v110, 5, v2
	v_lshlrev_b32_e32 v2, 5, v112
	v_lshl_add_u32 v154, v111, 3, v2
	v_lshlrev_b32_e32 v157, 5, v152
	ds_write_b64 v113, v[4:5] offset:16384
	ds_write2st64_b64 v154, v[6:7], v[0:1] offset1:4
	ds_write2st64_b64 v154, v[10:11], v[12:13] offset0:8 offset1:12
	s_waitcnt lgkmcnt(0)
	s_barrier
	v_lshlrev_b32_e32 v156, 5, v153
	ds_read_b128 v[32:35], v157 offset:16640
	ds_read_b128 v[28:31], v157 offset:16896
	;; [unrolled: 1-line block ×13, first 2 shown]
	ds_read_b128 v[96:99], v156
	ds_read_b128 v[44:47], v156 offset:6144
	ds_read_b128 v[36:39], v156 offset:7168
	;; [unrolled: 1-line block ×4, first 2 shown]
	s_waitcnt lgkmcnt(5)
	v_add_f64 v[116:117], v[42:43], v[94:95]
	v_add_f64 v[118:119], v[40:41], v[92:93]
	s_mov_b32 s27, 0x7f800000
	v_cvt_f32_f64_e32 v115, v[118:119]
	v_cvt_f32_f64_e32 v116, v[116:117]
	v_min3_f32 v177, v115, v116, s27
	v_add_f64 v[116:117], v[34:35], v[94:95]
	v_add_f64 v[118:119], v[32:33], v[92:93]
	v_cvt_f32_f64_e32 v115, v[118:119]
	v_cvt_f32_f64_e32 v116, v[116:117]
	v_min3_f32 v178, v115, v116, s27
	v_add_f64 v[116:117], v[30:31], v[94:95]
	v_add_f64 v[118:119], v[28:29], v[92:93]
	;; [unrolled: 5-line block ×34, first 2 shown]
	v_cvt_f32_f64_e32 v115, v[118:119]
	v_cvt_f32_f64_e32 v116, v[116:117]
	v_min3_f32 v121, v115, v116, s27
	s_waitcnt lgkmcnt(3)
	v_add_f64 v[116:117], v[42:43], v[46:47]
	v_add_f64 v[166:167], v[40:41], v[44:45]
	v_cvt_f32_f64_e32 v115, v[166:167]
	v_cvt_f32_f64_e32 v116, v[116:117]
	v_min3_f32 v127, v115, v116, s27
	v_add_f64 v[116:117], v[34:35], v[46:47]
	v_add_f64 v[166:167], v[32:33], v[44:45]
	v_cvt_f32_f64_e32 v115, v[166:167]
	v_cvt_f32_f64_e32 v116, v[116:117]
	v_min3_f32 v124, v115, v116, s27
	v_add_f64 v[116:117], v[30:31], v[46:47]
	v_add_f64 v[166:167], v[28:29], v[44:45]
	v_cvt_f32_f64_e32 v115, v[166:167]
	v_cvt_f32_f64_e32 v116, v[116:117]
	v_add_f64 v[56:57], v[42:43], v[98:99]
	v_add_f64 v[58:59], v[40:41], v[96:97]
	v_min3_f32 v122, v115, v116, s27
	v_add_f64 v[116:117], v[26:27], v[46:47]
	v_add_f64 v[166:167], v[24:25], v[44:45]
	v_cvt_f32_f64_e32 v58, v[58:59]
	v_cvt_f32_f64_e32 v56, v[56:57]
	v_cvt_f32_f64_e32 v115, v[166:167]
	v_cvt_f32_f64_e32 v116, v[116:117]
	v_min3_f32 v114, v58, v56, s27
	ds_read_b128 v[56:59], v157 offset:16656
	v_add_f64 v[60:61], v[34:35], v[98:99]
	v_add_f64 v[62:63], v[32:33], v[96:97]
	v_min3_f32 v120, v115, v116, s27
	v_add_f64 v[116:117], v[22:23], v[46:47]
	v_add_f64 v[166:167], v[20:21], v[44:45]
	v_cvt_f32_f64_e32 v62, v[62:63]
	v_cvt_f32_f64_e32 v60, v[60:61]
	;; [unrolled: 1-line block ×4, first 2 shown]
	v_add_f64 v[166:167], v[16:17], v[44:45]
	v_min3_f32 v170, v62, v60, s27
	ds_read_b128 v[60:63], v157 offset:16912
	v_add_f64 v[64:65], v[30:31], v[98:99]
	v_add_f64 v[66:67], v[28:29], v[96:97]
	v_add_f64 v[68:69], v[26:27], v[98:99]
	v_add_f64 v[70:71], v[24:25], v[96:97]
	v_add_f64 v[72:73], v[22:23], v[98:99]
	v_add_f64 v[74:75], v[20:21], v[96:97]
	v_add_f64 v[76:77], v[18:19], v[98:99]
	v_add_f64 v[78:79], v[16:17], v[96:97]
	v_add_f64 v[80:81], v[14:15], v[98:99]
	v_add_f64 v[82:83], v[12:13], v[96:97]
	v_add_f64 v[98:99], v[10:11], v[98:99]
	v_add_f64 v[96:97], v[8:9], v[96:97]
	v_add_f64 v[94:95], v[10:11], v[94:95]
	v_add_f64 v[92:93], v[8:9], v[92:93]
	v_add_f64 v[90:91], v[10:11], v[90:91]
	v_add_f64 v[88:89], v[8:9], v[88:89]
	v_add_f64 v[86:87], v[10:11], v[86:87]
	v_add_f64 v[84:85], v[8:9], v[84:85]
	v_add_f64 v[54:55], v[10:11], v[54:55]
	v_add_f64 v[52:53], v[8:9], v[52:53]
	v_add_f64 v[50:51], v[10:11], v[50:51]
	v_add_f64 v[48:49], v[8:9], v[48:49]
	v_min3_f32 v118, v115, v116, s27
	v_add_f64 v[116:117], v[18:19], v[46:47]
	v_cvt_f32_f64_e32 v115, v[166:167]
	v_add_f64 v[166:167], v[14:15], v[46:47]
	v_add_f64 v[168:169], v[12:13], v[44:45]
	;; [unrolled: 1-line block ×4, first 2 shown]
	s_waitcnt lgkmcnt(4)
	v_add_f64 v[14:15], v[14:15], v[38:39]
	v_add_f64 v[12:13], v[12:13], v[36:37]
	;; [unrolled: 1-line block ×4, first 2 shown]
	v_cvt_f32_f64_e32 v66, v[66:67]
	v_cvt_f32_f64_e32 v64, v[64:65]
	;; [unrolled: 1-line block ×7, first 2 shown]
	s_waitcnt lgkmcnt(2)
	v_add_f64 v[10:11], v[2:3], v[6:7]
	v_add_f64 v[14:15], v[0:1], v[4:5]
	v_min3_f32 v171, v66, v64, s27
	ds_read_b128 v[64:67], v157 offset:17168
	v_min3_f32 v117, v115, v116, s27
	v_cvt_f32_f64_e32 v115, v[168:169]
	v_cvt_f32_f64_e32 v116, v[166:167]
	;; [unrolled: 1-line block ×4, first 2 shown]
	v_min3_f32 v8, v8, v9, s27
	v_cvt_f32_f64_e32 v9, v[14:15]
	v_cvt_f32_f64_e32 v10, v[10:11]
	;; [unrolled: 1-line block ×4, first 2 shown]
	v_min3_f32 v116, v115, v116, s27
	v_min3_f32 v115, v44, v45, s27
	ds_read_b128 v[44:47], v156 offset:7184
	v_min3_f32 v226, v9, v10, v114
	s_waitcnt lgkmcnt(3)
	v_add_f64 v[10:11], v[58:59], v[6:7]
	v_add_f64 v[14:15], v[56:57], v[4:5]
	v_min3_f32 v172, v70, v68, s27
	ds_read_b128 v[68:71], v157 offset:17424
	v_cvt_f32_f64_e32 v9, v[14:15]
	v_cvt_f32_f64_e32 v10, v[10:11]
	v_cvt_f32_f64_e32 v74, v[74:75]
	v_cvt_f32_f64_e32 v72, v[72:73]
	v_min3_f32 v224, v9, v10, v170
	s_waitcnt lgkmcnt(3)
	v_add_f64 v[10:11], v[62:63], v[6:7]
	v_add_f64 v[14:15], v[60:61], v[4:5]
	v_min3_f32 v173, v74, v72, s27
	ds_read_b128 v[72:75], v157 offset:17680
	v_cvt_f32_f64_e32 v9, v[14:15]
	v_cvt_f32_f64_e32 v10, v[10:11]
	v_cvt_f32_f64_e32 v78, v[78:79]
	v_cvt_f32_f64_e32 v76, v[76:77]
	v_cvt_f32_f64_e32 v82, v[82:83]
	v_cvt_f32_f64_e32 v80, v[80:81]
	v_min3_f32 v225, v9, v10, v171
	s_waitcnt lgkmcnt(3)
	v_add_f64 v[10:11], v[66:67], v[6:7]
	v_add_f64 v[14:15], v[64:65], v[4:5]
	v_min3_f32 v174, v78, v76, s27
	ds_read_b128 v[76:79], v157 offset:17936
	v_min3_f32 v175, v82, v80, s27
	ds_read_b128 v[80:83], v157 offset:18192
	v_cvt_f32_f64_e32 v9, v[14:15]
	v_cvt_f32_f64_e32 v10, v[10:11]
	;; [unrolled: 1-line block ×4, first 2 shown]
	v_min3_f32 v222, v9, v10, v172
	s_waitcnt lgkmcnt(3)
	v_add_f64 v[10:11], v[70:71], v[6:7]
	v_add_f64 v[14:15], v[68:69], v[4:5]
	v_min3_f32 v176, v96, v97, s27
	ds_read_b128 v[96:99], v156 offset:1040
	v_cvt_f32_f64_e32 v9, v[14:15]
	v_cvt_f32_f64_e32 v10, v[10:11]
	v_min3_f32 v223, v9, v10, v173
	s_waitcnt lgkmcnt(3)
	v_add_f64 v[10:11], v[74:75], v[6:7]
	v_add_f64 v[14:15], v[72:73], v[4:5]
	v_cvt_f32_f64_e32 v9, v[14:15]
	v_cvt_f32_f64_e32 v10, v[10:11]
	v_min3_f32 v220, v9, v10, v174
	s_waitcnt lgkmcnt(2)
	v_add_f64 v[10:11], v[78:79], v[6:7]
	v_add_f64 v[14:15], v[76:77], v[4:5]
	s_waitcnt lgkmcnt(1)
	v_add_f64 v[6:7], v[82:83], v[6:7]
	v_add_f64 v[4:5], v[80:81], v[4:5]
	v_cvt_f32_f64_e32 v92, v[92:93]
	v_cvt_f32_f64_e32 v93, v[94:95]
	v_cvt_f32_f64_e32 v4, v[4:5]
	v_cvt_f32_f64_e32 v5, v[6:7]
	v_min3_f32 v150, v92, v93, s27
	ds_read_b128 v[92:95], v156 offset:2064
	v_min3_f32 v215, v4, v5, v176
	s_waitcnt lgkmcnt(1)
	v_add_f64 v[4:5], v[2:3], v[98:99]
	v_add_f64 v[6:7], v[0:1], v[96:97]
	v_cvt_f32_f64_e32 v6, v[6:7]
	v_cvt_f32_f64_e32 v4, v[4:5]
	v_min3_f32 v214, v6, v4, v177
	v_add_f64 v[4:5], v[58:59], v[98:99]
	v_add_f64 v[6:7], v[56:57], v[96:97]
	v_cvt_f32_f64_e32 v6, v[6:7]
	v_cvt_f32_f64_e32 v4, v[4:5]
	v_min3_f32 v213, v6, v4, v178
	;; [unrolled: 5-line block ×8, first 2 shown]
	s_waitcnt lgkmcnt(0)
	v_add_f64 v[4:5], v[2:3], v[94:95]
	v_add_f64 v[6:7], v[0:1], v[92:93]
	v_cvt_f32_f64_e32 v6, v[6:7]
	v_cvt_f32_f64_e32 v4, v[4:5]
	v_min3_f32 v206, v6, v4, v163
	v_add_f64 v[4:5], v[58:59], v[94:95]
	v_add_f64 v[6:7], v[56:57], v[92:93]
	v_cvt_f32_f64_e32 v6, v[6:7]
	v_cvt_f32_f64_e32 v4, v[4:5]
	v_min3_f32 v204, v6, v4, v161
	;; [unrolled: 5-line block ×4, first 2 shown]
	v_add_f64 v[4:5], v[70:71], v[94:95]
	v_add_f64 v[6:7], v[68:69], v[92:93]
	v_cvt_f32_f64_e32 v6, v[6:7]
	v_cvt_f32_f64_e32 v4, v[4:5]
	;; [unrolled: 1-line block ×4, first 2 shown]
	v_min3_f32 v201, v6, v4, v149
	v_add_f64 v[4:5], v[74:75], v[94:95]
	v_add_f64 v[6:7], v[72:73], v[92:93]
	v_min3_f32 v142, v88, v89, s27
	ds_read_b128 v[88:91], v156 offset:3088
	v_cvt_f32_f64_e32 v6, v[6:7]
	v_cvt_f32_f64_e32 v4, v[4:5]
	v_min3_f32 v200, v6, v4, v147
	v_add_f64 v[4:5], v[78:79], v[94:95]
	v_add_f64 v[6:7], v[76:77], v[92:93]
	v_cvt_f32_f64_e32 v6, v[6:7]
	v_cvt_f32_f64_e32 v4, v[4:5]
	v_min3_f32 v199, v6, v4, v145
	v_add_f64 v[4:5], v[82:83], v[94:95]
	v_add_f64 v[6:7], v[80:81], v[92:93]
	v_cvt_f32_f64_e32 v84, v[84:85]
	v_cvt_f32_f64_e32 v85, v[86:87]
	;; [unrolled: 1-line block ×4, first 2 shown]
	v_min3_f32 v134, v84, v85, s27
	ds_read_b128 v[84:87], v156 offset:4112
	v_min3_f32 v198, v6, v4, v142
	s_waitcnt lgkmcnt(1)
	v_add_f64 v[4:5], v[2:3], v[90:91]
	v_add_f64 v[6:7], v[0:1], v[88:89]
	v_cvt_f32_f64_e32 v6, v[6:7]
	v_cvt_f32_f64_e32 v4, v[4:5]
	v_min3_f32 v197, v6, v4, v151
	v_add_f64 v[4:5], v[58:59], v[90:91]
	v_add_f64 v[6:7], v[56:57], v[88:89]
	v_cvt_f32_f64_e32 v6, v[6:7]
	v_cvt_f32_f64_e32 v4, v[4:5]
	v_min3_f32 v196, v6, v4, v148
	;; [unrolled: 5-line block ×8, first 2 shown]
	s_waitcnt lgkmcnt(0)
	v_add_f64 v[4:5], v[2:3], v[86:87]
	v_add_f64 v[6:7], v[0:1], v[84:85]
	v_cvt_f32_f64_e32 v6, v[6:7]
	v_cvt_f32_f64_e32 v4, v[4:5]
	v_min3_f32 v189, v6, v4, v143
	v_add_f64 v[4:5], v[58:59], v[86:87]
	v_add_f64 v[6:7], v[56:57], v[84:85]
	v_cvt_f32_f64_e32 v6, v[6:7]
	v_cvt_f32_f64_e32 v4, v[4:5]
	v_min3_f32 v188, v6, v4, v140
	v_add_f64 v[4:5], v[62:63], v[86:87]
	v_add_f64 v[6:7], v[60:61], v[84:85]
	v_cvt_f32_f64_e32 v6, v[6:7]
	v_cvt_f32_f64_e32 v4, v[4:5]
	v_min3_f32 v187, v6, v4, v138
	v_add_f64 v[4:5], v[66:67], v[86:87]
	v_add_f64 v[6:7], v[64:65], v[84:85]
	v_cvt_f32_f64_e32 v6, v[6:7]
	v_cvt_f32_f64_e32 v4, v[4:5]
	v_min3_f32 v186, v6, v4, v136
	v_add_f64 v[4:5], v[70:71], v[86:87]
	v_add_f64 v[6:7], v[68:69], v[84:85]
	v_cvt_f32_f64_e32 v6, v[6:7]
	v_cvt_f32_f64_e32 v4, v[4:5]
	;; [unrolled: 1-line block ×4, first 2 shown]
	v_min3_f32 v185, v6, v4, v133
	v_add_f64 v[4:5], v[74:75], v[86:87]
	v_add_f64 v[6:7], v[72:73], v[84:85]
	v_min3_f32 v126, v52, v53, s27
	ds_read_b128 v[52:55], v156 offset:5136
	v_cvt_f32_f64_e32 v6, v[6:7]
	v_cvt_f32_f64_e32 v4, v[4:5]
	v_min3_f32 v184, v6, v4, v131
	v_add_f64 v[4:5], v[78:79], v[86:87]
	v_add_f64 v[6:7], v[76:77], v[84:85]
	v_cvt_f32_f64_e32 v6, v[6:7]
	v_cvt_f32_f64_e32 v4, v[4:5]
	v_min3_f32 v183, v6, v4, v129
	v_add_f64 v[4:5], v[82:83], v[86:87]
	v_add_f64 v[6:7], v[80:81], v[84:85]
	v_cvt_f32_f64_e32 v48, v[48:49]
	v_cvt_f32_f64_e32 v49, v[50:51]
	;; [unrolled: 1-line block ×4, first 2 shown]
	v_min3_f32 v119, v48, v49, s27
	ds_read_b128 v[48:51], v156 offset:6160
	v_min3_f32 v182, v6, v4, v126
	s_waitcnt lgkmcnt(1)
	v_add_f64 v[4:5], v[2:3], v[54:55]
	v_add_f64 v[6:7], v[0:1], v[52:53]
	v_cvt_f32_f64_e32 v6, v[6:7]
	v_cvt_f32_f64_e32 v4, v[4:5]
	v_min3_f32 v181, v6, v4, v135
	v_add_f64 v[4:5], v[58:59], v[54:55]
	v_add_f64 v[6:7], v[56:57], v[52:53]
	v_cvt_f32_f64_e32 v6, v[6:7]
	v_cvt_f32_f64_e32 v4, v[4:5]
	v_min3_f32 v180, v6, v4, v132
	;; [unrolled: 5-line block ×6, first 2 shown]
	v_add_f64 v[4:5], v[78:79], v[54:55]
	v_add_f64 v[6:7], v[76:77], v[52:53]
	v_cvt_f32_f64_e32 v9, v[14:15]
	v_cvt_f32_f64_e32 v10, v[10:11]
	;; [unrolled: 1-line block ×4, first 2 shown]
	v_min3_f32 v221, v9, v10, v175
	v_min3_f32 v175, v6, v4, v121
	v_add_f64 v[4:5], v[82:83], v[54:55]
	v_add_f64 v[6:7], v[80:81], v[52:53]
	;; [unrolled: 1-line block ×4, first 2 shown]
	v_cvt_f32_f64_e32 v6, v[6:7]
	v_cvt_f32_f64_e32 v4, v[4:5]
	;; [unrolled: 1-line block ×4, first 2 shown]
	v_min3_f32 v174, v6, v4, v119
	s_waitcnt lgkmcnt(0)
	v_add_f64 v[4:5], v[2:3], v[50:51]
	v_add_f64 v[6:7], v[0:1], v[48:49]
	;; [unrolled: 1-line block ×4, first 2 shown]
	v_min3_f32 v40, v40, v41, s27
	v_add_f64 v[34:35], v[34:35], v[38:39]
	v_add_f64 v[32:33], v[32:33], v[36:37]
	v_cvt_f32_f64_e32 v6, v[6:7]
	v_cvt_f32_f64_e32 v4, v[4:5]
	v_cvt_f32_f64_e32 v0, v[0:1]
	v_cvt_f32_f64_e32 v1, v[2:3]
	v_cvt_f32_f64_e32 v32, v[32:33]
	v_cvt_f32_f64_e32 v33, v[34:35]
	v_min3_f32 v173, v6, v4, v127
	v_add_f64 v[4:5], v[58:59], v[50:51]
	v_add_f64 v[6:7], v[56:57], v[48:49]
	v_min3_f32 v165, v0, v1, v40
	v_add_f64 v[0:1], v[58:59], v[46:47]
	v_add_f64 v[2:3], v[56:57], v[44:45]
	v_min3_f32 v32, v32, v33, s27
	v_add_f64 v[30:31], v[30:31], v[38:39]
	v_add_f64 v[28:29], v[28:29], v[36:37]
	v_cvt_f32_f64_e32 v6, v[6:7]
	v_cvt_f32_f64_e32 v4, v[4:5]
	v_cvt_f32_f64_e32 v2, v[2:3]
	v_cvt_f32_f64_e32 v0, v[0:1]
	v_cvt_f32_f64_e32 v28, v[28:29]
	v_cvt_f32_f64_e32 v29, v[30:31]
	v_min3_f32 v172, v6, v4, v124
	v_add_f64 v[4:5], v[62:63], v[50:51]
	v_add_f64 v[6:7], v[60:61], v[48:49]
	v_min3_f32 v164, v2, v0, v32
	v_add_f64 v[0:1], v[62:63], v[46:47]
	v_add_f64 v[2:3], v[60:61], v[44:45]
	;; [unrolled: 15-line block ×5, first 2 shown]
	s_load_dword s26, s[0:1], 0x8
	v_min3_f32 v16, v16, v17, s27
	v_cvt_f32_f64_e32 v6, v[6:7]
	v_cvt_f32_f64_e32 v4, v[4:5]
	;; [unrolled: 1-line block ×4, first 2 shown]
	v_min3_f32 v168, v6, v4, v117
	v_add_f64 v[4:5], v[78:79], v[50:51]
	v_add_f64 v[6:7], v[76:77], v[48:49]
	v_min3_f32 v160, v2, v0, v16
	v_add_f64 v[0:1], v[78:79], v[46:47]
	v_add_f64 v[2:3], v[76:77], v[44:45]
	v_min3_f32 v12, v12, v13, s27
	v_cvt_f32_f64_e32 v6, v[6:7]
	v_cvt_f32_f64_e32 v4, v[4:5]
	;; [unrolled: 1-line block ×4, first 2 shown]
	v_min3_f32 v167, v6, v4, v116
	v_add_f64 v[4:5], v[82:83], v[50:51]
	v_add_f64 v[6:7], v[80:81], v[48:49]
	v_min3_f32 v159, v2, v0, v12
	v_add_f64 v[0:1], v[82:83], v[46:47]
	v_add_f64 v[2:3], v[80:81], v[44:45]
	v_cvt_f32_f64_e32 v6, v[6:7]
	v_cvt_f32_f64_e32 v4, v[4:5]
	;; [unrolled: 1-line block ×4, first 2 shown]
	v_min3_f32 v166, v6, v4, v115
	v_min3_f32 v158, v2, v0, v8
	s_waitcnt lgkmcnt(0)
	s_cmp_lt_i32 s26, 9
	ds_write_b64 v113, v[100:101] offset:18432
	ds_write2st64_b64 v154, v[104:105], v[102:103] offset0:16 offset1:20
	ds_write2st64_b64 v154, v[106:107], v[108:109] offset0:24 offset1:28
	s_waitcnt lgkmcnt(0)
	s_barrier
	s_cbranch_scc1 .LBB174_45
; %bb.23:
	v_mov_b32_e32 v0, 0x4800
	v_lshl_add_u32 v218, v152, 5, v0
	v_mov_b32_e32 v0, 0x2000
	v_lshl_add_u32 v219, v153, 5, v0
	v_lshl_add_u32 v0, s2, 6, v110
	s_lshl_b32 s2, s29, 6
	v_subrev_u32_e32 v0, s2, v0
	v_and_b32_e32 v2, 3, v152
	v_mad_i64_i32 v[0:1], s[2:3], s3, v0, 0
	v_lshlrev_b32_e32 v2, 3, v2
	v_mov_b32_e32 v3, 0
	v_lshl_add_u64 v[0:1], v[0:1], 3, v[2:3]
	v_lshl_add_u64 v[0:1], s[24:25], 0, v[0:1]
	;; [unrolled: 1-line block ×3, first 2 shown]
	v_add_u32_e32 v0, s28, v112
	v_ashrrev_i32_e32 v1, 31, v0
	v_lshlrev_b64 v[138:139], 3, v[0:1]
	v_add_u32_e32 v0, 8, v111
	v_mad_i64_i32 v[0:1], s[2:3], v0, s12, 0
	v_lshl_add_u64 v[140:141], v[0:1], 3, s[22:23]
	v_add_u32_e32 v0, 12, v111
	s_lshl_b64 s[2:3], s[12:13], 6
	v_mad_i64_i32 v[0:1], s[12:13], v0, s12, 0
	v_add_u32_e32 v155, 0x4000, v113
	v_add_u32_e32 v205, 0x4000, v157
	;; [unrolled: 1-line block ×3, first 2 shown]
	v_or_b32_e32 v217, 0x2000, v154
	s_add_i32 s26, s26, -8
	v_lshl_add_u64 v[142:143], v[0:1], 3, s[22:23]
	s_mov_b32 s22, 0
	s_mov_b32 s23, 0
	s_branch .LBB174_25
.LBB174_24:                             ;   in Loop: Header=BB174_25 Depth=1
	v_add_f64 v[2:3], v[106:107], v[134:135]
	v_add_f64 v[4:5], v[104:105], v[132:133]
	v_cvt_f32_f64_e32 v4, v[4:5]
	v_cvt_f32_f64_e32 v2, v[2:3]
	v_min3_f32 v6, v4, v2, v226
	v_add_f64 v[2:3], v[102:103], v[134:135]
	v_add_f64 v[4:5], v[100:101], v[132:133]
	v_cvt_f32_f64_e32 v4, v[4:5]
	v_cvt_f32_f64_e32 v2, v[2:3]
	v_min3_f32 v7, v4, v2, v224
	v_add_f64 v[2:3], v[98:99], v[134:135]
	v_add_f64 v[4:5], v[96:97], v[132:133]
	v_cvt_f32_f64_e32 v4, v[4:5]
	v_cvt_f32_f64_e32 v2, v[2:3]
	v_min3_f32 v224, v4, v2, v225
	v_add_f64 v[2:3], v[90:91], v[134:135]
	v_add_f64 v[4:5], v[88:89], v[132:133]
	v_cvt_f32_f64_e32 v4, v[4:5]
	v_cvt_f32_f64_e32 v2, v[2:3]
	v_min3_f32 v222, v4, v2, v222
	v_add_f64 v[2:3], v[86:87], v[134:135]
	v_add_f64 v[4:5], v[84:85], v[132:133]
	v_cvt_f32_f64_e32 v4, v[4:5]
	v_cvt_f32_f64_e32 v2, v[2:3]
	v_min3_f32 v223, v4, v2, v223
	v_add_f64 v[2:3], v[82:83], v[134:135]
	v_add_f64 v[4:5], v[80:81], v[132:133]
	v_cvt_f32_f64_e32 v4, v[4:5]
	v_cvt_f32_f64_e32 v2, v[2:3]
	v_min3_f32 v220, v4, v2, v220
	v_add_f64 v[2:3], v[78:79], v[134:135]
	v_add_f64 v[4:5], v[76:77], v[132:133]
	v_cvt_f32_f64_e32 v4, v[4:5]
	v_cvt_f32_f64_e32 v2, v[2:3]
	v_min3_f32 v221, v4, v2, v221
	v_add_f64 v[2:3], v[74:75], v[134:135]
	v_add_f64 v[4:5], v[72:73], v[132:133]
	v_cvt_f32_f64_e32 v4, v[4:5]
	v_cvt_f32_f64_e32 v2, v[2:3]
	v_min3_f32 v132, v4, v2, v215
	v_add_f64 v[2:3], v[106:107], v[130:131]
	v_add_f64 v[4:5], v[104:105], v[128:129]
	v_cvt_f32_f64_e32 v4, v[4:5]
	v_cvt_f32_f64_e32 v2, v[2:3]
	v_min3_f32 v133, v4, v2, v214
	v_add_f64 v[2:3], v[102:103], v[130:131]
	v_add_f64 v[4:5], v[100:101], v[128:129]
	v_cvt_f32_f64_e32 v4, v[4:5]
	v_cvt_f32_f64_e32 v2, v[2:3]
	v_min3_f32 v134, v4, v2, v213
	v_add_f64 v[2:3], v[98:99], v[130:131]
	v_add_f64 v[4:5], v[96:97], v[128:129]
	v_cvt_f32_f64_e32 v4, v[4:5]
	v_cvt_f32_f64_e32 v2, v[2:3]
	v_min3_f32 v135, v4, v2, v212
	v_add_f64 v[2:3], v[90:91], v[130:131]
	v_add_f64 v[4:5], v[88:89], v[128:129]
	v_cvt_f32_f64_e32 v4, v[4:5]
	v_cvt_f32_f64_e32 v2, v[2:3]
	v_min3_f32 v211, v4, v2, v211
	v_add_f64 v[2:3], v[86:87], v[130:131]
	v_add_f64 v[4:5], v[84:85], v[128:129]
	v_cvt_f32_f64_e32 v4, v[4:5]
	v_cvt_f32_f64_e32 v2, v[2:3]
	v_min3_f32 v210, v4, v2, v210
	v_add_f64 v[2:3], v[82:83], v[130:131]
	v_add_f64 v[4:5], v[80:81], v[128:129]
	v_cvt_f32_f64_e32 v4, v[4:5]
	v_cvt_f32_f64_e32 v2, v[2:3]
	v_min3_f32 v209, v4, v2, v209
	v_add_f64 v[2:3], v[78:79], v[130:131]
	v_add_f64 v[4:5], v[76:77], v[128:129]
	v_cvt_f32_f64_e32 v4, v[4:5]
	v_cvt_f32_f64_e32 v2, v[2:3]
	v_min3_f32 v208, v4, v2, v208
	v_add_f64 v[2:3], v[74:75], v[130:131]
	v_add_f64 v[4:5], v[72:73], v[128:129]
	v_cvt_f32_f64_e32 v4, v[4:5]
	v_cvt_f32_f64_e32 v2, v[2:3]
	v_min3_f32 v128, v4, v2, v207
	v_add_f64 v[2:3], v[106:107], v[126:127]
	v_add_f64 v[4:5], v[104:105], v[124:125]
	v_cvt_f32_f64_e32 v4, v[4:5]
	v_cvt_f32_f64_e32 v2, v[2:3]
	v_min3_f32 v129, v4, v2, v206
	v_add_f64 v[2:3], v[102:103], v[126:127]
	v_add_f64 v[4:5], v[100:101], v[124:125]
	v_cvt_f32_f64_e32 v4, v[4:5]
	v_cvt_f32_f64_e32 v2, v[2:3]
	v_min3_f32 v130, v4, v2, v204
	v_add_f64 v[2:3], v[98:99], v[126:127]
	v_add_f64 v[4:5], v[96:97], v[124:125]
	v_cvt_f32_f64_e32 v4, v[4:5]
	v_cvt_f32_f64_e32 v2, v[2:3]
	v_min3_f32 v131, v4, v2, v203
	v_add_f64 v[2:3], v[90:91], v[126:127]
	v_add_f64 v[4:5], v[88:89], v[124:125]
	v_cvt_f32_f64_e32 v4, v[4:5]
	v_cvt_f32_f64_e32 v2, v[2:3]
	v_min3_f32 v202, v4, v2, v202
	v_add_f64 v[2:3], v[86:87], v[126:127]
	v_add_f64 v[4:5], v[84:85], v[124:125]
	v_cvt_f32_f64_e32 v4, v[4:5]
	v_cvt_f32_f64_e32 v2, v[2:3]
	v_min3_f32 v201, v4, v2, v201
	v_add_f64 v[2:3], v[82:83], v[126:127]
	v_add_f64 v[4:5], v[80:81], v[124:125]
	v_cvt_f32_f64_e32 v4, v[4:5]
	v_cvt_f32_f64_e32 v2, v[2:3]
	v_min3_f32 v200, v4, v2, v200
	v_add_f64 v[2:3], v[78:79], v[126:127]
	v_add_f64 v[4:5], v[76:77], v[124:125]
	v_cvt_f32_f64_e32 v4, v[4:5]
	v_cvt_f32_f64_e32 v2, v[2:3]
	v_min3_f32 v199, v4, v2, v199
	v_add_f64 v[2:3], v[74:75], v[126:127]
	v_add_f64 v[4:5], v[72:73], v[124:125]
	v_cvt_f32_f64_e32 v4, v[4:5]
	v_cvt_f32_f64_e32 v2, v[2:3]
	v_min3_f32 v124, v4, v2, v198
	v_add_f64 v[2:3], v[106:107], v[122:123]
	v_add_f64 v[4:5], v[104:105], v[120:121]
	v_cvt_f32_f64_e32 v4, v[4:5]
	v_cvt_f32_f64_e32 v2, v[2:3]
	v_min3_f32 v125, v4, v2, v197
	v_add_f64 v[2:3], v[102:103], v[122:123]
	v_add_f64 v[4:5], v[100:101], v[120:121]
	v_cvt_f32_f64_e32 v4, v[4:5]
	v_cvt_f32_f64_e32 v2, v[2:3]
	v_min3_f32 v126, v4, v2, v196
	v_add_f64 v[2:3], v[98:99], v[122:123]
	v_add_f64 v[4:5], v[96:97], v[120:121]
	v_cvt_f32_f64_e32 v4, v[4:5]
	v_cvt_f32_f64_e32 v2, v[2:3]
	v_min3_f32 v127, v4, v2, v195
	v_add_f64 v[2:3], v[90:91], v[122:123]
	v_add_f64 v[4:5], v[88:89], v[120:121]
	v_cvt_f32_f64_e32 v4, v[4:5]
	v_cvt_f32_f64_e32 v2, v[2:3]
	v_min3_f32 v194, v4, v2, v194
	v_add_f64 v[2:3], v[86:87], v[122:123]
	v_add_f64 v[4:5], v[84:85], v[120:121]
	v_cvt_f32_f64_e32 v4, v[4:5]
	v_cvt_f32_f64_e32 v2, v[2:3]
	v_min3_f32 v193, v4, v2, v193
	v_add_f64 v[2:3], v[82:83], v[122:123]
	v_add_f64 v[4:5], v[80:81], v[120:121]
	v_cvt_f32_f64_e32 v4, v[4:5]
	v_cvt_f32_f64_e32 v2, v[2:3]
	v_min3_f32 v192, v4, v2, v192
	v_add_f64 v[2:3], v[78:79], v[122:123]
	v_add_f64 v[4:5], v[76:77], v[120:121]
	v_cvt_f32_f64_e32 v4, v[4:5]
	v_cvt_f32_f64_e32 v2, v[2:3]
	v_min3_f32 v191, v4, v2, v191
	v_add_f64 v[2:3], v[74:75], v[122:123]
	v_add_f64 v[4:5], v[72:73], v[120:121]
	v_cvt_f32_f64_e32 v4, v[4:5]
	v_cvt_f32_f64_e32 v2, v[2:3]
	v_min3_f32 v190, v4, v2, v190
	v_add_f64 v[2:3], v[106:107], v[118:119]
	v_add_f64 v[4:5], v[104:105], v[116:117]
	v_cvt_f32_f64_e32 v4, v[4:5]
	v_cvt_f32_f64_e32 v2, v[2:3]
	v_min3_f32 v189, v4, v2, v189
	v_add_f64 v[2:3], v[102:103], v[118:119]
	v_add_f64 v[4:5], v[100:101], v[116:117]
	v_cvt_f32_f64_e32 v4, v[4:5]
	v_cvt_f32_f64_e32 v2, v[2:3]
	v_min3_f32 v188, v4, v2, v188
	v_add_f64 v[2:3], v[98:99], v[118:119]
	v_add_f64 v[4:5], v[96:97], v[116:117]
	v_cvt_f32_f64_e32 v4, v[4:5]
	v_cvt_f32_f64_e32 v2, v[2:3]
	v_min3_f32 v187, v4, v2, v187
	v_add_f64 v[2:3], v[90:91], v[118:119]
	v_add_f64 v[4:5], v[88:89], v[116:117]
	v_cvt_f32_f64_e32 v4, v[4:5]
	v_cvt_f32_f64_e32 v2, v[2:3]
	v_min3_f32 v186, v4, v2, v186
	v_add_f64 v[2:3], v[86:87], v[118:119]
	v_add_f64 v[4:5], v[84:85], v[116:117]
	v_cvt_f32_f64_e32 v4, v[4:5]
	v_cvt_f32_f64_e32 v2, v[2:3]
	v_min3_f32 v185, v4, v2, v185
	v_add_f64 v[2:3], v[82:83], v[118:119]
	v_add_f64 v[4:5], v[80:81], v[116:117]
	v_cvt_f32_f64_e32 v4, v[4:5]
	v_cvt_f32_f64_e32 v2, v[2:3]
	v_min3_f32 v184, v4, v2, v184
	v_add_f64 v[2:3], v[78:79], v[118:119]
	v_add_f64 v[4:5], v[76:77], v[116:117]
	v_cvt_f32_f64_e32 v4, v[4:5]
	v_cvt_f32_f64_e32 v2, v[2:3]
	v_min3_f32 v183, v4, v2, v183
	v_add_f64 v[2:3], v[74:75], v[118:119]
	v_add_f64 v[4:5], v[72:73], v[116:117]
	v_cvt_f32_f64_e32 v4, v[4:5]
	v_cvt_f32_f64_e32 v2, v[2:3]
	v_min3_f32 v182, v4, v2, v182
	v_add_f64 v[2:3], v[106:107], v[114:115]
	v_add_f64 v[4:5], v[104:105], v[112:113]
	v_cvt_f32_f64_e32 v4, v[4:5]
	v_cvt_f32_f64_e32 v2, v[2:3]
	v_min3_f32 v181, v4, v2, v181
	v_add_f64 v[2:3], v[102:103], v[114:115]
	v_add_f64 v[4:5], v[100:101], v[112:113]
	v_cvt_f32_f64_e32 v4, v[4:5]
	v_cvt_f32_f64_e32 v2, v[2:3]
	v_min3_f32 v180, v4, v2, v180
	v_add_f64 v[2:3], v[98:99], v[114:115]
	v_add_f64 v[4:5], v[96:97], v[112:113]
	v_cvt_f32_f64_e32 v4, v[4:5]
	v_cvt_f32_f64_e32 v2, v[2:3]
	v_min3_f32 v179, v4, v2, v179
	v_add_f64 v[2:3], v[90:91], v[114:115]
	v_add_f64 v[4:5], v[88:89], v[112:113]
	v_cvt_f32_f64_e32 v4, v[4:5]
	v_cvt_f32_f64_e32 v2, v[2:3]
	v_min3_f32 v178, v4, v2, v178
	v_add_f64 v[2:3], v[86:87], v[114:115]
	v_add_f64 v[4:5], v[84:85], v[112:113]
	v_cvt_f32_f64_e32 v4, v[4:5]
	v_cvt_f32_f64_e32 v2, v[2:3]
	v_min3_f32 v177, v4, v2, v177
	v_add_f64 v[2:3], v[82:83], v[114:115]
	v_add_f64 v[4:5], v[80:81], v[112:113]
	v_cvt_f32_f64_e32 v4, v[4:5]
	v_cvt_f32_f64_e32 v2, v[2:3]
	v_min3_f32 v176, v4, v2, v176
	v_add_f64 v[2:3], v[78:79], v[114:115]
	v_add_f64 v[4:5], v[76:77], v[112:113]
	v_cvt_f32_f64_e32 v4, v[4:5]
	v_cvt_f32_f64_e32 v2, v[2:3]
	v_min3_f32 v175, v4, v2, v175
	v_add_f64 v[2:3], v[74:75], v[114:115]
	v_add_f64 v[4:5], v[72:73], v[112:113]
	v_cvt_f32_f64_e32 v4, v[4:5]
	v_cvt_f32_f64_e32 v2, v[2:3]
	v_min3_f32 v174, v4, v2, v174
	v_add_f64 v[2:3], v[106:107], v[110:111]
	v_add_f64 v[4:5], v[104:105], v[108:109]
	v_cvt_f32_f64_e32 v4, v[4:5]
	v_cvt_f32_f64_e32 v2, v[2:3]
	v_min3_f32 v173, v4, v2, v173
	v_add_f64 v[2:3], v[102:103], v[110:111]
	v_add_f64 v[4:5], v[100:101], v[108:109]
	v_cvt_f32_f64_e32 v4, v[4:5]
	v_cvt_f32_f64_e32 v2, v[2:3]
	v_min3_f32 v172, v4, v2, v172
	v_add_f64 v[2:3], v[98:99], v[110:111]
	v_add_f64 v[4:5], v[96:97], v[108:109]
	v_cvt_f32_f64_e32 v4, v[4:5]
	v_cvt_f32_f64_e32 v2, v[2:3]
	v_min3_f32 v171, v4, v2, v171
	v_add_f64 v[2:3], v[90:91], v[110:111]
	v_add_f64 v[4:5], v[88:89], v[108:109]
	v_cvt_f32_f64_e32 v4, v[4:5]
	v_cvt_f32_f64_e32 v2, v[2:3]
	v_min3_f32 v195, v4, v2, v170
	v_add_f64 v[2:3], v[86:87], v[110:111]
	v_add_f64 v[4:5], v[84:85], v[108:109]
	v_cvt_f32_f64_e32 v4, v[4:5]
	v_cvt_f32_f64_e32 v2, v[2:3]
	v_min3_f32 v196, v4, v2, v169
	v_add_f64 v[2:3], v[82:83], v[110:111]
	v_add_f64 v[4:5], v[80:81], v[108:109]
	v_cvt_f32_f64_e32 v4, v[4:5]
	v_cvt_f32_f64_e32 v2, v[2:3]
	v_min3_f32 v197, v4, v2, v168
	v_add_f64 v[2:3], v[78:79], v[110:111]
	v_add_f64 v[4:5], v[76:77], v[108:109]
	v_cvt_f32_f64_e32 v4, v[4:5]
	v_cvt_f32_f64_e32 v2, v[2:3]
	v_min3_f32 v198, v4, v2, v167
	v_add_f64 v[2:3], v[74:75], v[110:111]
	v_add_f64 v[4:5], v[72:73], v[108:109]
	v_cvt_f32_f64_e32 v4, v[4:5]
	v_cvt_f32_f64_e32 v2, v[2:3]
	v_min3_f32 v203, v4, v2, v166
	v_add_f64 v[2:3], v[106:107], v[94:95]
	v_add_f64 v[4:5], v[104:105], v[92:93]
	v_cvt_f32_f64_e32 v4, v[4:5]
	v_cvt_f32_f64_e32 v2, v[2:3]
	v_min3_f32 v204, v4, v2, v165
	v_add_f64 v[2:3], v[102:103], v[94:95]
	v_add_f64 v[4:5], v[100:101], v[92:93]
	v_cvt_f32_f64_e32 v4, v[4:5]
	v_cvt_f32_f64_e32 v2, v[2:3]
	v_min3_f32 v100, v4, v2, v164
	v_add_f64 v[2:3], v[98:99], v[94:95]
	v_add_f64 v[4:5], v[96:97], v[92:93]
	v_cvt_f32_f64_e32 v4, v[4:5]
	v_cvt_f32_f64_e32 v2, v[2:3]
	v_min3_f32 v96, v4, v2, v163
	v_add_f64 v[2:3], v[90:91], v[94:95]
	v_add_f64 v[4:5], v[88:89], v[92:93]
	v_cvt_f32_f64_e32 v4, v[4:5]
	v_cvt_f32_f64_e32 v2, v[2:3]
	v_min3_f32 v88, v4, v2, v162
	v_add_f64 v[2:3], v[86:87], v[94:95]
	v_add_f64 v[4:5], v[84:85], v[92:93]
	v_cvt_f32_f64_e32 v4, v[4:5]
	v_cvt_f32_f64_e32 v2, v[2:3]
	v_min3_f32 v84, v4, v2, v161
	v_add_f64 v[2:3], v[82:83], v[94:95]
	v_add_f64 v[4:5], v[80:81], v[92:93]
	v_cvt_f32_f64_e32 v4, v[4:5]
	v_cvt_f32_f64_e32 v2, v[2:3]
	v_min3_f32 v80, v4, v2, v160
	v_add_f64 v[2:3], v[78:79], v[94:95]
	v_add_f64 v[4:5], v[76:77], v[92:93]
	v_cvt_f32_f64_e32 v4, v[4:5]
	v_cvt_f32_f64_e32 v2, v[2:3]
	v_min3_f32 v76, v4, v2, v159
	v_add_f64 v[2:3], v[74:75], v[94:95]
	v_add_f64 v[4:5], v[72:73], v[92:93]
	v_cvt_f32_f64_e32 v4, v[4:5]
	v_cvt_f32_f64_e32 v2, v[2:3]
	v_min3_f32 v74, v4, v2, v158
	v_add_f64 v[2:3], v[42:43], v[70:71]
	v_add_f64 v[4:5], v[40:41], v[68:69]
	v_cvt_f32_f64_e32 v4, v[4:5]
	v_cvt_f32_f64_e32 v2, v[2:3]
	v_min3_f32 v206, v4, v2, v6
	v_add_f64 v[2:3], v[38:39], v[70:71]
	v_add_f64 v[4:5], v[36:37], v[68:69]
	v_cvt_f32_f64_e32 v4, v[4:5]
	v_cvt_f32_f64_e32 v2, v[2:3]
	v_min3_f32 v72, v4, v2, v7
	v_add_f64 v[2:3], v[34:35], v[70:71]
	v_add_f64 v[4:5], v[32:33], v[68:69]
	v_cvt_f32_f64_e32 v4, v[4:5]
	v_cvt_f32_f64_e32 v2, v[2:3]
	v_min3_f32 v73, v4, v2, v224
	v_add_f64 v[2:3], v[26:27], v[70:71]
	v_add_f64 v[4:5], v[24:25], v[68:69]
	v_cvt_f32_f64_e32 v4, v[4:5]
	v_cvt_f32_f64_e32 v2, v[2:3]
	v_min3_f32 v102, v4, v2, v222
	v_add_f64 v[2:3], v[22:23], v[70:71]
	v_add_f64 v[4:5], v[20:21], v[68:69]
	v_cvt_f32_f64_e32 v4, v[4:5]
	v_cvt_f32_f64_e32 v2, v[2:3]
	v_min3_f32 v103, v4, v2, v223
	v_add_f64 v[2:3], v[18:19], v[70:71]
	v_add_f64 v[4:5], v[16:17], v[68:69]
	v_cvt_f32_f64_e32 v4, v[4:5]
	v_cvt_f32_f64_e32 v2, v[2:3]
	v_min3_f32 v104, v4, v2, v220
	v_add_f64 v[2:3], v[14:15], v[70:71]
	v_add_f64 v[4:5], v[12:13], v[68:69]
	v_cvt_f32_f64_e32 v4, v[4:5]
	v_cvt_f32_f64_e32 v2, v[2:3]
	v_min3_f32 v105, v4, v2, v221
	v_add_f64 v[2:3], v[10:11], v[70:71]
	v_add_f64 v[4:5], v[8:9], v[68:69]
	v_cvt_f32_f64_e32 v4, v[4:5]
	v_cvt_f32_f64_e32 v2, v[2:3]
	v_min3_f32 v106, v4, v2, v132
	v_add_f64 v[2:3], v[42:43], v[66:67]
	v_add_f64 v[4:5], v[40:41], v[64:65]
	v_cvt_f32_f64_e32 v4, v[4:5]
	v_cvt_f32_f64_e32 v2, v[2:3]
	v_min3_f32 v107, v4, v2, v133
	v_add_f64 v[2:3], v[38:39], v[66:67]
	v_add_f64 v[4:5], v[36:37], v[64:65]
	v_cvt_f32_f64_e32 v4, v[4:5]
	v_cvt_f32_f64_e32 v2, v[2:3]
	v_min3_f32 v108, v4, v2, v134
	v_add_f64 v[2:3], v[34:35], v[66:67]
	v_add_f64 v[4:5], v[32:33], v[64:65]
	v_cvt_f32_f64_e32 v4, v[4:5]
	v_cvt_f32_f64_e32 v2, v[2:3]
	v_min3_f32 v109, v4, v2, v135
	v_add_f64 v[2:3], v[26:27], v[66:67]
	v_add_f64 v[4:5], v[24:25], v[64:65]
	v_cvt_f32_f64_e32 v4, v[4:5]
	v_cvt_f32_f64_e32 v2, v[2:3]
	v_min3_f32 v110, v4, v2, v211
	v_add_f64 v[2:3], v[22:23], v[66:67]
	v_add_f64 v[4:5], v[20:21], v[64:65]
	v_cvt_f32_f64_e32 v4, v[4:5]
	v_cvt_f32_f64_e32 v2, v[2:3]
	v_min3_f32 v111, v4, v2, v210
	v_add_f64 v[2:3], v[18:19], v[66:67]
	v_add_f64 v[4:5], v[16:17], v[64:65]
	v_cvt_f32_f64_e32 v4, v[4:5]
	v_cvt_f32_f64_e32 v2, v[2:3]
	v_min3_f32 v112, v4, v2, v209
	v_add_f64 v[2:3], v[14:15], v[66:67]
	v_add_f64 v[4:5], v[12:13], v[64:65]
	v_cvt_f32_f64_e32 v4, v[4:5]
	v_cvt_f32_f64_e32 v2, v[2:3]
	v_min3_f32 v113, v4, v2, v208
	v_add_f64 v[2:3], v[10:11], v[66:67]
	v_add_f64 v[4:5], v[8:9], v[64:65]
	v_cvt_f32_f64_e32 v4, v[4:5]
	v_cvt_f32_f64_e32 v2, v[2:3]
	v_min3_f32 v114, v4, v2, v128
	v_add_f64 v[2:3], v[42:43], v[62:63]
	v_add_f64 v[4:5], v[40:41], v[60:61]
	v_cvt_f32_f64_e32 v4, v[4:5]
	v_cvt_f32_f64_e32 v2, v[2:3]
	v_min3_f32 v115, v4, v2, v129
	v_add_f64 v[2:3], v[38:39], v[62:63]
	v_add_f64 v[4:5], v[36:37], v[60:61]
	v_cvt_f32_f64_e32 v4, v[4:5]
	v_cvt_f32_f64_e32 v2, v[2:3]
	v_min3_f32 v116, v4, v2, v130
	v_add_f64 v[2:3], v[34:35], v[62:63]
	v_add_f64 v[4:5], v[32:33], v[60:61]
	v_cvt_f32_f64_e32 v4, v[4:5]
	v_cvt_f32_f64_e32 v2, v[2:3]
	v_min3_f32 v117, v4, v2, v131
	v_add_f64 v[2:3], v[26:27], v[62:63]
	v_add_f64 v[4:5], v[24:25], v[60:61]
	v_cvt_f32_f64_e32 v4, v[4:5]
	v_cvt_f32_f64_e32 v2, v[2:3]
	v_min3_f32 v118, v4, v2, v202
	v_add_f64 v[2:3], v[22:23], v[62:63]
	v_add_f64 v[4:5], v[20:21], v[60:61]
	v_cvt_f32_f64_e32 v4, v[4:5]
	v_cvt_f32_f64_e32 v2, v[2:3]
	v_min3_f32 v119, v4, v2, v201
	v_add_f64 v[2:3], v[18:19], v[62:63]
	v_add_f64 v[4:5], v[16:17], v[60:61]
	v_cvt_f32_f64_e32 v4, v[4:5]
	v_cvt_f32_f64_e32 v2, v[2:3]
	v_min3_f32 v120, v4, v2, v200
	v_add_f64 v[2:3], v[14:15], v[62:63]
	v_add_f64 v[4:5], v[12:13], v[60:61]
	v_cvt_f32_f64_e32 v4, v[4:5]
	v_cvt_f32_f64_e32 v2, v[2:3]
	v_min3_f32 v121, v4, v2, v199
	v_add_f64 v[2:3], v[10:11], v[62:63]
	v_add_f64 v[4:5], v[8:9], v[60:61]
	v_cvt_f32_f64_e32 v4, v[4:5]
	v_cvt_f32_f64_e32 v2, v[2:3]
	v_min3_f32 v122, v4, v2, v124
	v_add_f64 v[2:3], v[42:43], v[58:59]
	v_add_f64 v[4:5], v[40:41], v[56:57]
	v_cvt_f32_f64_e32 v4, v[4:5]
	v_cvt_f32_f64_e32 v2, v[2:3]
	v_min3_f32 v123, v4, v2, v125
	v_add_f64 v[2:3], v[38:39], v[58:59]
	v_add_f64 v[4:5], v[36:37], v[56:57]
	v_cvt_f32_f64_e32 v4, v[4:5]
	v_cvt_f32_f64_e32 v2, v[2:3]
	v_min3_f32 v124, v4, v2, v126
	v_add_f64 v[2:3], v[34:35], v[58:59]
	v_add_f64 v[4:5], v[32:33], v[56:57]
	v_cvt_f32_f64_e32 v4, v[4:5]
	v_cvt_f32_f64_e32 v2, v[2:3]
	v_min3_f32 v125, v4, v2, v127
	v_add_f64 v[2:3], v[26:27], v[58:59]
	v_add_f64 v[4:5], v[24:25], v[56:57]
	v_cvt_f32_f64_e32 v4, v[4:5]
	v_cvt_f32_f64_e32 v2, v[2:3]
	v_min3_f32 v126, v4, v2, v194
	v_add_f64 v[2:3], v[22:23], v[58:59]
	v_add_f64 v[4:5], v[20:21], v[56:57]
	v_cvt_f32_f64_e32 v4, v[4:5]
	v_cvt_f32_f64_e32 v2, v[2:3]
	v_min3_f32 v127, v4, v2, v193
	v_add_f64 v[2:3], v[18:19], v[58:59]
	v_add_f64 v[4:5], v[16:17], v[56:57]
	v_cvt_f32_f64_e32 v4, v[4:5]
	v_cvt_f32_f64_e32 v2, v[2:3]
	v_min3_f32 v128, v4, v2, v192
	v_add_f64 v[2:3], v[14:15], v[58:59]
	v_add_f64 v[4:5], v[12:13], v[56:57]
	v_cvt_f32_f64_e32 v4, v[4:5]
	v_cvt_f32_f64_e32 v2, v[2:3]
	v_min3_f32 v129, v4, v2, v191
	v_add_f64 v[2:3], v[10:11], v[58:59]
	v_add_f64 v[4:5], v[8:9], v[56:57]
	v_cvt_f32_f64_e32 v4, v[4:5]
	v_cvt_f32_f64_e32 v2, v[2:3]
	v_min3_f32 v130, v4, v2, v190
	v_add_f64 v[2:3], v[42:43], v[54:55]
	v_add_f64 v[4:5], v[40:41], v[52:53]
	v_cvt_f32_f64_e32 v4, v[4:5]
	v_cvt_f32_f64_e32 v2, v[2:3]
	v_min3_f32 v131, v4, v2, v189
	v_add_f64 v[2:3], v[38:39], v[54:55]
	v_add_f64 v[4:5], v[36:37], v[52:53]
	v_cvt_f32_f64_e32 v4, v[4:5]
	v_cvt_f32_f64_e32 v2, v[2:3]
	v_min3_f32 v132, v4, v2, v188
	v_add_f64 v[2:3], v[34:35], v[54:55]
	v_add_f64 v[4:5], v[32:33], v[52:53]
	v_cvt_f32_f64_e32 v4, v[4:5]
	v_cvt_f32_f64_e32 v2, v[2:3]
	v_min3_f32 v133, v4, v2, v187
	v_add_f64 v[2:3], v[26:27], v[54:55]
	v_add_f64 v[4:5], v[24:25], v[52:53]
	v_cvt_f32_f64_e32 v4, v[4:5]
	v_cvt_f32_f64_e32 v2, v[2:3]
	v_min3_f32 v134, v4, v2, v186
	v_add_f64 v[2:3], v[22:23], v[54:55]
	v_add_f64 v[4:5], v[20:21], v[52:53]
	v_cvt_f32_f64_e32 v4, v[4:5]
	v_cvt_f32_f64_e32 v2, v[2:3]
	v_min3_f32 v135, v4, v2, v185
	v_add_f64 v[2:3], v[18:19], v[54:55]
	v_add_f64 v[4:5], v[16:17], v[52:53]
	v_cvt_f32_f64_e32 v4, v[4:5]
	v_cvt_f32_f64_e32 v2, v[2:3]
	v_min3_f32 v158, v4, v2, v184
	v_add_f64 v[2:3], v[14:15], v[54:55]
	v_add_f64 v[4:5], v[12:13], v[52:53]
	v_cvt_f32_f64_e32 v4, v[4:5]
	v_cvt_f32_f64_e32 v2, v[2:3]
	v_min3_f32 v159, v4, v2, v183
	v_add_f64 v[2:3], v[10:11], v[54:55]
	v_add_f64 v[4:5], v[8:9], v[52:53]
	v_cvt_f32_f64_e32 v4, v[4:5]
	v_cvt_f32_f64_e32 v2, v[2:3]
	v_min3_f32 v160, v4, v2, v182
	v_add_f64 v[2:3], v[42:43], v[50:51]
	v_add_f64 v[4:5], v[40:41], v[48:49]
	v_cvt_f32_f64_e32 v4, v[4:5]
	v_cvt_f32_f64_e32 v2, v[2:3]
	v_min3_f32 v161, v4, v2, v181
	v_add_f64 v[2:3], v[38:39], v[50:51]
	v_add_f64 v[4:5], v[36:37], v[48:49]
	v_cvt_f32_f64_e32 v4, v[4:5]
	v_cvt_f32_f64_e32 v2, v[2:3]
	v_min3_f32 v162, v4, v2, v180
	v_add_f64 v[2:3], v[34:35], v[50:51]
	v_add_f64 v[4:5], v[32:33], v[48:49]
	v_cvt_f32_f64_e32 v4, v[4:5]
	v_cvt_f32_f64_e32 v2, v[2:3]
	v_min3_f32 v163, v4, v2, v179
	v_add_f64 v[2:3], v[26:27], v[50:51]
	v_add_f64 v[4:5], v[24:25], v[48:49]
	v_cvt_f32_f64_e32 v4, v[4:5]
	v_cvt_f32_f64_e32 v2, v[2:3]
	v_min3_f32 v164, v4, v2, v178
	v_add_f64 v[2:3], v[22:23], v[50:51]
	v_add_f64 v[4:5], v[20:21], v[48:49]
	v_cvt_f32_f64_e32 v4, v[4:5]
	v_cvt_f32_f64_e32 v2, v[2:3]
	v_min3_f32 v165, v4, v2, v177
	v_add_f64 v[2:3], v[18:19], v[50:51]
	v_add_f64 v[4:5], v[16:17], v[48:49]
	v_cvt_f32_f64_e32 v4, v[4:5]
	v_cvt_f32_f64_e32 v2, v[2:3]
	v_min3_f32 v166, v4, v2, v176
	v_add_f64 v[2:3], v[14:15], v[50:51]
	v_add_f64 v[4:5], v[12:13], v[48:49]
	v_cvt_f32_f64_e32 v4, v[4:5]
	v_cvt_f32_f64_e32 v2, v[2:3]
	v_min3_f32 v167, v4, v2, v175
	v_add_f64 v[2:3], v[10:11], v[50:51]
	v_add_f64 v[4:5], v[8:9], v[48:49]
	v_cvt_f32_f64_e32 v4, v[4:5]
	v_cvt_f32_f64_e32 v2, v[2:3]
	v_min3_f32 v168, v4, v2, v174
	v_add_f64 v[2:3], v[42:43], v[46:47]
	v_add_f64 v[4:5], v[40:41], v[44:45]
	v_cvt_f32_f64_e32 v4, v[4:5]
	v_cvt_f32_f64_e32 v2, v[2:3]
	v_min3_f32 v169, v4, v2, v173
	v_add_f64 v[2:3], v[38:39], v[46:47]
	v_add_f64 v[4:5], v[36:37], v[44:45]
	v_cvt_f32_f64_e32 v4, v[4:5]
	v_cvt_f32_f64_e32 v2, v[2:3]
	v_min3_f32 v170, v4, v2, v172
	v_add_f64 v[2:3], v[34:35], v[46:47]
	v_add_f64 v[4:5], v[32:33], v[44:45]
	v_cvt_f32_f64_e32 v4, v[4:5]
	v_cvt_f32_f64_e32 v2, v[2:3]
	v_min3_f32 v171, v4, v2, v171
	v_add_f64 v[2:3], v[26:27], v[46:47]
	v_add_f64 v[4:5], v[24:25], v[44:45]
	v_cvt_f32_f64_e32 v4, v[4:5]
	v_cvt_f32_f64_e32 v2, v[2:3]
	v_min3_f32 v172, v4, v2, v195
	v_add_f64 v[2:3], v[22:23], v[46:47]
	v_add_f64 v[4:5], v[20:21], v[44:45]
	v_cvt_f32_f64_e32 v4, v[4:5]
	v_cvt_f32_f64_e32 v2, v[2:3]
	v_min3_f32 v173, v4, v2, v196
	v_add_f64 v[2:3], v[18:19], v[46:47]
	v_add_f64 v[4:5], v[16:17], v[44:45]
	v_cvt_f32_f64_e32 v4, v[4:5]
	v_cvt_f32_f64_e32 v2, v[2:3]
	v_min3_f32 v174, v4, v2, v197
	v_add_f64 v[2:3], v[14:15], v[46:47]
	v_add_f64 v[4:5], v[12:13], v[44:45]
	v_cvt_f32_f64_e32 v4, v[4:5]
	v_cvt_f32_f64_e32 v2, v[2:3]
	v_min3_f32 v175, v4, v2, v198
	v_add_f64 v[2:3], v[10:11], v[46:47]
	v_add_f64 v[4:5], v[8:9], v[44:45]
	v_cvt_f32_f64_e32 v4, v[4:5]
	v_cvt_f32_f64_e32 v2, v[2:3]
	v_min3_f32 v176, v4, v2, v203
	v_add_f64 v[2:3], v[42:43], v[30:31]
	v_add_f64 v[4:5], v[40:41], v[28:29]
	v_cvt_f32_f64_e32 v4, v[4:5]
	v_cvt_f32_f64_e32 v2, v[2:3]
	v_min3_f32 v177, v4, v2, v204
	v_add_f64 v[2:3], v[38:39], v[30:31]
	v_add_f64 v[4:5], v[36:37], v[28:29]
	v_cvt_f32_f64_e32 v4, v[4:5]
	v_cvt_f32_f64_e32 v2, v[2:3]
	v_min3_f32 v178, v4, v2, v100
	v_add_f64 v[2:3], v[34:35], v[30:31]
	v_add_f64 v[4:5], v[32:33], v[28:29]
	v_cvt_f32_f64_e32 v4, v[4:5]
	v_cvt_f32_f64_e32 v2, v[2:3]
	v_min3_f32 v179, v4, v2, v96
	v_add_f64 v[2:3], v[26:27], v[30:31]
	v_add_f64 v[4:5], v[24:25], v[28:29]
	v_cvt_f32_f64_e32 v4, v[4:5]
	v_cvt_f32_f64_e32 v2, v[2:3]
	v_min3_f32 v180, v4, v2, v88
	v_add_f64 v[2:3], v[22:23], v[30:31]
	v_add_f64 v[4:5], v[20:21], v[28:29]
	v_cvt_f32_f64_e32 v4, v[4:5]
	v_cvt_f32_f64_e32 v2, v[2:3]
	v_min3_f32 v181, v4, v2, v84
	v_add_f64 v[2:3], v[18:19], v[30:31]
	v_add_f64 v[4:5], v[16:17], v[28:29]
	v_cvt_f32_f64_e32 v4, v[4:5]
	v_cvt_f32_f64_e32 v2, v[2:3]
	v_min3_f32 v182, v4, v2, v80
	v_add_f64 v[2:3], v[14:15], v[30:31]
	v_add_f64 v[4:5], v[12:13], v[28:29]
	v_cvt_f32_f64_e32 v4, v[4:5]
	v_cvt_f32_f64_e32 v2, v[2:3]
	v_min3_f32 v183, v4, v2, v76
	v_add_f64 v[2:3], v[10:11], v[30:31]
	v_add_f64 v[4:5], v[8:9], v[28:29]
	v_cvt_f32_f64_e32 v4, v[4:5]
	v_cvt_f32_f64_e32 v2, v[2:3]
	v_min3_f32 v184, v4, v2, v74
	ds_read_b128 v[38:41], v205 offset:256
	ds_read_b128 v[34:37], v205 offset:512
	;; [unrolled: 1-line block ×12, first 2 shown]
	ds_read_b128 v[98:101], v156
	ds_read_b128 v[50:53], v205
	ds_read_b128 v[74:77], v156 offset:6144
	ds_read_b128 v[26:29], v156 offset:7168
	;; [unrolled: 1-line block ×4, first 2 shown]
	s_waitcnt lgkmcnt(5)
	v_add_f64 v[46:47], v[40:41], v[100:101]
	v_add_f64 v[48:49], v[38:39], v[98:99]
	;; [unrolled: 1-line block ×4, first 2 shown]
	v_cvt_f32_f64_e32 v48, v[48:49]
	v_cvt_f32_f64_e32 v46, v[46:47]
	;; [unrolled: 1-line block ×4, first 2 shown]
	v_min3_f32 v186, v48, v46, v72
	v_min3_f32 v187, v56, v54, v73
	v_add_f64 v[58:59], v[32:33], v[100:101]
	v_add_f64 v[60:61], v[30:31], v[98:99]
	;; [unrolled: 1-line block ×8, first 2 shown]
	v_cvt_f32_f64_e32 v60, v[60:61]
	v_cvt_f32_f64_e32 v58, v[58:59]
	;; [unrolled: 1-line block ×8, first 2 shown]
	v_min3_f32 v188, v60, v58, v102
	v_min3_f32 v189, v64, v62, v103
	;; [unrolled: 1-line block ×4, first 2 shown]
	s_waitcnt lgkmcnt(4)
	v_add_f64 v[102:103], v[52:53], v[96:97]
	v_add_f64 v[104:105], v[50:51], v[94:95]
	v_cvt_f32_f64_e32 v104, v[104:105]
	v_cvt_f32_f64_e32 v102, v[102:103]
	v_min3_f32 v107, v104, v102, v107
	v_add_f64 v[102:103], v[40:41], v[96:97]
	v_add_f64 v[104:105], v[38:39], v[94:95]
	v_cvt_f32_f64_e32 v104, v[104:105]
	v_cvt_f32_f64_e32 v102, v[102:103]
	v_min3_f32 v108, v104, v102, v108
	;; [unrolled: 5-line block ×35, first 2 shown]
	s_waitcnt lgkmcnt(3)
	v_add_f64 v[102:103], v[52:53], v[76:77]
	v_add_f64 v[104:105], v[50:51], v[74:75]
	v_cvt_f32_f64_e32 v104, v[104:105]
	v_cvt_f32_f64_e32 v102, v[102:103]
	v_min3_f32 v169, v104, v102, v169
	v_add_f64 v[102:103], v[40:41], v[76:77]
	v_add_f64 v[104:105], v[38:39], v[74:75]
	v_cvt_f32_f64_e32 v104, v[104:105]
	v_cvt_f32_f64_e32 v102, v[102:103]
	v_min3_f32 v170, v104, v102, v170
	;; [unrolled: 5-line block ×4, first 2 shown]
	v_add_f64 v[102:103], v[24:25], v[76:77]
	v_add_f64 v[104:105], v[22:23], v[74:75]
	v_add_f64 v[42:43], v[52:53], v[100:101]
	v_add_f64 v[44:45], v[50:51], v[98:99]
	v_cvt_f32_f64_e32 v104, v[104:105]
	v_cvt_f32_f64_e32 v102, v[102:103]
	;; [unrolled: 1-line block ×4, first 2 shown]
	v_min3_f32 v228, v104, v102, v173
	v_add_f64 v[102:103], v[20:21], v[76:77]
	v_add_f64 v[104:105], v[18:19], v[74:75]
	v_min3_f32 v185, v44, v42, v206
	ds_read_b128 v[42:45], v205 offset:272
	v_cvt_f32_f64_e32 v104, v[104:105]
	v_cvt_f32_f64_e32 v102, v[102:103]
	v_add_f64 v[100:101], v[12:13], v[100:101]
	v_add_f64 v[98:99], v[10:11], v[98:99]
	v_add_f64 v[96:97], v[12:13], v[96:97]
	v_add_f64 v[94:95], v[10:11], v[94:95]
	v_add_f64 v[92:93], v[12:13], v[92:93]
	v_add_f64 v[90:91], v[10:11], v[90:91]
	v_add_f64 v[88:89], v[12:13], v[88:89]
	v_add_f64 v[86:87], v[10:11], v[86:87]
	v_add_f64 v[84:85], v[12:13], v[84:85]
	v_add_f64 v[82:83], v[10:11], v[82:83]
	v_add_f64 v[80:81], v[12:13], v[80:81]
	v_add_f64 v[78:79], v[10:11], v[78:79]
	v_min3_f32 v229, v104, v102, v174
	v_add_f64 v[102:103], v[16:17], v[76:77]
	v_add_f64 v[104:105], v[14:15], v[74:75]
	;; [unrolled: 1-line block ×4, first 2 shown]
	s_waitcnt lgkmcnt(3)
	v_add_f64 v[16:17], v[16:17], v[28:29]
	v_add_f64 v[14:15], v[14:15], v[26:27]
	v_add_f64 v[12:13], v[12:13], v[28:29]
	v_add_f64 v[10:11], v[10:11], v[26:27]
	ds_read_b128 v[46:49], v205 offset:528
	ds_read_b128 v[54:57], v205 offset:784
	v_cvt_f32_f64_e32 v14, v[14:15]
	v_cvt_f32_f64_e32 v15, v[16:17]
	;; [unrolled: 1-line block ×4, first 2 shown]
	v_min3_f32 v14, v14, v15, v183
	v_min3_f32 v15, v10, v11, v184
	s_waitcnt lgkmcnt(3)
	v_add_f64 v[10:11], v[4:5], v[8:9]
	v_add_f64 v[12:13], v[2:3], v[6:7]
	v_cvt_f32_f64_e32 v74, v[74:75]
	v_cvt_f32_f64_e32 v75, v[76:77]
	;; [unrolled: 1-line block ×5, first 2 shown]
	v_min3_f32 v103, v74, v75, v176
	ds_read_b128 v[74:77], v156 offset:7184
	v_min3_f32 v226, v12, v10, v185
	s_waitcnt lgkmcnt(3)
	v_add_f64 v[10:11], v[44:45], v[8:9]
	v_add_f64 v[12:13], v[42:43], v[6:7]
	ds_read_b128 v[58:61], v205 offset:1040
	ds_read_b128 v[62:65], v205 offset:1296
	v_cvt_f32_f64_e32 v12, v[12:13]
	v_cvt_f32_f64_e32 v10, v[10:11]
	v_min3_f32 v224, v12, v10, v186
	s_waitcnt lgkmcnt(4)
	v_add_f64 v[10:11], v[48:49], v[8:9]
	v_add_f64 v[12:13], v[46:47], v[6:7]
	v_cvt_f32_f64_e32 v12, v[12:13]
	v_cvt_f32_f64_e32 v10, v[10:11]
	v_min3_f32 v225, v12, v10, v187
	s_waitcnt lgkmcnt(3)
	v_add_f64 v[10:11], v[56:57], v[8:9]
	v_add_f64 v[12:13], v[54:55], v[6:7]
	ds_read_b128 v[66:69], v205 offset:1552
	ds_read_b128 v[70:73], v205 offset:1808
	v_cvt_f32_f64_e32 v12, v[12:13]
	v_cvt_f32_f64_e32 v10, v[10:11]
	;; [unrolled: 1-line block ×4, first 2 shown]
	v_min3_f32 v222, v12, v10, v188
	s_waitcnt lgkmcnt(3)
	v_add_f64 v[10:11], v[60:61], v[8:9]
	v_add_f64 v[12:13], v[58:59], v[6:7]
	v_min3_f32 v106, v98, v99, v106
	ds_read_b128 v[98:101], v156 offset:1040
	v_cvt_f32_f64_e32 v12, v[12:13]
	v_cvt_f32_f64_e32 v10, v[10:11]
	v_min3_f32 v223, v12, v10, v189
	s_waitcnt lgkmcnt(3)
	v_add_f64 v[10:11], v[64:65], v[8:9]
	v_add_f64 v[12:13], v[62:63], v[6:7]
	v_cvt_f32_f64_e32 v12, v[12:13]
	v_cvt_f32_f64_e32 v10, v[10:11]
	v_min3_f32 v220, v12, v10, v190
	s_waitcnt lgkmcnt(2)
	v_add_f64 v[10:11], v[68:69], v[8:9]
	v_add_f64 v[12:13], v[66:67], v[6:7]
	s_waitcnt lgkmcnt(1)
	v_add_f64 v[8:9], v[72:73], v[8:9]
	v_add_f64 v[6:7], v[70:71], v[6:7]
	v_cvt_f32_f64_e32 v94, v[94:95]
	v_cvt_f32_f64_e32 v95, v[96:97]
	;; [unrolled: 1-line block ×4, first 2 shown]
	v_min3_f32 v114, v94, v95, v114
	ds_read_b128 v[94:97], v156 offset:2064
	v_min3_f32 v215, v6, v7, v106
	s_waitcnt lgkmcnt(1)
	v_add_f64 v[6:7], v[4:5], v[100:101]
	v_add_f64 v[8:9], v[2:3], v[98:99]
	v_cvt_f32_f64_e32 v8, v[8:9]
	v_cvt_f32_f64_e32 v6, v[6:7]
	v_min3_f32 v214, v8, v6, v107
	v_add_f64 v[6:7], v[44:45], v[100:101]
	v_add_f64 v[8:9], v[42:43], v[98:99]
	v_cvt_f32_f64_e32 v8, v[8:9]
	v_cvt_f32_f64_e32 v6, v[6:7]
	v_min3_f32 v213, v8, v6, v108
	v_add_f64 v[6:7], v[48:49], v[100:101]
	v_add_f64 v[8:9], v[46:47], v[98:99]
	v_cvt_f32_f64_e32 v8, v[8:9]
	v_cvt_f32_f64_e32 v6, v[6:7]
	v_min3_f32 v212, v8, v6, v109
	v_add_f64 v[6:7], v[56:57], v[100:101]
	v_add_f64 v[8:9], v[54:55], v[98:99]
	v_cvt_f32_f64_e32 v8, v[8:9]
	v_cvt_f32_f64_e32 v6, v[6:7]
	v_min3_f32 v211, v8, v6, v110
	v_add_f64 v[6:7], v[60:61], v[100:101]
	v_add_f64 v[8:9], v[58:59], v[98:99]
	v_cvt_f32_f64_e32 v8, v[8:9]
	v_cvt_f32_f64_e32 v6, v[6:7]
	v_min3_f32 v210, v8, v6, v111
	v_add_f64 v[6:7], v[64:65], v[100:101]
	v_add_f64 v[8:9], v[62:63], v[98:99]
	v_cvt_f32_f64_e32 v8, v[8:9]
	v_cvt_f32_f64_e32 v6, v[6:7]
	v_min3_f32 v209, v8, v6, v112
	v_add_f64 v[6:7], v[68:69], v[100:101]
	v_add_f64 v[8:9], v[66:67], v[98:99]
	v_cvt_f32_f64_e32 v8, v[8:9]
	v_cvt_f32_f64_e32 v6, v[6:7]
	v_min3_f32 v208, v8, v6, v113
	v_add_f64 v[6:7], v[72:73], v[100:101]
	v_add_f64 v[8:9], v[70:71], v[98:99]
	v_cvt_f32_f64_e32 v8, v[8:9]
	v_cvt_f32_f64_e32 v6, v[6:7]
	v_min3_f32 v207, v8, v6, v114
	s_waitcnt lgkmcnt(0)
	v_add_f64 v[6:7], v[4:5], v[96:97]
	v_add_f64 v[8:9], v[2:3], v[94:95]
	v_cvt_f32_f64_e32 v8, v[8:9]
	v_cvt_f32_f64_e32 v6, v[6:7]
	v_min3_f32 v206, v8, v6, v115
	v_add_f64 v[6:7], v[44:45], v[96:97]
	v_add_f64 v[8:9], v[42:43], v[94:95]
	v_cvt_f32_f64_e32 v8, v[8:9]
	v_cvt_f32_f64_e32 v6, v[6:7]
	v_min3_f32 v204, v8, v6, v116
	;; [unrolled: 5-line block ×4, first 2 shown]
	v_add_f64 v[6:7], v[60:61], v[96:97]
	v_add_f64 v[8:9], v[58:59], v[94:95]
	v_cvt_f32_f64_e32 v8, v[8:9]
	v_cvt_f32_f64_e32 v6, v[6:7]
	;; [unrolled: 1-line block ×4, first 2 shown]
	v_min3_f32 v201, v8, v6, v119
	v_add_f64 v[6:7], v[64:65], v[96:97]
	v_add_f64 v[8:9], v[62:63], v[94:95]
	v_min3_f32 v122, v90, v91, v122
	ds_read_b128 v[90:93], v156 offset:3088
	v_cvt_f32_f64_e32 v8, v[8:9]
	v_cvt_f32_f64_e32 v6, v[6:7]
	v_min3_f32 v200, v8, v6, v120
	v_add_f64 v[6:7], v[68:69], v[96:97]
	v_add_f64 v[8:9], v[66:67], v[94:95]
	v_cvt_f32_f64_e32 v8, v[8:9]
	v_cvt_f32_f64_e32 v6, v[6:7]
	v_min3_f32 v199, v8, v6, v121
	v_add_f64 v[6:7], v[72:73], v[96:97]
	v_add_f64 v[8:9], v[70:71], v[94:95]
	v_cvt_f32_f64_e32 v86, v[86:87]
	v_cvt_f32_f64_e32 v87, v[88:89]
	;; [unrolled: 1-line block ×4, first 2 shown]
	v_min3_f32 v130, v86, v87, v130
	ds_read_b128 v[86:89], v156 offset:4112
	v_min3_f32 v198, v8, v6, v122
	s_waitcnt lgkmcnt(1)
	v_add_f64 v[6:7], v[4:5], v[92:93]
	v_add_f64 v[8:9], v[2:3], v[90:91]
	v_cvt_f32_f64_e32 v8, v[8:9]
	v_cvt_f32_f64_e32 v6, v[6:7]
	v_min3_f32 v197, v8, v6, v123
	v_add_f64 v[6:7], v[44:45], v[92:93]
	v_add_f64 v[8:9], v[42:43], v[90:91]
	v_cvt_f32_f64_e32 v8, v[8:9]
	v_cvt_f32_f64_e32 v6, v[6:7]
	v_min3_f32 v196, v8, v6, v124
	;; [unrolled: 5-line block ×6, first 2 shown]
	v_add_f64 v[6:7], v[68:69], v[92:93]
	v_add_f64 v[8:9], v[66:67], v[90:91]
	v_cvt_f32_f64_e32 v12, v[12:13]
	v_cvt_f32_f64_e32 v10, v[10:11]
	;; [unrolled: 1-line block ×4, first 2 shown]
	v_min3_f32 v221, v12, v10, v191
	v_min3_f32 v191, v8, v6, v129
	v_add_f64 v[6:7], v[72:73], v[92:93]
	v_add_f64 v[8:9], v[70:71], v[90:91]
	v_cvt_f32_f64_e32 v8, v[8:9]
	v_cvt_f32_f64_e32 v6, v[6:7]
	v_min3_f32 v190, v8, v6, v130
	s_waitcnt lgkmcnt(0)
	v_add_f64 v[6:7], v[4:5], v[88:89]
	v_add_f64 v[8:9], v[2:3], v[86:87]
	v_cvt_f32_f64_e32 v8, v[8:9]
	v_cvt_f32_f64_e32 v6, v[6:7]
	v_min3_f32 v189, v8, v6, v131
	v_add_f64 v[6:7], v[44:45], v[88:89]
	v_add_f64 v[8:9], v[42:43], v[86:87]
	v_cvt_f32_f64_e32 v8, v[8:9]
	v_cvt_f32_f64_e32 v6, v[6:7]
	v_min3_f32 v188, v8, v6, v132
	v_add_f64 v[6:7], v[48:49], v[88:89]
	v_add_f64 v[8:9], v[46:47], v[86:87]
	v_cvt_f32_f64_e32 v8, v[8:9]
	v_cvt_f32_f64_e32 v6, v[6:7]
	v_min3_f32 v187, v8, v6, v133
	v_add_f64 v[6:7], v[56:57], v[88:89]
	v_add_f64 v[8:9], v[54:55], v[86:87]
	v_cvt_f32_f64_e32 v8, v[8:9]
	v_cvt_f32_f64_e32 v6, v[6:7]
	v_min3_f32 v186, v8, v6, v134
	v_add_f64 v[6:7], v[60:61], v[88:89]
	v_add_f64 v[8:9], v[58:59], v[86:87]
	v_cvt_f32_f64_e32 v8, v[8:9]
	v_cvt_f32_f64_e32 v6, v[6:7]
	;; [unrolled: 1-line block ×4, first 2 shown]
	v_min3_f32 v185, v8, v6, v135
	v_add_f64 v[6:7], v[64:65], v[88:89]
	v_add_f64 v[8:9], v[62:63], v[86:87]
	v_min3_f32 v160, v82, v83, v160
	ds_read_b128 v[82:85], v156 offset:5136
	v_cvt_f32_f64_e32 v8, v[8:9]
	v_cvt_f32_f64_e32 v6, v[6:7]
	v_min3_f32 v184, v8, v6, v158
	v_add_f64 v[6:7], v[68:69], v[88:89]
	v_add_f64 v[8:9], v[66:67], v[86:87]
	v_cvt_f32_f64_e32 v8, v[8:9]
	v_cvt_f32_f64_e32 v6, v[6:7]
	v_add_f64 v[20:21], v[20:21], v[28:29]
	v_add_f64 v[18:19], v[18:19], v[26:27]
	v_min3_f32 v183, v8, v6, v159
	v_add_f64 v[6:7], v[72:73], v[88:89]
	v_add_f64 v[8:9], v[70:71], v[86:87]
	v_cvt_f32_f64_e32 v78, v[78:79]
	v_cvt_f32_f64_e32 v79, v[80:81]
	;; [unrolled: 1-line block ×6, first 2 shown]
	v_min3_f32 v168, v78, v79, v168
	ds_read_b128 v[78:81], v156 offset:6160
	v_add_f64 v[24:25], v[24:25], v[28:29]
	v_add_f64 v[22:23], v[22:23], v[26:27]
	v_min3_f32 v18, v18, v19, v182
	v_min3_f32 v182, v8, v6, v160
	s_waitcnt lgkmcnt(1)
	v_add_f64 v[6:7], v[4:5], v[84:85]
	v_add_f64 v[8:9], v[2:3], v[82:83]
	v_cvt_f32_f64_e32 v22, v[22:23]
	v_cvt_f32_f64_e32 v23, v[24:25]
	v_cvt_f32_f64_e32 v8, v[8:9]
	v_cvt_f32_f64_e32 v6, v[6:7]
	v_add_f64 v[32:33], v[32:33], v[28:29]
	v_add_f64 v[30:31], v[30:31], v[26:27]
	v_min3_f32 v22, v22, v23, v181
	v_min3_f32 v181, v8, v6, v161
	v_add_f64 v[6:7], v[44:45], v[84:85]
	v_add_f64 v[8:9], v[42:43], v[82:83]
	v_cvt_f32_f64_e32 v30, v[30:31]
	v_cvt_f32_f64_e32 v31, v[32:33]
	v_cvt_f32_f64_e32 v8, v[8:9]
	v_cvt_f32_f64_e32 v6, v[6:7]
	v_add_f64 v[36:37], v[36:37], v[28:29]
	v_add_f64 v[34:35], v[34:35], v[26:27]
	v_min3_f32 v30, v30, v31, v180
	v_min3_f32 v180, v8, v6, v162
	;; [unrolled: 10-line block ×4, first 2 shown]
	v_add_f64 v[6:7], v[60:61], v[84:85]
	v_add_f64 v[8:9], v[58:59], v[82:83]
	v_cvt_f32_f64_e32 v50, v[50:51]
	v_cvt_f32_f64_e32 v51, v[52:53]
	;; [unrolled: 1-line block ×4, first 2 shown]
	v_min3_f32 v50, v50, v51, v177
	v_min3_f32 v177, v8, v6, v165
	v_add_f64 v[6:7], v[64:65], v[84:85]
	v_add_f64 v[8:9], v[62:63], v[82:83]
	v_cvt_f32_f64_e32 v8, v[8:9]
	v_cvt_f32_f64_e32 v6, v[6:7]
	v_min3_f32 v176, v8, v6, v166
	v_add_f64 v[6:7], v[68:69], v[84:85]
	v_add_f64 v[8:9], v[66:67], v[82:83]
	v_cvt_f32_f64_e32 v104, v[104:105]
	v_cvt_f32_f64_e32 v8, v[8:9]
	;; [unrolled: 1-line block ×3, first 2 shown]
	v_min3_f32 v102, v104, v102, v175
	v_min3_f32 v175, v8, v6, v167
	v_add_f64 v[6:7], v[72:73], v[84:85]
	v_add_f64 v[8:9], v[70:71], v[82:83]
	v_cvt_f32_f64_e32 v8, v[8:9]
	v_cvt_f32_f64_e32 v6, v[6:7]
	v_min3_f32 v174, v8, v6, v168
	s_waitcnt lgkmcnt(0)
	v_add_f64 v[6:7], v[4:5], v[80:81]
	v_add_f64 v[8:9], v[2:3], v[78:79]
	;; [unrolled: 1-line block ×4, first 2 shown]
	v_cvt_f32_f64_e32 v8, v[8:9]
	v_cvt_f32_f64_e32 v6, v[6:7]
	v_cvt_f32_f64_e32 v2, v[2:3]
	v_cvt_f32_f64_e32 v3, v[4:5]
	v_min3_f32 v173, v8, v6, v169
	v_add_f64 v[6:7], v[44:45], v[80:81]
	v_add_f64 v[8:9], v[42:43], v[78:79]
	v_min3_f32 v165, v2, v3, v50
	v_add_f64 v[2:3], v[44:45], v[76:77]
	v_add_f64 v[4:5], v[42:43], v[74:75]
	v_cvt_f32_f64_e32 v8, v[8:9]
	v_cvt_f32_f64_e32 v6, v[6:7]
	v_cvt_f32_f64_e32 v4, v[4:5]
	v_cvt_f32_f64_e32 v2, v[2:3]
	v_min3_f32 v172, v8, v6, v170
	v_add_f64 v[6:7], v[48:49], v[80:81]
	v_add_f64 v[8:9], v[46:47], v[78:79]
	v_min3_f32 v164, v4, v2, v38
	v_add_f64 v[2:3], v[48:49], v[76:77]
	v_add_f64 v[4:5], v[46:47], v[74:75]
	;; [unrolled: 10-line block ×7, first 2 shown]
	v_cvt_f32_f64_e32 v8, v[8:9]
	v_cvt_f32_f64_e32 v6, v[6:7]
	;; [unrolled: 1-line block ×4, first 2 shown]
	s_add_i32 s23, s23, 8
	v_min3_f32 v166, v8, v6, v103
	v_min3_f32 v158, v4, v2, v15
	v_lshl_add_u64 v[136:137], v[136:137], 0, 64
	v_lshl_add_u64 v[140:141], v[140:141], 0, s[2:3]
	s_cmp_ge_i32 s23, s26
	v_lshl_add_u64 v[142:143], v[142:143], 0, s[2:3]
	ds_write_b64 v216, v[144:145]
	ds_write2st64_b64 v217, v[0:1], v[146:147] offset1:4
	ds_write2st64_b64 v217, v[148:149], v[150:151] offset0:8 offset1:12
	s_waitcnt lgkmcnt(0)
	s_barrier
	s_cbranch_scc1 .LBB174_45
.LBB174_25:                             ; =>This Inner Loop Header: Depth=1
	s_and_b64 vcc, exec, s[6:7]
	s_cbranch_vccnz .LBB174_44
; %bb.26:                               ;   in Loop: Header=BB174_25 Depth=1
	global_load_dwordx2 v[0:1], v[136:137], off
	s_waitcnt vmcnt(0)
	v_mul_f64 v[146:147], s[20:21], v[0:1]
	s_mov_b64 s[12:13], -1
	s_mov_b64 vcc, s[4:5]
                                        ; implicit-def: $vgpr0_vgpr1_vgpr2_vgpr3_vgpr4_vgpr5_vgpr6_vgpr7
	s_cbranch_vccz .LBB174_28
.LBB174_27:                             ;   in Loop: Header=BB174_25 Depth=1
	v_mov_b32_e32 v0, s22
	v_mov_b32_e32 v1, s22
	s_mov_b64 s[12:13], 0
.LBB174_28:                             ;   in Loop: Header=BB174_25 Depth=1
	v_mov_b64_e32 v[2:3], 0
	s_andn2_b64 vcc, exec, s[12:13]
	v_lshl_add_u64 v[8:9], v[140:141], 0, v[138:139]
	s_cbranch_vccz .LBB174_38
; %bb.29:                               ;   in Loop: Header=BB174_25 Depth=1
	s_mov_b64 s[12:13], -1
	s_mov_b64 vcc, s[4:5]
                                        ; implicit-def: $vgpr4_vgpr5
	s_cbranch_vccnz .LBB174_39
.LBB174_30:                             ;   in Loop: Header=BB174_25 Depth=1
	v_mov_b64_e32 v[144:145], 0
	s_andn2_b64 vcc, exec, s[12:13]
	v_mov_b64_e32 v[6:7], 0
	s_cbranch_vccnz .LBB174_32
.LBB174_31:                             ;   in Loop: Header=BB174_25 Depth=1
	global_load_dwordx2 v[4:5], v[8:9], off offset:1024
	global_load_dwordx2 v[6:7], v[8:9], off offset:1536
	s_waitcnt vmcnt(1)
	v_mul_f64 v[4:5], s[20:21], v[4:5]
	s_waitcnt vmcnt(0)
	v_mul_f64 v[6:7], s[20:21], v[6:7]
.LBB174_32:                             ;   in Loop: Header=BB174_25 Depth=1
	ds_read_b128 v[132:135], v219
	ds_read_b128 v[68:71], v219 offset:16
	ds_read_b128 v[104:107], v218
	ds_read_b128 v[40:43], v218 offset:16
	ds_read_b128 v[100:103], v218 offset:256
	;; [unrolled: 1-line block ×29, first 2 shown]
	s_and_b64 vcc, exec, s[6:7]
	ds_write_b64 v155, v[146:147]
	ds_write2st64_b64 v154, v[0:1], v[2:3] offset1:4
	ds_write2st64_b64 v154, v[4:5], v[6:7] offset0:8 offset1:12
	s_waitcnt lgkmcnt(0)
	s_barrier
	s_cbranch_vccnz .LBB174_34
; %bb.33:                               ;   in Loop: Header=BB174_25 Depth=1
	global_load_dwordx2 v[0:1], v[136:137], off offset:32
	s_waitcnt vmcnt(0)
	v_mul_f64 v[144:145], s[20:21], v[0:1]
.LBB174_34:                             ;   in Loop: Header=BB174_25 Depth=1
	s_mov_b64 s[12:13], -1
	s_mov_b64 vcc, s[4:5]
                                        ; implicit-def: $vgpr0_vgpr1_vgpr2_vgpr3_vgpr4_vgpr5_vgpr6_vgpr7
	s_cbranch_vccnz .LBB174_40
; %bb.35:                               ;   in Loop: Header=BB174_25 Depth=1
	v_mov_b64_e32 v[146:147], 0
	s_andn2_b64 vcc, exec, s[12:13]
	v_lshl_add_u64 v[2:3], v[142:143], 0, v[138:139]
	s_cbranch_vccz .LBB174_41
.LBB174_36:                             ;   in Loop: Header=BB174_25 Depth=1
	s_mov_b64 s[12:13], -1
	s_mov_b64 vcc, s[4:5]
                                        ; implicit-def: $vgpr148_vgpr149
	s_cbranch_vccnz .LBB174_42
.LBB174_37:                             ;   in Loop: Header=BB174_25 Depth=1
	s_andn2_b64 vcc, exec, s[12:13]
	v_mov_b64_e32 v[150:151], 0
	s_cbranch_vccnz .LBB174_24
	s_branch .LBB174_43
.LBB174_38:                             ;   in Loop: Header=BB174_25 Depth=1
	global_load_dwordx2 v[0:1], v[8:9], off
	global_load_dwordx2 v[2:3], v[8:9], off offset:512
	s_waitcnt vmcnt(1)
	v_mul_f64 v[0:1], s[20:21], v[0:1]
	s_waitcnt vmcnt(0)
	v_mul_f64 v[2:3], s[20:21], v[2:3]
	s_mov_b64 s[12:13], -1
	s_mov_b64 vcc, s[4:5]
                                        ; implicit-def: $vgpr4_vgpr5
	s_cbranch_vccz .LBB174_30
.LBB174_39:                             ;   in Loop: Header=BB174_25 Depth=1
	v_mov_b32_e32 v4, s22
	v_mov_b32_e32 v5, s22
	v_mov_b64_e32 v[144:145], 0
	v_mov_b64_e32 v[6:7], 0
	s_cbranch_execz .LBB174_31
	s_branch .LBB174_32
.LBB174_40:                             ;   in Loop: Header=BB174_25 Depth=1
	v_mov_b32_e32 v0, s22
	v_mov_b32_e32 v1, s22
	v_mov_b64_e32 v[146:147], 0
	v_lshl_add_u64 v[2:3], v[142:143], 0, v[138:139]
	s_cbranch_execnz .LBB174_36
.LBB174_41:                             ;   in Loop: Header=BB174_25 Depth=1
	global_load_dwordx2 v[0:1], v[2:3], off
	global_load_dwordx2 v[4:5], v[2:3], off offset:512
	s_waitcnt vmcnt(1)
	v_mul_f64 v[0:1], s[20:21], v[0:1]
	s_waitcnt vmcnt(0)
	v_mul_f64 v[146:147], s[20:21], v[4:5]
	s_mov_b64 s[12:13], -1
	s_mov_b64 vcc, s[4:5]
                                        ; implicit-def: $vgpr148_vgpr149
	s_cbranch_vccz .LBB174_37
.LBB174_42:                             ;   in Loop: Header=BB174_25 Depth=1
	v_mov_b32_e32 v148, s22
	v_mov_b32_e32 v149, s22
	v_mov_b64_e32 v[150:151], 0
	s_cbranch_execnz .LBB174_24
.LBB174_43:                             ;   in Loop: Header=BB174_25 Depth=1
	global_load_dwordx2 v[4:5], v[2:3], off offset:1024
	s_nop 0
	global_load_dwordx2 v[2:3], v[2:3], off offset:1536
	s_waitcnt vmcnt(1)
	v_mul_f64 v[148:149], s[20:21], v[4:5]
	s_waitcnt vmcnt(0)
	v_mul_f64 v[150:151], s[20:21], v[2:3]
	s_branch .LBB174_24
.LBB174_44:                             ;   in Loop: Header=BB174_25 Depth=1
	v_mov_b64_e32 v[146:147], 0
	s_mov_b64 s[12:13], -1
	s_mov_b64 vcc, s[4:5]
                                        ; implicit-def: $vgpr0_vgpr1_vgpr2_vgpr3_vgpr4_vgpr5_vgpr6_vgpr7
	s_cbranch_vccnz .LBB174_27
	s_branch .LBB174_28
.LBB174_45:
	s_load_dwordx2 s[2:3], s[0:1], 0x78
	s_load_dword s4, s[0:1], 0x58
	s_load_dword s5, s[0:1], 0x70
	ds_read_b128 v[68:71], v157 offset:18432
	ds_read_b128 v[124:127], v156 offset:8192
	;; [unrolled: 1-line block ×4, first 2 shown]
	s_waitcnt lgkmcnt(0)
	s_mul_i32 s1, s3, s18
	s_mul_hi_u32 s3, s2, s18
	s_mul_i32 s0, s2, s18
	v_add_f64 v[0:1], v[70:71], v[126:127]
	v_add_f64 v[2:3], v[68:69], v[124:125]
	s_add_i32 s1, s3, s1
	v_cvt_f32_f64_e32 v2, v[2:3]
	v_cvt_f32_f64_e32 v0, v[0:1]
	s_lshl_b64 s[0:1], s[0:1], 3
	v_min3_f32 v4, v2, v0, v226
	v_add_f64 v[0:1], v[66:67], v[122:123]
	v_add_f64 v[2:3], v[64:65], v[120:121]
	s_add_u32 s0, s14, s0
	v_cvt_f32_f64_e32 v2, v[2:3]
	v_cvt_f32_f64_e32 v0, v[0:1]
	v_add_u32_e32 v205, s28, v153
	s_addc_u32 s1, s15, s1
	v_min3_f32 v2, v2, v0, v4
	v_add_u32_e32 v134, s19, v152
	v_mad_i64_i32 v[0:1], s[2:3], v205, s5, 0
	v_add_u32_e32 v128, 8, v134
	v_lshl_add_u64 v[152:153], v[0:1], 3, s[0:1]
	v_mad_i64_i32 v[0:1], s[2:3], v205, s4, 0
	v_ashrrev_i32_e32 v135, 31, v134
	v_ashrrev_i32_e32 v129, 31, v128
	s_mov_b64 s[2:3], -1
	v_max_f32_e32 v2, v2, v2
	s_mov_b64 vcc, s[8:9]
	s_cbranch_vccz .LBB174_47
; %bb.46:
	v_min_f32_e32 v3, 0, v2
	v_cvt_f64_f32_e32 v[4:5], v3
	v_lshl_add_u64 v[6:7], v[134:135], 3, v[152:153]
	global_store_dwordx2 v[6:7], v[4:5], off
	s_mov_b64 s[2:3], 0
.LBB174_47:
	ds_read_b128 v[60:63], v157 offset:18688
	ds_read_b128 v[52:55], v157 offset:18704
	;; [unrolled: 1-line block ×4, first 2 shown]
	v_lshl_add_u64 v[154:155], v[0:1], 3, s[10:11]
	v_mov_b32_e32 v132, 0
	s_andn2_b64 vcc, exec, s[2:3]
	v_lshlrev_b64 v[138:139], 3, v[134:135]
	s_cbranch_vccnz .LBB174_49
; %bb.48:
	v_lshl_add_u64 v[0:1], v[154:155], 0, v[138:139]
	global_load_dwordx2 v[0:1], v[0:1], off
	v_lshl_add_u64 v[4:5], v[152:153], 0, v[138:139]
	s_waitcnt vmcnt(0)
	v_mul_f64 v[0:1], s[16:17], v[0:1]
	v_cvt_f32_f64_e32 v0, v[0:1]
	v_min_f32_e32 v0, v0, v2
	v_cvt_f64_f32_e32 v[0:1], v0
	global_store_dwordx2 v[4:5], v[0:1], off
	v_lshl_add_u64 v[0:1], v[128:129], 3, v[154:155]
	global_load_dwordx2 v[0:1], v[0:1], off
	s_waitcnt vmcnt(0)
	v_mul_f64 v[0:1], s[16:17], v[0:1]
	v_cvt_f32_f64_e32 v132, v[0:1]
.LBB174_49:
	ds_read_b128 v[40:43], v157 offset:19200
	ds_read_b128 v[36:39], v157 offset:19216
	;; [unrolled: 1-line block ×24, first 2 shown]
	s_waitcnt lgkmcnt(14)
	v_add_f64 v[130:131], v[62:63], v[126:127]
	v_add_f64 v[136:137], v[60:61], v[124:125]
	v_cvt_f32_f64_e32 v133, v[136:137]
	v_cvt_f32_f64_e32 v130, v[130:131]
	v_min3_f32 v133, v133, v130, v224
	v_add_f64 v[130:131], v[58:59], v[126:127]
	v_add_f64 v[136:137], v[56:57], v[124:125]
	v_cvt_f32_f64_e32 v136, v[136:137]
	v_cvt_f32_f64_e32 v130, v[130:131]
	v_min3_f32 v140, v136, v130, v225
	v_add_f64 v[130:131], v[54:55], v[122:123]
	v_add_f64 v[136:137], v[52:53], v[120:121]
	v_cvt_f32_f64_e32 v136, v[136:137]
	v_cvt_f32_f64_e32 v130, v[130:131]
	v_min_f32_e32 v142, v136, v130
	v_add_f64 v[130:131], v[50:51], v[122:123]
	v_add_f64 v[136:137], v[48:49], v[120:121]
	v_cvt_f32_f64_e32 v136, v[136:137]
	v_cvt_f32_f64_e32 v130, v[130:131]
	v_min3_f32 v132, v132, v142, v133
	v_min3_f32 v143, v136, v130, v140
	v_add_u32_e32 v140, 16, v134
	v_add_u32_e32 v130, 24, v134
	v_cvt_f64_f32_e32 v[132:133], v132
	v_lshl_add_u64 v[136:137], v[128:129], 3, v[152:153]
	v_ashrrev_i32_e32 v141, 31, v140
	v_ashrrev_i32_e32 v131, 31, v130
	global_store_dwordx2 v[136:137], v[132:133], off
	s_mov_b64 s[2:3], -1
	v_max_f32_e32 v132, v143, v143
	s_mov_b64 vcc, s[8:9]
	s_cbranch_vccz .LBB174_51
; %bb.50:
	v_min_f32_e32 v133, 0, v132
	v_cvt_f64_f32_e32 v[136:137], v133
	v_lshl_add_u64 v[142:143], v[140:141], 3, v[152:153]
	global_store_dwordx2 v[142:143], v[136:137], off
	s_mov_b64 s[2:3], 0
.LBB174_51:
	v_mov_b32_e32 v136, 0
	s_andn2_b64 vcc, exec, s[2:3]
	v_lshlrev_b64 v[144:145], 3, v[140:141]
	s_cbranch_vccnz .LBB174_53
; %bb.52:
	v_lshl_add_u64 v[136:137], v[154:155], 0, v[144:145]
	global_load_dwordx2 v[136:137], v[136:137], off
	v_lshl_add_u64 v[142:143], v[152:153], 0, v[144:145]
	s_waitcnt vmcnt(0)
	v_mul_f64 v[136:137], s[16:17], v[136:137]
	v_cvt_f32_f64_e32 v133, v[136:137]
	v_min_f32_e32 v132, v133, v132
	v_cvt_f64_f32_e32 v[132:133], v132
	global_store_dwordx2 v[142:143], v[132:133], off
	v_lshl_add_u64 v[132:133], v[130:131], 3, v[154:155]
	global_load_dwordx2 v[132:133], v[132:133], off
	s_waitcnt vmcnt(0)
	v_mul_f64 v[132:133], s[16:17], v[132:133]
	v_cvt_f32_f64_e32 v136, v[132:133]
.LBB174_53:
	v_add_f64 v[132:133], v[42:43], v[126:127]
	v_add_f64 v[142:143], v[40:41], v[124:125]
	v_cvt_f32_f64_e32 v137, v[142:143]
	v_cvt_f32_f64_e32 v132, v[132:133]
	v_min3_f32 v137, v137, v132, v222
	v_add_f64 v[132:133], v[46:47], v[126:127]
	v_add_f64 v[142:143], v[44:45], v[124:125]
	v_cvt_f32_f64_e32 v142, v[142:143]
	v_cvt_f32_f64_e32 v132, v[132:133]
	v_min3_f32 v146, v142, v132, v223
	v_add_f64 v[132:133], v[38:39], v[122:123]
	v_add_f64 v[142:143], v[36:37], v[120:121]
	v_cvt_f32_f64_e32 v142, v[142:143]
	v_cvt_f32_f64_e32 v132, v[132:133]
	v_min_f32_e32 v147, v142, v132
	v_add_f64 v[132:133], v[34:35], v[122:123]
	v_add_f64 v[142:143], v[32:33], v[120:121]
	v_cvt_f32_f64_e32 v142, v[142:143]
	v_cvt_f32_f64_e32 v132, v[132:133]
	v_min3_f32 v136, v136, v147, v137
	v_min3_f32 v148, v142, v132, v146
	v_add_u32_e32 v142, 32, v134
	v_add_u32_e32 v132, 40, v134
	v_cvt_f64_f32_e32 v[136:137], v136
	v_lshl_add_u64 v[146:147], v[130:131], 3, v[152:153]
	v_ashrrev_i32_e32 v143, 31, v142
	v_ashrrev_i32_e32 v133, 31, v132
	global_store_dwordx2 v[146:147], v[136:137], off
	s_mov_b64 s[2:3], -1
	v_max_f32_e32 v136, v148, v148
	s_mov_b64 vcc, s[8:9]
	s_cbranch_vccz .LBB174_55
; %bb.54:
	v_min_f32_e32 v137, 0, v136
	v_cvt_f64_f32_e32 v[146:147], v137
	v_lshl_add_u64 v[148:149], v[142:143], 3, v[152:153]
	global_store_dwordx2 v[148:149], v[146:147], off
	s_mov_b64 s[2:3], 0
.LBB174_55:
	v_mov_b32_e32 v150, 0
	s_andn2_b64 vcc, exec, s[2:3]
	v_lshlrev_b64 v[148:149], 3, v[142:143]
	s_cbranch_vccnz .LBB174_57
; %bb.56:
	v_lshl_add_u64 v[146:147], v[154:155], 0, v[148:149]
	global_load_dwordx2 v[146:147], v[146:147], off
	v_lshl_add_u64 v[150:151], v[152:153], 0, v[148:149]
	s_waitcnt vmcnt(0)
	v_mul_f64 v[146:147], s[16:17], v[146:147]
	v_cvt_f32_f64_e32 v137, v[146:147]
	v_min_f32_e32 v136, v137, v136
	v_cvt_f64_f32_e32 v[136:137], v136
	global_store_dwordx2 v[150:151], v[136:137], off
	v_lshl_add_u64 v[136:137], v[132:133], 3, v[154:155]
	global_load_dwordx2 v[136:137], v[136:137], off
	s_waitcnt vmcnt(0)
	v_mul_f64 v[136:137], s[16:17], v[136:137]
	v_cvt_f32_f64_e32 v150, v[136:137]
.LBB174_57:
	v_add_f64 v[136:137], v[30:31], v[126:127]
	v_add_f64 v[146:147], v[28:29], v[124:125]
	v_cvt_f32_f64_e32 v146, v[146:147]
	v_cvt_f32_f64_e32 v136, v[136:137]
	v_min3_f32 v151, v146, v136, v220
	v_add_f64 v[136:137], v[26:27], v[126:127]
	v_add_f64 v[146:147], v[24:25], v[124:125]
	v_cvt_f32_f64_e32 v146, v[146:147]
	v_cvt_f32_f64_e32 v136, v[136:137]
	v_min3_f32 v156, v146, v136, v221
	v_add_f64 v[136:137], v[22:23], v[122:123]
	v_add_f64 v[146:147], v[20:21], v[120:121]
	v_cvt_f32_f64_e32 v146, v[146:147]
	v_cvt_f32_f64_e32 v136, v[136:137]
	v_min_f32_e32 v157, v146, v136
	v_add_f64 v[136:137], v[18:19], v[122:123]
	v_add_f64 v[146:147], v[16:17], v[120:121]
	v_cvt_f32_f64_e32 v146, v[146:147]
	v_cvt_f32_f64_e32 v136, v[136:137]
	v_min3_f32 v150, v150, v157, v151
	v_min3_f32 v216, v146, v136, v156
	v_add_u32_e32 v146, 48, v134
	v_add_u32_e32 v136, 56, v134
	v_cvt_f64_f32_e32 v[150:151], v150
	v_lshl_add_u64 v[156:157], v[132:133], 3, v[152:153]
	v_ashrrev_i32_e32 v147, 31, v146
	v_ashrrev_i32_e32 v137, 31, v136
	global_store_dwordx2 v[156:157], v[150:151], off
	s_mov_b64 s[2:3], -1
	v_max_f32_e32 v157, v216, v216
	s_mov_b64 vcc, s[8:9]
	s_cbranch_vccz .LBB174_59
; %bb.58:
	v_min_f32_e32 v150, 0, v157
	v_cvt_f64_f32_e32 v[150:151], v150
	v_lshl_add_u64 v[216:217], v[146:147], 3, v[152:153]
	global_store_dwordx2 v[216:217], v[150:151], off
	s_mov_b64 s[2:3], 0
.LBB174_59:
	v_mov_b32_e32 v156, 0
	s_andn2_b64 vcc, exec, s[2:3]
	v_lshlrev_b64 v[150:151], 3, v[146:147]
	s_cbranch_vccnz .LBB174_61
; %bb.60:
	v_lshl_add_u64 v[216:217], v[154:155], 0, v[150:151]
	global_load_dwordx2 v[216:217], v[216:217], off
	v_lshl_add_u64 v[218:219], v[152:153], 0, v[150:151]
	v_lshl_add_u64 v[154:155], v[136:137], 3, v[154:155]
	s_waitcnt vmcnt(0)
	v_mul_f64 v[216:217], s[16:17], v[216:217]
	v_cvt_f32_f64_e32 v156, v[216:217]
	v_min_f32_e32 v156, v156, v157
	v_cvt_f64_f32_e32 v[156:157], v156
	global_store_dwordx2 v[218:219], v[156:157], off
	global_load_dwordx2 v[154:155], v[154:155], off
	s_waitcnt vmcnt(0)
	v_mul_f64 v[154:155], s[16:17], v[154:155]
	v_cvt_f32_f64_e32 v156, v[154:155]
.LBB174_61:
	v_add_f64 v[126:127], v[2:3], v[126:127]
	v_add_f64 v[124:125], v[0:1], v[124:125]
	v_cvt_f32_f64_e32 v124, v[124:125]
	v_cvt_f32_f64_e32 v125, v[126:127]
	v_add_f64 v[122:123], v[10:11], v[122:123]
	v_add_f64 v[120:121], v[8:9], v[120:121]
	v_min3_f32 v154, v124, v125, v215
	s_waitcnt lgkmcnt(13)
	v_add_f64 v[124:125], v[70:71], v[118:119]
	v_add_f64 v[126:127], v[68:69], v[116:117]
	v_cvt_f32_f64_e32 v120, v[120:121]
	v_cvt_f32_f64_e32 v121, v[122:123]
	;; [unrolled: 1-line block ×4, first 2 shown]
	v_min_f32_e32 v125, v120, v121
	s_waitcnt lgkmcnt(12)
	v_add_f64 v[120:121], v[66:67], v[114:115]
	v_add_f64 v[122:123], v[64:65], v[112:113]
	v_min3_f32 v124, v126, v124, v214
	v_cvt_f32_f64_e32 v122, v[122:123]
	v_cvt_f32_f64_e32 v120, v[120:121]
	v_min3_f32 v124, v122, v120, v124
	v_min3_f32 v120, v156, v125, v154
	v_cvt_f64_f32_e32 v[120:121], v120
	v_lshl_add_u64 v[122:123], v[136:137], 3, v[152:153]
	global_store_dwordx2 v[122:123], v[120:121], off
	v_add_u32_e32 v122, 32, v205
	v_mad_i64_i32 v[120:121], s[2:3], v122, s5, 0
	v_mad_i64_i32 v[122:123], s[2:3], v122, s4, 0
	v_lshl_add_u64 v[120:121], v[120:121], 3, s[0:1]
	s_mov_b64 s[2:3], -1
	v_max_f32_e32 v125, v124, v124
	s_mov_b64 vcc, s[8:9]
	s_cbranch_vccz .LBB174_63
; %bb.62:
	v_min_f32_e32 v124, 0, v125
	v_cvt_f64_f32_e32 v[126:127], v124
	v_lshl_add_u64 v[152:153], v[134:135], 3, v[120:121]
	global_store_dwordx2 v[152:153], v[126:127], off
	s_mov_b64 s[2:3], 0
.LBB174_63:
	v_lshl_add_u64 v[122:123], v[122:123], 3, s[10:11]
	s_andn2_b64 vcc, exec, s[2:3]
	v_mov_b32_e32 v124, 0
	s_cbranch_vccnz .LBB174_65
; %bb.64:
	v_lshl_add_u64 v[126:127], v[122:123], 0, v[138:139]
	global_load_dwordx2 v[126:127], v[126:127], off
	v_lshl_add_u64 v[152:153], v[120:121], 0, v[138:139]
	s_waitcnt vmcnt(0)
	v_mul_f64 v[126:127], s[16:17], v[126:127]
	v_cvt_f32_f64_e32 v124, v[126:127]
	v_min_f32_e32 v124, v124, v125
	v_cvt_f64_f32_e32 v[124:125], v124
	global_store_dwordx2 v[152:153], v[124:125], off
	v_lshl_add_u64 v[124:125], v[128:129], 3, v[122:123]
	global_load_dwordx2 v[124:125], v[124:125], off
	s_waitcnt vmcnt(0)
	v_mul_f64 v[124:125], s[16:17], v[124:125]
	v_cvt_f32_f64_e32 v124, v[124:125]
.LBB174_65:
	v_add_f64 v[126:127], v[62:63], v[118:119]
	v_add_f64 v[152:153], v[60:61], v[116:117]
	v_cvt_f32_f64_e32 v125, v[152:153]
	v_cvt_f32_f64_e32 v126, v[126:127]
	v_min3_f32 v125, v125, v126, v213
	v_add_f64 v[126:127], v[58:59], v[118:119]
	v_add_f64 v[152:153], v[56:57], v[116:117]
	v_cvt_f32_f64_e32 v152, v[152:153]
	v_cvt_f32_f64_e32 v126, v[126:127]
	v_min3_f32 v154, v152, v126, v212
	v_add_f64 v[126:127], v[54:55], v[114:115]
	v_add_f64 v[152:153], v[52:53], v[112:113]
	v_cvt_f32_f64_e32 v152, v[152:153]
	v_cvt_f32_f64_e32 v126, v[126:127]
	v_min_f32_e32 v155, v152, v126
	v_add_f64 v[126:127], v[50:51], v[114:115]
	v_add_f64 v[152:153], v[48:49], v[112:113]
	v_cvt_f32_f64_e32 v152, v[152:153]
	v_cvt_f32_f64_e32 v126, v[126:127]
	v_min3_f32 v124, v124, v155, v125
	v_min3_f32 v152, v152, v126, v154
	v_cvt_f64_f32_e32 v[124:125], v124
	v_lshl_add_u64 v[126:127], v[128:129], 3, v[120:121]
	global_store_dwordx2 v[126:127], v[124:125], off
	s_mov_b64 s[2:3], -1
	v_max_f32_e32 v125, v152, v152
	s_mov_b64 vcc, s[8:9]
	s_cbranch_vccz .LBB174_67
; %bb.66:
	v_min_f32_e32 v124, 0, v125
	v_cvt_f64_f32_e32 v[126:127], v124
	v_lshl_add_u64 v[152:153], v[140:141], 3, v[120:121]
	global_store_dwordx2 v[152:153], v[126:127], off
	s_mov_b64 s[2:3], 0
.LBB174_67:
	s_andn2_b64 vcc, exec, s[2:3]
	v_mov_b32_e32 v124, 0
	s_cbranch_vccnz .LBB174_69
; %bb.68:
	v_lshl_add_u64 v[126:127], v[122:123], 0, v[144:145]
	global_load_dwordx2 v[126:127], v[126:127], off
	v_lshl_add_u64 v[152:153], v[120:121], 0, v[144:145]
	s_waitcnt vmcnt(0)
	v_mul_f64 v[126:127], s[16:17], v[126:127]
	v_cvt_f32_f64_e32 v124, v[126:127]
	v_min_f32_e32 v124, v124, v125
	v_cvt_f64_f32_e32 v[124:125], v124
	global_store_dwordx2 v[152:153], v[124:125], off
	v_lshl_add_u64 v[124:125], v[130:131], 3, v[122:123]
	global_load_dwordx2 v[124:125], v[124:125], off
	s_waitcnt vmcnt(0)
	v_mul_f64 v[124:125], s[16:17], v[124:125]
	v_cvt_f32_f64_e32 v124, v[124:125]
.LBB174_69:
	v_add_f64 v[126:127], v[42:43], v[118:119]
	v_add_f64 v[152:153], v[40:41], v[116:117]
	v_cvt_f32_f64_e32 v125, v[152:153]
	v_cvt_f32_f64_e32 v126, v[126:127]
	v_min3_f32 v125, v125, v126, v211
	v_add_f64 v[126:127], v[46:47], v[118:119]
	v_add_f64 v[152:153], v[44:45], v[116:117]
	v_cvt_f32_f64_e32 v152, v[152:153]
	v_cvt_f32_f64_e32 v126, v[126:127]
	v_min3_f32 v154, v152, v126, v210
	v_add_f64 v[126:127], v[38:39], v[114:115]
	v_add_f64 v[152:153], v[36:37], v[112:113]
	v_cvt_f32_f64_e32 v152, v[152:153]
	v_cvt_f32_f64_e32 v126, v[126:127]
	v_min_f32_e32 v155, v152, v126
	v_add_f64 v[126:127], v[34:35], v[114:115]
	v_add_f64 v[152:153], v[32:33], v[112:113]
	v_cvt_f32_f64_e32 v152, v[152:153]
	v_cvt_f32_f64_e32 v126, v[126:127]
	v_min3_f32 v124, v124, v155, v125
	v_min3_f32 v152, v152, v126, v154
	v_cvt_f64_f32_e32 v[124:125], v124
	v_lshl_add_u64 v[126:127], v[130:131], 3, v[120:121]
	global_store_dwordx2 v[126:127], v[124:125], off
	s_mov_b64 s[2:3], -1
	v_max_f32_e32 v125, v152, v152
	s_mov_b64 vcc, s[8:9]
	s_cbranch_vccz .LBB174_71
; %bb.70:
	v_min_f32_e32 v124, 0, v125
	v_cvt_f64_f32_e32 v[126:127], v124
	v_lshl_add_u64 v[152:153], v[142:143], 3, v[120:121]
	global_store_dwordx2 v[152:153], v[126:127], off
	s_mov_b64 s[2:3], 0
.LBB174_71:
	;; [unrolled: 54-line block ×3, first 2 shown]
	s_andn2_b64 vcc, exec, s[2:3]
	v_mov_b32_e32 v124, 0
	s_cbranch_vccnz .LBB174_77
; %bb.76:
	v_lshl_add_u64 v[126:127], v[122:123], 0, v[150:151]
	global_load_dwordx2 v[126:127], v[126:127], off
	v_lshl_add_u64 v[152:153], v[120:121], 0, v[150:151]
	v_lshl_add_u64 v[122:123], v[136:137], 3, v[122:123]
	s_waitcnt vmcnt(0)
	v_mul_f64 v[126:127], s[16:17], v[126:127]
	v_cvt_f32_f64_e32 v124, v[126:127]
	v_min_f32_e32 v124, v124, v125
	v_cvt_f64_f32_e32 v[124:125], v124
	global_store_dwordx2 v[152:153], v[124:125], off
	global_load_dwordx2 v[122:123], v[122:123], off
	s_waitcnt vmcnt(0)
	v_mul_f64 v[122:123], s[16:17], v[122:123]
	v_cvt_f32_f64_e32 v124, v[122:123]
.LBB174_77:
	v_add_f64 v[118:119], v[2:3], v[118:119]
	v_add_f64 v[116:117], v[0:1], v[116:117]
	v_cvt_f32_f64_e32 v116, v[116:117]
	v_cvt_f32_f64_e32 v117, v[118:119]
	v_add_f64 v[114:115], v[10:11], v[114:115]
	v_add_f64 v[112:113], v[8:9], v[112:113]
	v_min3_f32 v122, v116, v117, v207
	s_waitcnt lgkmcnt(11)
	v_add_f64 v[116:117], v[70:71], v[110:111]
	v_add_f64 v[118:119], v[68:69], v[108:109]
	v_cvt_f32_f64_e32 v112, v[112:113]
	v_cvt_f32_f64_e32 v113, v[114:115]
	v_cvt_f32_f64_e32 v118, v[118:119]
	v_cvt_f32_f64_e32 v116, v[116:117]
	v_min_f32_e32 v117, v112, v113
	s_waitcnt lgkmcnt(10)
	v_add_f64 v[112:113], v[66:67], v[106:107]
	v_add_f64 v[114:115], v[64:65], v[104:105]
	v_min3_f32 v116, v118, v116, v206
	v_cvt_f32_f64_e32 v114, v[114:115]
	v_cvt_f32_f64_e32 v112, v[112:113]
	v_min3_f32 v116, v114, v112, v116
	v_min3_f32 v112, v124, v117, v122
	v_cvt_f64_f32_e32 v[112:113], v112
	v_lshl_add_u64 v[114:115], v[136:137], 3, v[120:121]
	global_store_dwordx2 v[114:115], v[112:113], off
	v_add_u32_e32 v114, 64, v205
	v_mad_i64_i32 v[112:113], s[2:3], v114, s5, 0
	v_mad_i64_i32 v[114:115], s[2:3], v114, s4, 0
	v_lshl_add_u64 v[112:113], v[112:113], 3, s[0:1]
	s_mov_b64 s[2:3], -1
	v_max_f32_e32 v117, v116, v116
	s_mov_b64 vcc, s[8:9]
	s_cbranch_vccz .LBB174_79
; %bb.78:
	v_min_f32_e32 v116, 0, v117
	v_cvt_f64_f32_e32 v[118:119], v116
	v_lshl_add_u64 v[120:121], v[134:135], 3, v[112:113]
	global_store_dwordx2 v[120:121], v[118:119], off
	s_mov_b64 s[2:3], 0
.LBB174_79:
	v_lshl_add_u64 v[114:115], v[114:115], 3, s[10:11]
	s_andn2_b64 vcc, exec, s[2:3]
	v_mov_b32_e32 v116, 0
	s_cbranch_vccnz .LBB174_81
; %bb.80:
	v_lshl_add_u64 v[118:119], v[114:115], 0, v[138:139]
	global_load_dwordx2 v[118:119], v[118:119], off
	v_lshl_add_u64 v[120:121], v[112:113], 0, v[138:139]
	s_waitcnt vmcnt(0)
	v_mul_f64 v[118:119], s[16:17], v[118:119]
	v_cvt_f32_f64_e32 v116, v[118:119]
	v_min_f32_e32 v116, v116, v117
	v_cvt_f64_f32_e32 v[116:117], v116
	global_store_dwordx2 v[120:121], v[116:117], off
	v_lshl_add_u64 v[116:117], v[128:129], 3, v[114:115]
	global_load_dwordx2 v[116:117], v[116:117], off
	s_waitcnt vmcnt(0)
	v_mul_f64 v[116:117], s[16:17], v[116:117]
	v_cvt_f32_f64_e32 v116, v[116:117]
.LBB174_81:
	v_add_f64 v[118:119], v[62:63], v[110:111]
	v_add_f64 v[120:121], v[60:61], v[108:109]
	v_cvt_f32_f64_e32 v117, v[120:121]
	v_cvt_f32_f64_e32 v118, v[118:119]
	v_min3_f32 v117, v117, v118, v204
	v_add_f64 v[118:119], v[58:59], v[110:111]
	v_add_f64 v[120:121], v[56:57], v[108:109]
	v_cvt_f32_f64_e32 v120, v[120:121]
	v_cvt_f32_f64_e32 v118, v[118:119]
	v_min3_f32 v122, v120, v118, v203
	v_add_f64 v[118:119], v[54:55], v[106:107]
	v_add_f64 v[120:121], v[52:53], v[104:105]
	v_cvt_f32_f64_e32 v120, v[120:121]
	v_cvt_f32_f64_e32 v118, v[118:119]
	v_min_f32_e32 v123, v120, v118
	v_add_f64 v[118:119], v[50:51], v[106:107]
	v_add_f64 v[120:121], v[48:49], v[104:105]
	v_cvt_f32_f64_e32 v120, v[120:121]
	v_cvt_f32_f64_e32 v118, v[118:119]
	v_min3_f32 v116, v116, v123, v117
	v_min3_f32 v120, v120, v118, v122
	v_cvt_f64_f32_e32 v[116:117], v116
	v_lshl_add_u64 v[118:119], v[128:129], 3, v[112:113]
	global_store_dwordx2 v[118:119], v[116:117], off
	s_mov_b64 s[2:3], -1
	v_max_f32_e32 v117, v120, v120
	s_mov_b64 vcc, s[8:9]
	s_cbranch_vccz .LBB174_83
; %bb.82:
	v_min_f32_e32 v116, 0, v117
	v_cvt_f64_f32_e32 v[118:119], v116
	v_lshl_add_u64 v[120:121], v[140:141], 3, v[112:113]
	global_store_dwordx2 v[120:121], v[118:119], off
	s_mov_b64 s[2:3], 0
.LBB174_83:
	s_andn2_b64 vcc, exec, s[2:3]
	v_mov_b32_e32 v116, 0
	s_cbranch_vccnz .LBB174_85
; %bb.84:
	v_lshl_add_u64 v[118:119], v[114:115], 0, v[144:145]
	global_load_dwordx2 v[118:119], v[118:119], off
	v_lshl_add_u64 v[120:121], v[112:113], 0, v[144:145]
	s_waitcnt vmcnt(0)
	v_mul_f64 v[118:119], s[16:17], v[118:119]
	v_cvt_f32_f64_e32 v116, v[118:119]
	v_min_f32_e32 v116, v116, v117
	v_cvt_f64_f32_e32 v[116:117], v116
	global_store_dwordx2 v[120:121], v[116:117], off
	v_lshl_add_u64 v[116:117], v[130:131], 3, v[114:115]
	global_load_dwordx2 v[116:117], v[116:117], off
	s_waitcnt vmcnt(0)
	v_mul_f64 v[116:117], s[16:17], v[116:117]
	v_cvt_f32_f64_e32 v116, v[116:117]
.LBB174_85:
	v_add_f64 v[118:119], v[42:43], v[110:111]
	v_add_f64 v[120:121], v[40:41], v[108:109]
	v_cvt_f32_f64_e32 v117, v[120:121]
	v_cvt_f32_f64_e32 v118, v[118:119]
	v_min3_f32 v117, v117, v118, v202
	v_add_f64 v[118:119], v[46:47], v[110:111]
	v_add_f64 v[120:121], v[44:45], v[108:109]
	v_cvt_f32_f64_e32 v120, v[120:121]
	v_cvt_f32_f64_e32 v118, v[118:119]
	v_min3_f32 v122, v120, v118, v201
	v_add_f64 v[118:119], v[38:39], v[106:107]
	v_add_f64 v[120:121], v[36:37], v[104:105]
	v_cvt_f32_f64_e32 v120, v[120:121]
	v_cvt_f32_f64_e32 v118, v[118:119]
	v_min_f32_e32 v123, v120, v118
	v_add_f64 v[118:119], v[34:35], v[106:107]
	v_add_f64 v[120:121], v[32:33], v[104:105]
	v_cvt_f32_f64_e32 v120, v[120:121]
	v_cvt_f32_f64_e32 v118, v[118:119]
	v_min3_f32 v116, v116, v123, v117
	v_min3_f32 v120, v120, v118, v122
	v_cvt_f64_f32_e32 v[116:117], v116
	v_lshl_add_u64 v[118:119], v[130:131], 3, v[112:113]
	global_store_dwordx2 v[118:119], v[116:117], off
	s_mov_b64 s[2:3], -1
	v_max_f32_e32 v117, v120, v120
	s_mov_b64 vcc, s[8:9]
	s_cbranch_vccz .LBB174_87
; %bb.86:
	v_min_f32_e32 v116, 0, v117
	v_cvt_f64_f32_e32 v[118:119], v116
	v_lshl_add_u64 v[120:121], v[142:143], 3, v[112:113]
	global_store_dwordx2 v[120:121], v[118:119], off
	s_mov_b64 s[2:3], 0
.LBB174_87:
	;; [unrolled: 54-line block ×3, first 2 shown]
	s_andn2_b64 vcc, exec, s[2:3]
	v_mov_b32_e32 v116, 0
	s_cbranch_vccnz .LBB174_93
; %bb.92:
	v_lshl_add_u64 v[118:119], v[114:115], 0, v[150:151]
	global_load_dwordx2 v[118:119], v[118:119], off
	v_lshl_add_u64 v[120:121], v[112:113], 0, v[150:151]
	v_lshl_add_u64 v[114:115], v[136:137], 3, v[114:115]
	s_waitcnt vmcnt(0)
	v_mul_f64 v[118:119], s[16:17], v[118:119]
	v_cvt_f32_f64_e32 v116, v[118:119]
	v_min_f32_e32 v116, v116, v117
	v_cvt_f64_f32_e32 v[116:117], v116
	global_store_dwordx2 v[120:121], v[116:117], off
	global_load_dwordx2 v[114:115], v[114:115], off
	s_waitcnt vmcnt(0)
	v_mul_f64 v[114:115], s[16:17], v[114:115]
	v_cvt_f32_f64_e32 v116, v[114:115]
.LBB174_93:
	v_add_f64 v[110:111], v[2:3], v[110:111]
	v_add_f64 v[108:109], v[0:1], v[108:109]
	v_cvt_f32_f64_e32 v108, v[108:109]
	v_cvt_f32_f64_e32 v109, v[110:111]
	v_add_f64 v[106:107], v[10:11], v[106:107]
	v_add_f64 v[104:105], v[8:9], v[104:105]
	v_min3_f32 v114, v108, v109, v198
	s_waitcnt lgkmcnt(9)
	v_add_f64 v[108:109], v[70:71], v[102:103]
	v_add_f64 v[110:111], v[68:69], v[100:101]
	v_cvt_f32_f64_e32 v104, v[104:105]
	v_cvt_f32_f64_e32 v105, v[106:107]
	;; [unrolled: 1-line block ×4, first 2 shown]
	v_min_f32_e32 v109, v104, v105
	s_waitcnt lgkmcnt(8)
	v_add_f64 v[104:105], v[66:67], v[98:99]
	v_add_f64 v[106:107], v[64:65], v[96:97]
	v_min3_f32 v108, v110, v108, v197
	v_cvt_f32_f64_e32 v106, v[106:107]
	v_cvt_f32_f64_e32 v104, v[104:105]
	v_min3_f32 v108, v106, v104, v108
	v_min3_f32 v104, v116, v109, v114
	v_cvt_f64_f32_e32 v[104:105], v104
	v_lshl_add_u64 v[106:107], v[136:137], 3, v[112:113]
	global_store_dwordx2 v[106:107], v[104:105], off
	v_add_u32_e32 v106, 0x60, v205
	v_mad_i64_i32 v[104:105], s[2:3], v106, s5, 0
	v_mad_i64_i32 v[106:107], s[2:3], v106, s4, 0
	v_lshl_add_u64 v[104:105], v[104:105], 3, s[0:1]
	s_mov_b64 s[2:3], -1
	v_max_f32_e32 v109, v108, v108
	s_mov_b64 vcc, s[8:9]
	s_cbranch_vccz .LBB174_95
; %bb.94:
	v_min_f32_e32 v108, 0, v109
	v_cvt_f64_f32_e32 v[110:111], v108
	v_lshl_add_u64 v[112:113], v[134:135], 3, v[104:105]
	global_store_dwordx2 v[112:113], v[110:111], off
	s_mov_b64 s[2:3], 0
.LBB174_95:
	v_lshl_add_u64 v[106:107], v[106:107], 3, s[10:11]
	s_andn2_b64 vcc, exec, s[2:3]
	v_mov_b32_e32 v108, 0
	s_cbranch_vccnz .LBB174_97
; %bb.96:
	v_lshl_add_u64 v[110:111], v[106:107], 0, v[138:139]
	global_load_dwordx2 v[110:111], v[110:111], off
	v_lshl_add_u64 v[112:113], v[104:105], 0, v[138:139]
	s_waitcnt vmcnt(0)
	v_mul_f64 v[110:111], s[16:17], v[110:111]
	v_cvt_f32_f64_e32 v108, v[110:111]
	v_min_f32_e32 v108, v108, v109
	v_cvt_f64_f32_e32 v[108:109], v108
	global_store_dwordx2 v[112:113], v[108:109], off
	v_lshl_add_u64 v[108:109], v[128:129], 3, v[106:107]
	global_load_dwordx2 v[108:109], v[108:109], off
	s_waitcnt vmcnt(0)
	v_mul_f64 v[108:109], s[16:17], v[108:109]
	v_cvt_f32_f64_e32 v108, v[108:109]
.LBB174_97:
	v_add_f64 v[110:111], v[62:63], v[102:103]
	v_add_f64 v[112:113], v[60:61], v[100:101]
	v_cvt_f32_f64_e32 v109, v[112:113]
	v_cvt_f32_f64_e32 v110, v[110:111]
	v_min3_f32 v109, v109, v110, v196
	v_add_f64 v[110:111], v[58:59], v[102:103]
	v_add_f64 v[112:113], v[56:57], v[100:101]
	v_cvt_f32_f64_e32 v112, v[112:113]
	v_cvt_f32_f64_e32 v110, v[110:111]
	v_min3_f32 v114, v112, v110, v195
	v_add_f64 v[110:111], v[54:55], v[98:99]
	v_add_f64 v[112:113], v[52:53], v[96:97]
	v_cvt_f32_f64_e32 v112, v[112:113]
	v_cvt_f32_f64_e32 v110, v[110:111]
	v_min_f32_e32 v115, v112, v110
	v_add_f64 v[110:111], v[50:51], v[98:99]
	v_add_f64 v[112:113], v[48:49], v[96:97]
	v_cvt_f32_f64_e32 v112, v[112:113]
	v_cvt_f32_f64_e32 v110, v[110:111]
	v_min3_f32 v108, v108, v115, v109
	v_min3_f32 v112, v112, v110, v114
	v_cvt_f64_f32_e32 v[108:109], v108
	v_lshl_add_u64 v[110:111], v[128:129], 3, v[104:105]
	global_store_dwordx2 v[110:111], v[108:109], off
	s_mov_b64 s[2:3], -1
	v_max_f32_e32 v109, v112, v112
	s_mov_b64 vcc, s[8:9]
	s_cbranch_vccz .LBB174_99
; %bb.98:
	v_min_f32_e32 v108, 0, v109
	v_cvt_f64_f32_e32 v[110:111], v108
	v_lshl_add_u64 v[112:113], v[140:141], 3, v[104:105]
	global_store_dwordx2 v[112:113], v[110:111], off
	s_mov_b64 s[2:3], 0
.LBB174_99:
	s_andn2_b64 vcc, exec, s[2:3]
	v_mov_b32_e32 v108, 0
	s_cbranch_vccnz .LBB174_101
; %bb.100:
	v_lshl_add_u64 v[110:111], v[106:107], 0, v[144:145]
	global_load_dwordx2 v[110:111], v[110:111], off
	v_lshl_add_u64 v[112:113], v[104:105], 0, v[144:145]
	s_waitcnt vmcnt(0)
	v_mul_f64 v[110:111], s[16:17], v[110:111]
	v_cvt_f32_f64_e32 v108, v[110:111]
	v_min_f32_e32 v108, v108, v109
	v_cvt_f64_f32_e32 v[108:109], v108
	global_store_dwordx2 v[112:113], v[108:109], off
	v_lshl_add_u64 v[108:109], v[130:131], 3, v[106:107]
	global_load_dwordx2 v[108:109], v[108:109], off
	s_waitcnt vmcnt(0)
	v_mul_f64 v[108:109], s[16:17], v[108:109]
	v_cvt_f32_f64_e32 v108, v[108:109]
.LBB174_101:
	v_add_f64 v[110:111], v[42:43], v[102:103]
	v_add_f64 v[112:113], v[40:41], v[100:101]
	v_cvt_f32_f64_e32 v109, v[112:113]
	v_cvt_f32_f64_e32 v110, v[110:111]
	v_min3_f32 v109, v109, v110, v194
	v_add_f64 v[110:111], v[46:47], v[102:103]
	v_add_f64 v[112:113], v[44:45], v[100:101]
	v_cvt_f32_f64_e32 v112, v[112:113]
	v_cvt_f32_f64_e32 v110, v[110:111]
	v_min3_f32 v114, v112, v110, v193
	v_add_f64 v[110:111], v[38:39], v[98:99]
	v_add_f64 v[112:113], v[36:37], v[96:97]
	v_cvt_f32_f64_e32 v112, v[112:113]
	v_cvt_f32_f64_e32 v110, v[110:111]
	v_min_f32_e32 v115, v112, v110
	v_add_f64 v[110:111], v[34:35], v[98:99]
	v_add_f64 v[112:113], v[32:33], v[96:97]
	v_cvt_f32_f64_e32 v112, v[112:113]
	v_cvt_f32_f64_e32 v110, v[110:111]
	v_min3_f32 v108, v108, v115, v109
	v_min3_f32 v112, v112, v110, v114
	v_cvt_f64_f32_e32 v[108:109], v108
	v_lshl_add_u64 v[110:111], v[130:131], 3, v[104:105]
	global_store_dwordx2 v[110:111], v[108:109], off
	s_mov_b64 s[2:3], -1
	v_max_f32_e32 v109, v112, v112
	s_mov_b64 vcc, s[8:9]
	s_cbranch_vccz .LBB174_103
; %bb.102:
	v_min_f32_e32 v108, 0, v109
	v_cvt_f64_f32_e32 v[110:111], v108
	v_lshl_add_u64 v[112:113], v[142:143], 3, v[104:105]
	global_store_dwordx2 v[112:113], v[110:111], off
	s_mov_b64 s[2:3], 0
.LBB174_103:
	s_andn2_b64 vcc, exec, s[2:3]
	v_mov_b32_e32 v108, 0
	s_cbranch_vccnz .LBB174_105
; %bb.104:
	v_lshl_add_u64 v[110:111], v[106:107], 0, v[148:149]
	global_load_dwordx2 v[110:111], v[110:111], off
	v_lshl_add_u64 v[112:113], v[104:105], 0, v[148:149]
	s_waitcnt vmcnt(0)
	v_mul_f64 v[110:111], s[16:17], v[110:111]
	v_cvt_f32_f64_e32 v108, v[110:111]
	v_min_f32_e32 v108, v108, v109
	v_cvt_f64_f32_e32 v[108:109], v108
	global_store_dwordx2 v[112:113], v[108:109], off
	v_lshl_add_u64 v[108:109], v[132:133], 3, v[106:107]
	global_load_dwordx2 v[108:109], v[108:109], off
	s_waitcnt vmcnt(0)
	v_mul_f64 v[108:109], s[16:17], v[108:109]
	v_cvt_f32_f64_e32 v108, v[108:109]
.LBB174_105:
	v_add_f64 v[110:111], v[30:31], v[102:103]
	v_add_f64 v[112:113], v[28:29], v[100:101]
	v_cvt_f32_f64_e32 v109, v[112:113]
	v_cvt_f32_f64_e32 v110, v[110:111]
	v_min3_f32 v109, v109, v110, v192
	v_add_f64 v[110:111], v[26:27], v[102:103]
	v_add_f64 v[112:113], v[24:25], v[100:101]
	v_cvt_f32_f64_e32 v112, v[112:113]
	v_cvt_f32_f64_e32 v110, v[110:111]
	v_min3_f32 v114, v112, v110, v191
	v_add_f64 v[110:111], v[22:23], v[98:99]
	v_add_f64 v[112:113], v[20:21], v[96:97]
	v_cvt_f32_f64_e32 v112, v[112:113]
	v_cvt_f32_f64_e32 v110, v[110:111]
	v_min_f32_e32 v115, v112, v110
	v_add_f64 v[110:111], v[18:19], v[98:99]
	v_add_f64 v[112:113], v[16:17], v[96:97]
	v_cvt_f32_f64_e32 v112, v[112:113]
	v_cvt_f32_f64_e32 v110, v[110:111]
	v_min3_f32 v108, v108, v115, v109
	v_min3_f32 v112, v112, v110, v114
	v_cvt_f64_f32_e32 v[108:109], v108
	v_lshl_add_u64 v[110:111], v[132:133], 3, v[104:105]
	global_store_dwordx2 v[110:111], v[108:109], off
	s_mov_b64 s[2:3], -1
	v_max_f32_e32 v109, v112, v112
	s_mov_b64 vcc, s[8:9]
	s_cbranch_vccz .LBB174_107
; %bb.106:
	v_min_f32_e32 v108, 0, v109
	v_cvt_f64_f32_e32 v[110:111], v108
	v_lshl_add_u64 v[112:113], v[146:147], 3, v[104:105]
	global_store_dwordx2 v[112:113], v[110:111], off
	s_mov_b64 s[2:3], 0
.LBB174_107:
	s_andn2_b64 vcc, exec, s[2:3]
	v_mov_b32_e32 v108, 0
	s_cbranch_vccnz .LBB174_109
; %bb.108:
	v_lshl_add_u64 v[110:111], v[106:107], 0, v[150:151]
	global_load_dwordx2 v[110:111], v[110:111], off
	v_lshl_add_u64 v[112:113], v[104:105], 0, v[150:151]
	v_lshl_add_u64 v[106:107], v[136:137], 3, v[106:107]
	s_waitcnt vmcnt(0)
	v_mul_f64 v[110:111], s[16:17], v[110:111]
	v_cvt_f32_f64_e32 v108, v[110:111]
	v_min_f32_e32 v108, v108, v109
	v_cvt_f64_f32_e32 v[108:109], v108
	global_store_dwordx2 v[112:113], v[108:109], off
	global_load_dwordx2 v[106:107], v[106:107], off
	s_waitcnt vmcnt(0)
	v_mul_f64 v[106:107], s[16:17], v[106:107]
	v_cvt_f32_f64_e32 v108, v[106:107]
.LBB174_109:
	v_add_f64 v[102:103], v[2:3], v[102:103]
	v_add_f64 v[100:101], v[0:1], v[100:101]
	v_cvt_f32_f64_e32 v100, v[100:101]
	v_cvt_f32_f64_e32 v101, v[102:103]
	v_add_f64 v[98:99], v[10:11], v[98:99]
	v_add_f64 v[96:97], v[8:9], v[96:97]
	v_min3_f32 v106, v100, v101, v190
	s_waitcnt lgkmcnt(7)
	v_add_f64 v[100:101], v[70:71], v[94:95]
	v_add_f64 v[102:103], v[68:69], v[92:93]
	v_cvt_f32_f64_e32 v96, v[96:97]
	v_cvt_f32_f64_e32 v97, v[98:99]
	;; [unrolled: 1-line block ×4, first 2 shown]
	v_min_f32_e32 v101, v96, v97
	s_waitcnt lgkmcnt(6)
	v_add_f64 v[96:97], v[66:67], v[90:91]
	v_add_f64 v[98:99], v[64:65], v[88:89]
	v_min3_f32 v100, v102, v100, v189
	v_cvt_f32_f64_e32 v98, v[98:99]
	v_cvt_f32_f64_e32 v96, v[96:97]
	v_min3_f32 v100, v98, v96, v100
	v_min3_f32 v96, v108, v101, v106
	v_cvt_f64_f32_e32 v[96:97], v96
	v_lshl_add_u64 v[98:99], v[136:137], 3, v[104:105]
	global_store_dwordx2 v[98:99], v[96:97], off
	v_add_u32_e32 v98, 0x80, v205
	v_mad_i64_i32 v[96:97], s[2:3], v98, s5, 0
	v_mad_i64_i32 v[98:99], s[2:3], v98, s4, 0
	v_lshl_add_u64 v[96:97], v[96:97], 3, s[0:1]
	s_mov_b64 s[2:3], -1
	v_max_f32_e32 v101, v100, v100
	s_mov_b64 vcc, s[8:9]
	s_cbranch_vccz .LBB174_111
; %bb.110:
	v_min_f32_e32 v100, 0, v101
	v_cvt_f64_f32_e32 v[102:103], v100
	v_lshl_add_u64 v[104:105], v[134:135], 3, v[96:97]
	global_store_dwordx2 v[104:105], v[102:103], off
	s_mov_b64 s[2:3], 0
.LBB174_111:
	v_lshl_add_u64 v[98:99], v[98:99], 3, s[10:11]
	s_andn2_b64 vcc, exec, s[2:3]
	v_mov_b32_e32 v100, 0
	s_cbranch_vccnz .LBB174_113
; %bb.112:
	v_lshl_add_u64 v[102:103], v[98:99], 0, v[138:139]
	global_load_dwordx2 v[102:103], v[102:103], off
	v_lshl_add_u64 v[104:105], v[96:97], 0, v[138:139]
	s_waitcnt vmcnt(0)
	v_mul_f64 v[102:103], s[16:17], v[102:103]
	v_cvt_f32_f64_e32 v100, v[102:103]
	v_min_f32_e32 v100, v100, v101
	v_cvt_f64_f32_e32 v[100:101], v100
	global_store_dwordx2 v[104:105], v[100:101], off
	v_lshl_add_u64 v[100:101], v[128:129], 3, v[98:99]
	global_load_dwordx2 v[100:101], v[100:101], off
	s_waitcnt vmcnt(0)
	v_mul_f64 v[100:101], s[16:17], v[100:101]
	v_cvt_f32_f64_e32 v100, v[100:101]
.LBB174_113:
	v_add_f64 v[102:103], v[62:63], v[94:95]
	v_add_f64 v[104:105], v[60:61], v[92:93]
	v_cvt_f32_f64_e32 v101, v[104:105]
	v_cvt_f32_f64_e32 v102, v[102:103]
	v_min3_f32 v101, v101, v102, v188
	v_add_f64 v[102:103], v[58:59], v[94:95]
	v_add_f64 v[104:105], v[56:57], v[92:93]
	v_cvt_f32_f64_e32 v104, v[104:105]
	v_cvt_f32_f64_e32 v102, v[102:103]
	v_min3_f32 v106, v104, v102, v187
	v_add_f64 v[102:103], v[54:55], v[90:91]
	v_add_f64 v[104:105], v[52:53], v[88:89]
	v_cvt_f32_f64_e32 v104, v[104:105]
	v_cvt_f32_f64_e32 v102, v[102:103]
	v_min_f32_e32 v107, v104, v102
	v_add_f64 v[102:103], v[50:51], v[90:91]
	v_add_f64 v[104:105], v[48:49], v[88:89]
	v_cvt_f32_f64_e32 v104, v[104:105]
	v_cvt_f32_f64_e32 v102, v[102:103]
	v_min3_f32 v100, v100, v107, v101
	v_min3_f32 v104, v104, v102, v106
	v_cvt_f64_f32_e32 v[100:101], v100
	v_lshl_add_u64 v[102:103], v[128:129], 3, v[96:97]
	global_store_dwordx2 v[102:103], v[100:101], off
	s_mov_b64 s[2:3], -1
	v_max_f32_e32 v101, v104, v104
	s_mov_b64 vcc, s[8:9]
	s_cbranch_vccz .LBB174_115
; %bb.114:
	v_min_f32_e32 v100, 0, v101
	v_cvt_f64_f32_e32 v[102:103], v100
	v_lshl_add_u64 v[104:105], v[140:141], 3, v[96:97]
	global_store_dwordx2 v[104:105], v[102:103], off
	s_mov_b64 s[2:3], 0
.LBB174_115:
	s_andn2_b64 vcc, exec, s[2:3]
	v_mov_b32_e32 v100, 0
	s_cbranch_vccnz .LBB174_117
; %bb.116:
	v_lshl_add_u64 v[102:103], v[98:99], 0, v[144:145]
	global_load_dwordx2 v[102:103], v[102:103], off
	v_lshl_add_u64 v[104:105], v[96:97], 0, v[144:145]
	s_waitcnt vmcnt(0)
	v_mul_f64 v[102:103], s[16:17], v[102:103]
	v_cvt_f32_f64_e32 v100, v[102:103]
	v_min_f32_e32 v100, v100, v101
	v_cvt_f64_f32_e32 v[100:101], v100
	global_store_dwordx2 v[104:105], v[100:101], off
	v_lshl_add_u64 v[100:101], v[130:131], 3, v[98:99]
	global_load_dwordx2 v[100:101], v[100:101], off
	s_waitcnt vmcnt(0)
	v_mul_f64 v[100:101], s[16:17], v[100:101]
	v_cvt_f32_f64_e32 v100, v[100:101]
.LBB174_117:
	v_add_f64 v[102:103], v[42:43], v[94:95]
	v_add_f64 v[104:105], v[40:41], v[92:93]
	v_cvt_f32_f64_e32 v101, v[104:105]
	v_cvt_f32_f64_e32 v102, v[102:103]
	v_min3_f32 v101, v101, v102, v186
	v_add_f64 v[102:103], v[46:47], v[94:95]
	v_add_f64 v[104:105], v[44:45], v[92:93]
	v_cvt_f32_f64_e32 v104, v[104:105]
	v_cvt_f32_f64_e32 v102, v[102:103]
	v_min3_f32 v106, v104, v102, v185
	v_add_f64 v[102:103], v[38:39], v[90:91]
	v_add_f64 v[104:105], v[36:37], v[88:89]
	v_cvt_f32_f64_e32 v104, v[104:105]
	v_cvt_f32_f64_e32 v102, v[102:103]
	v_min_f32_e32 v107, v104, v102
	v_add_f64 v[102:103], v[34:35], v[90:91]
	v_add_f64 v[104:105], v[32:33], v[88:89]
	v_cvt_f32_f64_e32 v104, v[104:105]
	v_cvt_f32_f64_e32 v102, v[102:103]
	v_min3_f32 v100, v100, v107, v101
	v_min3_f32 v104, v104, v102, v106
	v_cvt_f64_f32_e32 v[100:101], v100
	v_lshl_add_u64 v[102:103], v[130:131], 3, v[96:97]
	global_store_dwordx2 v[102:103], v[100:101], off
	s_mov_b64 s[2:3], -1
	v_max_f32_e32 v101, v104, v104
	s_mov_b64 vcc, s[8:9]
	s_cbranch_vccz .LBB174_119
; %bb.118:
	v_min_f32_e32 v100, 0, v101
	v_cvt_f64_f32_e32 v[102:103], v100
	v_lshl_add_u64 v[104:105], v[142:143], 3, v[96:97]
	global_store_dwordx2 v[104:105], v[102:103], off
	s_mov_b64 s[2:3], 0
.LBB174_119:
	;; [unrolled: 54-line block ×3, first 2 shown]
	s_andn2_b64 vcc, exec, s[2:3]
	v_mov_b32_e32 v100, 0
	s_cbranch_vccnz .LBB174_125
; %bb.124:
	v_lshl_add_u64 v[102:103], v[98:99], 0, v[150:151]
	global_load_dwordx2 v[102:103], v[102:103], off
	v_lshl_add_u64 v[104:105], v[96:97], 0, v[150:151]
	v_lshl_add_u64 v[98:99], v[136:137], 3, v[98:99]
	s_waitcnt vmcnt(0)
	v_mul_f64 v[102:103], s[16:17], v[102:103]
	v_cvt_f32_f64_e32 v100, v[102:103]
	v_min_f32_e32 v100, v100, v101
	v_cvt_f64_f32_e32 v[100:101], v100
	global_store_dwordx2 v[104:105], v[100:101], off
	global_load_dwordx2 v[98:99], v[98:99], off
	s_waitcnt vmcnt(0)
	v_mul_f64 v[98:99], s[16:17], v[98:99]
	v_cvt_f32_f64_e32 v100, v[98:99]
.LBB174_125:
	v_add_f64 v[94:95], v[2:3], v[94:95]
	v_add_f64 v[92:93], v[0:1], v[92:93]
	v_cvt_f32_f64_e32 v92, v[92:93]
	v_cvt_f32_f64_e32 v93, v[94:95]
	v_add_f64 v[90:91], v[10:11], v[90:91]
	v_add_f64 v[88:89], v[8:9], v[88:89]
	v_min3_f32 v98, v92, v93, v182
	s_waitcnt lgkmcnt(5)
	v_add_f64 v[92:93], v[70:71], v[86:87]
	v_add_f64 v[94:95], v[68:69], v[84:85]
	v_cvt_f32_f64_e32 v88, v[88:89]
	v_cvt_f32_f64_e32 v89, v[90:91]
	;; [unrolled: 1-line block ×4, first 2 shown]
	v_min_f32_e32 v93, v88, v89
	s_waitcnt lgkmcnt(4)
	v_add_f64 v[88:89], v[66:67], v[82:83]
	v_add_f64 v[90:91], v[64:65], v[80:81]
	v_min3_f32 v92, v94, v92, v181
	v_cvt_f32_f64_e32 v90, v[90:91]
	v_cvt_f32_f64_e32 v88, v[88:89]
	v_min3_f32 v92, v90, v88, v92
	v_min3_f32 v88, v100, v93, v98
	v_cvt_f64_f32_e32 v[88:89], v88
	v_lshl_add_u64 v[90:91], v[136:137], 3, v[96:97]
	global_store_dwordx2 v[90:91], v[88:89], off
	v_add_u32_e32 v90, 0xa0, v205
	v_mad_i64_i32 v[88:89], s[2:3], v90, s5, 0
	v_mad_i64_i32 v[90:91], s[2:3], v90, s4, 0
	v_lshl_add_u64 v[88:89], v[88:89], 3, s[0:1]
	s_mov_b64 s[2:3], -1
	v_max_f32_e32 v93, v92, v92
	s_mov_b64 vcc, s[8:9]
	s_cbranch_vccz .LBB174_127
; %bb.126:
	v_min_f32_e32 v92, 0, v93
	v_cvt_f64_f32_e32 v[94:95], v92
	v_lshl_add_u64 v[96:97], v[134:135], 3, v[88:89]
	global_store_dwordx2 v[96:97], v[94:95], off
	s_mov_b64 s[2:3], 0
.LBB174_127:
	v_lshl_add_u64 v[90:91], v[90:91], 3, s[10:11]
	s_andn2_b64 vcc, exec, s[2:3]
	v_mov_b32_e32 v92, 0
	s_cbranch_vccnz .LBB174_129
; %bb.128:
	v_lshl_add_u64 v[94:95], v[90:91], 0, v[138:139]
	global_load_dwordx2 v[94:95], v[94:95], off
	v_lshl_add_u64 v[96:97], v[88:89], 0, v[138:139]
	s_waitcnt vmcnt(0)
	v_mul_f64 v[94:95], s[16:17], v[94:95]
	v_cvt_f32_f64_e32 v92, v[94:95]
	v_min_f32_e32 v92, v92, v93
	v_cvt_f64_f32_e32 v[92:93], v92
	global_store_dwordx2 v[96:97], v[92:93], off
	v_lshl_add_u64 v[92:93], v[128:129], 3, v[90:91]
	global_load_dwordx2 v[92:93], v[92:93], off
	s_waitcnt vmcnt(0)
	v_mul_f64 v[92:93], s[16:17], v[92:93]
	v_cvt_f32_f64_e32 v92, v[92:93]
.LBB174_129:
	v_add_f64 v[94:95], v[62:63], v[86:87]
	v_add_f64 v[96:97], v[60:61], v[84:85]
	v_cvt_f32_f64_e32 v93, v[96:97]
	v_cvt_f32_f64_e32 v94, v[94:95]
	v_min3_f32 v93, v93, v94, v180
	v_add_f64 v[94:95], v[58:59], v[86:87]
	v_add_f64 v[96:97], v[56:57], v[84:85]
	v_cvt_f32_f64_e32 v96, v[96:97]
	v_cvt_f32_f64_e32 v94, v[94:95]
	v_min3_f32 v98, v96, v94, v179
	v_add_f64 v[94:95], v[54:55], v[82:83]
	v_add_f64 v[96:97], v[52:53], v[80:81]
	v_cvt_f32_f64_e32 v96, v[96:97]
	v_cvt_f32_f64_e32 v94, v[94:95]
	v_min_f32_e32 v99, v96, v94
	v_add_f64 v[94:95], v[50:51], v[82:83]
	v_add_f64 v[96:97], v[48:49], v[80:81]
	v_cvt_f32_f64_e32 v96, v[96:97]
	v_cvt_f32_f64_e32 v94, v[94:95]
	v_min3_f32 v92, v92, v99, v93
	v_min3_f32 v96, v96, v94, v98
	v_cvt_f64_f32_e32 v[92:93], v92
	v_lshl_add_u64 v[94:95], v[128:129], 3, v[88:89]
	global_store_dwordx2 v[94:95], v[92:93], off
	s_mov_b64 s[2:3], -1
	v_max_f32_e32 v93, v96, v96
	s_mov_b64 vcc, s[8:9]
	s_cbranch_vccz .LBB174_131
; %bb.130:
	v_min_f32_e32 v92, 0, v93
	v_cvt_f64_f32_e32 v[94:95], v92
	v_lshl_add_u64 v[96:97], v[140:141], 3, v[88:89]
	global_store_dwordx2 v[96:97], v[94:95], off
	s_mov_b64 s[2:3], 0
.LBB174_131:
	s_andn2_b64 vcc, exec, s[2:3]
	v_mov_b32_e32 v92, 0
	s_cbranch_vccnz .LBB174_133
; %bb.132:
	v_lshl_add_u64 v[94:95], v[90:91], 0, v[144:145]
	global_load_dwordx2 v[94:95], v[94:95], off
	v_lshl_add_u64 v[96:97], v[88:89], 0, v[144:145]
	s_waitcnt vmcnt(0)
	v_mul_f64 v[94:95], s[16:17], v[94:95]
	v_cvt_f32_f64_e32 v92, v[94:95]
	v_min_f32_e32 v92, v92, v93
	v_cvt_f64_f32_e32 v[92:93], v92
	global_store_dwordx2 v[96:97], v[92:93], off
	v_lshl_add_u64 v[92:93], v[130:131], 3, v[90:91]
	global_load_dwordx2 v[92:93], v[92:93], off
	s_waitcnt vmcnt(0)
	v_mul_f64 v[92:93], s[16:17], v[92:93]
	v_cvt_f32_f64_e32 v92, v[92:93]
.LBB174_133:
	v_add_f64 v[94:95], v[42:43], v[86:87]
	v_add_f64 v[96:97], v[40:41], v[84:85]
	v_cvt_f32_f64_e32 v93, v[96:97]
	v_cvt_f32_f64_e32 v94, v[94:95]
	v_min3_f32 v93, v93, v94, v178
	v_add_f64 v[94:95], v[46:47], v[86:87]
	v_add_f64 v[96:97], v[44:45], v[84:85]
	v_cvt_f32_f64_e32 v96, v[96:97]
	v_cvt_f32_f64_e32 v94, v[94:95]
	v_min3_f32 v98, v96, v94, v177
	v_add_f64 v[94:95], v[38:39], v[82:83]
	v_add_f64 v[96:97], v[36:37], v[80:81]
	v_cvt_f32_f64_e32 v96, v[96:97]
	v_cvt_f32_f64_e32 v94, v[94:95]
	v_min_f32_e32 v99, v96, v94
	v_add_f64 v[94:95], v[34:35], v[82:83]
	v_add_f64 v[96:97], v[32:33], v[80:81]
	v_cvt_f32_f64_e32 v96, v[96:97]
	v_cvt_f32_f64_e32 v94, v[94:95]
	v_min3_f32 v92, v92, v99, v93
	v_min3_f32 v96, v96, v94, v98
	v_cvt_f64_f32_e32 v[92:93], v92
	v_lshl_add_u64 v[94:95], v[130:131], 3, v[88:89]
	global_store_dwordx2 v[94:95], v[92:93], off
	s_mov_b64 s[2:3], -1
	v_max_f32_e32 v93, v96, v96
	s_mov_b64 vcc, s[8:9]
	s_cbranch_vccz .LBB174_135
; %bb.134:
	v_min_f32_e32 v92, 0, v93
	v_cvt_f64_f32_e32 v[94:95], v92
	v_lshl_add_u64 v[96:97], v[142:143], 3, v[88:89]
	global_store_dwordx2 v[96:97], v[94:95], off
	s_mov_b64 s[2:3], 0
.LBB174_135:
	;; [unrolled: 54-line block ×3, first 2 shown]
	s_andn2_b64 vcc, exec, s[2:3]
	v_mov_b32_e32 v92, 0
	s_cbranch_vccnz .LBB174_141
; %bb.140:
	v_lshl_add_u64 v[94:95], v[90:91], 0, v[150:151]
	global_load_dwordx2 v[94:95], v[94:95], off
	v_lshl_add_u64 v[96:97], v[88:89], 0, v[150:151]
	v_lshl_add_u64 v[90:91], v[136:137], 3, v[90:91]
	s_waitcnt vmcnt(0)
	v_mul_f64 v[94:95], s[16:17], v[94:95]
	v_cvt_f32_f64_e32 v92, v[94:95]
	v_min_f32_e32 v92, v92, v93
	v_cvt_f64_f32_e32 v[92:93], v92
	global_store_dwordx2 v[96:97], v[92:93], off
	global_load_dwordx2 v[90:91], v[90:91], off
	s_waitcnt vmcnt(0)
	v_mul_f64 v[90:91], s[16:17], v[90:91]
	v_cvt_f32_f64_e32 v92, v[90:91]
.LBB174_141:
	v_add_f64 v[86:87], v[2:3], v[86:87]
	v_add_f64 v[84:85], v[0:1], v[84:85]
	v_cvt_f32_f64_e32 v84, v[84:85]
	v_cvt_f32_f64_e32 v85, v[86:87]
	v_add_f64 v[82:83], v[10:11], v[82:83]
	v_add_f64 v[80:81], v[8:9], v[80:81]
	v_min3_f32 v90, v84, v85, v174
	s_waitcnt lgkmcnt(3)
	v_add_f64 v[84:85], v[70:71], v[78:79]
	v_add_f64 v[86:87], v[68:69], v[76:77]
	v_cvt_f32_f64_e32 v80, v[80:81]
	v_cvt_f32_f64_e32 v81, v[82:83]
	;; [unrolled: 1-line block ×4, first 2 shown]
	v_min_f32_e32 v85, v80, v81
	s_waitcnt lgkmcnt(2)
	v_add_f64 v[80:81], v[66:67], v[74:75]
	v_add_f64 v[82:83], v[64:65], v[72:73]
	v_min3_f32 v84, v86, v84, v173
	v_cvt_f32_f64_e32 v82, v[82:83]
	v_cvt_f32_f64_e32 v80, v[80:81]
	v_min3_f32 v84, v82, v80, v84
	v_min3_f32 v80, v92, v85, v90
	v_cvt_f64_f32_e32 v[80:81], v80
	v_lshl_add_u64 v[82:83], v[136:137], 3, v[88:89]
	global_store_dwordx2 v[82:83], v[80:81], off
	v_add_u32_e32 v82, 0xc0, v205
	v_mad_i64_i32 v[80:81], s[2:3], v82, s5, 0
	v_mad_i64_i32 v[82:83], s[2:3], v82, s4, 0
	v_lshl_add_u64 v[80:81], v[80:81], 3, s[0:1]
	s_mov_b64 s[2:3], -1
	v_max_f32_e32 v85, v84, v84
	s_mov_b64 vcc, s[8:9]
	s_cbranch_vccz .LBB174_143
; %bb.142:
	v_min_f32_e32 v84, 0, v85
	v_cvt_f64_f32_e32 v[86:87], v84
	v_lshl_add_u64 v[88:89], v[134:135], 3, v[80:81]
	global_store_dwordx2 v[88:89], v[86:87], off
	s_mov_b64 s[2:3], 0
.LBB174_143:
	v_lshl_add_u64 v[82:83], v[82:83], 3, s[10:11]
	s_andn2_b64 vcc, exec, s[2:3]
	v_mov_b32_e32 v84, 0
	s_cbranch_vccnz .LBB174_145
; %bb.144:
	v_lshl_add_u64 v[86:87], v[82:83], 0, v[138:139]
	global_load_dwordx2 v[86:87], v[86:87], off
	v_lshl_add_u64 v[88:89], v[80:81], 0, v[138:139]
	s_waitcnt vmcnt(0)
	v_mul_f64 v[86:87], s[16:17], v[86:87]
	v_cvt_f32_f64_e32 v84, v[86:87]
	v_min_f32_e32 v84, v84, v85
	v_cvt_f64_f32_e32 v[84:85], v84
	global_store_dwordx2 v[88:89], v[84:85], off
	v_lshl_add_u64 v[84:85], v[128:129], 3, v[82:83]
	global_load_dwordx2 v[84:85], v[84:85], off
	s_waitcnt vmcnt(0)
	v_mul_f64 v[84:85], s[16:17], v[84:85]
	v_cvt_f32_f64_e32 v84, v[84:85]
.LBB174_145:
	v_add_f64 v[86:87], v[62:63], v[78:79]
	v_add_f64 v[88:89], v[60:61], v[76:77]
	v_cvt_f32_f64_e32 v85, v[88:89]
	v_cvt_f32_f64_e32 v86, v[86:87]
	v_min3_f32 v85, v85, v86, v172
	v_add_f64 v[86:87], v[58:59], v[78:79]
	v_add_f64 v[88:89], v[56:57], v[76:77]
	v_cvt_f32_f64_e32 v88, v[88:89]
	v_cvt_f32_f64_e32 v86, v[86:87]
	v_min3_f32 v90, v88, v86, v171
	v_add_f64 v[86:87], v[54:55], v[74:75]
	v_add_f64 v[88:89], v[52:53], v[72:73]
	v_cvt_f32_f64_e32 v88, v[88:89]
	v_cvt_f32_f64_e32 v86, v[86:87]
	v_min_f32_e32 v91, v88, v86
	v_add_f64 v[86:87], v[50:51], v[74:75]
	v_add_f64 v[88:89], v[48:49], v[72:73]
	v_cvt_f32_f64_e32 v88, v[88:89]
	v_cvt_f32_f64_e32 v86, v[86:87]
	v_min3_f32 v84, v84, v91, v85
	v_min3_f32 v88, v88, v86, v90
	v_cvt_f64_f32_e32 v[84:85], v84
	v_lshl_add_u64 v[86:87], v[128:129], 3, v[80:81]
	global_store_dwordx2 v[86:87], v[84:85], off
	s_mov_b64 s[2:3], -1
	v_max_f32_e32 v85, v88, v88
	s_mov_b64 vcc, s[8:9]
	s_cbranch_vccz .LBB174_147
; %bb.146:
	v_min_f32_e32 v84, 0, v85
	v_cvt_f64_f32_e32 v[86:87], v84
	v_lshl_add_u64 v[88:89], v[140:141], 3, v[80:81]
	global_store_dwordx2 v[88:89], v[86:87], off
	s_mov_b64 s[2:3], 0
.LBB174_147:
	s_andn2_b64 vcc, exec, s[2:3]
	v_mov_b32_e32 v84, 0
	s_cbranch_vccnz .LBB174_149
; %bb.148:
	v_lshl_add_u64 v[86:87], v[82:83], 0, v[144:145]
	global_load_dwordx2 v[86:87], v[86:87], off
	v_lshl_add_u64 v[88:89], v[80:81], 0, v[144:145]
	s_waitcnt vmcnt(0)
	v_mul_f64 v[86:87], s[16:17], v[86:87]
	v_cvt_f32_f64_e32 v84, v[86:87]
	v_min_f32_e32 v84, v84, v85
	v_cvt_f64_f32_e32 v[84:85], v84
	global_store_dwordx2 v[88:89], v[84:85], off
	v_lshl_add_u64 v[84:85], v[130:131], 3, v[82:83]
	global_load_dwordx2 v[84:85], v[84:85], off
	s_waitcnt vmcnt(0)
	v_mul_f64 v[84:85], s[16:17], v[84:85]
	v_cvt_f32_f64_e32 v84, v[84:85]
.LBB174_149:
	v_add_f64 v[86:87], v[42:43], v[78:79]
	v_add_f64 v[88:89], v[40:41], v[76:77]
	v_cvt_f32_f64_e32 v85, v[88:89]
	v_cvt_f32_f64_e32 v86, v[86:87]
	v_min3_f32 v85, v85, v86, v170
	v_add_f64 v[86:87], v[46:47], v[78:79]
	v_add_f64 v[88:89], v[44:45], v[76:77]
	v_cvt_f32_f64_e32 v88, v[88:89]
	v_cvt_f32_f64_e32 v86, v[86:87]
	v_min3_f32 v90, v88, v86, v169
	v_add_f64 v[86:87], v[38:39], v[74:75]
	v_add_f64 v[88:89], v[36:37], v[72:73]
	v_cvt_f32_f64_e32 v88, v[88:89]
	v_cvt_f32_f64_e32 v86, v[86:87]
	v_min_f32_e32 v91, v88, v86
	v_add_f64 v[86:87], v[34:35], v[74:75]
	v_add_f64 v[88:89], v[32:33], v[72:73]
	v_cvt_f32_f64_e32 v88, v[88:89]
	v_cvt_f32_f64_e32 v86, v[86:87]
	v_min3_f32 v84, v84, v91, v85
	v_min3_f32 v88, v88, v86, v90
	v_cvt_f64_f32_e32 v[84:85], v84
	v_lshl_add_u64 v[86:87], v[130:131], 3, v[80:81]
	global_store_dwordx2 v[86:87], v[84:85], off
	s_mov_b64 s[2:3], -1
	v_max_f32_e32 v85, v88, v88
	s_mov_b64 vcc, s[8:9]
	s_cbranch_vccz .LBB174_151
; %bb.150:
	v_min_f32_e32 v84, 0, v85
	v_cvt_f64_f32_e32 v[86:87], v84
	v_lshl_add_u64 v[88:89], v[142:143], 3, v[80:81]
	global_store_dwordx2 v[88:89], v[86:87], off
	s_mov_b64 s[2:3], 0
.LBB174_151:
	;; [unrolled: 54-line block ×3, first 2 shown]
	s_andn2_b64 vcc, exec, s[2:3]
	v_mov_b32_e32 v84, 0
	s_cbranch_vccnz .LBB174_157
; %bb.156:
	v_lshl_add_u64 v[86:87], v[82:83], 0, v[150:151]
	global_load_dwordx2 v[86:87], v[86:87], off
	v_lshl_add_u64 v[88:89], v[80:81], 0, v[150:151]
	v_lshl_add_u64 v[82:83], v[136:137], 3, v[82:83]
	s_waitcnt vmcnt(0)
	v_mul_f64 v[86:87], s[16:17], v[86:87]
	v_cvt_f32_f64_e32 v84, v[86:87]
	v_min_f32_e32 v84, v84, v85
	v_cvt_f64_f32_e32 v[84:85], v84
	global_store_dwordx2 v[88:89], v[84:85], off
	global_load_dwordx2 v[82:83], v[82:83], off
	s_waitcnt vmcnt(0)
	v_mul_f64 v[82:83], s[16:17], v[82:83]
	v_cvt_f32_f64_e32 v84, v[82:83]
.LBB174_157:
	v_add_f64 v[78:79], v[2:3], v[78:79]
	v_add_f64 v[76:77], v[0:1], v[76:77]
	s_waitcnt lgkmcnt(1)
	v_add_f64 v[70:71], v[70:71], v[6:7]
	v_add_f64 v[68:69], v[68:69], v[4:5]
	v_cvt_f32_f64_e32 v76, v[76:77]
	v_cvt_f32_f64_e32 v77, v[78:79]
	;; [unrolled: 1-line block ×4, first 2 shown]
	v_min3_f32 v76, v76, v77, v166
	v_min3_f32 v77, v68, v69, v165
	v_add_f64 v[68:69], v[10:11], v[74:75]
	v_add_f64 v[70:71], v[8:9], v[72:73]
	v_cvt_f32_f64_e32 v70, v[70:71]
	v_cvt_f32_f64_e32 v68, v[68:69]
	s_waitcnt lgkmcnt(0)
	v_add_f64 v[66:67], v[66:67], v[14:15]
	v_add_f64 v[64:65], v[64:65], v[12:13]
	v_min_f32_e32 v68, v70, v68
	v_cvt_f32_f64_e32 v64, v[64:65]
	v_cvt_f32_f64_e32 v65, v[66:67]
	v_min3_f32 v69, v64, v65, v77
	v_min3_f32 v64, v84, v68, v76
	v_cvt_f64_f32_e32 v[64:65], v64
	v_lshl_add_u64 v[66:67], v[136:137], 3, v[80:81]
	global_store_dwordx2 v[66:67], v[64:65], off
	v_add_u32_e32 v66, 0xe0, v205
	v_mad_i64_i32 v[64:65], s[2:3], v66, s5, 0
	v_lshl_add_u64 v[64:65], v[64:65], 3, s[0:1]
	v_mad_i64_i32 v[66:67], s[0:1], v66, s4, 0
	s_mov_b64 s[0:1], -1
	v_max_f32_e32 v69, v69, v69
	s_mov_b64 vcc, s[8:9]
	s_cbranch_vccz .LBB174_159
; %bb.158:
	v_min_f32_e32 v68, 0, v69
	v_cvt_f64_f32_e32 v[70:71], v68
	v_lshl_add_u64 v[72:73], v[134:135], 3, v[64:65]
	global_store_dwordx2 v[72:73], v[70:71], off
	s_mov_b64 s[0:1], 0
.LBB174_159:
	v_lshl_add_u64 v[66:67], v[66:67], 3, s[10:11]
	s_andn2_b64 vcc, exec, s[0:1]
	v_mov_b32_e32 v68, 0
	s_cbranch_vccnz .LBB174_161
; %bb.160:
	v_lshl_add_u64 v[70:71], v[66:67], 0, v[138:139]
	global_load_dwordx2 v[70:71], v[70:71], off
	v_lshl_add_u64 v[72:73], v[64:65], 0, v[138:139]
	s_waitcnt vmcnt(0)
	v_mul_f64 v[70:71], s[16:17], v[70:71]
	v_cvt_f32_f64_e32 v68, v[70:71]
	v_min_f32_e32 v68, v68, v69
	v_cvt_f64_f32_e32 v[68:69], v68
	global_store_dwordx2 v[72:73], v[68:69], off
	v_lshl_add_u64 v[68:69], v[128:129], 3, v[66:67]
	global_load_dwordx2 v[68:69], v[68:69], off
	s_waitcnt vmcnt(0)
	v_mul_f64 v[68:69], s[16:17], v[68:69]
	v_cvt_f32_f64_e32 v68, v[68:69]
.LBB174_161:
	v_add_f64 v[62:63], v[62:63], v[6:7]
	v_add_f64 v[60:61], v[60:61], v[4:5]
	;; [unrolled: 1-line block ×6, first 2 shown]
	v_cvt_f32_f64_e32 v60, v[60:61]
	v_cvt_f32_f64_e32 v61, v[62:63]
	;; [unrolled: 1-line block ×6, first 2 shown]
	v_add_f64 v[50:51], v[50:51], v[14:15]
	v_add_f64 v[48:49], v[48:49], v[12:13]
	v_min3_f32 v60, v60, v61, v164
	v_min3_f32 v56, v56, v57, v163
	v_min_f32_e32 v52, v52, v53
	v_cvt_f32_f64_e32 v48, v[48:49]
	v_cvt_f32_f64_e32 v49, v[50:51]
	v_min3_f32 v53, v48, v49, v56
	v_min3_f32 v48, v68, v52, v60
	v_cvt_f64_f32_e32 v[48:49], v48
	v_lshl_add_u64 v[50:51], v[128:129], 3, v[64:65]
	global_store_dwordx2 v[50:51], v[48:49], off
	s_mov_b64 s[0:1], -1
	v_max_f32_e32 v49, v53, v53
	s_mov_b64 vcc, s[8:9]
	s_cbranch_vccz .LBB174_163
; %bb.162:
	v_min_f32_e32 v48, 0, v49
	v_cvt_f64_f32_e32 v[50:51], v48
	v_lshl_add_u64 v[52:53], v[140:141], 3, v[64:65]
	global_store_dwordx2 v[52:53], v[50:51], off
	s_mov_b64 s[0:1], 0
.LBB174_163:
	s_andn2_b64 vcc, exec, s[0:1]
	v_mov_b32_e32 v48, 0
	s_cbranch_vccnz .LBB174_165
; %bb.164:
	v_lshl_add_u64 v[50:51], v[66:67], 0, v[144:145]
	global_load_dwordx2 v[50:51], v[50:51], off
	v_lshl_add_u64 v[52:53], v[64:65], 0, v[144:145]
	s_waitcnt vmcnt(0)
	v_mul_f64 v[50:51], s[16:17], v[50:51]
	v_cvt_f32_f64_e32 v48, v[50:51]
	v_min_f32_e32 v48, v48, v49
	v_cvt_f64_f32_e32 v[48:49], v48
	global_store_dwordx2 v[52:53], v[48:49], off
	v_lshl_add_u64 v[48:49], v[130:131], 3, v[66:67]
	global_load_dwordx2 v[48:49], v[48:49], off
	s_waitcnt vmcnt(0)
	v_mul_f64 v[48:49], s[16:17], v[48:49]
	v_cvt_f32_f64_e32 v48, v[48:49]
.LBB174_165:
	v_add_f64 v[42:43], v[42:43], v[6:7]
	v_add_f64 v[40:41], v[40:41], v[4:5]
	v_cvt_f32_f64_e32 v40, v[40:41]
	v_cvt_f32_f64_e32 v41, v[42:43]
	v_min3_f32 v49, v40, v41, v162
	v_add_f64 v[40:41], v[46:47], v[6:7]
	v_add_f64 v[42:43], v[44:45], v[4:5]
	;; [unrolled: 1-line block ×4, first 2 shown]
	v_cvt_f32_f64_e32 v42, v[42:43]
	v_cvt_f32_f64_e32 v40, v[40:41]
	;; [unrolled: 1-line block ×4, first 2 shown]
	v_add_f64 v[34:35], v[34:35], v[14:15]
	v_add_f64 v[32:33], v[32:33], v[12:13]
	v_min3_f32 v40, v42, v40, v161
	v_min_f32_e32 v36, v36, v37
	v_cvt_f32_f64_e32 v32, v[32:33]
	v_cvt_f32_f64_e32 v33, v[34:35]
	v_min3_f32 v37, v32, v33, v40
	v_min3_f32 v32, v48, v36, v49
	v_cvt_f64_f32_e32 v[32:33], v32
	v_lshl_add_u64 v[34:35], v[130:131], 3, v[64:65]
	global_store_dwordx2 v[34:35], v[32:33], off
	s_mov_b64 s[0:1], -1
	v_max_f32_e32 v33, v37, v37
	s_mov_b64 vcc, s[8:9]
	s_cbranch_vccz .LBB174_167
; %bb.166:
	v_min_f32_e32 v32, 0, v33
	v_cvt_f64_f32_e32 v[34:35], v32
	v_lshl_add_u64 v[36:37], v[142:143], 3, v[64:65]
	global_store_dwordx2 v[36:37], v[34:35], off
	s_mov_b64 s[0:1], 0
.LBB174_167:
	s_andn2_b64 vcc, exec, s[0:1]
	v_mov_b32_e32 v32, 0
	s_cbranch_vccnz .LBB174_169
; %bb.168:
	v_lshl_add_u64 v[34:35], v[66:67], 0, v[148:149]
	global_load_dwordx2 v[34:35], v[34:35], off
	v_lshl_add_u64 v[36:37], v[64:65], 0, v[148:149]
	s_waitcnt vmcnt(0)
	v_mul_f64 v[34:35], s[16:17], v[34:35]
	v_cvt_f32_f64_e32 v32, v[34:35]
	v_min_f32_e32 v32, v32, v33
	v_cvt_f64_f32_e32 v[32:33], v32
	global_store_dwordx2 v[36:37], v[32:33], off
	v_lshl_add_u64 v[32:33], v[132:133], 3, v[66:67]
	global_load_dwordx2 v[32:33], v[32:33], off
	s_waitcnt vmcnt(0)
	v_mul_f64 v[32:33], s[16:17], v[32:33]
	v_cvt_f32_f64_e32 v32, v[32:33]
.LBB174_169:
	v_add_f64 v[30:31], v[30:31], v[6:7]
	v_add_f64 v[28:29], v[28:29], v[4:5]
	;; [unrolled: 1-line block ×6, first 2 shown]
	v_cvt_f32_f64_e32 v28, v[28:29]
	v_cvt_f32_f64_e32 v29, v[30:31]
	;; [unrolled: 1-line block ×6, first 2 shown]
	v_add_f64 v[18:19], v[18:19], v[14:15]
	v_add_f64 v[16:17], v[16:17], v[12:13]
	v_min3_f32 v28, v28, v29, v160
	v_min3_f32 v24, v24, v25, v159
	v_min_f32_e32 v20, v20, v21
	v_cvt_f32_f64_e32 v16, v[16:17]
	v_cvt_f32_f64_e32 v17, v[18:19]
	v_min3_f32 v21, v16, v17, v24
	v_min3_f32 v16, v32, v20, v28
	v_cvt_f64_f32_e32 v[16:17], v16
	v_lshl_add_u64 v[18:19], v[132:133], 3, v[64:65]
	global_store_dwordx2 v[18:19], v[16:17], off
	s_mov_b64 s[0:1], -1
	v_max_f32_e32 v17, v21, v21
	s_mov_b64 vcc, s[8:9]
	s_cbranch_vccz .LBB174_171
; %bb.170:
	v_min_f32_e32 v16, 0, v17
	v_cvt_f64_f32_e32 v[18:19], v16
	v_lshl_add_u64 v[20:21], v[146:147], 3, v[64:65]
	global_store_dwordx2 v[20:21], v[18:19], off
	s_mov_b64 s[0:1], 0
.LBB174_171:
	s_andn2_b64 vcc, exec, s[0:1]
	v_mov_b32_e32 v16, 0
	s_cbranch_vccnz .LBB174_173
; %bb.172:
	v_lshl_add_u64 v[18:19], v[66:67], 0, v[150:151]
	global_load_dwordx2 v[18:19], v[18:19], off
	v_lshl_add_u64 v[20:21], v[64:65], 0, v[150:151]
	s_waitcnt vmcnt(0)
	v_mul_f64 v[18:19], s[16:17], v[18:19]
	v_cvt_f32_f64_e32 v16, v[18:19]
	v_min_f32_e32 v16, v16, v17
	v_cvt_f64_f32_e32 v[16:17], v16
	global_store_dwordx2 v[20:21], v[16:17], off
	v_lshl_add_u64 v[16:17], v[136:137], 3, v[66:67]
	global_load_dwordx2 v[16:17], v[16:17], off
	s_waitcnt vmcnt(0)
	v_mul_f64 v[16:17], s[16:17], v[16:17]
	v_cvt_f32_f64_e32 v16, v[16:17]
.LBB174_173:
	v_add_f64 v[10:11], v[10:11], v[14:15]
	v_add_f64 v[8:9], v[8:9], v[12:13]
	;; [unrolled: 1-line block ×4, first 2 shown]
	v_cvt_f32_f64_e32 v8, v[8:9]
	v_cvt_f32_f64_e32 v9, v[10:11]
	;; [unrolled: 1-line block ×4, first 2 shown]
	v_min_f32_e32 v8, v8, v9
	v_min3_f32 v0, v0, v1, v158
	v_min3_f32 v0, v16, v8, v0
	v_cvt_f64_f32_e32 v[0:1], v0
	v_lshl_add_u64 v[2:3], v[136:137], 3, v[64:65]
	global_store_dwordx2 v[2:3], v[0:1], off
	s_endpgm
	.section	.rodata,"a",@progbits
	.p2align	6, 0x0
	.amdhsa_kernel _ZN12_GLOBAL__N_120geam_min_plus_kernelId15HIP_vector_typeIdLj2EEdLi8ELi32ELi64ELi256ELi4ELi4ELi64ELi64ELi4ELc84ELc84ELb0ELb0ELb1EPKdS3_dEEviiiT16_PT17_ilS7_ilS5_S7_ilPT18_ili26rocblas_geam_ex_operation_
		.amdhsa_group_segment_fixed_size 20480
		.amdhsa_private_segment_fixed_size 0
		.amdhsa_kernarg_size 136
		.amdhsa_user_sgpr_count 2
		.amdhsa_user_sgpr_dispatch_ptr 0
		.amdhsa_user_sgpr_queue_ptr 0
		.amdhsa_user_sgpr_kernarg_segment_ptr 1
		.amdhsa_user_sgpr_dispatch_id 0
		.amdhsa_user_sgpr_kernarg_preload_length 0
		.amdhsa_user_sgpr_kernarg_preload_offset 0
		.amdhsa_user_sgpr_private_segment_size 0
		.amdhsa_uses_dynamic_stack 0
		.amdhsa_enable_private_segment 0
		.amdhsa_system_sgpr_workgroup_id_x 1
		.amdhsa_system_sgpr_workgroup_id_y 0
		.amdhsa_system_sgpr_workgroup_id_z 1
		.amdhsa_system_sgpr_workgroup_info 0
		.amdhsa_system_vgpr_workitem_id 1
		.amdhsa_next_free_vgpr 230
		.amdhsa_next_free_sgpr 30
		.amdhsa_accum_offset 232
		.amdhsa_reserve_vcc 1
		.amdhsa_float_round_mode_32 0
		.amdhsa_float_round_mode_16_64 0
		.amdhsa_float_denorm_mode_32 3
		.amdhsa_float_denorm_mode_16_64 3
		.amdhsa_dx10_clamp 1
		.amdhsa_ieee_mode 1
		.amdhsa_fp16_overflow 0
		.amdhsa_tg_split 0
		.amdhsa_exception_fp_ieee_invalid_op 0
		.amdhsa_exception_fp_denorm_src 0
		.amdhsa_exception_fp_ieee_div_zero 0
		.amdhsa_exception_fp_ieee_overflow 0
		.amdhsa_exception_fp_ieee_underflow 0
		.amdhsa_exception_fp_ieee_inexact 0
		.amdhsa_exception_int_div_zero 0
	.end_amdhsa_kernel
	.section	.text._ZN12_GLOBAL__N_120geam_min_plus_kernelId15HIP_vector_typeIdLj2EEdLi8ELi32ELi64ELi256ELi4ELi4ELi64ELi64ELi4ELc84ELc84ELb0ELb0ELb1EPKdS3_dEEviiiT16_PT17_ilS7_ilS5_S7_ilPT18_ili26rocblas_geam_ex_operation_,"axG",@progbits,_ZN12_GLOBAL__N_120geam_min_plus_kernelId15HIP_vector_typeIdLj2EEdLi8ELi32ELi64ELi256ELi4ELi4ELi64ELi64ELi4ELc84ELc84ELb0ELb0ELb1EPKdS3_dEEviiiT16_PT17_ilS7_ilS5_S7_ilPT18_ili26rocblas_geam_ex_operation_,comdat
.Lfunc_end174:
	.size	_ZN12_GLOBAL__N_120geam_min_plus_kernelId15HIP_vector_typeIdLj2EEdLi8ELi32ELi64ELi256ELi4ELi4ELi64ELi64ELi4ELc84ELc84ELb0ELb0ELb1EPKdS3_dEEviiiT16_PT17_ilS7_ilS5_S7_ilPT18_ili26rocblas_geam_ex_operation_, .Lfunc_end174-_ZN12_GLOBAL__N_120geam_min_plus_kernelId15HIP_vector_typeIdLj2EEdLi8ELi32ELi64ELi256ELi4ELi4ELi64ELi64ELi4ELc84ELc84ELb0ELb0ELb1EPKdS3_dEEviiiT16_PT17_ilS7_ilS5_S7_ilPT18_ili26rocblas_geam_ex_operation_
                                        ; -- End function
	.set _ZN12_GLOBAL__N_120geam_min_plus_kernelId15HIP_vector_typeIdLj2EEdLi8ELi32ELi64ELi256ELi4ELi4ELi64ELi64ELi4ELc84ELc84ELb0ELb0ELb1EPKdS3_dEEviiiT16_PT17_ilS7_ilS5_S7_ilPT18_ili26rocblas_geam_ex_operation_.num_vgpr, 230
	.set _ZN12_GLOBAL__N_120geam_min_plus_kernelId15HIP_vector_typeIdLj2EEdLi8ELi32ELi64ELi256ELi4ELi4ELi64ELi64ELi4ELc84ELc84ELb0ELb0ELb1EPKdS3_dEEviiiT16_PT17_ilS7_ilS5_S7_ilPT18_ili26rocblas_geam_ex_operation_.num_agpr, 0
	.set _ZN12_GLOBAL__N_120geam_min_plus_kernelId15HIP_vector_typeIdLj2EEdLi8ELi32ELi64ELi256ELi4ELi4ELi64ELi64ELi4ELc84ELc84ELb0ELb0ELb1EPKdS3_dEEviiiT16_PT17_ilS7_ilS5_S7_ilPT18_ili26rocblas_geam_ex_operation_.numbered_sgpr, 30
	.set _ZN12_GLOBAL__N_120geam_min_plus_kernelId15HIP_vector_typeIdLj2EEdLi8ELi32ELi64ELi256ELi4ELi4ELi64ELi64ELi4ELc84ELc84ELb0ELb0ELb1EPKdS3_dEEviiiT16_PT17_ilS7_ilS5_S7_ilPT18_ili26rocblas_geam_ex_operation_.num_named_barrier, 0
	.set _ZN12_GLOBAL__N_120geam_min_plus_kernelId15HIP_vector_typeIdLj2EEdLi8ELi32ELi64ELi256ELi4ELi4ELi64ELi64ELi4ELc84ELc84ELb0ELb0ELb1EPKdS3_dEEviiiT16_PT17_ilS7_ilS5_S7_ilPT18_ili26rocblas_geam_ex_operation_.private_seg_size, 0
	.set _ZN12_GLOBAL__N_120geam_min_plus_kernelId15HIP_vector_typeIdLj2EEdLi8ELi32ELi64ELi256ELi4ELi4ELi64ELi64ELi4ELc84ELc84ELb0ELb0ELb1EPKdS3_dEEviiiT16_PT17_ilS7_ilS5_S7_ilPT18_ili26rocblas_geam_ex_operation_.uses_vcc, 1
	.set _ZN12_GLOBAL__N_120geam_min_plus_kernelId15HIP_vector_typeIdLj2EEdLi8ELi32ELi64ELi256ELi4ELi4ELi64ELi64ELi4ELc84ELc84ELb0ELb0ELb1EPKdS3_dEEviiiT16_PT17_ilS7_ilS5_S7_ilPT18_ili26rocblas_geam_ex_operation_.uses_flat_scratch, 0
	.set _ZN12_GLOBAL__N_120geam_min_plus_kernelId15HIP_vector_typeIdLj2EEdLi8ELi32ELi64ELi256ELi4ELi4ELi64ELi64ELi4ELc84ELc84ELb0ELb0ELb1EPKdS3_dEEviiiT16_PT17_ilS7_ilS5_S7_ilPT18_ili26rocblas_geam_ex_operation_.has_dyn_sized_stack, 0
	.set _ZN12_GLOBAL__N_120geam_min_plus_kernelId15HIP_vector_typeIdLj2EEdLi8ELi32ELi64ELi256ELi4ELi4ELi64ELi64ELi4ELc84ELc84ELb0ELb0ELb1EPKdS3_dEEviiiT16_PT17_ilS7_ilS5_S7_ilPT18_ili26rocblas_geam_ex_operation_.has_recursion, 0
	.set _ZN12_GLOBAL__N_120geam_min_plus_kernelId15HIP_vector_typeIdLj2EEdLi8ELi32ELi64ELi256ELi4ELi4ELi64ELi64ELi4ELc84ELc84ELb0ELb0ELb1EPKdS3_dEEviiiT16_PT17_ilS7_ilS5_S7_ilPT18_ili26rocblas_geam_ex_operation_.has_indirect_call, 0
	.section	.AMDGPU.csdata,"",@progbits
; Kernel info:
; codeLenInByte = 25280
; TotalNumSgprs: 36
; NumVgprs: 230
; NumAgprs: 0
; TotalNumVgprs: 230
; ScratchSize: 0
; MemoryBound: 1
; FloatMode: 240
; IeeeMode: 1
; LDSByteSize: 20480 bytes/workgroup (compile time only)
; SGPRBlocks: 4
; VGPRBlocks: 28
; NumSGPRsForWavesPerEU: 36
; NumVGPRsForWavesPerEU: 230
; AccumOffset: 232
; Occupancy: 2
; WaveLimiterHint : 1
; COMPUTE_PGM_RSRC2:SCRATCH_EN: 0
; COMPUTE_PGM_RSRC2:USER_SGPR: 2
; COMPUTE_PGM_RSRC2:TRAP_HANDLER: 0
; COMPUTE_PGM_RSRC2:TGID_X_EN: 1
; COMPUTE_PGM_RSRC2:TGID_Y_EN: 0
; COMPUTE_PGM_RSRC2:TGID_Z_EN: 1
; COMPUTE_PGM_RSRC2:TIDIG_COMP_CNT: 1
; COMPUTE_PGM_RSRC3_GFX90A:ACCUM_OFFSET: 57
; COMPUTE_PGM_RSRC3_GFX90A:TG_SPLIT: 0
	.section	.text._ZN12_GLOBAL__N_120geam_min_plus_kernelId15HIP_vector_typeIdLj2EEdLi8ELi32ELi64ELi256ELi4ELi4ELi64ELi64ELi4ELc84ELc84ELb1ELb0ELb1EdKddEEviiiT16_PT17_ilS6_ilS4_S6_ilPT18_ili26rocblas_geam_ex_operation_,"axG",@progbits,_ZN12_GLOBAL__N_120geam_min_plus_kernelId15HIP_vector_typeIdLj2EEdLi8ELi32ELi64ELi256ELi4ELi4ELi64ELi64ELi4ELc84ELc84ELb1ELb0ELb1EdKddEEviiiT16_PT17_ilS6_ilS4_S6_ilPT18_ili26rocblas_geam_ex_operation_,comdat
	.globl	_ZN12_GLOBAL__N_120geam_min_plus_kernelId15HIP_vector_typeIdLj2EEdLi8ELi32ELi64ELi256ELi4ELi4ELi64ELi64ELi4ELc84ELc84ELb1ELb0ELb1EdKddEEviiiT16_PT17_ilS6_ilS4_S6_ilPT18_ili26rocblas_geam_ex_operation_ ; -- Begin function _ZN12_GLOBAL__N_120geam_min_plus_kernelId15HIP_vector_typeIdLj2EEdLi8ELi32ELi64ELi256ELi4ELi4ELi64ELi64ELi4ELc84ELc84ELb1ELb0ELb1EdKddEEviiiT16_PT17_ilS6_ilS4_S6_ilPT18_ili26rocblas_geam_ex_operation_
	.p2align	8
	.type	_ZN12_GLOBAL__N_120geam_min_plus_kernelId15HIP_vector_typeIdLj2EEdLi8ELi32ELi64ELi256ELi4ELi4ELi64ELi64ELi4ELc84ELc84ELb1ELb0ELb1EdKddEEviiiT16_PT17_ilS6_ilS4_S6_ilPT18_ili26rocblas_geam_ex_operation_,@function
_ZN12_GLOBAL__N_120geam_min_plus_kernelId15HIP_vector_typeIdLj2EEdLi8ELi32ELi64ELi256ELi4ELi4ELi64ELi64ELi4ELc84ELc84ELb1ELb0ELb1EdKddEEviiiT16_PT17_ilS6_ilS4_S6_ilPT18_ili26rocblas_geam_ex_operation_: ; @_ZN12_GLOBAL__N_120geam_min_plus_kernelId15HIP_vector_typeIdLj2EEdLi8ELi32ELi64ELi256ELi4ELi4ELi64ELi64ELi4ELc84ELc84ELb1ELb0ELb1EdKddEEviiiT16_PT17_ilS6_ilS4_S6_ilPT18_ili26rocblas_geam_ex_operation_
; %bb.0:
	s_load_dwordx4 s[4:7], s[0:1], 0x10
	s_load_dwordx4 s[8:11], s[0:1], 0x28
	s_mov_b64 s[14:15], 0
	s_waitcnt lgkmcnt(0)
	v_cmp_eq_f64_e64 s[12:13], s[4:5], 0
	s_and_b64 vcc, exec, s[12:13]
	s_cbranch_vccnz .LBB175_2
; %bb.1:
	s_mul_i32 s4, s9, s3
	s_mul_hi_u32 s5, s8, s3
	s_add_i32 s5, s5, s4
	s_mul_i32 s4, s8, s3
	s_lshl_b64 s[4:5], s[4:5], 3
	s_add_u32 s14, s6, s4
	s_addc_u32 s15, s7, s5
.LBB175_2:
	s_load_dwordx4 s[4:7], s[0:1], 0x40
	s_load_dwordx2 s[18:19], s[0:1], 0x50
	s_andn2_b64 vcc, exec, s[12:13]
	s_mov_b64 s[8:9], -1
	s_cbranch_vccnz .LBB175_4
; %bb.3:
	s_mov_b64 s[8:9], 0
.LBB175_4:
	s_mov_b64 s[12:13], 0
	s_andn2_b64 vcc, exec, s[8:9]
	s_mov_b64 s[16:17], 0
	s_cbranch_vccnz .LBB175_6
; %bb.5:
	s_waitcnt lgkmcnt(0)
	s_mul_i32 s5, s5, s3
	s_mul_hi_u32 s8, s4, s3
	s_add_i32 s5, s8, s5
	s_mul_i32 s4, s4, s3
	s_lshl_b64 s[4:5], s[4:5], 3
	s_add_u32 s16, s10, s4
	s_addc_u32 s17, s11, s5
.LBB175_6:
	s_load_dwordx4 s[8:11], s[0:1], 0x60
	s_waitcnt lgkmcnt(0)
	v_cmp_eq_f64_e64 s[4:5], s[6:7], 0
	s_and_b64 s[4:5], exec, s[4:5]
	s_mov_b64 vcc, s[4:5]
	s_cbranch_vccnz .LBB175_8
; %bb.7:
	s_mul_i32 s9, s9, s3
	s_mul_hi_u32 s12, s8, s3
	s_add_i32 s9, s12, s9
	s_mul_i32 s8, s8, s3
	s_lshl_b64 s[8:9], s[8:9], 3
	s_add_u32 s12, s18, s8
	s_addc_u32 s13, s19, s9
.LBB175_8:
	s_load_dword s8, s[0:1], 0x0
	s_load_dword s18, s[0:1], 0x38
	;; [unrolled: 1-line block ×4, first 2 shown]
	v_and_b32_e32 v116, 0x3ff, v0
	s_waitcnt lgkmcnt(0)
	s_add_i32 s8, s8, -1
	s_ashr_i32 s9, s8, 31
	s_lshr_b32 s9, s9, 26
	s_add_i32 s8, s8, s9
	s_ashr_i32 s8, s8, 6
	s_add_i32 s9, s8, 1
	v_cvt_f32_u32_e32 v1, s9
	s_not_b32 s8, s8
	v_bfe_u32 v117, v0, 10, 10
	v_lshl_add_u32 v2, v117, 3, v116
	v_rcp_iflag_f32_e32 v1, v1
	v_lshrrev_b32_e32 v14, 2, v2
	v_lshlrev_b32_e32 v0, 3, v0
	v_and_b32_e32 v15, 63, v2
	v_mul_f32_e32 v1, 0x4f7ffffe, v1
	v_cvt_u32_f32_e32 v1, v1
	v_lshrrev_b32_e32 v120, 6, v2
	v_and_b32_e32 v104, 24, v0
	v_mov_b32_e32 v105, 0
	v_readfirstlane_b32 s20, v1
	s_mul_i32 s8, s8, s20
	s_mul_hi_u32 s8, s20, s8
	s_add_i32 s20, s20, s8
	s_mul_hi_u32 s8, s2, s20
	s_mul_i32 s20, s8, s9
	s_sub_i32 s20, s2, s20
	s_add_i32 s22, s8, 1
	s_sub_i32 s23, s20, s9
	s_cmp_ge_u32 s20, s9
	s_cselect_b32 s8, s22, s8
	s_cselect_b32 s20, s23, s20
	s_add_i32 s22, s8, 1
	s_cmp_ge_u32 s20, s9
	s_cselect_b32 s8, s22, s8
	s_mul_i32 s9, s8, s9
	s_sub_i32 s2, s2, s9
	s_lshl_b32 s2, s2, 6
	v_add_u32_e32 v1, s2, v14
	s_lshl_b32 s20, s8, 8
	v_mad_i64_i32 v[102:103], s[8:9], v1, s19, 0
	v_lshl_add_u64 v[2:3], v[102:103], 3, s[14:15]
	v_lshl_add_u64 v[0:1], v[2:3], 0, v[104:105]
	v_or_b32_e32 v2, s20, v15
	v_mad_i64_i32 v[4:5], s[8:9], s18, v120, 0
	v_ashrrev_i32_e32 v3, 31, v2
	v_lshl_add_u64 v[4:5], v[4:5], 3, s[16:17]
	v_lshlrev_b64 v[100:101], 3, v[2:3]
	v_lshl_add_u64 v[2:3], v[4:5], 0, v[100:101]
	global_load_dwordx2 v[4:5], v[2:3], off
	global_load_dwordx2 v[6:7], v[2:3], off offset:512
	global_load_dwordx2 v[8:9], v[2:3], off offset:1024
	;; [unrolled: 1-line block ×3, first 2 shown]
	global_load_dwordx2 v[12:13], v[0:1], off
	v_add_u32_e32 v2, 4, v120
	v_lshlrev_b32_e32 v3, 5, v15
	v_lshl_add_u32 v119, v120, 3, v3
	v_mad_i64_i32 v[2:3], s[22:23], s18, v2, 0
	v_lshl_add_u64 v[2:3], v[2:3], 3, s[16:17]
	v_lshlrev_b32_e32 v118, 5, v116
	v_lshl_add_u64 v[2:3], v[2:3], 0, v[100:101]
	v_lshlrev_b32_e32 v130, 5, v117
	v_lshl_or_b32 v104, v14, 5, v104
	global_load_dwordx2 v[106:107], v[2:3], off
	global_load_dwordx2 v[110:111], v[2:3], off offset:512
	global_load_dwordx2 v[108:109], v[2:3], off offset:1024
	;; [unrolled: 1-line block ×4, first 2 shown]
	s_mov_b32 s8, 0x7f800000
	s_cmp_lt_i32 s21, 9
	s_waitcnt vmcnt(8)
	ds_write2st64_b64 v119, v[4:5], v[6:7] offset1:4
	s_waitcnt vmcnt(6)
	ds_write2st64_b64 v119, v[8:9], v[10:11] offset0:8 offset1:12
	s_waitcnt vmcnt(5)
	ds_write_b64 v104, v[12:13] offset:16384
	s_waitcnt lgkmcnt(0)
	s_barrier
	ds_read_b128 v[8:11], v118 offset:18176
	ds_read_b128 v[72:75], v130 offset:1024
	;; [unrolled: 1-line block ×10, first 2 shown]
	ds_read_b128 v[76:79], v130
	ds_read_b128 v[4:7], v130 offset:16
	ds_read_b128 v[16:19], v118 offset:16640
	;; [unrolled: 1-line block ×13, first 2 shown]
	s_waitcnt lgkmcnt(13)
	v_add_f64 v[60:61], v[22:23], v[78:79]
	v_add_f64 v[62:63], v[20:21], v[76:77]
	s_waitcnt lgkmcnt(11)
	v_add_f64 v[122:123], v[18:19], v[78:79]
	v_add_f64 v[124:125], v[16:17], v[76:77]
	;; [unrolled: 3-line block ×5, first 2 shown]
	v_cvt_f32_f64_e32 v62, v[62:63]
	v_cvt_f32_f64_e32 v60, v[60:61]
	;; [unrolled: 1-line block ×10, first 2 shown]
	v_min3_f32 v174, v121, v122, s8
	v_min3_f32 v175, v123, v124, s8
	;; [unrolled: 1-line block ×3, first 2 shown]
	v_add_f64 v[122:123], v[22:23], v[74:75]
	v_add_f64 v[124:125], v[20:21], v[72:73]
	v_cvt_f32_f64_e32 v121, v[124:125]
	v_cvt_f32_f64_e32 v122, v[122:123]
	v_min3_f32 v180, v121, v122, s8
	v_add_f64 v[122:123], v[18:19], v[74:75]
	v_add_f64 v[124:125], v[16:17], v[72:73]
	v_cvt_f32_f64_e32 v121, v[124:125]
	v_cvt_f32_f64_e32 v122, v[122:123]
	v_min3_f32 v181, v121, v122, s8
	;; [unrolled: 5-line block ×5, first 2 shown]
	s_waitcnt lgkmcnt(3)
	v_add_f64 v[122:123], v[94:95], v[74:75]
	v_add_f64 v[124:125], v[92:93], v[72:73]
	v_cvt_f32_f64_e32 v121, v[124:125]
	v_cvt_f32_f64_e32 v122, v[122:123]
	v_min3_f32 v168, v121, v122, s8
	s_waitcnt lgkmcnt(1)
	v_add_f64 v[122:123], v[98:99], v[74:75]
	v_add_f64 v[124:125], v[96:97], v[72:73]
	v_cvt_f32_f64_e32 v121, v[124:125]
	v_cvt_f32_f64_e32 v122, v[122:123]
	v_min3_f32 v166, v121, v122, s8
	v_add_f64 v[122:123], v[22:23], v[70:71]
	v_add_f64 v[124:125], v[20:21], v[68:69]
	v_cvt_f32_f64_e32 v121, v[124:125]
	v_cvt_f32_f64_e32 v122, v[122:123]
	v_min3_f32 v171, v121, v122, s8
	v_add_f64 v[122:123], v[18:19], v[70:71]
	v_add_f64 v[124:125], v[16:17], v[68:69]
	v_cvt_f32_f64_e32 v121, v[124:125]
	v_cvt_f32_f64_e32 v122, v[122:123]
	v_min3_f32 v169, v121, v122, s8
	v_add_f64 v[122:123], v[82:83], v[70:71]
	v_add_f64 v[124:125], v[80:81], v[68:69]
	v_cvt_f32_f64_e32 v121, v[124:125]
	v_cvt_f32_f64_e32 v122, v[122:123]
	v_min3_f32 v167, v121, v122, s8
	v_add_f64 v[122:123], v[86:87], v[70:71]
	v_add_f64 v[124:125], v[84:85], v[68:69]
	v_cvt_f32_f64_e32 v121, v[124:125]
	v_cvt_f32_f64_e32 v122, v[122:123]
	v_min3_f32 v165, v121, v122, s8
	v_add_f64 v[122:123], v[90:91], v[70:71]
	v_add_f64 v[124:125], v[88:89], v[68:69]
	v_cvt_f32_f64_e32 v121, v[124:125]
	v_cvt_f32_f64_e32 v122, v[122:123]
	v_min3_f32 v162, v121, v122, s8
	v_add_f64 v[122:123], v[94:95], v[70:71]
	v_add_f64 v[124:125], v[92:93], v[68:69]
	v_cvt_f32_f64_e32 v121, v[124:125]
	v_cvt_f32_f64_e32 v122, v[122:123]
	v_min3_f32 v160, v121, v122, s8
	v_add_f64 v[122:123], v[98:99], v[70:71]
	v_add_f64 v[124:125], v[96:97], v[68:69]
	v_cvt_f32_f64_e32 v121, v[124:125]
	v_cvt_f32_f64_e32 v122, v[122:123]
	v_min3_f32 v158, v121, v122, s8
	v_add_f64 v[122:123], v[22:23], v[66:67]
	v_add_f64 v[124:125], v[20:21], v[64:65]
	v_cvt_f32_f64_e32 v121, v[124:125]
	v_cvt_f32_f64_e32 v122, v[122:123]
	v_min3_f32 v164, v121, v122, s8
	v_add_f64 v[122:123], v[18:19], v[66:67]
	v_add_f64 v[124:125], v[16:17], v[64:65]
	v_cvt_f32_f64_e32 v121, v[124:125]
	v_cvt_f32_f64_e32 v122, v[122:123]
	v_min3_f32 v161, v121, v122, s8
	v_add_f64 v[122:123], v[82:83], v[66:67]
	v_add_f64 v[124:125], v[80:81], v[64:65]
	v_cvt_f32_f64_e32 v121, v[124:125]
	v_cvt_f32_f64_e32 v122, v[122:123]
	v_min3_f32 v159, v121, v122, s8
	v_add_f64 v[122:123], v[86:87], v[66:67]
	v_add_f64 v[124:125], v[84:85], v[64:65]
	v_cvt_f32_f64_e32 v121, v[124:125]
	v_cvt_f32_f64_e32 v122, v[122:123]
	v_min3_f32 v157, v121, v122, s8
	v_add_f64 v[122:123], v[90:91], v[66:67]
	v_add_f64 v[124:125], v[88:89], v[64:65]
	v_cvt_f32_f64_e32 v121, v[124:125]
	v_cvt_f32_f64_e32 v122, v[122:123]
	v_min3_f32 v154, v121, v122, s8
	v_add_f64 v[122:123], v[94:95], v[66:67]
	v_add_f64 v[124:125], v[92:93], v[64:65]
	v_cvt_f32_f64_e32 v121, v[124:125]
	v_cvt_f32_f64_e32 v122, v[122:123]
	v_min3_f32 v152, v121, v122, s8
	v_add_f64 v[122:123], v[98:99], v[66:67]
	v_add_f64 v[124:125], v[96:97], v[64:65]
	v_cvt_f32_f64_e32 v121, v[124:125]
	v_cvt_f32_f64_e32 v122, v[122:123]
	v_min3_f32 v150, v121, v122, s8
	v_add_f64 v[122:123], v[22:23], v[34:35]
	v_add_f64 v[124:125], v[20:21], v[32:33]
	v_cvt_f32_f64_e32 v121, v[124:125]
	v_cvt_f32_f64_e32 v122, v[122:123]
	v_min3_f32 v156, v121, v122, s8
	v_add_f64 v[122:123], v[18:19], v[34:35]
	v_add_f64 v[124:125], v[16:17], v[32:33]
	v_cvt_f32_f64_e32 v121, v[124:125]
	v_cvt_f32_f64_e32 v122, v[122:123]
	v_min3_f32 v153, v121, v122, s8
	v_add_f64 v[122:123], v[82:83], v[34:35]
	v_add_f64 v[124:125], v[80:81], v[32:33]
	v_cvt_f32_f64_e32 v121, v[124:125]
	v_cvt_f32_f64_e32 v122, v[122:123]
	v_min3_f32 v151, v121, v122, s8
	v_add_f64 v[122:123], v[86:87], v[34:35]
	v_add_f64 v[124:125], v[84:85], v[32:33]
	v_cvt_f32_f64_e32 v121, v[124:125]
	v_cvt_f32_f64_e32 v122, v[122:123]
	v_min3_f32 v149, v121, v122, s8
	v_add_f64 v[122:123], v[90:91], v[34:35]
	v_add_f64 v[124:125], v[88:89], v[32:33]
	;; [unrolled: 1-line block ×3, first 2 shown]
	v_cvt_f32_f64_e32 v121, v[124:125]
	v_cvt_f32_f64_e32 v122, v[122:123]
	v_min3_f32 v131, v62, v60, s8
	v_cvt_f32_f64_e32 v60, v[146:147]
	v_min3_f32 v146, v121, v122, s8
	v_add_f64 v[122:123], v[94:95], v[34:35]
	v_add_f64 v[124:125], v[92:93], v[32:33]
	;; [unrolled: 1-line block ×4, first 2 shown]
	v_cvt_f32_f64_e32 v121, v[124:125]
	v_cvt_f32_f64_e32 v122, v[122:123]
	;; [unrolled: 1-line block ×3, first 2 shown]
	v_min3_f32 v140, v61, v63, s8
	v_cvt_f32_f64_e32 v61, v[144:145]
	v_min3_f32 v144, v121, v122, s8
	v_add_f64 v[122:123], v[98:99], v[34:35]
	v_add_f64 v[124:125], v[96:97], v[32:33]
	;; [unrolled: 1-line block ×3, first 2 shown]
	v_cvt_f32_f64_e32 v121, v[124:125]
	v_cvt_f32_f64_e32 v122, v[122:123]
	;; [unrolled: 1-line block ×3, first 2 shown]
	v_min3_f32 v142, v121, v122, s8
	v_add_f64 v[122:123], v[22:23], v[30:31]
	v_add_f64 v[124:125], v[20:21], v[28:29]
	v_cvt_f32_f64_e32 v121, v[124:125]
	v_cvt_f32_f64_e32 v122, v[122:123]
	v_min3_f32 v148, v121, v122, s8
	v_add_f64 v[122:123], v[18:19], v[30:31]
	v_add_f64 v[124:125], v[16:17], v[28:29]
	v_cvt_f32_f64_e32 v121, v[124:125]
	v_cvt_f32_f64_e32 v122, v[122:123]
	;; [unrolled: 5-line block ×7, first 2 shown]
	v_min3_f32 v177, v127, v128, s8
	v_min3_f32 v127, v121, v122, s8
	v_add_f64 v[122:123], v[22:23], v[26:27]
	v_add_f64 v[132:133], v[20:21], v[24:25]
	v_cvt_f32_f64_e32 v121, v[132:133]
	v_cvt_f32_f64_e32 v122, v[122:123]
	v_min3_f32 v139, v121, v122, s8
	v_add_f64 v[122:123], v[18:19], v[26:27]
	v_add_f64 v[132:133], v[16:17], v[24:25]
	v_cvt_f32_f64_e32 v121, v[132:133]
	v_cvt_f32_f64_e32 v122, v[122:123]
	;; [unrolled: 5-line block ×3, first 2 shown]
	v_add_f64 v[22:23], v[22:23], v[14:15]
	v_add_f64 v[20:21], v[20:21], v[12:13]
	;; [unrolled: 1-line block ×4, first 2 shown]
	v_min3_f32 v128, v121, v122, s8
	v_add_f64 v[122:123], v[86:87], v[26:27]
	v_add_f64 v[132:133], v[84:85], v[24:25]
	v_cvt_f32_f64_e32 v20, v[20:21]
	v_cvt_f32_f64_e32 v21, v[22:23]
	;; [unrolled: 1-line block ×6, first 2 shown]
	v_min3_f32 v22, v20, v21, s8
	v_min3_f32 v21, v16, v17, s8
	v_add_f64 v[16:17], v[82:83], v[14:15]
	v_add_f64 v[18:19], v[80:81], v[12:13]
	v_min3_f32 v126, v121, v122, s8
	v_add_f64 v[122:123], v[90:91], v[26:27]
	v_add_f64 v[132:133], v[88:89], v[24:25]
	v_cvt_f32_f64_e32 v18, v[18:19]
	v_cvt_f32_f64_e32 v16, v[16:17]
	;; [unrolled: 1-line block ×4, first 2 shown]
	v_add_f64 v[132:133], v[92:93], v[24:25]
	v_min3_f32 v20, v18, v16, s8
	v_add_f64 v[16:17], v[86:87], v[14:15]
	v_add_f64 v[18:19], v[84:85], v[12:13]
	;; [unrolled: 1-line block ×14, first 2 shown]
	v_min3_f32 v124, v121, v122, s8
	v_add_f64 v[122:123], v[94:95], v[26:27]
	v_cvt_f32_f64_e32 v121, v[132:133]
	v_add_f64 v[132:133], v[98:99], v[26:27]
	v_add_f64 v[136:137], v[96:97], v[24:25]
	v_add_f64 v[26:27], v[10:11], v[26:27]
	v_add_f64 v[24:25], v[8:9], v[24:25]
	v_cvt_f32_f64_e32 v18, v[18:19]
	v_cvt_f32_f64_e32 v16, v[16:17]
	v_add_f64 v[80:81], v[88:89], v[12:13]
	v_add_f64 v[10:11], v[10:11], v[14:15]
	v_add_f64 v[8:9], v[8:9], v[12:13]
	v_min3_f32 v19, v18, v16, s8
	v_cvt_f32_f64_e32 v18, v[80:81]
	v_add_f64 v[80:81], v[92:93], v[12:13]
	v_add_f64 v[82:83], v[96:97], v[12:13]
	v_cvt_f32_f64_e32 v8, v[8:9]
	v_cvt_f32_f64_e32 v9, v[10:11]
	v_add_f64 v[10:11], v[2:3], v[6:7]
	v_add_f64 v[12:13], v[0:1], v[4:5]
	v_min3_f32 v8, v8, v9, s8
	v_cvt_f32_f64_e32 v9, v[12:13]
	v_cvt_f32_f64_e32 v10, v[10:11]
	v_min3_f32 v86, v9, v10, v131
	v_add_f64 v[10:11], v[58:59], v[6:7]
	v_add_f64 v[12:13], v[56:57], v[4:5]
	v_cvt_f32_f64_e32 v9, v[12:13]
	v_cvt_f32_f64_e32 v10, v[10:11]
	v_min3_f32 v131, v9, v10, v140
	v_add_f64 v[10:11], v[54:55], v[6:7]
	v_add_f64 v[12:13], v[52:53], v[4:5]
	;; [unrolled: 5-line block ×3, first 2 shown]
	v_min3_f32 v178, v60, v61, s8
	ds_read_b128 v[60:63], v118 offset:18192
	v_cvt_f32_f64_e32 v122, v[122:123]
	v_cvt_f32_f64_e32 v9, v[12:13]
	;; [unrolled: 1-line block ×5, first 2 shown]
	v_min3_f32 v123, v121, v122, s8
	v_cvt_f32_f64_e32 v122, v[132:133]
	v_min3_f32 v132, v9, v10, v175
	v_add_f64 v[10:11], v[46:47], v[6:7]
	v_add_f64 v[12:13], v[44:45], v[4:5]
	v_min3_f32 v179, v76, v77, s8
	ds_read_b128 v[76:79], v130 offset:1040
	v_cvt_f32_f64_e32 v9, v[12:13]
	v_cvt_f32_f64_e32 v10, v[10:11]
	v_min3_f32 v133, v9, v10, v176
	v_add_f64 v[10:11], v[42:43], v[6:7]
	v_add_f64 v[12:13], v[40:41], v[4:5]
	v_cvt_f32_f64_e32 v9, v[12:13]
	v_cvt_f32_f64_e32 v10, v[10:11]
	;; [unrolled: 1-line block ×3, first 2 shown]
	v_min3_f32 v136, v9, v10, v177
	s_waitcnt lgkmcnt(2)
	v_add_f64 v[10:11], v[38:39], v[6:7]
	v_add_f64 v[12:13], v[36:37], v[4:5]
	s_waitcnt lgkmcnt(1)
	v_add_f64 v[6:7], v[62:63], v[6:7]
	v_add_f64 v[4:5], v[60:61], v[4:5]
	v_cvt_f32_f64_e32 v4, v[4:5]
	v_cvt_f32_f64_e32 v5, v[6:7]
	v_min3_f32 v211, v4, v5, v179
	s_waitcnt lgkmcnt(0)
	v_add_f64 v[4:5], v[2:3], v[78:79]
	v_add_f64 v[6:7], v[0:1], v[76:77]
	v_cvt_f32_f64_e32 v6, v[6:7]
	v_cvt_f32_f64_e32 v4, v[4:5]
	v_min3_f32 v212, v6, v4, v180
	v_add_f64 v[4:5], v[58:59], v[78:79]
	v_add_f64 v[6:7], v[56:57], v[76:77]
	v_cvt_f32_f64_e32 v6, v[6:7]
	v_cvt_f32_f64_e32 v4, v[4:5]
	v_min3_f32 v209, v6, v4, v181
	;; [unrolled: 5-line block ×4, first 2 shown]
	v_add_f64 v[4:5], v[46:47], v[78:79]
	v_add_f64 v[6:7], v[44:45], v[76:77]
	v_cvt_f32_f64_e32 v6, v[6:7]
	v_cvt_f32_f64_e32 v4, v[4:5]
	v_cvt_f32_f64_e32 v72, v[72:73]
	v_cvt_f32_f64_e32 v73, v[74:75]
	v_min3_f32 v208, v6, v4, v170
	v_add_f64 v[4:5], v[42:43], v[78:79]
	v_add_f64 v[6:7], v[40:41], v[76:77]
	v_min3_f32 v163, v72, v73, s8
	ds_read_b128 v[72:75], v130 offset:2064
	v_cvt_f32_f64_e32 v6, v[6:7]
	v_cvt_f32_f64_e32 v4, v[4:5]
	v_min3_f32 v204, v6, v4, v168
	v_add_f64 v[4:5], v[38:39], v[78:79]
	v_add_f64 v[6:7], v[36:37], v[76:77]
	v_cvt_f32_f64_e32 v6, v[6:7]
	v_cvt_f32_f64_e32 v4, v[4:5]
	v_min3_f32 v206, v6, v4, v166
	v_add_f64 v[4:5], v[62:63], v[78:79]
	v_add_f64 v[6:7], v[60:61], v[76:77]
	v_cvt_f32_f64_e32 v68, v[68:69]
	v_cvt_f32_f64_e32 v69, v[70:71]
	;; [unrolled: 1-line block ×4, first 2 shown]
	v_min3_f32 v155, v68, v69, s8
	ds_read_b128 v[68:71], v130 offset:3088
	v_min3_f32 v203, v6, v4, v163
	s_waitcnt lgkmcnt(1)
	v_add_f64 v[4:5], v[2:3], v[74:75]
	v_add_f64 v[6:7], v[0:1], v[72:73]
	v_cvt_f32_f64_e32 v6, v[6:7]
	v_cvt_f32_f64_e32 v4, v[4:5]
	v_min3_f32 v205, v6, v4, v171
	v_add_f64 v[4:5], v[58:59], v[74:75]
	v_add_f64 v[6:7], v[56:57], v[72:73]
	v_cvt_f32_f64_e32 v6, v[6:7]
	v_cvt_f32_f64_e32 v4, v[4:5]
	v_min3_f32 v201, v6, v4, v169
	;; [unrolled: 5-line block ×8, first 2 shown]
	s_waitcnt lgkmcnt(0)
	v_add_f64 v[4:5], v[2:3], v[70:71]
	v_add_f64 v[6:7], v[0:1], v[68:69]
	v_cvt_f32_f64_e32 v6, v[6:7]
	v_cvt_f32_f64_e32 v4, v[4:5]
	v_min3_f32 v196, v6, v4, v164
	v_add_f64 v[4:5], v[58:59], v[70:71]
	v_add_f64 v[6:7], v[56:57], v[68:69]
	v_cvt_f32_f64_e32 v6, v[6:7]
	v_cvt_f32_f64_e32 v4, v[4:5]
	v_min3_f32 v192, v6, v4, v161
	;; [unrolled: 5-line block ×4, first 2 shown]
	v_add_f64 v[4:5], v[46:47], v[70:71]
	v_add_f64 v[6:7], v[44:45], v[68:69]
	v_cvt_f32_f64_e32 v6, v[6:7]
	v_cvt_f32_f64_e32 v4, v[4:5]
	;; [unrolled: 1-line block ×4, first 2 shown]
	v_min3_f32 v191, v6, v4, v154
	v_add_f64 v[4:5], v[42:43], v[70:71]
	v_add_f64 v[6:7], v[40:41], v[68:69]
	v_min3_f32 v147, v64, v65, s8
	ds_read_b128 v[64:67], v130 offset:4112
	v_cvt_f32_f64_e32 v6, v[6:7]
	v_cvt_f32_f64_e32 v4, v[4:5]
	v_min3_f32 v187, v6, v4, v152
	v_add_f64 v[4:5], v[38:39], v[70:71]
	v_add_f64 v[6:7], v[36:37], v[68:69]
	v_cvt_f32_f64_e32 v6, v[6:7]
	v_cvt_f32_f64_e32 v4, v[4:5]
	v_min3_f32 v189, v6, v4, v150
	v_add_f64 v[4:5], v[62:63], v[70:71]
	v_add_f64 v[6:7], v[60:61], v[68:69]
	v_cvt_f32_f64_e32 v32, v[32:33]
	v_cvt_f32_f64_e32 v33, v[34:35]
	;; [unrolled: 1-line block ×4, first 2 shown]
	v_min3_f32 v138, v32, v33, s8
	ds_read_b128 v[32:35], v130 offset:5136
	v_min3_f32 v186, v6, v4, v147
	s_waitcnt lgkmcnt(1)
	v_add_f64 v[4:5], v[2:3], v[66:67]
	v_add_f64 v[6:7], v[0:1], v[64:65]
	v_cvt_f32_f64_e32 v6, v[6:7]
	v_cvt_f32_f64_e32 v4, v[4:5]
	v_min3_f32 v188, v6, v4, v156
	v_add_f64 v[4:5], v[58:59], v[66:67]
	v_add_f64 v[6:7], v[56:57], v[64:65]
	v_cvt_f32_f64_e32 v6, v[6:7]
	v_cvt_f32_f64_e32 v4, v[4:5]
	v_min3_f32 v184, v6, v4, v153
	;; [unrolled: 5-line block ×7, first 2 shown]
	v_add_f64 v[4:5], v[62:63], v[66:67]
	v_add_f64 v[6:7], v[60:61], v[64:65]
	v_cvt_f32_f64_e32 v9, v[12:13]
	v_cvt_f32_f64_e32 v10, v[10:11]
	;; [unrolled: 1-line block ×4, first 2 shown]
	v_min3_f32 v137, v9, v10, v178
	v_min3_f32 v178, v6, v4, v138
	s_waitcnt lgkmcnt(0)
	v_add_f64 v[4:5], v[2:3], v[34:35]
	v_add_f64 v[6:7], v[0:1], v[32:33]
	v_cvt_f32_f64_e32 v6, v[6:7]
	v_cvt_f32_f64_e32 v4, v[4:5]
	v_min3_f32 v180, v6, v4, v148
	v_add_f64 v[4:5], v[58:59], v[34:35]
	v_add_f64 v[6:7], v[56:57], v[32:33]
	v_cvt_f32_f64_e32 v6, v[6:7]
	v_cvt_f32_f64_e32 v4, v[4:5]
	v_min3_f32 v176, v6, v4, v145
	;; [unrolled: 5-line block ×4, first 2 shown]
	v_add_f64 v[4:5], v[46:47], v[34:35]
	v_add_f64 v[6:7], v[44:45], v[32:33]
	v_cvt_f32_f64_e32 v6, v[6:7]
	v_cvt_f32_f64_e32 v4, v[4:5]
	;; [unrolled: 1-line block ×6, first 2 shown]
	v_min3_f32 v175, v6, v4, v135
	v_add_f64 v[4:5], v[42:43], v[34:35]
	v_add_f64 v[6:7], v[40:41], v[32:33]
	v_min3_f32 v125, v28, v29, s8
	ds_read_b128 v[28:31], v130 offset:6160
	v_min3_f32 v122, v121, v122, s8
	v_min3_f32 v121, v24, v25, s8
	ds_read_b128 v[24:27], v130 offset:7184
	v_cvt_f32_f64_e32 v6, v[6:7]
	v_cvt_f32_f64_e32 v4, v[4:5]
	v_min3_f32 v171, v6, v4, v129
	v_add_f64 v[4:5], v[38:39], v[34:35]
	v_add_f64 v[6:7], v[36:37], v[32:33]
	v_cvt_f32_f64_e32 v6, v[6:7]
	v_cvt_f32_f64_e32 v4, v[4:5]
	v_min3_f32 v173, v6, v4, v127
	v_add_f64 v[4:5], v[62:63], v[34:35]
	v_add_f64 v[6:7], v[60:61], v[32:33]
	v_cvt_f32_f64_e32 v6, v[6:7]
	v_cvt_f32_f64_e32 v4, v[4:5]
	v_min3_f32 v170, v6, v4, v125
	s_waitcnt lgkmcnt(1)
	v_add_f64 v[4:5], v[2:3], v[30:31]
	v_add_f64 v[6:7], v[0:1], v[28:29]
	s_waitcnt lgkmcnt(0)
	v_add_f64 v[2:3], v[2:3], v[26:27]
	v_add_f64 v[0:1], v[0:1], v[24:25]
	v_cvt_f32_f64_e32 v6, v[6:7]
	v_cvt_f32_f64_e32 v4, v[4:5]
	v_cvt_f32_f64_e32 v0, v[0:1]
	v_cvt_f32_f64_e32 v1, v[2:3]
	v_min3_f32 v172, v6, v4, v139
	v_add_f64 v[4:5], v[58:59], v[30:31]
	v_add_f64 v[6:7], v[56:57], v[28:29]
	v_min3_f32 v163, v0, v1, v22
	v_add_f64 v[0:1], v[58:59], v[26:27]
	v_add_f64 v[2:3], v[56:57], v[24:25]
	v_cvt_f32_f64_e32 v6, v[6:7]
	v_cvt_f32_f64_e32 v4, v[4:5]
	v_cvt_f32_f64_e32 v2, v[2:3]
	v_cvt_f32_f64_e32 v0, v[0:1]
	v_min3_f32 v168, v6, v4, v134
	v_add_f64 v[4:5], v[54:55], v[30:31]
	v_add_f64 v[6:7], v[52:53], v[28:29]
	v_min3_f32 v160, v2, v0, v21
	;; [unrolled: 10-line block ×3, first 2 shown]
	v_add_f64 v[0:1], v[50:51], v[26:27]
	v_add_f64 v[2:3], v[48:49], v[24:25]
	;; [unrolled: 1-line block ×3, first 2 shown]
	v_cvt_f32_f64_e32 v6, v[6:7]
	v_cvt_f32_f64_e32 v4, v[4:5]
	;; [unrolled: 1-line block ×5, first 2 shown]
	v_min3_f32 v166, v6, v4, v126
	v_add_f64 v[4:5], v[46:47], v[30:31]
	v_add_f64 v[6:7], v[44:45], v[28:29]
	v_min3_f32 v158, v2, v0, v19
	v_add_f64 v[0:1], v[46:47], v[26:27]
	v_add_f64 v[2:3], v[44:45], v[24:25]
	v_min3_f32 v18, v18, v16, s8
	v_add_f64 v[16:17], v[94:95], v[14:15]
	v_cvt_f32_f64_e32 v6, v[6:7]
	v_cvt_f32_f64_e32 v4, v[4:5]
	;; [unrolled: 1-line block ×6, first 2 shown]
	v_min3_f32 v167, v6, v4, v124
	v_add_f64 v[4:5], v[42:43], v[30:31]
	v_add_f64 v[6:7], v[40:41], v[28:29]
	v_min3_f32 v159, v2, v0, v18
	v_add_f64 v[0:1], v[42:43], v[26:27]
	v_add_f64 v[2:3], v[40:41], v[24:25]
	v_min3_f32 v17, v23, v16, s8
	v_add_f64 v[80:81], v[98:99], v[14:15]
	v_cvt_f32_f64_e32 v6, v[6:7]
	v_cvt_f32_f64_e32 v4, v[4:5]
	;; [unrolled: 1-line block ×6, first 2 shown]
	v_min3_f32 v164, v6, v4, v123
	v_add_f64 v[4:5], v[38:39], v[30:31]
	v_add_f64 v[6:7], v[36:37], v[28:29]
	v_min3_f32 v156, v2, v0, v17
	v_add_f64 v[0:1], v[38:39], v[26:27]
	v_add_f64 v[2:3], v[36:37], v[24:25]
	v_min3_f32 v16, v16, v23, s8
	v_cvt_f32_f64_e32 v6, v[6:7]
	v_cvt_f32_f64_e32 v4, v[4:5]
	;; [unrolled: 1-line block ×4, first 2 shown]
	v_min3_f32 v165, v6, v4, v122
	v_add_f64 v[4:5], v[62:63], v[30:31]
	v_add_f64 v[6:7], v[60:61], v[28:29]
	v_min3_f32 v157, v2, v0, v16
	v_add_f64 v[0:1], v[62:63], v[26:27]
	v_add_f64 v[2:3], v[60:61], v[24:25]
	v_cvt_f32_f64_e32 v6, v[6:7]
	v_cvt_f32_f64_e32 v4, v[4:5]
	;; [unrolled: 1-line block ×4, first 2 shown]
	v_min3_f32 v162, v6, v4, v121
	v_min3_f32 v200, v2, v0, v8
	s_waitcnt vmcnt(0)
	ds_write_b64 v104, v[114:115] offset:18432
	ds_write2st64_b64 v119, v[106:107], v[110:111] offset0:16 offset1:20
	ds_write2st64_b64 v119, v[108:109], v[112:113] offset0:24 offset1:28
	s_waitcnt lgkmcnt(0)
	s_barrier
	s_cbranch_scc1 .LBB175_11
; %bb.9:
	v_mov_b32_e32 v0, 0x4800
	v_lshl_add_u32 v84, v116, 5, v0
	v_mov_b32_e32 v0, 0x2000
	v_lshl_add_u32 v85, v117, 5, v0
	v_and_b32_e32 v0, 3, v116
	v_add_u32_e32 v80, 0x4000, v104
	v_add_u32_e32 v82, 0x4800, v104
	v_lshlrev_b32_e32 v104, 3, v0
	v_lshl_add_u64 v[0:1], v[102:103], 3, v[104:105]
	v_lshl_add_u64 v[0:1], s[14:15], 0, v[0:1]
	;; [unrolled: 1-line block ×3, first 2 shown]
	v_add_u32_e32 v0, 12, v120
	v_mad_i64_i32 v[0:1], s[8:9], v0, s18, 0
	v_lshl_add_u64 v[66:67], v[0:1], 3, s[16:17]
	v_add_u32_e32 v0, 8, v120
	s_ashr_i32 s19, s18, 31
	v_mad_i64_i32 v[0:1], s[14:15], v0, s18, 0
	v_add_u32_e32 v81, 0x4000, v118
	v_or_b32_e32 v83, 0x2000, v119
	s_add_i32 s21, s21, -8
	s_lshl_b64 s[8:9], s[18:19], 6
	v_lshl_add_u64 v[68:69], v[0:1], 3, s[16:17]
	s_mov_b32 s14, 0
.LBB175_10:                             ; =>This Inner Loop Header: Depth=1
	v_lshl_add_u64 v[0:1], v[68:69], 0, v[100:101]
	global_load_dwordx2 v[78:79], v[64:65], off
	global_load_dwordx2 v[74:75], v[0:1], off
	global_load_dwordx2 v[76:77], v[0:1], off offset:512
	global_load_dwordx2 v[70:71], v[0:1], off offset:1024
	global_load_dwordx2 v[72:73], v[0:1], off offset:1536
	ds_read_b128 v[36:39], v84 offset:256
	ds_read_b128 v[32:35], v84 offset:512
	;; [unrolled: 1-line block ×14, first 2 shown]
	ds_read_b128 v[92:95], v85
	ds_read_b128 v[4:7], v85 offset:16
	ds_read_b128 v[56:59], v84
	ds_read_b128 v[0:3], v84 offset:16
	s_add_i32 s14, s14, 8
	v_lshl_add_u64 v[68:69], v[68:69], 0, s[8:9]
	s_cmp_ge_i32 s14, s21
	s_waitcnt lgkmcnt(1)
	v_add_f64 v[96:97], v[58:59], v[94:95]
	v_add_f64 v[98:99], v[56:57], v[92:93]
	v_cvt_f32_f64_e32 v87, v[98:99]
	v_cvt_f32_f64_e32 v96, v[96:97]
	v_min3_f32 v213, v87, v96, v86
	v_add_f64 v[86:87], v[38:39], v[94:95]
	v_add_f64 v[96:97], v[36:37], v[92:93]
	v_cvt_f32_f64_e32 v96, v[96:97]
	v_cvt_f32_f64_e32 v86, v[86:87]
	v_min3_f32 v155, v96, v86, v131
	;; [unrolled: 5-line block ×14, first 2 shown]
	v_add_f64 v[86:87], v[14:15], v[62:63]
	v_add_f64 v[92:93], v[12:13], v[60:61]
	;; [unrolled: 1-line block ×4, first 2 shown]
	v_cvt_f32_f64_e32 v60, v[60:61]
	v_cvt_f32_f64_e32 v61, v[62:63]
	v_min3_f32 v141, v60, v61, v203
	v_add_f64 v[60:61], v[58:59], v[90:91]
	v_add_f64 v[62:63], v[56:57], v[88:89]
	v_cvt_f32_f64_e32 v62, v[62:63]
	v_cvt_f32_f64_e32 v60, v[60:61]
	v_min3_f32 v140, v62, v60, v205
	v_add_f64 v[60:61], v[38:39], v[90:91]
	v_add_f64 v[62:63], v[36:37], v[88:89]
	;; [unrolled: 5-line block ×15, first 2 shown]
	v_add_f64 v[54:55], v[10:11], v[54:55]
	v_add_f64 v[52:53], v[8:9], v[52:53]
	v_cvt_f32_f64_e32 v52, v[52:53]
	v_cvt_f32_f64_e32 v53, v[54:55]
	v_min3_f32 v124, v52, v53, v186
	v_add_f64 v[52:53], v[58:59], v[50:51]
	v_add_f64 v[54:55], v[56:57], v[48:49]
	v_cvt_f32_f64_e32 v54, v[54:55]
	v_cvt_f32_f64_e32 v52, v[52:53]
	v_min3_f32 v123, v54, v52, v188
	v_add_f64 v[52:53], v[38:39], v[50:51]
	v_add_f64 v[54:55], v[36:37], v[48:49]
	v_cvt_f32_f64_e32 v54, v[54:55]
	v_cvt_f32_f64_e32 v52, v[52:53]
	v_min3_f32 v122, v54, v52, v184
	v_add_f64 v[52:53], v[34:35], v[50:51]
	v_add_f64 v[54:55], v[32:33], v[48:49]
	v_cvt_f32_f64_e32 v54, v[54:55]
	v_cvt_f32_f64_e32 v52, v[52:53]
	v_min3_f32 v121, v54, v52, v185
	v_add_f64 v[52:53], v[30:31], v[50:51]
	v_add_f64 v[54:55], v[28:29], v[48:49]
	v_cvt_f32_f64_e32 v54, v[54:55]
	v_cvt_f32_f64_e32 v52, v[52:53]
	v_min3_f32 v120, v54, v52, v182
	v_add_f64 v[52:53], v[26:27], v[50:51]
	v_add_f64 v[54:55], v[24:25], v[48:49]
	v_cvt_f32_f64_e32 v54, v[54:55]
	v_cvt_f32_f64_e32 v52, v[52:53]
	v_min3_f32 v115, v54, v52, v183
	v_add_f64 v[52:53], v[22:23], v[50:51]
	v_add_f64 v[54:55], v[20:21], v[48:49]
	v_cvt_f32_f64_e32 v54, v[54:55]
	v_cvt_f32_f64_e32 v52, v[52:53]
	v_min3_f32 v114, v54, v52, v179
	v_add_f64 v[52:53], v[14:15], v[50:51]
	v_add_f64 v[54:55], v[12:13], v[48:49]
	v_add_f64 v[50:51], v[10:11], v[50:51]
	v_add_f64 v[48:49], v[8:9], v[48:49]
	v_cvt_f32_f64_e32 v48, v[48:49]
	v_cvt_f32_f64_e32 v49, v[50:51]
	v_min3_f32 v112, v48, v49, v178
	v_add_f64 v[48:49], v[58:59], v[46:47]
	v_add_f64 v[50:51], v[56:57], v[44:45]
	v_cvt_f32_f64_e32 v50, v[50:51]
	v_cvt_f32_f64_e32 v48, v[48:49]
	v_min3_f32 v111, v50, v48, v180
	v_add_f64 v[48:49], v[38:39], v[46:47]
	v_add_f64 v[50:51], v[36:37], v[44:45]
	v_cvt_f32_f64_e32 v50, v[50:51]
	v_cvt_f32_f64_e32 v48, v[48:49]
	v_min3_f32 v110, v50, v48, v176
	v_add_f64 v[48:49], v[34:35], v[46:47]
	v_add_f64 v[50:51], v[32:33], v[44:45]
	v_cvt_f32_f64_e32 v50, v[50:51]
	v_cvt_f32_f64_e32 v48, v[48:49]
	v_min3_f32 v109, v50, v48, v177
	v_add_f64 v[48:49], v[30:31], v[46:47]
	v_add_f64 v[50:51], v[28:29], v[44:45]
	v_cvt_f32_f64_e32 v50, v[50:51]
	v_cvt_f32_f64_e32 v48, v[48:49]
	v_min3_f32 v108, v50, v48, v174
	v_add_f64 v[48:49], v[26:27], v[46:47]
	v_add_f64 v[50:51], v[24:25], v[44:45]
	v_cvt_f32_f64_e32 v50, v[50:51]
	v_cvt_f32_f64_e32 v48, v[48:49]
	v_min3_f32 v107, v50, v48, v175
	v_add_f64 v[48:49], v[22:23], v[46:47]
	v_add_f64 v[50:51], v[20:21], v[44:45]
	v_cvt_f32_f64_e32 v50, v[50:51]
	v_cvt_f32_f64_e32 v48, v[48:49]
	v_min3_f32 v106, v50, v48, v171
	v_add_f64 v[48:49], v[14:15], v[46:47]
	v_add_f64 v[50:51], v[12:13], v[44:45]
	;; [unrolled: 37-line block ×3, first 2 shown]
	v_add_f64 v[42:43], v[10:11], v[42:43]
	v_add_f64 v[40:41], v[8:9], v[40:41]
	v_add_f64 v[30:31], v[30:31], v[18:19]
	v_add_f64 v[28:29], v[28:29], v[16:17]
	v_add_f64 v[26:27], v[26:27], v[18:19]
	v_add_f64 v[24:25], v[24:25], v[16:17]
	v_add_f64 v[22:23], v[22:23], v[18:19]
	v_add_f64 v[20:21], v[20:21], v[16:17]
	v_add_f64 v[14:15], v[14:15], v[18:19]
	v_add_f64 v[12:13], v[12:13], v[16:17]
	v_cvt_f32_f64_e32 v40, v[40:41]
	v_cvt_f32_f64_e32 v41, v[42:43]
	;; [unrolled: 1-line block ×11, first 2 shown]
	v_min3_f32 v94, v40, v41, v162
	v_add_f64 v[40:41], v[58:59], v[18:19]
	v_add_f64 v[42:43], v[56:57], v[16:17]
	;; [unrolled: 1-line block ×6, first 2 shown]
	v_min3_f32 v90, v28, v29, v158
	v_min3_f32 v89, v24, v25, v159
	;; [unrolled: 1-line block ×4, first 2 shown]
	v_add_f64 v[10:11], v[10:11], v[18:19]
	v_add_f64 v[8:9], v[8:9], v[16:17]
	s_waitcnt lgkmcnt(0)
	v_add_f64 v[156:157], v[2:3], v[6:7]
	v_add_f64 v[158:159], v[0:1], v[4:5]
	v_cvt_f32_f64_e32 v92, v[92:93]
	v_cvt_f32_f64_e32 v62, v[62:63]
	;; [unrolled: 1-line block ×19, first 2 shown]
	v_min3_f32 v142, v92, v86, v206
	v_min3_f32 v125, v62, v60, v189
	;; [unrolled: 1-line block ×9, first 2 shown]
	ds_read_b128 v[32:35], v84 offset:272
	ds_read_b128 v[28:31], v84 offset:528
	;; [unrolled: 1-line block ×14, first 2 shown]
	v_min3_f32 v156, v158, v156, v213
	s_waitcnt lgkmcnt(13)
	v_add_f64 v[158:159], v[34:35], v[6:7]
	v_add_f64 v[160:161], v[32:33], v[4:5]
	v_cvt_f32_f64_e32 v157, v[160:161]
	v_cvt_f32_f64_e32 v158, v[158:159]
	v_min3_f32 v155, v157, v158, v155
	s_waitcnt lgkmcnt(12)
	v_add_f64 v[158:159], v[30:31], v[6:7]
	v_add_f64 v[160:161], v[28:29], v[4:5]
	v_cvt_f32_f64_e32 v157, v[160:161]
	v_cvt_f32_f64_e32 v158, v[158:159]
	;; [unrolled: 6-line block ×5, first 2 shown]
	v_min3_f32 v151, v157, v158, v151
	s_waitcnt lgkmcnt(8)
	v_add_f64 v[158:159], v[14:15], v[6:7]
	v_add_f64 v[160:161], v[12:13], v[4:5]
	s_waitcnt lgkmcnt(7)
	v_add_f64 v[6:7], v[10:11], v[6:7]
	v_add_f64 v[4:5], v[8:9], v[4:5]
	v_cvt_f32_f64_e32 v4, v[4:5]
	v_cvt_f32_f64_e32 v5, v[6:7]
	v_min3_f32 v149, v4, v5, v149
	s_waitcnt lgkmcnt(6)
	v_add_f64 v[4:5], v[2:3], v[62:63]
	v_add_f64 v[6:7], v[0:1], v[60:61]
	v_cvt_f32_f64_e32 v6, v[6:7]
	v_cvt_f32_f64_e32 v4, v[4:5]
	v_min3_f32 v148, v6, v4, v148
	v_add_f64 v[4:5], v[34:35], v[62:63]
	v_add_f64 v[6:7], v[32:33], v[60:61]
	v_cvt_f32_f64_e32 v6, v[6:7]
	v_cvt_f32_f64_e32 v4, v[4:5]
	v_min3_f32 v147, v6, v4, v147
	v_add_f64 v[4:5], v[30:31], v[62:63]
	v_add_f64 v[6:7], v[28:29], v[60:61]
	v_cvt_f32_f64_e32 v6, v[6:7]
	v_cvt_f32_f64_e32 v4, v[4:5]
	v_min3_f32 v146, v6, v4, v146
	v_add_f64 v[4:5], v[26:27], v[62:63]
	v_add_f64 v[6:7], v[24:25], v[60:61]
	v_cvt_f32_f64_e32 v6, v[6:7]
	v_cvt_f32_f64_e32 v4, v[4:5]
	v_min3_f32 v145, v6, v4, v145
	v_add_f64 v[4:5], v[22:23], v[62:63]
	v_add_f64 v[6:7], v[20:21], v[60:61]
	v_cvt_f32_f64_e32 v6, v[6:7]
	v_cvt_f32_f64_e32 v4, v[4:5]
	v_min3_f32 v144, v6, v4, v144
	v_add_f64 v[4:5], v[18:19], v[62:63]
	v_add_f64 v[6:7], v[16:17], v[60:61]
	v_cvt_f32_f64_e32 v6, v[6:7]
	v_cvt_f32_f64_e32 v4, v[4:5]
	v_min3_f32 v143, v6, v4, v143
	v_add_f64 v[4:5], v[14:15], v[62:63]
	v_add_f64 v[6:7], v[12:13], v[60:61]
	v_cvt_f32_f64_e32 v6, v[6:7]
	v_cvt_f32_f64_e32 v4, v[4:5]
	v_min3_f32 v142, v6, v4, v142
	v_add_f64 v[4:5], v[10:11], v[62:63]
	v_add_f64 v[6:7], v[8:9], v[60:61]
	v_cvt_f32_f64_e32 v6, v[6:7]
	v_cvt_f32_f64_e32 v4, v[4:5]
	v_min3_f32 v60, v6, v4, v141
	s_waitcnt lgkmcnt(5)
	v_add_f64 v[4:5], v[2:3], v[58:59]
	v_add_f64 v[6:7], v[0:1], v[56:57]
	v_cvt_f32_f64_e32 v6, v[6:7]
	v_cvt_f32_f64_e32 v4, v[4:5]
	v_min3_f32 v61, v6, v4, v140
	v_add_f64 v[4:5], v[34:35], v[58:59]
	v_add_f64 v[6:7], v[32:33], v[56:57]
	v_cvt_f32_f64_e32 v6, v[6:7]
	v_cvt_f32_f64_e32 v4, v[4:5]
	v_min3_f32 v62, v6, v4, v139
	v_add_f64 v[4:5], v[30:31], v[58:59]
	v_add_f64 v[6:7], v[28:29], v[56:57]
	v_cvt_f32_f64_e32 v6, v[6:7]
	v_cvt_f32_f64_e32 v4, v[4:5]
	v_min3_f32 v63, v6, v4, v138
	v_add_f64 v[4:5], v[26:27], v[58:59]
	v_add_f64 v[6:7], v[24:25], v[56:57]
	v_cvt_f32_f64_e32 v6, v[6:7]
	v_cvt_f32_f64_e32 v4, v[4:5]
	v_min3_f32 v138, v6, v4, v137
	v_add_f64 v[4:5], v[22:23], v[58:59]
	v_add_f64 v[6:7], v[20:21], v[56:57]
	v_cvt_f32_f64_e32 v6, v[6:7]
	v_cvt_f32_f64_e32 v4, v[4:5]
	v_min3_f32 v139, v6, v4, v136
	v_add_f64 v[4:5], v[18:19], v[58:59]
	v_add_f64 v[6:7], v[16:17], v[56:57]
	v_cvt_f32_f64_e32 v6, v[6:7]
	v_cvt_f32_f64_e32 v4, v[4:5]
	v_min3_f32 v135, v6, v4, v135
	v_add_f64 v[4:5], v[14:15], v[58:59]
	v_add_f64 v[6:7], v[12:13], v[56:57]
	v_cvt_f32_f64_e32 v6, v[6:7]
	v_cvt_f32_f64_e32 v4, v[4:5]
	v_min3_f32 v134, v6, v4, v134
	;; [unrolled: 41-line block ×5, first 2 shown]
	v_add_f64 v[4:5], v[10:11], v[46:47]
	v_add_f64 v[6:7], v[8:9], v[44:45]
	v_cvt_f32_f64_e32 v6, v[6:7]
	v_cvt_f32_f64_e32 v4, v[4:5]
	v_min3_f32 v104, v6, v4, v104
	s_waitcnt lgkmcnt(1)
	v_add_f64 v[4:5], v[2:3], v[42:43]
	v_add_f64 v[6:7], v[0:1], v[40:41]
	s_waitcnt lgkmcnt(0)
	v_add_f64 v[2:3], v[2:3], v[38:39]
	v_add_f64 v[0:1], v[0:1], v[36:37]
	v_cvt_f32_f64_e32 v0, v[0:1]
	v_cvt_f32_f64_e32 v1, v[2:3]
	v_cvt_f32_f64_e32 v6, v[6:7]
	v_cvt_f32_f64_e32 v4, v[4:5]
	v_min3_f32 v93, v0, v1, v93
	v_add_f64 v[0:1], v[34:35], v[38:39]
	v_add_f64 v[2:3], v[32:33], v[36:37]
	v_min3_f32 v103, v6, v4, v103
	v_add_f64 v[4:5], v[34:35], v[42:43]
	v_add_f64 v[6:7], v[32:33], v[40:41]
	v_cvt_f32_f64_e32 v2, v[2:3]
	v_cvt_f32_f64_e32 v0, v[0:1]
	v_cvt_f32_f64_e32 v6, v[6:7]
	v_cvt_f32_f64_e32 v4, v[4:5]
	v_min3_f32 v92, v2, v0, v92
	v_add_f64 v[0:1], v[30:31], v[38:39]
	v_add_f64 v[2:3], v[28:29], v[36:37]
	v_min3_f32 v102, v6, v4, v102
	;; [unrolled: 10-line block ×6, first 2 shown]
	v_add_f64 v[4:5], v[14:15], v[42:43]
	v_add_f64 v[6:7], v[12:13], v[40:41]
	v_cvt_f32_f64_e32 v2, v[2:3]
	v_cvt_f32_f64_e32 v0, v[0:1]
	;; [unrolled: 1-line block ×4, first 2 shown]
	v_min3_f32 v87, v2, v0, v87
	v_add_f64 v[0:1], v[10:11], v[38:39]
	v_add_f64 v[2:3], v[8:9], v[36:37]
	v_cvt_f32_f64_e32 v157, v[160:161]
	v_cvt_f32_f64_e32 v158, v[158:159]
	v_min3_f32 v95, v6, v4, v95
	v_add_f64 v[4:5], v[10:11], v[42:43]
	v_add_f64 v[6:7], v[8:9], v[40:41]
	v_cvt_f32_f64_e32 v2, v[2:3]
	v_cvt_f32_f64_e32 v0, v[0:1]
	v_min3_f32 v150, v157, v158, v150
	v_cvt_f32_f64_e32 v6, v[6:7]
	v_cvt_f32_f64_e32 v4, v[4:5]
	v_min3_f32 v157, v2, v0, v86
	v_lshl_add_u64 v[0:1], v[66:67], 0, v[100:101]
	v_min3_f32 v94, v6, v4, v94
	s_waitcnt vmcnt(4)
	ds_write_b64 v80, v[78:79]
	s_waitcnt vmcnt(2)
	ds_write2st64_b64 v119, v[74:75], v[76:77] offset1:4
	s_waitcnt vmcnt(0)
	ds_write2st64_b64 v119, v[70:71], v[72:73] offset0:8 offset1:12
	s_waitcnt lgkmcnt(0)
	s_barrier
	global_load_dwordx2 v[70:71], v[64:65], off offset:32
	global_load_dwordx2 v[72:73], v[0:1], off
	global_load_dwordx2 v[74:75], v[0:1], off offset:512
	global_load_dwordx2 v[76:77], v[0:1], off offset:1024
	;; [unrolled: 1-line block ×3, first 2 shown]
	ds_read_b128 v[32:35], v81 offset:256
	ds_read_b128 v[28:31], v81 offset:512
	;; [unrolled: 1-line block ×14, first 2 shown]
	ds_read_b128 v[40:43], v81
	ds_read_b128 v[0:3], v81 offset:16
	ds_read_b128 v[170:173], v130
	ds_read_b128 v[36:39], v130 offset:16
	v_lshl_add_u64 v[64:65], v[64:65], 0, 64
	v_lshl_add_u64 v[66:67], v[66:67], 0, s[8:9]
	s_waitcnt lgkmcnt(1)
	v_add_f64 v[132:133], v[42:43], v[172:173]
	v_add_f64 v[136:137], v[40:41], v[170:171]
	v_cvt_f32_f64_e32 v86, v[136:137]
	v_cvt_f32_f64_e32 v129, v[132:133]
	v_add_f64 v[132:133], v[34:35], v[172:173]
	v_add_f64 v[136:137], v[32:33], v[170:171]
	v_min3_f32 v86, v86, v129, v156
	v_cvt_f32_f64_e32 v129, v[136:137]
	v_cvt_f32_f64_e32 v131, v[132:133]
	v_add_f64 v[132:133], v[30:31], v[172:173]
	v_add_f64 v[136:137], v[28:29], v[170:171]
	v_min3_f32 v131, v129, v131, v155
	v_cvt_f32_f64_e32 v129, v[136:137]
	v_cvt_f32_f64_e32 v132, v[132:133]
	v_min3_f32 v140, v129, v132, v154
	v_add_f64 v[132:133], v[26:27], v[172:173]
	v_add_f64 v[136:137], v[24:25], v[170:171]
	v_cvt_f32_f64_e32 v129, v[136:137]
	v_cvt_f32_f64_e32 v132, v[132:133]
	v_add_f64 v[136:137], v[22:23], v[172:173]
	v_add_f64 v[154:155], v[20:21], v[170:171]
	v_min3_f32 v132, v129, v132, v153
	v_cvt_f32_f64_e32 v129, v[154:155]
	v_cvt_f32_f64_e32 v133, v[136:137]
	v_min3_f32 v133, v129, v133, v152
	v_add_f64 v[136:137], v[18:19], v[172:173]
	v_add_f64 v[152:153], v[16:17], v[170:171]
	v_cvt_f32_f64_e32 v129, v[152:153]
	v_cvt_f32_f64_e32 v136, v[136:137]
	v_add_f64 v[152:153], v[10:11], v[172:173]
	v_add_f64 v[154:155], v[8:9], v[170:171]
	v_min3_f32 v136, v129, v136, v151
	v_cvt_f32_f64_e32 v129, v[154:155]
	v_cvt_f32_f64_e32 v137, v[152:153]
	v_min3_f32 v137, v129, v137, v150
	v_add_f64 v[150:151], v[6:7], v[172:173]
	v_add_f64 v[152:153], v[4:5], v[170:171]
	v_cvt_f32_f64_e32 v129, v[152:153]
	v_cvt_f32_f64_e32 v141, v[150:151]
	v_add_f64 v[150:151], v[42:43], v[160:161]
	v_add_f64 v[152:153], v[40:41], v[158:159]
	v_min3_f32 v156, v129, v141, v149
	v_cvt_f32_f64_e32 v129, v[152:153]
	v_cvt_f32_f64_e32 v141, v[150:151]
	v_min3_f32 v155, v129, v141, v148
	v_add_f64 v[148:149], v[34:35], v[160:161]
	v_add_f64 v[150:151], v[32:33], v[158:159]
	v_cvt_f32_f64_e32 v129, v[150:151]
	v_cvt_f32_f64_e32 v141, v[148:149]
	v_add_f64 v[148:149], v[30:31], v[160:161]
	v_add_f64 v[150:151], v[28:29], v[158:159]
	v_min3_f32 v154, v129, v141, v147
	v_cvt_f32_f64_e32 v129, v[150:151]
	v_cvt_f32_f64_e32 v141, v[148:149]
	v_min3_f32 v153, v129, v141, v146
	v_add_f64 v[146:147], v[26:27], v[160:161]
	v_add_f64 v[148:149], v[24:25], v[158:159]
	v_cvt_f32_f64_e32 v129, v[148:149]
	v_cvt_f32_f64_e32 v141, v[146:147]
	v_add_f64 v[146:147], v[22:23], v[160:161]
	v_add_f64 v[148:149], v[20:21], v[158:159]
	v_min3_f32 v152, v129, v141, v145
	v_cvt_f32_f64_e32 v129, v[148:149]
	v_cvt_f32_f64_e32 v141, v[146:147]
	v_min3_f32 v151, v129, v141, v144
	v_add_f64 v[144:145], v[18:19], v[160:161]
	v_add_f64 v[146:147], v[16:17], v[158:159]
	v_cvt_f32_f64_e32 v129, v[146:147]
	v_cvt_f32_f64_e32 v141, v[144:145]
	v_add_f64 v[144:145], v[10:11], v[160:161]
	v_add_f64 v[146:147], v[8:9], v[158:159]
	v_min3_f32 v150, v129, v141, v143
	v_cvt_f32_f64_e32 v129, v[146:147]
	v_cvt_f32_f64_e32 v141, v[144:145]
	v_min3_f32 v149, v129, v141, v142
	v_add_f64 v[142:143], v[6:7], v[160:161]
	v_add_f64 v[144:145], v[4:5], v[158:159]
	v_cvt_f32_f64_e32 v129, v[144:145]
	v_cvt_f32_f64_e32 v141, v[142:143]
	v_add_f64 v[142:143], v[42:43], v[164:165]
	v_add_f64 v[144:145], v[40:41], v[162:163]
	v_min3_f32 v148, v129, v141, v60
	v_cvt_f32_f64_e32 v60, v[144:145]
	v_cvt_f32_f64_e32 v129, v[142:143]
	v_min3_f32 v147, v60, v129, v61
	v_add_f64 v[60:61], v[34:35], v[164:165]
	v_add_f64 v[142:143], v[32:33], v[162:163]
	v_cvt_f32_f64_e32 v129, v[142:143]
	v_cvt_f32_f64_e32 v60, v[60:61]
	v_min3_f32 v146, v129, v60, v62
	v_add_f64 v[60:61], v[30:31], v[164:165]
	v_add_f64 v[142:143], v[28:29], v[162:163]
	v_cvt_f32_f64_e32 v62, v[142:143]
	v_cvt_f32_f64_e32 v60, v[60:61]
	v_min3_f32 v145, v62, v60, v63
	v_add_f64 v[60:61], v[26:27], v[164:165]
	v_add_f64 v[62:63], v[24:25], v[162:163]
	;; [unrolled: 5-line block ×21, first 2 shown]
	v_add_f64 v[54:55], v[6:7], v[54:55]
	v_add_f64 v[52:53], v[4:5], v[52:53]
	v_cvt_f32_f64_e32 v58, v[58:59]
	v_cvt_f32_f64_e32 v56, v[56:57]
	;; [unrolled: 1-line block ×4, first 2 shown]
	v_min3_f32 v114, v58, v56, v113
	v_min3_f32 v113, v52, v53, v112
	v_add_f64 v[52:53], v[42:43], v[50:51]
	v_add_f64 v[54:55], v[40:41], v[48:49]
	v_cvt_f32_f64_e32 v54, v[54:55]
	v_cvt_f32_f64_e32 v52, v[52:53]
	v_min3_f32 v112, v54, v52, v111
	v_add_f64 v[52:53], v[34:35], v[50:51]
	v_add_f64 v[54:55], v[32:33], v[48:49]
	v_cvt_f32_f64_e32 v54, v[54:55]
	v_cvt_f32_f64_e32 v52, v[52:53]
	;; [unrolled: 5-line block ×6, first 2 shown]
	v_min3_f32 v107, v54, v52, v106
	v_add_f64 v[52:53], v[10:11], v[50:51]
	v_add_f64 v[54:55], v[8:9], v[48:49]
	;; [unrolled: 1-line block ×4, first 2 shown]
	v_cvt_f32_f64_e32 v54, v[54:55]
	v_cvt_f32_f64_e32 v52, v[52:53]
	;; [unrolled: 1-line block ×4, first 2 shown]
	v_min3_f32 v106, v54, v52, v105
	v_min3_f32 v105, v48, v49, v104
	v_add_f64 v[48:49], v[42:43], v[46:47]
	v_add_f64 v[50:51], v[40:41], v[44:45]
	v_cvt_f32_f64_e32 v50, v[50:51]
	v_cvt_f32_f64_e32 v48, v[48:49]
	v_min3_f32 v104, v50, v48, v103
	v_add_f64 v[48:49], v[34:35], v[46:47]
	v_add_f64 v[50:51], v[32:33], v[44:45]
	v_cvt_f32_f64_e32 v50, v[50:51]
	v_cvt_f32_f64_e32 v48, v[48:49]
	;; [unrolled: 5-line block ×6, first 2 shown]
	v_min3_f32 v97, v50, v48, v96
	v_add_f64 v[48:49], v[10:11], v[46:47]
	v_add_f64 v[50:51], v[8:9], v[44:45]
	v_add_f64 v[46:47], v[6:7], v[46:47]
	v_add_f64 v[44:45], v[4:5], v[44:45]
	v_add_f64 v[42:43], v[42:43], v[14:15]
	v_add_f64 v[40:41], v[40:41], v[12:13]
	v_add_f64 v[34:35], v[34:35], v[14:15]
	v_add_f64 v[32:33], v[32:33], v[12:13]
	v_add_f64 v[30:31], v[30:31], v[14:15]
	v_add_f64 v[28:29], v[28:29], v[12:13]
	v_add_f64 v[26:27], v[26:27], v[14:15]
	v_add_f64 v[24:25], v[24:25], v[12:13]
	v_add_f64 v[22:23], v[22:23], v[14:15]
	v_add_f64 v[20:21], v[20:21], v[12:13]
	v_add_f64 v[18:19], v[18:19], v[14:15]
	v_add_f64 v[16:17], v[16:17], v[12:13]
	v_add_f64 v[10:11], v[10:11], v[14:15]
	v_add_f64 v[8:9], v[8:9], v[12:13]
	v_add_f64 v[6:7], v[6:7], v[14:15]
	v_add_f64 v[4:5], v[4:5], v[12:13]
	v_cvt_f32_f64_e32 v50, v[50:51]
	v_cvt_f32_f64_e32 v48, v[48:49]
	;; [unrolled: 1-line block ×20, first 2 shown]
	s_waitcnt lgkmcnt(0)
	v_add_f64 v[158:159], v[2:3], v[38:39]
	v_add_f64 v[160:161], v[0:1], v[36:37]
	v_min3_f32 v96, v50, v48, v95
	v_min3_f32 v95, v44, v45, v94
	;; [unrolled: 1-line block ×10, first 2 shown]
	v_cvt_f32_f64_e32 v157, v[160:161]
	v_cvt_f32_f64_e32 v158, v[158:159]
	ds_read_b128 v[28:31], v81 offset:272
	ds_read_b128 v[24:27], v81 offset:528
	;; [unrolled: 1-line block ×14, first 2 shown]
	v_min3_f32 v86, v157, v158, v86
	s_waitcnt lgkmcnt(13)
	v_add_f64 v[158:159], v[30:31], v[38:39]
	v_add_f64 v[160:161], v[28:29], v[36:37]
	v_cvt_f32_f64_e32 v157, v[160:161]
	v_cvt_f32_f64_e32 v158, v[158:159]
	v_min3_f32 v131, v157, v158, v131
	s_waitcnt lgkmcnt(12)
	v_add_f64 v[158:159], v[26:27], v[38:39]
	v_add_f64 v[160:161], v[24:25], v[36:37]
	v_cvt_f32_f64_e32 v157, v[160:161]
	v_cvt_f32_f64_e32 v158, v[158:159]
	;; [unrolled: 6-line block ×5, first 2 shown]
	v_min3_f32 v136, v157, v158, v136
	s_waitcnt lgkmcnt(8)
	v_add_f64 v[158:159], v[10:11], v[38:39]
	v_add_f64 v[160:161], v[8:9], v[36:37]
	s_waitcnt lgkmcnt(7)
	v_add_f64 v[38:39], v[6:7], v[38:39]
	v_add_f64 v[36:37], v[4:5], v[36:37]
	v_cvt_f32_f64_e32 v36, v[36:37]
	v_cvt_f32_f64_e32 v37, v[38:39]
	v_min3_f32 v211, v36, v37, v156
	s_waitcnt lgkmcnt(6)
	v_add_f64 v[36:37], v[2:3], v[62:63]
	v_add_f64 v[38:39], v[0:1], v[60:61]
	v_cvt_f32_f64_e32 v38, v[38:39]
	v_cvt_f32_f64_e32 v36, v[36:37]
	v_min3_f32 v212, v38, v36, v155
	v_add_f64 v[36:37], v[30:31], v[62:63]
	v_add_f64 v[38:39], v[28:29], v[60:61]
	v_cvt_f32_f64_e32 v38, v[38:39]
	v_cvt_f32_f64_e32 v36, v[36:37]
	v_min3_f32 v209, v38, v36, v154
	v_add_f64 v[36:37], v[26:27], v[62:63]
	v_add_f64 v[38:39], v[24:25], v[60:61]
	v_cvt_f32_f64_e32 v38, v[38:39]
	v_cvt_f32_f64_e32 v36, v[36:37]
	v_min3_f32 v210, v38, v36, v153
	v_add_f64 v[36:37], v[22:23], v[62:63]
	v_add_f64 v[38:39], v[20:21], v[60:61]
	v_cvt_f32_f64_e32 v38, v[38:39]
	v_cvt_f32_f64_e32 v36, v[36:37]
	v_min3_f32 v207, v38, v36, v152
	v_add_f64 v[36:37], v[18:19], v[62:63]
	v_add_f64 v[38:39], v[16:17], v[60:61]
	v_cvt_f32_f64_e32 v38, v[38:39]
	v_cvt_f32_f64_e32 v36, v[36:37]
	v_min3_f32 v208, v38, v36, v151
	v_add_f64 v[36:37], v[14:15], v[62:63]
	v_add_f64 v[38:39], v[12:13], v[60:61]
	v_cvt_f32_f64_e32 v38, v[38:39]
	v_cvt_f32_f64_e32 v36, v[36:37]
	v_min3_f32 v204, v38, v36, v150
	v_add_f64 v[36:37], v[10:11], v[62:63]
	v_add_f64 v[38:39], v[8:9], v[60:61]
	v_cvt_f32_f64_e32 v38, v[38:39]
	v_cvt_f32_f64_e32 v36, v[36:37]
	v_min3_f32 v206, v38, v36, v149
	v_add_f64 v[36:37], v[6:7], v[62:63]
	v_add_f64 v[38:39], v[4:5], v[60:61]
	v_cvt_f32_f64_e32 v38, v[38:39]
	v_cvt_f32_f64_e32 v36, v[36:37]
	v_min3_f32 v203, v38, v36, v148
	s_waitcnt lgkmcnt(5)
	v_add_f64 v[36:37], v[2:3], v[58:59]
	v_add_f64 v[38:39], v[0:1], v[56:57]
	v_cvt_f32_f64_e32 v38, v[38:39]
	v_cvt_f32_f64_e32 v36, v[36:37]
	v_min3_f32 v205, v38, v36, v147
	v_add_f64 v[36:37], v[30:31], v[58:59]
	v_add_f64 v[38:39], v[28:29], v[56:57]
	v_cvt_f32_f64_e32 v38, v[38:39]
	v_cvt_f32_f64_e32 v36, v[36:37]
	v_min3_f32 v201, v38, v36, v146
	v_add_f64 v[36:37], v[26:27], v[58:59]
	v_add_f64 v[38:39], v[24:25], v[56:57]
	v_cvt_f32_f64_e32 v38, v[38:39]
	v_cvt_f32_f64_e32 v36, v[36:37]
	v_min3_f32 v202, v38, v36, v145
	v_add_f64 v[36:37], v[22:23], v[58:59]
	v_add_f64 v[38:39], v[20:21], v[56:57]
	v_cvt_f32_f64_e32 v38, v[38:39]
	v_cvt_f32_f64_e32 v36, v[36:37]
	v_min3_f32 v198, v38, v36, v144
	v_add_f64 v[36:37], v[18:19], v[58:59]
	v_add_f64 v[38:39], v[16:17], v[56:57]
	v_cvt_f32_f64_e32 v38, v[38:39]
	v_cvt_f32_f64_e32 v36, v[36:37]
	v_min3_f32 v199, v38, v36, v143
	v_add_f64 v[36:37], v[14:15], v[58:59]
	v_add_f64 v[38:39], v[12:13], v[56:57]
	v_cvt_f32_f64_e32 v38, v[38:39]
	v_cvt_f32_f64_e32 v36, v[36:37]
	v_min3_f32 v195, v38, v36, v142
	v_add_f64 v[36:37], v[10:11], v[58:59]
	v_add_f64 v[38:39], v[8:9], v[56:57]
	v_cvt_f32_f64_e32 v38, v[38:39]
	v_cvt_f32_f64_e32 v36, v[36:37]
	v_min3_f32 v197, v38, v36, v141
	;; [unrolled: 41-line block ×5, first 2 shown]
	v_add_f64 v[36:37], v[6:7], v[46:47]
	v_add_f64 v[38:39], v[4:5], v[44:45]
	v_cvt_f32_f64_e32 v38, v[38:39]
	v_cvt_f32_f64_e32 v36, v[36:37]
	v_min3_f32 v170, v38, v36, v105
	s_waitcnt lgkmcnt(1)
	v_add_f64 v[36:37], v[2:3], v[42:43]
	v_add_f64 v[38:39], v[0:1], v[40:41]
	s_waitcnt lgkmcnt(0)
	v_add_f64 v[2:3], v[2:3], v[34:35]
	v_add_f64 v[0:1], v[0:1], v[32:33]
	v_cvt_f32_f64_e32 v38, v[38:39]
	v_cvt_f32_f64_e32 v36, v[36:37]
	;; [unrolled: 1-line block ×4, first 2 shown]
	v_min3_f32 v172, v38, v36, v104
	v_add_f64 v[36:37], v[30:31], v[42:43]
	v_add_f64 v[38:39], v[28:29], v[40:41]
	v_min3_f32 v163, v0, v1, v94
	v_add_f64 v[0:1], v[30:31], v[34:35]
	v_add_f64 v[2:3], v[28:29], v[32:33]
	v_cvt_f32_f64_e32 v38, v[38:39]
	v_cvt_f32_f64_e32 v36, v[36:37]
	;; [unrolled: 1-line block ×5, first 2 shown]
	v_min3_f32 v168, v38, v36, v103
	v_add_f64 v[36:37], v[26:27], v[42:43]
	v_add_f64 v[38:39], v[24:25], v[40:41]
	v_min3_f32 v160, v2, v0, v93
	v_add_f64 v[0:1], v[26:27], v[34:35]
	v_add_f64 v[2:3], v[24:25], v[32:33]
	v_cvt_f32_f64_e32 v38, v[38:39]
	v_cvt_f32_f64_e32 v36, v[36:37]
	;; [unrolled: 1-line block ×4, first 2 shown]
	v_min3_f32 v169, v38, v36, v102
	v_add_f64 v[36:37], v[22:23], v[42:43]
	v_add_f64 v[38:39], v[20:21], v[40:41]
	v_min3_f32 v161, v2, v0, v92
	v_add_f64 v[0:1], v[22:23], v[34:35]
	v_add_f64 v[2:3], v[20:21], v[32:33]
	v_cvt_f32_f64_e32 v158, v[158:159]
	v_cvt_f32_f64_e32 v38, v[38:39]
	;; [unrolled: 1-line block ×5, first 2 shown]
	v_min3_f32 v137, v157, v158, v137
	v_min3_f32 v166, v38, v36, v99
	v_add_f64 v[36:37], v[18:19], v[42:43]
	v_add_f64 v[38:39], v[16:17], v[40:41]
	v_min3_f32 v158, v2, v0, v91
	v_add_f64 v[0:1], v[18:19], v[34:35]
	v_add_f64 v[2:3], v[16:17], v[32:33]
	v_cvt_f32_f64_e32 v38, v[38:39]
	v_cvt_f32_f64_e32 v36, v[36:37]
	v_cvt_f32_f64_e32 v2, v[2:3]
	v_cvt_f32_f64_e32 v0, v[0:1]
	v_min3_f32 v167, v38, v36, v98
	v_add_f64 v[36:37], v[14:15], v[42:43]
	v_add_f64 v[38:39], v[12:13], v[40:41]
	v_min3_f32 v159, v2, v0, v90
	v_add_f64 v[0:1], v[14:15], v[34:35]
	v_add_f64 v[2:3], v[12:13], v[32:33]
	v_cvt_f32_f64_e32 v38, v[38:39]
	v_cvt_f32_f64_e32 v36, v[36:37]
	v_cvt_f32_f64_e32 v2, v[2:3]
	v_cvt_f32_f64_e32 v0, v[0:1]
	;; [unrolled: 10-line block ×4, first 2 shown]
	v_min3_f32 v162, v38, v36, v95
	v_min3_f32 v200, v2, v0, v87
	s_waitcnt vmcnt(4)
	ds_write_b64 v82, v[70:71]
	s_waitcnt vmcnt(2)
	ds_write2st64_b64 v83, v[72:73], v[74:75] offset1:4
	s_waitcnt vmcnt(0)
	ds_write2st64_b64 v83, v[76:77], v[78:79] offset0:8 offset1:12
	s_waitcnt lgkmcnt(0)
	s_barrier
	s_cbranch_scc0 .LBB175_10
.LBB175_11:
	s_load_dwordx2 s[14:15], s[0:1], 0x78
	s_load_dword s8, s[0:1], 0x58
	s_load_dword s9, s[0:1], 0x70
	ds_read_b128 v[68:71], v118 offset:18432
	ds_read_b128 v[124:127], v130 offset:8192
	;; [unrolled: 1-line block ×4, first 2 shown]
	s_waitcnt lgkmcnt(0)
	s_mul_i32 s1, s15, s3
	s_mul_hi_u32 s15, s14, s3
	s_mul_i32 s0, s14, s3
	v_add_f64 v[0:1], v[70:71], v[126:127]
	v_add_f64 v[2:3], v[68:69], v[124:125]
	s_add_i32 s1, s15, s1
	v_cvt_f32_f64_e32 v2, v[2:3]
	v_cvt_f32_f64_e32 v0, v[0:1]
	s_lshl_b64 s[0:1], s[0:1], 3
	v_min3_f32 v4, v2, v0, v86
	v_add_f64 v[0:1], v[66:67], v[122:123]
	v_add_f64 v[2:3], v[64:65], v[120:121]
	s_add_u32 s0, s10, s0
	v_cvt_f32_f64_e32 v2, v[2:3]
	v_cvt_f32_f64_e32 v0, v[0:1]
	v_add_u32_e32 v213, s20, v117
	s_addc_u32 s1, s11, s1
	v_min3_f32 v2, v2, v0, v4
	v_add_u32_e32 v134, s2, v116
	v_mad_i64_i32 v[0:1], s[2:3], v213, s9, 0
	v_add_u32_e32 v128, 8, v134
	v_lshl_add_u64 v[152:153], v[0:1], 3, s[0:1]
	v_mad_i64_i32 v[0:1], s[2:3], v213, s8, 0
	v_ashrrev_i32_e32 v135, 31, v134
	v_ashrrev_i32_e32 v129, 31, v128
	s_mov_b64 s[2:3], -1
	v_max_f32_e32 v2, v2, v2
	s_mov_b64 vcc, s[4:5]
	s_cbranch_vccz .LBB175_13
; %bb.12:
	v_min_f32_e32 v3, 0, v2
	v_cvt_f64_f32_e32 v[4:5], v3
	v_lshl_add_u64 v[6:7], v[134:135], 3, v[152:153]
	global_store_dwordx2 v[6:7], v[4:5], off
	s_mov_b64 s[2:3], 0
.LBB175_13:
	ds_read_b128 v[60:63], v118 offset:18688
	ds_read_b128 v[52:55], v118 offset:18704
	;; [unrolled: 1-line block ×4, first 2 shown]
	v_lshl_add_u64 v[154:155], v[0:1], 3, s[12:13]
	v_mov_b32_e32 v142, 0
	s_andn2_b64 vcc, exec, s[2:3]
	v_lshlrev_b64 v[138:139], 3, v[134:135]
	s_cbranch_vccnz .LBB175_15
; %bb.14:
	v_lshl_add_u64 v[0:1], v[154:155], 0, v[138:139]
	global_load_dwordx2 v[0:1], v[0:1], off
	v_lshl_add_u64 v[4:5], v[152:153], 0, v[138:139]
	s_waitcnt vmcnt(0)
	v_mul_f64 v[0:1], s[6:7], v[0:1]
	v_cvt_f32_f64_e32 v0, v[0:1]
	v_min_f32_e32 v0, v0, v2
	v_cvt_f64_f32_e32 v[0:1], v0
	global_store_dwordx2 v[4:5], v[0:1], off
	v_lshl_add_u64 v[0:1], v[128:129], 3, v[154:155]
	global_load_dwordx2 v[0:1], v[0:1], off
	s_waitcnt vmcnt(0)
	v_mul_f64 v[0:1], s[6:7], v[0:1]
	v_cvt_f32_f64_e32 v142, v[0:1]
.LBB175_15:
	ds_read_b128 v[40:43], v118 offset:19200
	ds_read_b128 v[36:39], v118 offset:19216
	;; [unrolled: 1-line block ×24, first 2 shown]
	s_waitcnt lgkmcnt(14)
	v_add_f64 v[144:145], v[62:63], v[126:127]
	v_add_f64 v[146:147], v[60:61], v[124:125]
	v_cvt_f32_f64_e32 v130, v[146:147]
	v_cvt_f32_f64_e32 v141, v[144:145]
	v_min3_f32 v143, v130, v141, v131
	v_add_f64 v[130:131], v[58:59], v[126:127]
	v_add_f64 v[144:145], v[56:57], v[124:125]
	v_cvt_f32_f64_e32 v141, v[144:145]
	v_cvt_f32_f64_e32 v130, v[130:131]
	v_min3_f32 v144, v141, v130, v140
	v_add_f64 v[130:131], v[54:55], v[122:123]
	v_add_f64 v[140:141], v[52:53], v[120:121]
	v_cvt_f32_f64_e32 v140, v[140:141]
	v_cvt_f32_f64_e32 v130, v[130:131]
	v_min_f32_e32 v145, v140, v130
	v_add_f64 v[130:131], v[50:51], v[122:123]
	v_add_f64 v[140:141], v[48:49], v[120:121]
	v_cvt_f32_f64_e32 v140, v[140:141]
	v_cvt_f32_f64_e32 v130, v[130:131]
	v_min3_f32 v142, v142, v145, v143
	v_min3_f32 v146, v140, v130, v144
	v_add_u32_e32 v140, 16, v134
	v_add_u32_e32 v130, 24, v134
	v_cvt_f64_f32_e32 v[142:143], v142
	v_lshl_add_u64 v[144:145], v[128:129], 3, v[152:153]
	v_ashrrev_i32_e32 v141, 31, v140
	v_ashrrev_i32_e32 v131, 31, v130
	global_store_dwordx2 v[144:145], v[142:143], off
	s_mov_b64 s[2:3], -1
	v_max_f32_e32 v142, v146, v146
	s_mov_b64 vcc, s[4:5]
	s_cbranch_vccz .LBB175_17
; %bb.16:
	v_min_f32_e32 v143, 0, v142
	v_cvt_f64_f32_e32 v[144:145], v143
	v_lshl_add_u64 v[146:147], v[140:141], 3, v[152:153]
	global_store_dwordx2 v[146:147], v[144:145], off
	s_mov_b64 s[2:3], 0
.LBB175_17:
	v_mov_b32_e32 v146, 0
	s_andn2_b64 vcc, exec, s[2:3]
	v_lshlrev_b64 v[144:145], 3, v[140:141]
	s_cbranch_vccnz .LBB175_19
; %bb.18:
	v_lshl_add_u64 v[146:147], v[154:155], 0, v[144:145]
	global_load_dwordx2 v[146:147], v[146:147], off
	v_lshl_add_u64 v[148:149], v[152:153], 0, v[144:145]
	s_waitcnt vmcnt(0)
	v_mul_f64 v[146:147], s[6:7], v[146:147]
	v_cvt_f32_f64_e32 v143, v[146:147]
	v_min_f32_e32 v142, v143, v142
	v_cvt_f64_f32_e32 v[142:143], v142
	global_store_dwordx2 v[148:149], v[142:143], off
	v_lshl_add_u64 v[142:143], v[130:131], 3, v[154:155]
	global_load_dwordx2 v[142:143], v[142:143], off
	s_waitcnt vmcnt(0)
	v_mul_f64 v[142:143], s[6:7], v[142:143]
	v_cvt_f32_f64_e32 v146, v[142:143]
.LBB175_19:
	v_add_f64 v[142:143], v[42:43], v[126:127]
	v_add_f64 v[148:149], v[40:41], v[124:125]
	v_cvt_f32_f64_e32 v147, v[148:149]
	v_cvt_f32_f64_e32 v142, v[142:143]
	v_min3_f32 v147, v147, v142, v132
	v_add_f64 v[142:143], v[46:47], v[126:127]
	v_add_f64 v[148:149], v[44:45], v[124:125]
	v_cvt_f32_f64_e32 v132, v[148:149]
	v_cvt_f32_f64_e32 v142, v[142:143]
	v_min3_f32 v148, v132, v142, v133
	v_add_f64 v[132:133], v[38:39], v[122:123]
	v_add_f64 v[142:143], v[36:37], v[120:121]
	v_cvt_f32_f64_e32 v142, v[142:143]
	v_cvt_f32_f64_e32 v132, v[132:133]
	v_min_f32_e32 v149, v142, v132
	v_add_f64 v[132:133], v[34:35], v[122:123]
	v_add_f64 v[142:143], v[32:33], v[120:121]
	v_cvt_f32_f64_e32 v142, v[142:143]
	v_cvt_f32_f64_e32 v132, v[132:133]
	v_min3_f32 v146, v146, v149, v147
	v_min3_f32 v150, v142, v132, v148
	v_add_u32_e32 v142, 32, v134
	v_add_u32_e32 v132, 40, v134
	v_cvt_f64_f32_e32 v[146:147], v146
	v_lshl_add_u64 v[148:149], v[130:131], 3, v[152:153]
	v_ashrrev_i32_e32 v143, 31, v142
	v_ashrrev_i32_e32 v133, 31, v132
	global_store_dwordx2 v[148:149], v[146:147], off
	s_mov_b64 s[2:3], -1
	v_max_f32_e32 v146, v150, v150
	s_mov_b64 vcc, s[4:5]
	s_cbranch_vccz .LBB175_21
; %bb.20:
	v_min_f32_e32 v147, 0, v146
	v_cvt_f64_f32_e32 v[148:149], v147
	v_lshl_add_u64 v[150:151], v[142:143], 3, v[152:153]
	global_store_dwordx2 v[150:151], v[148:149], off
	s_mov_b64 s[2:3], 0
.LBB175_21:
	v_mov_b32_e32 v150, 0
	s_andn2_b64 vcc, exec, s[2:3]
	v_lshlrev_b64 v[148:149], 3, v[142:143]
	s_cbranch_vccnz .LBB175_23
; %bb.22:
	v_lshl_add_u64 v[150:151], v[154:155], 0, v[148:149]
	global_load_dwordx2 v[150:151], v[150:151], off
	v_lshl_add_u64 v[214:215], v[152:153], 0, v[148:149]
	s_waitcnt vmcnt(0)
	v_mul_f64 v[150:151], s[6:7], v[150:151]
	v_cvt_f32_f64_e32 v147, v[150:151]
	v_min_f32_e32 v146, v147, v146
	v_cvt_f64_f32_e32 v[146:147], v146
	global_store_dwordx2 v[214:215], v[146:147], off
	v_lshl_add_u64 v[146:147], v[132:133], 3, v[154:155]
	global_load_dwordx2 v[146:147], v[146:147], off
	s_waitcnt vmcnt(0)
	v_mul_f64 v[146:147], s[6:7], v[146:147]
	v_cvt_f32_f64_e32 v150, v[146:147]
.LBB175_23:
	v_add_f64 v[146:147], v[30:31], v[126:127]
	v_add_f64 v[214:215], v[28:29], v[124:125]
	v_cvt_f32_f64_e32 v151, v[214:215]
	v_cvt_f32_f64_e32 v146, v[146:147]
	v_min3_f32 v151, v151, v146, v136
	v_add_f64 v[146:147], v[26:27], v[126:127]
	v_add_f64 v[214:215], v[24:25], v[124:125]
	v_cvt_f32_f64_e32 v136, v[214:215]
	v_cvt_f32_f64_e32 v146, v[146:147]
	v_min3_f32 v214, v136, v146, v137
	v_add_f64 v[136:137], v[22:23], v[122:123]
	v_add_f64 v[146:147], v[20:21], v[120:121]
	v_cvt_f32_f64_e32 v146, v[146:147]
	v_cvt_f32_f64_e32 v136, v[136:137]
	v_min_f32_e32 v215, v146, v136
	v_add_f64 v[136:137], v[18:19], v[122:123]
	v_add_f64 v[146:147], v[16:17], v[120:121]
	v_cvt_f32_f64_e32 v146, v[146:147]
	v_cvt_f32_f64_e32 v136, v[136:137]
	v_min3_f32 v150, v150, v215, v151
	v_min3_f32 v216, v146, v136, v214
	v_add_u32_e32 v146, 48, v134
	v_add_u32_e32 v136, 56, v134
	v_cvt_f64_f32_e32 v[150:151], v150
	v_lshl_add_u64 v[214:215], v[132:133], 3, v[152:153]
	v_ashrrev_i32_e32 v147, 31, v146
	v_ashrrev_i32_e32 v137, 31, v136
	global_store_dwordx2 v[214:215], v[150:151], off
	s_mov_b64 s[2:3], -1
	v_max_f32_e32 v215, v216, v216
	s_mov_b64 vcc, s[4:5]
	s_cbranch_vccz .LBB175_25
; %bb.24:
	v_min_f32_e32 v150, 0, v215
	v_cvt_f64_f32_e32 v[150:151], v150
	v_lshl_add_u64 v[216:217], v[146:147], 3, v[152:153]
	global_store_dwordx2 v[216:217], v[150:151], off
	s_mov_b64 s[2:3], 0
.LBB175_25:
	v_mov_b32_e32 v214, 0
	s_andn2_b64 vcc, exec, s[2:3]
	v_lshlrev_b64 v[150:151], 3, v[146:147]
	s_cbranch_vccnz .LBB175_27
; %bb.26:
	v_lshl_add_u64 v[216:217], v[154:155], 0, v[150:151]
	global_load_dwordx2 v[216:217], v[216:217], off
	v_lshl_add_u64 v[218:219], v[152:153], 0, v[150:151]
	v_lshl_add_u64 v[154:155], v[136:137], 3, v[154:155]
	s_waitcnt vmcnt(0)
	v_mul_f64 v[216:217], s[6:7], v[216:217]
	v_cvt_f32_f64_e32 v214, v[216:217]
	v_min_f32_e32 v214, v214, v215
	v_cvt_f64_f32_e32 v[214:215], v214
	global_store_dwordx2 v[218:219], v[214:215], off
	global_load_dwordx2 v[154:155], v[154:155], off
	s_waitcnt vmcnt(0)
	v_mul_f64 v[154:155], s[6:7], v[154:155]
	v_cvt_f32_f64_e32 v214, v[154:155]
.LBB175_27:
	v_add_f64 v[126:127], v[2:3], v[126:127]
	v_add_f64 v[124:125], v[0:1], v[124:125]
	v_cvt_f32_f64_e32 v124, v[124:125]
	v_cvt_f32_f64_e32 v125, v[126:127]
	v_add_f64 v[122:123], v[10:11], v[122:123]
	v_add_f64 v[120:121], v[8:9], v[120:121]
	v_min3_f32 v154, v124, v125, v211
	s_waitcnt lgkmcnt(13)
	v_add_f64 v[124:125], v[70:71], v[118:119]
	v_add_f64 v[126:127], v[68:69], v[116:117]
	v_cvt_f32_f64_e32 v120, v[120:121]
	v_cvt_f32_f64_e32 v121, v[122:123]
	v_cvt_f32_f64_e32 v126, v[126:127]
	v_cvt_f32_f64_e32 v124, v[124:125]
	v_min_f32_e32 v125, v120, v121
	s_waitcnt lgkmcnt(12)
	v_add_f64 v[120:121], v[66:67], v[114:115]
	v_add_f64 v[122:123], v[64:65], v[112:113]
	v_min3_f32 v124, v126, v124, v212
	v_cvt_f32_f64_e32 v122, v[122:123]
	v_cvt_f32_f64_e32 v120, v[120:121]
	v_min3_f32 v124, v122, v120, v124
	v_min3_f32 v120, v214, v125, v154
	v_cvt_f64_f32_e32 v[120:121], v120
	v_lshl_add_u64 v[122:123], v[136:137], 3, v[152:153]
	global_store_dwordx2 v[122:123], v[120:121], off
	v_add_u32_e32 v122, 32, v213
	v_mad_i64_i32 v[120:121], s[2:3], v122, s9, 0
	v_mad_i64_i32 v[122:123], s[2:3], v122, s8, 0
	v_lshl_add_u64 v[120:121], v[120:121], 3, s[0:1]
	s_mov_b64 s[2:3], -1
	v_max_f32_e32 v125, v124, v124
	s_mov_b64 vcc, s[4:5]
	s_cbranch_vccz .LBB175_29
; %bb.28:
	v_min_f32_e32 v124, 0, v125
	v_cvt_f64_f32_e32 v[126:127], v124
	v_lshl_add_u64 v[152:153], v[134:135], 3, v[120:121]
	global_store_dwordx2 v[152:153], v[126:127], off
	s_mov_b64 s[2:3], 0
.LBB175_29:
	v_lshl_add_u64 v[122:123], v[122:123], 3, s[12:13]
	s_andn2_b64 vcc, exec, s[2:3]
	v_mov_b32_e32 v124, 0
	s_cbranch_vccnz .LBB175_31
; %bb.30:
	v_lshl_add_u64 v[126:127], v[122:123], 0, v[138:139]
	global_load_dwordx2 v[126:127], v[126:127], off
	v_lshl_add_u64 v[152:153], v[120:121], 0, v[138:139]
	s_waitcnt vmcnt(0)
	v_mul_f64 v[126:127], s[6:7], v[126:127]
	v_cvt_f32_f64_e32 v124, v[126:127]
	v_min_f32_e32 v124, v124, v125
	v_cvt_f64_f32_e32 v[124:125], v124
	global_store_dwordx2 v[152:153], v[124:125], off
	v_lshl_add_u64 v[124:125], v[128:129], 3, v[122:123]
	global_load_dwordx2 v[124:125], v[124:125], off
	s_waitcnt vmcnt(0)
	v_mul_f64 v[124:125], s[6:7], v[124:125]
	v_cvt_f32_f64_e32 v124, v[124:125]
.LBB175_31:
	v_add_f64 v[126:127], v[62:63], v[118:119]
	v_add_f64 v[152:153], v[60:61], v[116:117]
	v_cvt_f32_f64_e32 v125, v[152:153]
	v_cvt_f32_f64_e32 v126, v[126:127]
	v_min3_f32 v125, v125, v126, v209
	v_add_f64 v[126:127], v[58:59], v[118:119]
	v_add_f64 v[152:153], v[56:57], v[116:117]
	v_cvt_f32_f64_e32 v152, v[152:153]
	v_cvt_f32_f64_e32 v126, v[126:127]
	v_min3_f32 v154, v152, v126, v210
	v_add_f64 v[126:127], v[54:55], v[114:115]
	v_add_f64 v[152:153], v[52:53], v[112:113]
	v_cvt_f32_f64_e32 v152, v[152:153]
	v_cvt_f32_f64_e32 v126, v[126:127]
	v_min_f32_e32 v155, v152, v126
	v_add_f64 v[126:127], v[50:51], v[114:115]
	v_add_f64 v[152:153], v[48:49], v[112:113]
	v_cvt_f32_f64_e32 v152, v[152:153]
	v_cvt_f32_f64_e32 v126, v[126:127]
	v_min3_f32 v124, v124, v155, v125
	v_min3_f32 v152, v152, v126, v154
	v_cvt_f64_f32_e32 v[124:125], v124
	v_lshl_add_u64 v[126:127], v[128:129], 3, v[120:121]
	global_store_dwordx2 v[126:127], v[124:125], off
	s_mov_b64 s[2:3], -1
	v_max_f32_e32 v125, v152, v152
	s_mov_b64 vcc, s[4:5]
	s_cbranch_vccz .LBB175_33
; %bb.32:
	v_min_f32_e32 v124, 0, v125
	v_cvt_f64_f32_e32 v[126:127], v124
	v_lshl_add_u64 v[152:153], v[140:141], 3, v[120:121]
	global_store_dwordx2 v[152:153], v[126:127], off
	s_mov_b64 s[2:3], 0
.LBB175_33:
	s_andn2_b64 vcc, exec, s[2:3]
	v_mov_b32_e32 v124, 0
	s_cbranch_vccnz .LBB175_35
; %bb.34:
	v_lshl_add_u64 v[126:127], v[122:123], 0, v[144:145]
	global_load_dwordx2 v[126:127], v[126:127], off
	v_lshl_add_u64 v[152:153], v[120:121], 0, v[144:145]
	s_waitcnt vmcnt(0)
	v_mul_f64 v[126:127], s[6:7], v[126:127]
	v_cvt_f32_f64_e32 v124, v[126:127]
	v_min_f32_e32 v124, v124, v125
	v_cvt_f64_f32_e32 v[124:125], v124
	global_store_dwordx2 v[152:153], v[124:125], off
	v_lshl_add_u64 v[124:125], v[130:131], 3, v[122:123]
	global_load_dwordx2 v[124:125], v[124:125], off
	s_waitcnt vmcnt(0)
	v_mul_f64 v[124:125], s[6:7], v[124:125]
	v_cvt_f32_f64_e32 v124, v[124:125]
.LBB175_35:
	v_add_f64 v[126:127], v[42:43], v[118:119]
	v_add_f64 v[152:153], v[40:41], v[116:117]
	v_cvt_f32_f64_e32 v125, v[152:153]
	v_cvt_f32_f64_e32 v126, v[126:127]
	v_min3_f32 v125, v125, v126, v207
	v_add_f64 v[126:127], v[46:47], v[118:119]
	v_add_f64 v[152:153], v[44:45], v[116:117]
	v_cvt_f32_f64_e32 v152, v[152:153]
	v_cvt_f32_f64_e32 v126, v[126:127]
	v_min3_f32 v154, v152, v126, v208
	v_add_f64 v[126:127], v[38:39], v[114:115]
	v_add_f64 v[152:153], v[36:37], v[112:113]
	v_cvt_f32_f64_e32 v152, v[152:153]
	v_cvt_f32_f64_e32 v126, v[126:127]
	v_min_f32_e32 v155, v152, v126
	v_add_f64 v[126:127], v[34:35], v[114:115]
	v_add_f64 v[152:153], v[32:33], v[112:113]
	v_cvt_f32_f64_e32 v152, v[152:153]
	v_cvt_f32_f64_e32 v126, v[126:127]
	v_min3_f32 v124, v124, v155, v125
	v_min3_f32 v152, v152, v126, v154
	v_cvt_f64_f32_e32 v[124:125], v124
	v_lshl_add_u64 v[126:127], v[130:131], 3, v[120:121]
	global_store_dwordx2 v[126:127], v[124:125], off
	s_mov_b64 s[2:3], -1
	v_max_f32_e32 v125, v152, v152
	s_mov_b64 vcc, s[4:5]
	s_cbranch_vccz .LBB175_37
; %bb.36:
	v_min_f32_e32 v124, 0, v125
	v_cvt_f64_f32_e32 v[126:127], v124
	v_lshl_add_u64 v[152:153], v[142:143], 3, v[120:121]
	global_store_dwordx2 v[152:153], v[126:127], off
	s_mov_b64 s[2:3], 0
.LBB175_37:
	;; [unrolled: 54-line block ×3, first 2 shown]
	s_andn2_b64 vcc, exec, s[2:3]
	v_mov_b32_e32 v124, 0
	s_cbranch_vccnz .LBB175_43
; %bb.42:
	v_lshl_add_u64 v[126:127], v[122:123], 0, v[150:151]
	global_load_dwordx2 v[126:127], v[126:127], off
	v_lshl_add_u64 v[152:153], v[120:121], 0, v[150:151]
	v_lshl_add_u64 v[122:123], v[136:137], 3, v[122:123]
	s_waitcnt vmcnt(0)
	v_mul_f64 v[126:127], s[6:7], v[126:127]
	v_cvt_f32_f64_e32 v124, v[126:127]
	v_min_f32_e32 v124, v124, v125
	v_cvt_f64_f32_e32 v[124:125], v124
	global_store_dwordx2 v[152:153], v[124:125], off
	global_load_dwordx2 v[122:123], v[122:123], off
	s_waitcnt vmcnt(0)
	v_mul_f64 v[122:123], s[6:7], v[122:123]
	v_cvt_f32_f64_e32 v124, v[122:123]
.LBB175_43:
	v_add_f64 v[118:119], v[2:3], v[118:119]
	v_add_f64 v[116:117], v[0:1], v[116:117]
	v_cvt_f32_f64_e32 v116, v[116:117]
	v_cvt_f32_f64_e32 v117, v[118:119]
	v_add_f64 v[114:115], v[10:11], v[114:115]
	v_add_f64 v[112:113], v[8:9], v[112:113]
	v_min3_f32 v122, v116, v117, v203
	s_waitcnt lgkmcnt(11)
	v_add_f64 v[116:117], v[70:71], v[110:111]
	v_add_f64 v[118:119], v[68:69], v[108:109]
	v_cvt_f32_f64_e32 v112, v[112:113]
	v_cvt_f32_f64_e32 v113, v[114:115]
	;; [unrolled: 1-line block ×4, first 2 shown]
	v_min_f32_e32 v117, v112, v113
	s_waitcnt lgkmcnt(10)
	v_add_f64 v[112:113], v[66:67], v[106:107]
	v_add_f64 v[114:115], v[64:65], v[104:105]
	v_min3_f32 v116, v118, v116, v205
	v_cvt_f32_f64_e32 v114, v[114:115]
	v_cvt_f32_f64_e32 v112, v[112:113]
	v_min3_f32 v116, v114, v112, v116
	v_min3_f32 v112, v124, v117, v122
	v_cvt_f64_f32_e32 v[112:113], v112
	v_lshl_add_u64 v[114:115], v[136:137], 3, v[120:121]
	global_store_dwordx2 v[114:115], v[112:113], off
	v_add_u32_e32 v114, 64, v213
	v_mad_i64_i32 v[112:113], s[2:3], v114, s9, 0
	v_mad_i64_i32 v[114:115], s[2:3], v114, s8, 0
	v_lshl_add_u64 v[112:113], v[112:113], 3, s[0:1]
	s_mov_b64 s[2:3], -1
	v_max_f32_e32 v117, v116, v116
	s_mov_b64 vcc, s[4:5]
	s_cbranch_vccz .LBB175_45
; %bb.44:
	v_min_f32_e32 v116, 0, v117
	v_cvt_f64_f32_e32 v[118:119], v116
	v_lshl_add_u64 v[120:121], v[134:135], 3, v[112:113]
	global_store_dwordx2 v[120:121], v[118:119], off
	s_mov_b64 s[2:3], 0
.LBB175_45:
	v_lshl_add_u64 v[114:115], v[114:115], 3, s[12:13]
	s_andn2_b64 vcc, exec, s[2:3]
	v_mov_b32_e32 v116, 0
	s_cbranch_vccnz .LBB175_47
; %bb.46:
	v_lshl_add_u64 v[118:119], v[114:115], 0, v[138:139]
	global_load_dwordx2 v[118:119], v[118:119], off
	v_lshl_add_u64 v[120:121], v[112:113], 0, v[138:139]
	s_waitcnt vmcnt(0)
	v_mul_f64 v[118:119], s[6:7], v[118:119]
	v_cvt_f32_f64_e32 v116, v[118:119]
	v_min_f32_e32 v116, v116, v117
	v_cvt_f64_f32_e32 v[116:117], v116
	global_store_dwordx2 v[120:121], v[116:117], off
	v_lshl_add_u64 v[116:117], v[128:129], 3, v[114:115]
	global_load_dwordx2 v[116:117], v[116:117], off
	s_waitcnt vmcnt(0)
	v_mul_f64 v[116:117], s[6:7], v[116:117]
	v_cvt_f32_f64_e32 v116, v[116:117]
.LBB175_47:
	v_add_f64 v[118:119], v[62:63], v[110:111]
	v_add_f64 v[120:121], v[60:61], v[108:109]
	v_cvt_f32_f64_e32 v117, v[120:121]
	v_cvt_f32_f64_e32 v118, v[118:119]
	v_min3_f32 v117, v117, v118, v201
	v_add_f64 v[118:119], v[58:59], v[110:111]
	v_add_f64 v[120:121], v[56:57], v[108:109]
	v_cvt_f32_f64_e32 v120, v[120:121]
	v_cvt_f32_f64_e32 v118, v[118:119]
	v_min3_f32 v122, v120, v118, v202
	v_add_f64 v[118:119], v[54:55], v[106:107]
	v_add_f64 v[120:121], v[52:53], v[104:105]
	v_cvt_f32_f64_e32 v120, v[120:121]
	v_cvt_f32_f64_e32 v118, v[118:119]
	v_min_f32_e32 v123, v120, v118
	v_add_f64 v[118:119], v[50:51], v[106:107]
	v_add_f64 v[120:121], v[48:49], v[104:105]
	v_cvt_f32_f64_e32 v120, v[120:121]
	v_cvt_f32_f64_e32 v118, v[118:119]
	v_min3_f32 v116, v116, v123, v117
	v_min3_f32 v120, v120, v118, v122
	v_cvt_f64_f32_e32 v[116:117], v116
	v_lshl_add_u64 v[118:119], v[128:129], 3, v[112:113]
	global_store_dwordx2 v[118:119], v[116:117], off
	s_mov_b64 s[2:3], -1
	v_max_f32_e32 v117, v120, v120
	s_mov_b64 vcc, s[4:5]
	s_cbranch_vccz .LBB175_49
; %bb.48:
	v_min_f32_e32 v116, 0, v117
	v_cvt_f64_f32_e32 v[118:119], v116
	v_lshl_add_u64 v[120:121], v[140:141], 3, v[112:113]
	global_store_dwordx2 v[120:121], v[118:119], off
	s_mov_b64 s[2:3], 0
.LBB175_49:
	s_andn2_b64 vcc, exec, s[2:3]
	v_mov_b32_e32 v116, 0
	s_cbranch_vccnz .LBB175_51
; %bb.50:
	v_lshl_add_u64 v[118:119], v[114:115], 0, v[144:145]
	global_load_dwordx2 v[118:119], v[118:119], off
	v_lshl_add_u64 v[120:121], v[112:113], 0, v[144:145]
	s_waitcnt vmcnt(0)
	v_mul_f64 v[118:119], s[6:7], v[118:119]
	v_cvt_f32_f64_e32 v116, v[118:119]
	v_min_f32_e32 v116, v116, v117
	v_cvt_f64_f32_e32 v[116:117], v116
	global_store_dwordx2 v[120:121], v[116:117], off
	v_lshl_add_u64 v[116:117], v[130:131], 3, v[114:115]
	global_load_dwordx2 v[116:117], v[116:117], off
	s_waitcnt vmcnt(0)
	v_mul_f64 v[116:117], s[6:7], v[116:117]
	v_cvt_f32_f64_e32 v116, v[116:117]
.LBB175_51:
	v_add_f64 v[118:119], v[42:43], v[110:111]
	v_add_f64 v[120:121], v[40:41], v[108:109]
	v_cvt_f32_f64_e32 v117, v[120:121]
	v_cvt_f32_f64_e32 v118, v[118:119]
	v_min3_f32 v117, v117, v118, v198
	v_add_f64 v[118:119], v[46:47], v[110:111]
	v_add_f64 v[120:121], v[44:45], v[108:109]
	v_cvt_f32_f64_e32 v120, v[120:121]
	v_cvt_f32_f64_e32 v118, v[118:119]
	v_min3_f32 v122, v120, v118, v199
	v_add_f64 v[118:119], v[38:39], v[106:107]
	v_add_f64 v[120:121], v[36:37], v[104:105]
	v_cvt_f32_f64_e32 v120, v[120:121]
	v_cvt_f32_f64_e32 v118, v[118:119]
	v_min_f32_e32 v123, v120, v118
	v_add_f64 v[118:119], v[34:35], v[106:107]
	v_add_f64 v[120:121], v[32:33], v[104:105]
	v_cvt_f32_f64_e32 v120, v[120:121]
	v_cvt_f32_f64_e32 v118, v[118:119]
	v_min3_f32 v116, v116, v123, v117
	v_min3_f32 v120, v120, v118, v122
	v_cvt_f64_f32_e32 v[116:117], v116
	v_lshl_add_u64 v[118:119], v[130:131], 3, v[112:113]
	global_store_dwordx2 v[118:119], v[116:117], off
	s_mov_b64 s[2:3], -1
	v_max_f32_e32 v117, v120, v120
	s_mov_b64 vcc, s[4:5]
	s_cbranch_vccz .LBB175_53
; %bb.52:
	v_min_f32_e32 v116, 0, v117
	v_cvt_f64_f32_e32 v[118:119], v116
	v_lshl_add_u64 v[120:121], v[142:143], 3, v[112:113]
	global_store_dwordx2 v[120:121], v[118:119], off
	s_mov_b64 s[2:3], 0
.LBB175_53:
	;; [unrolled: 54-line block ×3, first 2 shown]
	s_andn2_b64 vcc, exec, s[2:3]
	v_mov_b32_e32 v116, 0
	s_cbranch_vccnz .LBB175_59
; %bb.58:
	v_lshl_add_u64 v[118:119], v[114:115], 0, v[150:151]
	global_load_dwordx2 v[118:119], v[118:119], off
	v_lshl_add_u64 v[120:121], v[112:113], 0, v[150:151]
	v_lshl_add_u64 v[114:115], v[136:137], 3, v[114:115]
	s_waitcnt vmcnt(0)
	v_mul_f64 v[118:119], s[6:7], v[118:119]
	v_cvt_f32_f64_e32 v116, v[118:119]
	v_min_f32_e32 v116, v116, v117
	v_cvt_f64_f32_e32 v[116:117], v116
	global_store_dwordx2 v[120:121], v[116:117], off
	global_load_dwordx2 v[114:115], v[114:115], off
	s_waitcnt vmcnt(0)
	v_mul_f64 v[114:115], s[6:7], v[114:115]
	v_cvt_f32_f64_e32 v116, v[114:115]
.LBB175_59:
	v_add_f64 v[110:111], v[2:3], v[110:111]
	v_add_f64 v[108:109], v[0:1], v[108:109]
	v_cvt_f32_f64_e32 v108, v[108:109]
	v_cvt_f32_f64_e32 v109, v[110:111]
	v_add_f64 v[106:107], v[10:11], v[106:107]
	v_add_f64 v[104:105], v[8:9], v[104:105]
	v_min3_f32 v114, v108, v109, v194
	s_waitcnt lgkmcnt(9)
	v_add_f64 v[108:109], v[70:71], v[102:103]
	v_add_f64 v[110:111], v[68:69], v[100:101]
	v_cvt_f32_f64_e32 v104, v[104:105]
	v_cvt_f32_f64_e32 v105, v[106:107]
	;; [unrolled: 1-line block ×4, first 2 shown]
	v_min_f32_e32 v109, v104, v105
	s_waitcnt lgkmcnt(8)
	v_add_f64 v[104:105], v[66:67], v[98:99]
	v_add_f64 v[106:107], v[64:65], v[96:97]
	v_min3_f32 v108, v110, v108, v196
	v_cvt_f32_f64_e32 v106, v[106:107]
	v_cvt_f32_f64_e32 v104, v[104:105]
	v_min3_f32 v108, v106, v104, v108
	v_min3_f32 v104, v116, v109, v114
	v_cvt_f64_f32_e32 v[104:105], v104
	v_lshl_add_u64 v[106:107], v[136:137], 3, v[112:113]
	global_store_dwordx2 v[106:107], v[104:105], off
	v_add_u32_e32 v106, 0x60, v213
	v_mad_i64_i32 v[104:105], s[2:3], v106, s9, 0
	v_mad_i64_i32 v[106:107], s[2:3], v106, s8, 0
	v_lshl_add_u64 v[104:105], v[104:105], 3, s[0:1]
	s_mov_b64 s[2:3], -1
	v_max_f32_e32 v109, v108, v108
	s_mov_b64 vcc, s[4:5]
	s_cbranch_vccz .LBB175_61
; %bb.60:
	v_min_f32_e32 v108, 0, v109
	v_cvt_f64_f32_e32 v[110:111], v108
	v_lshl_add_u64 v[112:113], v[134:135], 3, v[104:105]
	global_store_dwordx2 v[112:113], v[110:111], off
	s_mov_b64 s[2:3], 0
.LBB175_61:
	v_lshl_add_u64 v[106:107], v[106:107], 3, s[12:13]
	s_andn2_b64 vcc, exec, s[2:3]
	v_mov_b32_e32 v108, 0
	s_cbranch_vccnz .LBB175_63
; %bb.62:
	v_lshl_add_u64 v[110:111], v[106:107], 0, v[138:139]
	global_load_dwordx2 v[110:111], v[110:111], off
	v_lshl_add_u64 v[112:113], v[104:105], 0, v[138:139]
	s_waitcnt vmcnt(0)
	v_mul_f64 v[110:111], s[6:7], v[110:111]
	v_cvt_f32_f64_e32 v108, v[110:111]
	v_min_f32_e32 v108, v108, v109
	v_cvt_f64_f32_e32 v[108:109], v108
	global_store_dwordx2 v[112:113], v[108:109], off
	v_lshl_add_u64 v[108:109], v[128:129], 3, v[106:107]
	global_load_dwordx2 v[108:109], v[108:109], off
	s_waitcnt vmcnt(0)
	v_mul_f64 v[108:109], s[6:7], v[108:109]
	v_cvt_f32_f64_e32 v108, v[108:109]
.LBB175_63:
	v_add_f64 v[110:111], v[62:63], v[102:103]
	v_add_f64 v[112:113], v[60:61], v[100:101]
	v_cvt_f32_f64_e32 v109, v[112:113]
	v_cvt_f32_f64_e32 v110, v[110:111]
	v_min3_f32 v109, v109, v110, v192
	v_add_f64 v[110:111], v[58:59], v[102:103]
	v_add_f64 v[112:113], v[56:57], v[100:101]
	v_cvt_f32_f64_e32 v112, v[112:113]
	v_cvt_f32_f64_e32 v110, v[110:111]
	v_min3_f32 v114, v112, v110, v193
	v_add_f64 v[110:111], v[54:55], v[98:99]
	v_add_f64 v[112:113], v[52:53], v[96:97]
	v_cvt_f32_f64_e32 v112, v[112:113]
	v_cvt_f32_f64_e32 v110, v[110:111]
	v_min_f32_e32 v115, v112, v110
	v_add_f64 v[110:111], v[50:51], v[98:99]
	v_add_f64 v[112:113], v[48:49], v[96:97]
	v_cvt_f32_f64_e32 v112, v[112:113]
	v_cvt_f32_f64_e32 v110, v[110:111]
	v_min3_f32 v108, v108, v115, v109
	v_min3_f32 v112, v112, v110, v114
	v_cvt_f64_f32_e32 v[108:109], v108
	v_lshl_add_u64 v[110:111], v[128:129], 3, v[104:105]
	global_store_dwordx2 v[110:111], v[108:109], off
	s_mov_b64 s[2:3], -1
	v_max_f32_e32 v109, v112, v112
	s_mov_b64 vcc, s[4:5]
	s_cbranch_vccz .LBB175_65
; %bb.64:
	v_min_f32_e32 v108, 0, v109
	v_cvt_f64_f32_e32 v[110:111], v108
	v_lshl_add_u64 v[112:113], v[140:141], 3, v[104:105]
	global_store_dwordx2 v[112:113], v[110:111], off
	s_mov_b64 s[2:3], 0
.LBB175_65:
	s_andn2_b64 vcc, exec, s[2:3]
	v_mov_b32_e32 v108, 0
	s_cbranch_vccnz .LBB175_67
; %bb.66:
	v_lshl_add_u64 v[110:111], v[106:107], 0, v[144:145]
	global_load_dwordx2 v[110:111], v[110:111], off
	v_lshl_add_u64 v[112:113], v[104:105], 0, v[144:145]
	s_waitcnt vmcnt(0)
	v_mul_f64 v[110:111], s[6:7], v[110:111]
	v_cvt_f32_f64_e32 v108, v[110:111]
	v_min_f32_e32 v108, v108, v109
	v_cvt_f64_f32_e32 v[108:109], v108
	global_store_dwordx2 v[112:113], v[108:109], off
	v_lshl_add_u64 v[108:109], v[130:131], 3, v[106:107]
	global_load_dwordx2 v[108:109], v[108:109], off
	s_waitcnt vmcnt(0)
	v_mul_f64 v[108:109], s[6:7], v[108:109]
	v_cvt_f32_f64_e32 v108, v[108:109]
.LBB175_67:
	v_add_f64 v[110:111], v[42:43], v[102:103]
	v_add_f64 v[112:113], v[40:41], v[100:101]
	v_cvt_f32_f64_e32 v109, v[112:113]
	v_cvt_f32_f64_e32 v110, v[110:111]
	v_min3_f32 v109, v109, v110, v190
	v_add_f64 v[110:111], v[46:47], v[102:103]
	v_add_f64 v[112:113], v[44:45], v[100:101]
	v_cvt_f32_f64_e32 v112, v[112:113]
	v_cvt_f32_f64_e32 v110, v[110:111]
	v_min3_f32 v114, v112, v110, v191
	v_add_f64 v[110:111], v[38:39], v[98:99]
	v_add_f64 v[112:113], v[36:37], v[96:97]
	v_cvt_f32_f64_e32 v112, v[112:113]
	v_cvt_f32_f64_e32 v110, v[110:111]
	v_min_f32_e32 v115, v112, v110
	v_add_f64 v[110:111], v[34:35], v[98:99]
	v_add_f64 v[112:113], v[32:33], v[96:97]
	v_cvt_f32_f64_e32 v112, v[112:113]
	v_cvt_f32_f64_e32 v110, v[110:111]
	v_min3_f32 v108, v108, v115, v109
	v_min3_f32 v112, v112, v110, v114
	v_cvt_f64_f32_e32 v[108:109], v108
	v_lshl_add_u64 v[110:111], v[130:131], 3, v[104:105]
	global_store_dwordx2 v[110:111], v[108:109], off
	s_mov_b64 s[2:3], -1
	v_max_f32_e32 v109, v112, v112
	s_mov_b64 vcc, s[4:5]
	s_cbranch_vccz .LBB175_69
; %bb.68:
	v_min_f32_e32 v108, 0, v109
	v_cvt_f64_f32_e32 v[110:111], v108
	v_lshl_add_u64 v[112:113], v[142:143], 3, v[104:105]
	global_store_dwordx2 v[112:113], v[110:111], off
	s_mov_b64 s[2:3], 0
.LBB175_69:
	;; [unrolled: 54-line block ×3, first 2 shown]
	s_andn2_b64 vcc, exec, s[2:3]
	v_mov_b32_e32 v108, 0
	s_cbranch_vccnz .LBB175_75
; %bb.74:
	v_lshl_add_u64 v[110:111], v[106:107], 0, v[150:151]
	global_load_dwordx2 v[110:111], v[110:111], off
	v_lshl_add_u64 v[112:113], v[104:105], 0, v[150:151]
	v_lshl_add_u64 v[106:107], v[136:137], 3, v[106:107]
	s_waitcnt vmcnt(0)
	v_mul_f64 v[110:111], s[6:7], v[110:111]
	v_cvt_f32_f64_e32 v108, v[110:111]
	v_min_f32_e32 v108, v108, v109
	v_cvt_f64_f32_e32 v[108:109], v108
	global_store_dwordx2 v[112:113], v[108:109], off
	global_load_dwordx2 v[106:107], v[106:107], off
	s_waitcnt vmcnt(0)
	v_mul_f64 v[106:107], s[6:7], v[106:107]
	v_cvt_f32_f64_e32 v108, v[106:107]
.LBB175_75:
	v_add_f64 v[102:103], v[2:3], v[102:103]
	v_add_f64 v[100:101], v[0:1], v[100:101]
	v_cvt_f32_f64_e32 v100, v[100:101]
	v_cvt_f32_f64_e32 v101, v[102:103]
	v_add_f64 v[98:99], v[10:11], v[98:99]
	v_add_f64 v[96:97], v[8:9], v[96:97]
	v_min3_f32 v106, v100, v101, v186
	s_waitcnt lgkmcnt(7)
	v_add_f64 v[100:101], v[70:71], v[94:95]
	v_add_f64 v[102:103], v[68:69], v[92:93]
	v_cvt_f32_f64_e32 v96, v[96:97]
	v_cvt_f32_f64_e32 v97, v[98:99]
	;; [unrolled: 1-line block ×4, first 2 shown]
	v_min_f32_e32 v101, v96, v97
	s_waitcnt lgkmcnt(6)
	v_add_f64 v[96:97], v[66:67], v[90:91]
	v_add_f64 v[98:99], v[64:65], v[88:89]
	v_min3_f32 v100, v102, v100, v188
	v_cvt_f32_f64_e32 v98, v[98:99]
	v_cvt_f32_f64_e32 v96, v[96:97]
	v_min3_f32 v100, v98, v96, v100
	v_min3_f32 v96, v108, v101, v106
	v_cvt_f64_f32_e32 v[96:97], v96
	v_lshl_add_u64 v[98:99], v[136:137], 3, v[104:105]
	global_store_dwordx2 v[98:99], v[96:97], off
	v_add_u32_e32 v98, 0x80, v213
	v_mad_i64_i32 v[96:97], s[2:3], v98, s9, 0
	v_mad_i64_i32 v[98:99], s[2:3], v98, s8, 0
	v_lshl_add_u64 v[96:97], v[96:97], 3, s[0:1]
	s_mov_b64 s[2:3], -1
	v_max_f32_e32 v101, v100, v100
	s_mov_b64 vcc, s[4:5]
	s_cbranch_vccz .LBB175_77
; %bb.76:
	v_min_f32_e32 v100, 0, v101
	v_cvt_f64_f32_e32 v[102:103], v100
	v_lshl_add_u64 v[104:105], v[134:135], 3, v[96:97]
	global_store_dwordx2 v[104:105], v[102:103], off
	s_mov_b64 s[2:3], 0
.LBB175_77:
	v_lshl_add_u64 v[98:99], v[98:99], 3, s[12:13]
	s_andn2_b64 vcc, exec, s[2:3]
	v_mov_b32_e32 v100, 0
	s_cbranch_vccnz .LBB175_79
; %bb.78:
	v_lshl_add_u64 v[102:103], v[98:99], 0, v[138:139]
	global_load_dwordx2 v[102:103], v[102:103], off
	v_lshl_add_u64 v[104:105], v[96:97], 0, v[138:139]
	s_waitcnt vmcnt(0)
	v_mul_f64 v[102:103], s[6:7], v[102:103]
	v_cvt_f32_f64_e32 v100, v[102:103]
	v_min_f32_e32 v100, v100, v101
	v_cvt_f64_f32_e32 v[100:101], v100
	global_store_dwordx2 v[104:105], v[100:101], off
	v_lshl_add_u64 v[100:101], v[128:129], 3, v[98:99]
	global_load_dwordx2 v[100:101], v[100:101], off
	s_waitcnt vmcnt(0)
	v_mul_f64 v[100:101], s[6:7], v[100:101]
	v_cvt_f32_f64_e32 v100, v[100:101]
.LBB175_79:
	v_add_f64 v[102:103], v[62:63], v[94:95]
	v_add_f64 v[104:105], v[60:61], v[92:93]
	v_cvt_f32_f64_e32 v101, v[104:105]
	v_cvt_f32_f64_e32 v102, v[102:103]
	v_min3_f32 v101, v101, v102, v184
	v_add_f64 v[102:103], v[58:59], v[94:95]
	v_add_f64 v[104:105], v[56:57], v[92:93]
	v_cvt_f32_f64_e32 v104, v[104:105]
	v_cvt_f32_f64_e32 v102, v[102:103]
	v_min3_f32 v106, v104, v102, v185
	v_add_f64 v[102:103], v[54:55], v[90:91]
	v_add_f64 v[104:105], v[52:53], v[88:89]
	v_cvt_f32_f64_e32 v104, v[104:105]
	v_cvt_f32_f64_e32 v102, v[102:103]
	v_min_f32_e32 v107, v104, v102
	v_add_f64 v[102:103], v[50:51], v[90:91]
	v_add_f64 v[104:105], v[48:49], v[88:89]
	v_cvt_f32_f64_e32 v104, v[104:105]
	v_cvt_f32_f64_e32 v102, v[102:103]
	v_min3_f32 v100, v100, v107, v101
	v_min3_f32 v104, v104, v102, v106
	v_cvt_f64_f32_e32 v[100:101], v100
	v_lshl_add_u64 v[102:103], v[128:129], 3, v[96:97]
	global_store_dwordx2 v[102:103], v[100:101], off
	s_mov_b64 s[2:3], -1
	v_max_f32_e32 v101, v104, v104
	s_mov_b64 vcc, s[4:5]
	s_cbranch_vccz .LBB175_81
; %bb.80:
	v_min_f32_e32 v100, 0, v101
	v_cvt_f64_f32_e32 v[102:103], v100
	v_lshl_add_u64 v[104:105], v[140:141], 3, v[96:97]
	global_store_dwordx2 v[104:105], v[102:103], off
	s_mov_b64 s[2:3], 0
.LBB175_81:
	s_andn2_b64 vcc, exec, s[2:3]
	v_mov_b32_e32 v100, 0
	s_cbranch_vccnz .LBB175_83
; %bb.82:
	v_lshl_add_u64 v[102:103], v[98:99], 0, v[144:145]
	global_load_dwordx2 v[102:103], v[102:103], off
	v_lshl_add_u64 v[104:105], v[96:97], 0, v[144:145]
	s_waitcnt vmcnt(0)
	v_mul_f64 v[102:103], s[6:7], v[102:103]
	v_cvt_f32_f64_e32 v100, v[102:103]
	v_min_f32_e32 v100, v100, v101
	v_cvt_f64_f32_e32 v[100:101], v100
	global_store_dwordx2 v[104:105], v[100:101], off
	v_lshl_add_u64 v[100:101], v[130:131], 3, v[98:99]
	global_load_dwordx2 v[100:101], v[100:101], off
	s_waitcnt vmcnt(0)
	v_mul_f64 v[100:101], s[6:7], v[100:101]
	v_cvt_f32_f64_e32 v100, v[100:101]
.LBB175_83:
	v_add_f64 v[102:103], v[42:43], v[94:95]
	v_add_f64 v[104:105], v[40:41], v[92:93]
	v_cvt_f32_f64_e32 v101, v[104:105]
	v_cvt_f32_f64_e32 v102, v[102:103]
	v_min3_f32 v101, v101, v102, v182
	v_add_f64 v[102:103], v[46:47], v[94:95]
	v_add_f64 v[104:105], v[44:45], v[92:93]
	v_cvt_f32_f64_e32 v104, v[104:105]
	v_cvt_f32_f64_e32 v102, v[102:103]
	v_min3_f32 v106, v104, v102, v183
	v_add_f64 v[102:103], v[38:39], v[90:91]
	v_add_f64 v[104:105], v[36:37], v[88:89]
	v_cvt_f32_f64_e32 v104, v[104:105]
	v_cvt_f32_f64_e32 v102, v[102:103]
	v_min_f32_e32 v107, v104, v102
	v_add_f64 v[102:103], v[34:35], v[90:91]
	v_add_f64 v[104:105], v[32:33], v[88:89]
	v_cvt_f32_f64_e32 v104, v[104:105]
	v_cvt_f32_f64_e32 v102, v[102:103]
	v_min3_f32 v100, v100, v107, v101
	v_min3_f32 v104, v104, v102, v106
	v_cvt_f64_f32_e32 v[100:101], v100
	v_lshl_add_u64 v[102:103], v[130:131], 3, v[96:97]
	global_store_dwordx2 v[102:103], v[100:101], off
	s_mov_b64 s[2:3], -1
	v_max_f32_e32 v101, v104, v104
	s_mov_b64 vcc, s[4:5]
	s_cbranch_vccz .LBB175_85
; %bb.84:
	v_min_f32_e32 v100, 0, v101
	v_cvt_f64_f32_e32 v[102:103], v100
	v_lshl_add_u64 v[104:105], v[142:143], 3, v[96:97]
	global_store_dwordx2 v[104:105], v[102:103], off
	s_mov_b64 s[2:3], 0
.LBB175_85:
	;; [unrolled: 54-line block ×3, first 2 shown]
	s_andn2_b64 vcc, exec, s[2:3]
	v_mov_b32_e32 v100, 0
	s_cbranch_vccnz .LBB175_91
; %bb.90:
	v_lshl_add_u64 v[102:103], v[98:99], 0, v[150:151]
	global_load_dwordx2 v[102:103], v[102:103], off
	v_lshl_add_u64 v[104:105], v[96:97], 0, v[150:151]
	v_lshl_add_u64 v[98:99], v[136:137], 3, v[98:99]
	s_waitcnt vmcnt(0)
	v_mul_f64 v[102:103], s[6:7], v[102:103]
	v_cvt_f32_f64_e32 v100, v[102:103]
	v_min_f32_e32 v100, v100, v101
	v_cvt_f64_f32_e32 v[100:101], v100
	global_store_dwordx2 v[104:105], v[100:101], off
	global_load_dwordx2 v[98:99], v[98:99], off
	s_waitcnt vmcnt(0)
	v_mul_f64 v[98:99], s[6:7], v[98:99]
	v_cvt_f32_f64_e32 v100, v[98:99]
.LBB175_91:
	v_add_f64 v[94:95], v[2:3], v[94:95]
	v_add_f64 v[92:93], v[0:1], v[92:93]
	v_cvt_f32_f64_e32 v92, v[92:93]
	v_cvt_f32_f64_e32 v93, v[94:95]
	v_add_f64 v[90:91], v[10:11], v[90:91]
	v_add_f64 v[88:89], v[8:9], v[88:89]
	v_min3_f32 v98, v92, v93, v178
	s_waitcnt lgkmcnt(5)
	v_add_f64 v[92:93], v[70:71], v[86:87]
	v_add_f64 v[94:95], v[68:69], v[84:85]
	v_cvt_f32_f64_e32 v88, v[88:89]
	v_cvt_f32_f64_e32 v89, v[90:91]
	;; [unrolled: 1-line block ×4, first 2 shown]
	v_min_f32_e32 v93, v88, v89
	s_waitcnt lgkmcnt(4)
	v_add_f64 v[88:89], v[66:67], v[82:83]
	v_add_f64 v[90:91], v[64:65], v[80:81]
	v_min3_f32 v92, v94, v92, v180
	v_cvt_f32_f64_e32 v90, v[90:91]
	v_cvt_f32_f64_e32 v88, v[88:89]
	v_min3_f32 v92, v90, v88, v92
	v_min3_f32 v88, v100, v93, v98
	v_cvt_f64_f32_e32 v[88:89], v88
	v_lshl_add_u64 v[90:91], v[136:137], 3, v[96:97]
	global_store_dwordx2 v[90:91], v[88:89], off
	v_add_u32_e32 v90, 0xa0, v213
	v_mad_i64_i32 v[88:89], s[2:3], v90, s9, 0
	v_mad_i64_i32 v[90:91], s[2:3], v90, s8, 0
	v_lshl_add_u64 v[88:89], v[88:89], 3, s[0:1]
	s_mov_b64 s[2:3], -1
	v_max_f32_e32 v93, v92, v92
	s_mov_b64 vcc, s[4:5]
	s_cbranch_vccz .LBB175_93
; %bb.92:
	v_min_f32_e32 v92, 0, v93
	v_cvt_f64_f32_e32 v[94:95], v92
	v_lshl_add_u64 v[96:97], v[134:135], 3, v[88:89]
	global_store_dwordx2 v[96:97], v[94:95], off
	s_mov_b64 s[2:3], 0
.LBB175_93:
	v_lshl_add_u64 v[90:91], v[90:91], 3, s[12:13]
	s_andn2_b64 vcc, exec, s[2:3]
	v_mov_b32_e32 v92, 0
	s_cbranch_vccnz .LBB175_95
; %bb.94:
	v_lshl_add_u64 v[94:95], v[90:91], 0, v[138:139]
	global_load_dwordx2 v[94:95], v[94:95], off
	v_lshl_add_u64 v[96:97], v[88:89], 0, v[138:139]
	s_waitcnt vmcnt(0)
	v_mul_f64 v[94:95], s[6:7], v[94:95]
	v_cvt_f32_f64_e32 v92, v[94:95]
	v_min_f32_e32 v92, v92, v93
	v_cvt_f64_f32_e32 v[92:93], v92
	global_store_dwordx2 v[96:97], v[92:93], off
	v_lshl_add_u64 v[92:93], v[128:129], 3, v[90:91]
	global_load_dwordx2 v[92:93], v[92:93], off
	s_waitcnt vmcnt(0)
	v_mul_f64 v[92:93], s[6:7], v[92:93]
	v_cvt_f32_f64_e32 v92, v[92:93]
.LBB175_95:
	v_add_f64 v[94:95], v[62:63], v[86:87]
	v_add_f64 v[96:97], v[60:61], v[84:85]
	v_cvt_f32_f64_e32 v93, v[96:97]
	v_cvt_f32_f64_e32 v94, v[94:95]
	v_min3_f32 v93, v93, v94, v176
	v_add_f64 v[94:95], v[58:59], v[86:87]
	v_add_f64 v[96:97], v[56:57], v[84:85]
	v_cvt_f32_f64_e32 v96, v[96:97]
	v_cvt_f32_f64_e32 v94, v[94:95]
	v_min3_f32 v98, v96, v94, v177
	v_add_f64 v[94:95], v[54:55], v[82:83]
	v_add_f64 v[96:97], v[52:53], v[80:81]
	v_cvt_f32_f64_e32 v96, v[96:97]
	v_cvt_f32_f64_e32 v94, v[94:95]
	v_min_f32_e32 v99, v96, v94
	v_add_f64 v[94:95], v[50:51], v[82:83]
	v_add_f64 v[96:97], v[48:49], v[80:81]
	v_cvt_f32_f64_e32 v96, v[96:97]
	v_cvt_f32_f64_e32 v94, v[94:95]
	v_min3_f32 v92, v92, v99, v93
	v_min3_f32 v96, v96, v94, v98
	v_cvt_f64_f32_e32 v[92:93], v92
	v_lshl_add_u64 v[94:95], v[128:129], 3, v[88:89]
	global_store_dwordx2 v[94:95], v[92:93], off
	s_mov_b64 s[2:3], -1
	v_max_f32_e32 v93, v96, v96
	s_mov_b64 vcc, s[4:5]
	s_cbranch_vccz .LBB175_97
; %bb.96:
	v_min_f32_e32 v92, 0, v93
	v_cvt_f64_f32_e32 v[94:95], v92
	v_lshl_add_u64 v[96:97], v[140:141], 3, v[88:89]
	global_store_dwordx2 v[96:97], v[94:95], off
	s_mov_b64 s[2:3], 0
.LBB175_97:
	s_andn2_b64 vcc, exec, s[2:3]
	v_mov_b32_e32 v92, 0
	s_cbranch_vccnz .LBB175_99
; %bb.98:
	v_lshl_add_u64 v[94:95], v[90:91], 0, v[144:145]
	global_load_dwordx2 v[94:95], v[94:95], off
	v_lshl_add_u64 v[96:97], v[88:89], 0, v[144:145]
	s_waitcnt vmcnt(0)
	v_mul_f64 v[94:95], s[6:7], v[94:95]
	v_cvt_f32_f64_e32 v92, v[94:95]
	v_min_f32_e32 v92, v92, v93
	v_cvt_f64_f32_e32 v[92:93], v92
	global_store_dwordx2 v[96:97], v[92:93], off
	v_lshl_add_u64 v[92:93], v[130:131], 3, v[90:91]
	global_load_dwordx2 v[92:93], v[92:93], off
	s_waitcnt vmcnt(0)
	v_mul_f64 v[92:93], s[6:7], v[92:93]
	v_cvt_f32_f64_e32 v92, v[92:93]
.LBB175_99:
	v_add_f64 v[94:95], v[42:43], v[86:87]
	v_add_f64 v[96:97], v[40:41], v[84:85]
	v_cvt_f32_f64_e32 v93, v[96:97]
	v_cvt_f32_f64_e32 v94, v[94:95]
	v_min3_f32 v93, v93, v94, v174
	v_add_f64 v[94:95], v[46:47], v[86:87]
	v_add_f64 v[96:97], v[44:45], v[84:85]
	v_cvt_f32_f64_e32 v96, v[96:97]
	v_cvt_f32_f64_e32 v94, v[94:95]
	v_min3_f32 v98, v96, v94, v175
	v_add_f64 v[94:95], v[38:39], v[82:83]
	v_add_f64 v[96:97], v[36:37], v[80:81]
	v_cvt_f32_f64_e32 v96, v[96:97]
	v_cvt_f32_f64_e32 v94, v[94:95]
	v_min_f32_e32 v99, v96, v94
	v_add_f64 v[94:95], v[34:35], v[82:83]
	v_add_f64 v[96:97], v[32:33], v[80:81]
	v_cvt_f32_f64_e32 v96, v[96:97]
	v_cvt_f32_f64_e32 v94, v[94:95]
	v_min3_f32 v92, v92, v99, v93
	v_min3_f32 v96, v96, v94, v98
	v_cvt_f64_f32_e32 v[92:93], v92
	v_lshl_add_u64 v[94:95], v[130:131], 3, v[88:89]
	global_store_dwordx2 v[94:95], v[92:93], off
	s_mov_b64 s[2:3], -1
	v_max_f32_e32 v93, v96, v96
	s_mov_b64 vcc, s[4:5]
	s_cbranch_vccz .LBB175_101
; %bb.100:
	v_min_f32_e32 v92, 0, v93
	v_cvt_f64_f32_e32 v[94:95], v92
	v_lshl_add_u64 v[96:97], v[142:143], 3, v[88:89]
	global_store_dwordx2 v[96:97], v[94:95], off
	s_mov_b64 s[2:3], 0
.LBB175_101:
	;; [unrolled: 54-line block ×3, first 2 shown]
	s_andn2_b64 vcc, exec, s[2:3]
	v_mov_b32_e32 v92, 0
	s_cbranch_vccnz .LBB175_107
; %bb.106:
	v_lshl_add_u64 v[94:95], v[90:91], 0, v[150:151]
	global_load_dwordx2 v[94:95], v[94:95], off
	v_lshl_add_u64 v[96:97], v[88:89], 0, v[150:151]
	v_lshl_add_u64 v[90:91], v[136:137], 3, v[90:91]
	s_waitcnt vmcnt(0)
	v_mul_f64 v[94:95], s[6:7], v[94:95]
	v_cvt_f32_f64_e32 v92, v[94:95]
	v_min_f32_e32 v92, v92, v93
	v_cvt_f64_f32_e32 v[92:93], v92
	global_store_dwordx2 v[96:97], v[92:93], off
	global_load_dwordx2 v[90:91], v[90:91], off
	s_waitcnt vmcnt(0)
	v_mul_f64 v[90:91], s[6:7], v[90:91]
	v_cvt_f32_f64_e32 v92, v[90:91]
.LBB175_107:
	v_add_f64 v[86:87], v[2:3], v[86:87]
	v_add_f64 v[84:85], v[0:1], v[84:85]
	v_cvt_f32_f64_e32 v84, v[84:85]
	v_cvt_f32_f64_e32 v85, v[86:87]
	v_add_f64 v[82:83], v[10:11], v[82:83]
	v_add_f64 v[80:81], v[8:9], v[80:81]
	v_min3_f32 v90, v84, v85, v170
	s_waitcnt lgkmcnt(3)
	v_add_f64 v[84:85], v[70:71], v[78:79]
	v_add_f64 v[86:87], v[68:69], v[76:77]
	v_cvt_f32_f64_e32 v80, v[80:81]
	v_cvt_f32_f64_e32 v81, v[82:83]
	;; [unrolled: 1-line block ×4, first 2 shown]
	v_min_f32_e32 v85, v80, v81
	s_waitcnt lgkmcnt(2)
	v_add_f64 v[80:81], v[66:67], v[74:75]
	v_add_f64 v[82:83], v[64:65], v[72:73]
	v_min3_f32 v84, v86, v84, v172
	v_cvt_f32_f64_e32 v82, v[82:83]
	v_cvt_f32_f64_e32 v80, v[80:81]
	v_min3_f32 v84, v82, v80, v84
	v_min3_f32 v80, v92, v85, v90
	v_cvt_f64_f32_e32 v[80:81], v80
	v_lshl_add_u64 v[82:83], v[136:137], 3, v[88:89]
	global_store_dwordx2 v[82:83], v[80:81], off
	v_add_u32_e32 v82, 0xc0, v213
	v_mad_i64_i32 v[80:81], s[2:3], v82, s9, 0
	v_mad_i64_i32 v[82:83], s[2:3], v82, s8, 0
	v_lshl_add_u64 v[80:81], v[80:81], 3, s[0:1]
	s_mov_b64 s[2:3], -1
	v_max_f32_e32 v85, v84, v84
	s_mov_b64 vcc, s[4:5]
	s_cbranch_vccz .LBB175_109
; %bb.108:
	v_min_f32_e32 v84, 0, v85
	v_cvt_f64_f32_e32 v[86:87], v84
	v_lshl_add_u64 v[88:89], v[134:135], 3, v[80:81]
	global_store_dwordx2 v[88:89], v[86:87], off
	s_mov_b64 s[2:3], 0
.LBB175_109:
	v_lshl_add_u64 v[82:83], v[82:83], 3, s[12:13]
	s_andn2_b64 vcc, exec, s[2:3]
	v_mov_b32_e32 v84, 0
	s_cbranch_vccnz .LBB175_111
; %bb.110:
	v_lshl_add_u64 v[86:87], v[82:83], 0, v[138:139]
	global_load_dwordx2 v[86:87], v[86:87], off
	v_lshl_add_u64 v[88:89], v[80:81], 0, v[138:139]
	s_waitcnt vmcnt(0)
	v_mul_f64 v[86:87], s[6:7], v[86:87]
	v_cvt_f32_f64_e32 v84, v[86:87]
	v_min_f32_e32 v84, v84, v85
	v_cvt_f64_f32_e32 v[84:85], v84
	global_store_dwordx2 v[88:89], v[84:85], off
	v_lshl_add_u64 v[84:85], v[128:129], 3, v[82:83]
	global_load_dwordx2 v[84:85], v[84:85], off
	s_waitcnt vmcnt(0)
	v_mul_f64 v[84:85], s[6:7], v[84:85]
	v_cvt_f32_f64_e32 v84, v[84:85]
.LBB175_111:
	v_add_f64 v[86:87], v[62:63], v[78:79]
	v_add_f64 v[88:89], v[60:61], v[76:77]
	v_cvt_f32_f64_e32 v85, v[88:89]
	v_cvt_f32_f64_e32 v86, v[86:87]
	v_min3_f32 v85, v85, v86, v168
	v_add_f64 v[86:87], v[58:59], v[78:79]
	v_add_f64 v[88:89], v[56:57], v[76:77]
	v_cvt_f32_f64_e32 v88, v[88:89]
	v_cvt_f32_f64_e32 v86, v[86:87]
	v_min3_f32 v90, v88, v86, v169
	v_add_f64 v[86:87], v[54:55], v[74:75]
	v_add_f64 v[88:89], v[52:53], v[72:73]
	v_cvt_f32_f64_e32 v88, v[88:89]
	v_cvt_f32_f64_e32 v86, v[86:87]
	v_min_f32_e32 v91, v88, v86
	v_add_f64 v[86:87], v[50:51], v[74:75]
	v_add_f64 v[88:89], v[48:49], v[72:73]
	v_cvt_f32_f64_e32 v88, v[88:89]
	v_cvt_f32_f64_e32 v86, v[86:87]
	v_min3_f32 v84, v84, v91, v85
	v_min3_f32 v88, v88, v86, v90
	v_cvt_f64_f32_e32 v[84:85], v84
	v_lshl_add_u64 v[86:87], v[128:129], 3, v[80:81]
	global_store_dwordx2 v[86:87], v[84:85], off
	s_mov_b64 s[2:3], -1
	v_max_f32_e32 v85, v88, v88
	s_mov_b64 vcc, s[4:5]
	s_cbranch_vccz .LBB175_113
; %bb.112:
	v_min_f32_e32 v84, 0, v85
	v_cvt_f64_f32_e32 v[86:87], v84
	v_lshl_add_u64 v[88:89], v[140:141], 3, v[80:81]
	global_store_dwordx2 v[88:89], v[86:87], off
	s_mov_b64 s[2:3], 0
.LBB175_113:
	s_andn2_b64 vcc, exec, s[2:3]
	v_mov_b32_e32 v84, 0
	s_cbranch_vccnz .LBB175_115
; %bb.114:
	v_lshl_add_u64 v[86:87], v[82:83], 0, v[144:145]
	global_load_dwordx2 v[86:87], v[86:87], off
	v_lshl_add_u64 v[88:89], v[80:81], 0, v[144:145]
	s_waitcnt vmcnt(0)
	v_mul_f64 v[86:87], s[6:7], v[86:87]
	v_cvt_f32_f64_e32 v84, v[86:87]
	v_min_f32_e32 v84, v84, v85
	v_cvt_f64_f32_e32 v[84:85], v84
	global_store_dwordx2 v[88:89], v[84:85], off
	v_lshl_add_u64 v[84:85], v[130:131], 3, v[82:83]
	global_load_dwordx2 v[84:85], v[84:85], off
	s_waitcnt vmcnt(0)
	v_mul_f64 v[84:85], s[6:7], v[84:85]
	v_cvt_f32_f64_e32 v84, v[84:85]
.LBB175_115:
	v_add_f64 v[86:87], v[42:43], v[78:79]
	v_add_f64 v[88:89], v[40:41], v[76:77]
	v_cvt_f32_f64_e32 v85, v[88:89]
	v_cvt_f32_f64_e32 v86, v[86:87]
	v_min3_f32 v85, v85, v86, v166
	v_add_f64 v[86:87], v[46:47], v[78:79]
	v_add_f64 v[88:89], v[44:45], v[76:77]
	v_cvt_f32_f64_e32 v88, v[88:89]
	v_cvt_f32_f64_e32 v86, v[86:87]
	v_min3_f32 v90, v88, v86, v167
	v_add_f64 v[86:87], v[38:39], v[74:75]
	v_add_f64 v[88:89], v[36:37], v[72:73]
	v_cvt_f32_f64_e32 v88, v[88:89]
	v_cvt_f32_f64_e32 v86, v[86:87]
	v_min_f32_e32 v91, v88, v86
	v_add_f64 v[86:87], v[34:35], v[74:75]
	v_add_f64 v[88:89], v[32:33], v[72:73]
	v_cvt_f32_f64_e32 v88, v[88:89]
	v_cvt_f32_f64_e32 v86, v[86:87]
	v_min3_f32 v84, v84, v91, v85
	v_min3_f32 v88, v88, v86, v90
	v_cvt_f64_f32_e32 v[84:85], v84
	v_lshl_add_u64 v[86:87], v[130:131], 3, v[80:81]
	global_store_dwordx2 v[86:87], v[84:85], off
	s_mov_b64 s[2:3], -1
	v_max_f32_e32 v85, v88, v88
	s_mov_b64 vcc, s[4:5]
	s_cbranch_vccz .LBB175_117
; %bb.116:
	v_min_f32_e32 v84, 0, v85
	v_cvt_f64_f32_e32 v[86:87], v84
	v_lshl_add_u64 v[88:89], v[142:143], 3, v[80:81]
	global_store_dwordx2 v[88:89], v[86:87], off
	s_mov_b64 s[2:3], 0
.LBB175_117:
	;; [unrolled: 54-line block ×3, first 2 shown]
	s_andn2_b64 vcc, exec, s[2:3]
	v_mov_b32_e32 v84, 0
	s_cbranch_vccnz .LBB175_123
; %bb.122:
	v_lshl_add_u64 v[86:87], v[82:83], 0, v[150:151]
	global_load_dwordx2 v[86:87], v[86:87], off
	v_lshl_add_u64 v[88:89], v[80:81], 0, v[150:151]
	v_lshl_add_u64 v[82:83], v[136:137], 3, v[82:83]
	s_waitcnt vmcnt(0)
	v_mul_f64 v[86:87], s[6:7], v[86:87]
	v_cvt_f32_f64_e32 v84, v[86:87]
	v_min_f32_e32 v84, v84, v85
	v_cvt_f64_f32_e32 v[84:85], v84
	global_store_dwordx2 v[88:89], v[84:85], off
	global_load_dwordx2 v[82:83], v[82:83], off
	s_waitcnt vmcnt(0)
	v_mul_f64 v[82:83], s[6:7], v[82:83]
	v_cvt_f32_f64_e32 v84, v[82:83]
.LBB175_123:
	v_add_f64 v[78:79], v[2:3], v[78:79]
	v_add_f64 v[76:77], v[0:1], v[76:77]
	s_waitcnt lgkmcnt(1)
	v_add_f64 v[70:71], v[70:71], v[6:7]
	v_add_f64 v[68:69], v[68:69], v[4:5]
	v_cvt_f32_f64_e32 v76, v[76:77]
	v_cvt_f32_f64_e32 v77, v[78:79]
	;; [unrolled: 1-line block ×4, first 2 shown]
	v_min3_f32 v76, v76, v77, v162
	v_min3_f32 v77, v68, v69, v163
	v_add_f64 v[68:69], v[10:11], v[74:75]
	v_add_f64 v[70:71], v[8:9], v[72:73]
	v_cvt_f32_f64_e32 v70, v[70:71]
	v_cvt_f32_f64_e32 v68, v[68:69]
	s_waitcnt lgkmcnt(0)
	v_add_f64 v[66:67], v[66:67], v[14:15]
	v_add_f64 v[64:65], v[64:65], v[12:13]
	v_min_f32_e32 v68, v70, v68
	v_cvt_f32_f64_e32 v64, v[64:65]
	v_cvt_f32_f64_e32 v65, v[66:67]
	v_min3_f32 v69, v64, v65, v77
	v_min3_f32 v64, v84, v68, v76
	v_cvt_f64_f32_e32 v[64:65], v64
	v_lshl_add_u64 v[66:67], v[136:137], 3, v[80:81]
	global_store_dwordx2 v[66:67], v[64:65], off
	v_add_u32_e32 v66, 0xe0, v213
	v_mad_i64_i32 v[64:65], s[2:3], v66, s9, 0
	v_lshl_add_u64 v[64:65], v[64:65], 3, s[0:1]
	v_mad_i64_i32 v[66:67], s[0:1], v66, s8, 0
	s_mov_b64 s[0:1], -1
	v_max_f32_e32 v69, v69, v69
	s_mov_b64 vcc, s[4:5]
	s_cbranch_vccz .LBB175_125
; %bb.124:
	v_min_f32_e32 v68, 0, v69
	v_cvt_f64_f32_e32 v[70:71], v68
	v_lshl_add_u64 v[72:73], v[134:135], 3, v[64:65]
	global_store_dwordx2 v[72:73], v[70:71], off
	s_mov_b64 s[0:1], 0
.LBB175_125:
	v_lshl_add_u64 v[66:67], v[66:67], 3, s[12:13]
	s_andn2_b64 vcc, exec, s[0:1]
	v_mov_b32_e32 v68, 0
	s_cbranch_vccnz .LBB175_127
; %bb.126:
	v_lshl_add_u64 v[70:71], v[66:67], 0, v[138:139]
	global_load_dwordx2 v[70:71], v[70:71], off
	v_lshl_add_u64 v[72:73], v[64:65], 0, v[138:139]
	s_waitcnt vmcnt(0)
	v_mul_f64 v[70:71], s[6:7], v[70:71]
	v_cvt_f32_f64_e32 v68, v[70:71]
	v_min_f32_e32 v68, v68, v69
	v_cvt_f64_f32_e32 v[68:69], v68
	global_store_dwordx2 v[72:73], v[68:69], off
	v_lshl_add_u64 v[68:69], v[128:129], 3, v[66:67]
	global_load_dwordx2 v[68:69], v[68:69], off
	s_waitcnt vmcnt(0)
	v_mul_f64 v[68:69], s[6:7], v[68:69]
	v_cvt_f32_f64_e32 v68, v[68:69]
.LBB175_127:
	v_add_f64 v[62:63], v[62:63], v[6:7]
	v_add_f64 v[60:61], v[60:61], v[4:5]
	;; [unrolled: 1-line block ×6, first 2 shown]
	v_cvt_f32_f64_e32 v60, v[60:61]
	v_cvt_f32_f64_e32 v61, v[62:63]
	;; [unrolled: 1-line block ×6, first 2 shown]
	v_add_f64 v[50:51], v[50:51], v[14:15]
	v_add_f64 v[48:49], v[48:49], v[12:13]
	v_min3_f32 v60, v60, v61, v160
	v_min3_f32 v56, v56, v57, v161
	v_min_f32_e32 v52, v52, v53
	v_cvt_f32_f64_e32 v48, v[48:49]
	v_cvt_f32_f64_e32 v49, v[50:51]
	v_min3_f32 v53, v48, v49, v56
	v_min3_f32 v48, v68, v52, v60
	v_cvt_f64_f32_e32 v[48:49], v48
	v_lshl_add_u64 v[50:51], v[128:129], 3, v[64:65]
	global_store_dwordx2 v[50:51], v[48:49], off
	s_mov_b64 s[0:1], -1
	v_max_f32_e32 v49, v53, v53
	s_mov_b64 vcc, s[4:5]
	s_cbranch_vccz .LBB175_129
; %bb.128:
	v_min_f32_e32 v48, 0, v49
	v_cvt_f64_f32_e32 v[50:51], v48
	v_lshl_add_u64 v[52:53], v[140:141], 3, v[64:65]
	global_store_dwordx2 v[52:53], v[50:51], off
	s_mov_b64 s[0:1], 0
.LBB175_129:
	s_andn2_b64 vcc, exec, s[0:1]
	v_mov_b32_e32 v48, 0
	s_cbranch_vccnz .LBB175_131
; %bb.130:
	v_lshl_add_u64 v[50:51], v[66:67], 0, v[144:145]
	global_load_dwordx2 v[50:51], v[50:51], off
	v_lshl_add_u64 v[52:53], v[64:65], 0, v[144:145]
	s_waitcnt vmcnt(0)
	v_mul_f64 v[50:51], s[6:7], v[50:51]
	v_cvt_f32_f64_e32 v48, v[50:51]
	v_min_f32_e32 v48, v48, v49
	v_cvt_f64_f32_e32 v[48:49], v48
	global_store_dwordx2 v[52:53], v[48:49], off
	v_lshl_add_u64 v[48:49], v[130:131], 3, v[66:67]
	global_load_dwordx2 v[48:49], v[48:49], off
	s_waitcnt vmcnt(0)
	v_mul_f64 v[48:49], s[6:7], v[48:49]
	v_cvt_f32_f64_e32 v48, v[48:49]
.LBB175_131:
	v_add_f64 v[42:43], v[42:43], v[6:7]
	v_add_f64 v[40:41], v[40:41], v[4:5]
	v_cvt_f32_f64_e32 v40, v[40:41]
	v_cvt_f32_f64_e32 v41, v[42:43]
	v_min3_f32 v49, v40, v41, v158
	v_add_f64 v[40:41], v[46:47], v[6:7]
	v_add_f64 v[42:43], v[44:45], v[4:5]
	;; [unrolled: 1-line block ×4, first 2 shown]
	v_cvt_f32_f64_e32 v42, v[42:43]
	v_cvt_f32_f64_e32 v40, v[40:41]
	;; [unrolled: 1-line block ×4, first 2 shown]
	v_add_f64 v[34:35], v[34:35], v[14:15]
	v_add_f64 v[32:33], v[32:33], v[12:13]
	v_min3_f32 v40, v42, v40, v159
	v_min_f32_e32 v36, v36, v37
	v_cvt_f32_f64_e32 v32, v[32:33]
	v_cvt_f32_f64_e32 v33, v[34:35]
	v_min3_f32 v37, v32, v33, v40
	v_min3_f32 v32, v48, v36, v49
	v_cvt_f64_f32_e32 v[32:33], v32
	v_lshl_add_u64 v[34:35], v[130:131], 3, v[64:65]
	global_store_dwordx2 v[34:35], v[32:33], off
	s_mov_b64 s[0:1], -1
	v_max_f32_e32 v33, v37, v37
	s_mov_b64 vcc, s[4:5]
	s_cbranch_vccz .LBB175_133
; %bb.132:
	v_min_f32_e32 v32, 0, v33
	v_cvt_f64_f32_e32 v[34:35], v32
	v_lshl_add_u64 v[36:37], v[142:143], 3, v[64:65]
	global_store_dwordx2 v[36:37], v[34:35], off
	s_mov_b64 s[0:1], 0
.LBB175_133:
	s_andn2_b64 vcc, exec, s[0:1]
	v_mov_b32_e32 v32, 0
	s_cbranch_vccnz .LBB175_135
; %bb.134:
	v_lshl_add_u64 v[34:35], v[66:67], 0, v[148:149]
	global_load_dwordx2 v[34:35], v[34:35], off
	v_lshl_add_u64 v[36:37], v[64:65], 0, v[148:149]
	s_waitcnt vmcnt(0)
	v_mul_f64 v[34:35], s[6:7], v[34:35]
	v_cvt_f32_f64_e32 v32, v[34:35]
	v_min_f32_e32 v32, v32, v33
	v_cvt_f64_f32_e32 v[32:33], v32
	global_store_dwordx2 v[36:37], v[32:33], off
	v_lshl_add_u64 v[32:33], v[132:133], 3, v[66:67]
	global_load_dwordx2 v[32:33], v[32:33], off
	s_waitcnt vmcnt(0)
	v_mul_f64 v[32:33], s[6:7], v[32:33]
	v_cvt_f32_f64_e32 v32, v[32:33]
.LBB175_135:
	v_add_f64 v[30:31], v[30:31], v[6:7]
	v_add_f64 v[28:29], v[28:29], v[4:5]
	;; [unrolled: 1-line block ×6, first 2 shown]
	v_cvt_f32_f64_e32 v28, v[28:29]
	v_cvt_f32_f64_e32 v29, v[30:31]
	;; [unrolled: 1-line block ×6, first 2 shown]
	v_add_f64 v[18:19], v[18:19], v[14:15]
	v_add_f64 v[16:17], v[16:17], v[12:13]
	v_min3_f32 v28, v28, v29, v156
	v_min3_f32 v24, v24, v25, v157
	v_min_f32_e32 v20, v20, v21
	v_cvt_f32_f64_e32 v16, v[16:17]
	v_cvt_f32_f64_e32 v17, v[18:19]
	v_min3_f32 v21, v16, v17, v24
	v_min3_f32 v16, v32, v20, v28
	v_cvt_f64_f32_e32 v[16:17], v16
	v_lshl_add_u64 v[18:19], v[132:133], 3, v[64:65]
	global_store_dwordx2 v[18:19], v[16:17], off
	s_mov_b64 s[0:1], -1
	v_max_f32_e32 v17, v21, v21
	s_mov_b64 vcc, s[4:5]
	s_cbranch_vccz .LBB175_137
; %bb.136:
	v_min_f32_e32 v16, 0, v17
	v_cvt_f64_f32_e32 v[18:19], v16
	v_lshl_add_u64 v[20:21], v[146:147], 3, v[64:65]
	global_store_dwordx2 v[20:21], v[18:19], off
	s_mov_b64 s[0:1], 0
.LBB175_137:
	s_andn2_b64 vcc, exec, s[0:1]
	v_mov_b32_e32 v16, 0
	s_cbranch_vccnz .LBB175_139
; %bb.138:
	v_lshl_add_u64 v[18:19], v[66:67], 0, v[150:151]
	global_load_dwordx2 v[18:19], v[18:19], off
	v_lshl_add_u64 v[20:21], v[64:65], 0, v[150:151]
	s_waitcnt vmcnt(0)
	v_mul_f64 v[18:19], s[6:7], v[18:19]
	v_cvt_f32_f64_e32 v16, v[18:19]
	v_min_f32_e32 v16, v16, v17
	v_cvt_f64_f32_e32 v[16:17], v16
	global_store_dwordx2 v[20:21], v[16:17], off
	v_lshl_add_u64 v[16:17], v[136:137], 3, v[66:67]
	global_load_dwordx2 v[16:17], v[16:17], off
	s_waitcnt vmcnt(0)
	v_mul_f64 v[16:17], s[6:7], v[16:17]
	v_cvt_f32_f64_e32 v16, v[16:17]
.LBB175_139:
	v_add_f64 v[10:11], v[10:11], v[14:15]
	v_add_f64 v[8:9], v[8:9], v[12:13]
	;; [unrolled: 1-line block ×4, first 2 shown]
	v_cvt_f32_f64_e32 v8, v[8:9]
	v_cvt_f32_f64_e32 v9, v[10:11]
	;; [unrolled: 1-line block ×4, first 2 shown]
	v_min_f32_e32 v8, v8, v9
	v_min3_f32 v0, v0, v1, v200
	v_min3_f32 v0, v16, v8, v0
	v_cvt_f64_f32_e32 v[0:1], v0
	v_lshl_add_u64 v[2:3], v[136:137], 3, v[64:65]
	global_store_dwordx2 v[2:3], v[0:1], off
	s_endpgm
	.section	.rodata,"a",@progbits
	.p2align	6, 0x0
	.amdhsa_kernel _ZN12_GLOBAL__N_120geam_min_plus_kernelId15HIP_vector_typeIdLj2EEdLi8ELi32ELi64ELi256ELi4ELi4ELi64ELi64ELi4ELc84ELc84ELb1ELb0ELb1EdKddEEviiiT16_PT17_ilS6_ilS4_S6_ilPT18_ili26rocblas_geam_ex_operation_
		.amdhsa_group_segment_fixed_size 20480
		.amdhsa_private_segment_fixed_size 0
		.amdhsa_kernarg_size 136
		.amdhsa_user_sgpr_count 2
		.amdhsa_user_sgpr_dispatch_ptr 0
		.amdhsa_user_sgpr_queue_ptr 0
		.amdhsa_user_sgpr_kernarg_segment_ptr 1
		.amdhsa_user_sgpr_dispatch_id 0
		.amdhsa_user_sgpr_kernarg_preload_length 0
		.amdhsa_user_sgpr_kernarg_preload_offset 0
		.amdhsa_user_sgpr_private_segment_size 0
		.amdhsa_uses_dynamic_stack 0
		.amdhsa_enable_private_segment 0
		.amdhsa_system_sgpr_workgroup_id_x 1
		.amdhsa_system_sgpr_workgroup_id_y 0
		.amdhsa_system_sgpr_workgroup_id_z 1
		.amdhsa_system_sgpr_workgroup_info 0
		.amdhsa_system_vgpr_workitem_id 1
		.amdhsa_next_free_vgpr 220
		.amdhsa_next_free_sgpr 24
		.amdhsa_accum_offset 220
		.amdhsa_reserve_vcc 1
		.amdhsa_float_round_mode_32 0
		.amdhsa_float_round_mode_16_64 0
		.amdhsa_float_denorm_mode_32 3
		.amdhsa_float_denorm_mode_16_64 3
		.amdhsa_dx10_clamp 1
		.amdhsa_ieee_mode 1
		.amdhsa_fp16_overflow 0
		.amdhsa_tg_split 0
		.amdhsa_exception_fp_ieee_invalid_op 0
		.amdhsa_exception_fp_denorm_src 0
		.amdhsa_exception_fp_ieee_div_zero 0
		.amdhsa_exception_fp_ieee_overflow 0
		.amdhsa_exception_fp_ieee_underflow 0
		.amdhsa_exception_fp_ieee_inexact 0
		.amdhsa_exception_int_div_zero 0
	.end_amdhsa_kernel
	.section	.text._ZN12_GLOBAL__N_120geam_min_plus_kernelId15HIP_vector_typeIdLj2EEdLi8ELi32ELi64ELi256ELi4ELi4ELi64ELi64ELi4ELc84ELc84ELb1ELb0ELb1EdKddEEviiiT16_PT17_ilS6_ilS4_S6_ilPT18_ili26rocblas_geam_ex_operation_,"axG",@progbits,_ZN12_GLOBAL__N_120geam_min_plus_kernelId15HIP_vector_typeIdLj2EEdLi8ELi32ELi64ELi256ELi4ELi4ELi64ELi64ELi4ELc84ELc84ELb1ELb0ELb1EdKddEEviiiT16_PT17_ilS6_ilS4_S6_ilPT18_ili26rocblas_geam_ex_operation_,comdat
.Lfunc_end175:
	.size	_ZN12_GLOBAL__N_120geam_min_plus_kernelId15HIP_vector_typeIdLj2EEdLi8ELi32ELi64ELi256ELi4ELi4ELi64ELi64ELi4ELc84ELc84ELb1ELb0ELb1EdKddEEviiiT16_PT17_ilS6_ilS4_S6_ilPT18_ili26rocblas_geam_ex_operation_, .Lfunc_end175-_ZN12_GLOBAL__N_120geam_min_plus_kernelId15HIP_vector_typeIdLj2EEdLi8ELi32ELi64ELi256ELi4ELi4ELi64ELi64ELi4ELc84ELc84ELb1ELb0ELb1EdKddEEviiiT16_PT17_ilS6_ilS4_S6_ilPT18_ili26rocblas_geam_ex_operation_
                                        ; -- End function
	.set _ZN12_GLOBAL__N_120geam_min_plus_kernelId15HIP_vector_typeIdLj2EEdLi8ELi32ELi64ELi256ELi4ELi4ELi64ELi64ELi4ELc84ELc84ELb1ELb0ELb1EdKddEEviiiT16_PT17_ilS6_ilS4_S6_ilPT18_ili26rocblas_geam_ex_operation_.num_vgpr, 220
	.set _ZN12_GLOBAL__N_120geam_min_plus_kernelId15HIP_vector_typeIdLj2EEdLi8ELi32ELi64ELi256ELi4ELi4ELi64ELi64ELi4ELc84ELc84ELb1ELb0ELb1EdKddEEviiiT16_PT17_ilS6_ilS4_S6_ilPT18_ili26rocblas_geam_ex_operation_.num_agpr, 0
	.set _ZN12_GLOBAL__N_120geam_min_plus_kernelId15HIP_vector_typeIdLj2EEdLi8ELi32ELi64ELi256ELi4ELi4ELi64ELi64ELi4ELc84ELc84ELb1ELb0ELb1EdKddEEviiiT16_PT17_ilS6_ilS4_S6_ilPT18_ili26rocblas_geam_ex_operation_.numbered_sgpr, 24
	.set _ZN12_GLOBAL__N_120geam_min_plus_kernelId15HIP_vector_typeIdLj2EEdLi8ELi32ELi64ELi256ELi4ELi4ELi64ELi64ELi4ELc84ELc84ELb1ELb0ELb1EdKddEEviiiT16_PT17_ilS6_ilS4_S6_ilPT18_ili26rocblas_geam_ex_operation_.num_named_barrier, 0
	.set _ZN12_GLOBAL__N_120geam_min_plus_kernelId15HIP_vector_typeIdLj2EEdLi8ELi32ELi64ELi256ELi4ELi4ELi64ELi64ELi4ELc84ELc84ELb1ELb0ELb1EdKddEEviiiT16_PT17_ilS6_ilS4_S6_ilPT18_ili26rocblas_geam_ex_operation_.private_seg_size, 0
	.set _ZN12_GLOBAL__N_120geam_min_plus_kernelId15HIP_vector_typeIdLj2EEdLi8ELi32ELi64ELi256ELi4ELi4ELi64ELi64ELi4ELc84ELc84ELb1ELb0ELb1EdKddEEviiiT16_PT17_ilS6_ilS4_S6_ilPT18_ili26rocblas_geam_ex_operation_.uses_vcc, 1
	.set _ZN12_GLOBAL__N_120geam_min_plus_kernelId15HIP_vector_typeIdLj2EEdLi8ELi32ELi64ELi256ELi4ELi4ELi64ELi64ELi4ELc84ELc84ELb1ELb0ELb1EdKddEEviiiT16_PT17_ilS6_ilS4_S6_ilPT18_ili26rocblas_geam_ex_operation_.uses_flat_scratch, 0
	.set _ZN12_GLOBAL__N_120geam_min_plus_kernelId15HIP_vector_typeIdLj2EEdLi8ELi32ELi64ELi256ELi4ELi4ELi64ELi64ELi4ELc84ELc84ELb1ELb0ELb1EdKddEEviiiT16_PT17_ilS6_ilS4_S6_ilPT18_ili26rocblas_geam_ex_operation_.has_dyn_sized_stack, 0
	.set _ZN12_GLOBAL__N_120geam_min_plus_kernelId15HIP_vector_typeIdLj2EEdLi8ELi32ELi64ELi256ELi4ELi4ELi64ELi64ELi4ELc84ELc84ELb1ELb0ELb1EdKddEEviiiT16_PT17_ilS6_ilS4_S6_ilPT18_ili26rocblas_geam_ex_operation_.has_recursion, 0
	.set _ZN12_GLOBAL__N_120geam_min_plus_kernelId15HIP_vector_typeIdLj2EEdLi8ELi32ELi64ELi256ELi4ELi4ELi64ELi64ELi4ELc84ELc84ELb1ELb0ELb1EdKddEEviiiT16_PT17_ilS6_ilS4_S6_ilPT18_ili26rocblas_geam_ex_operation_.has_indirect_call, 0
	.section	.AMDGPU.csdata,"",@progbits
; Kernel info:
; codeLenInByte = 24588
; TotalNumSgprs: 30
; NumVgprs: 220
; NumAgprs: 0
; TotalNumVgprs: 220
; ScratchSize: 0
; MemoryBound: 0
; FloatMode: 240
; IeeeMode: 1
; LDSByteSize: 20480 bytes/workgroup (compile time only)
; SGPRBlocks: 3
; VGPRBlocks: 27
; NumSGPRsForWavesPerEU: 30
; NumVGPRsForWavesPerEU: 220
; AccumOffset: 220
; Occupancy: 2
; WaveLimiterHint : 1
; COMPUTE_PGM_RSRC2:SCRATCH_EN: 0
; COMPUTE_PGM_RSRC2:USER_SGPR: 2
; COMPUTE_PGM_RSRC2:TRAP_HANDLER: 0
; COMPUTE_PGM_RSRC2:TGID_X_EN: 1
; COMPUTE_PGM_RSRC2:TGID_Y_EN: 0
; COMPUTE_PGM_RSRC2:TGID_Z_EN: 1
; COMPUTE_PGM_RSRC2:TIDIG_COMP_CNT: 1
; COMPUTE_PGM_RSRC3_GFX90A:ACCUM_OFFSET: 54
; COMPUTE_PGM_RSRC3_GFX90A:TG_SPLIT: 0
	.section	.text._ZN12_GLOBAL__N_120geam_min_plus_kernelId15HIP_vector_typeIdLj2EEdLi8ELi32ELi64ELi256ELi4ELi4ELi64ELi64ELi4ELc84ELc84ELb0ELb0ELb1EdKddEEviiiT16_PT17_ilS6_ilS4_S6_ilPT18_ili26rocblas_geam_ex_operation_,"axG",@progbits,_ZN12_GLOBAL__N_120geam_min_plus_kernelId15HIP_vector_typeIdLj2EEdLi8ELi32ELi64ELi256ELi4ELi4ELi64ELi64ELi4ELc84ELc84ELb0ELb0ELb1EdKddEEviiiT16_PT17_ilS6_ilS4_S6_ilPT18_ili26rocblas_geam_ex_operation_,comdat
	.globl	_ZN12_GLOBAL__N_120geam_min_plus_kernelId15HIP_vector_typeIdLj2EEdLi8ELi32ELi64ELi256ELi4ELi4ELi64ELi64ELi4ELc84ELc84ELb0ELb0ELb1EdKddEEviiiT16_PT17_ilS6_ilS4_S6_ilPT18_ili26rocblas_geam_ex_operation_ ; -- Begin function _ZN12_GLOBAL__N_120geam_min_plus_kernelId15HIP_vector_typeIdLj2EEdLi8ELi32ELi64ELi256ELi4ELi4ELi64ELi64ELi4ELc84ELc84ELb0ELb0ELb1EdKddEEviiiT16_PT17_ilS6_ilS4_S6_ilPT18_ili26rocblas_geam_ex_operation_
	.p2align	8
	.type	_ZN12_GLOBAL__N_120geam_min_plus_kernelId15HIP_vector_typeIdLj2EEdLi8ELi32ELi64ELi256ELi4ELi4ELi64ELi64ELi4ELc84ELc84ELb0ELb0ELb1EdKddEEviiiT16_PT17_ilS6_ilS4_S6_ilPT18_ili26rocblas_geam_ex_operation_,@function
_ZN12_GLOBAL__N_120geam_min_plus_kernelId15HIP_vector_typeIdLj2EEdLi8ELi32ELi64ELi256ELi4ELi4ELi64ELi64ELi4ELc84ELc84ELb0ELb0ELb1EdKddEEviiiT16_PT17_ilS6_ilS4_S6_ilPT18_ili26rocblas_geam_ex_operation_: ; @_ZN12_GLOBAL__N_120geam_min_plus_kernelId15HIP_vector_typeIdLj2EEdLi8ELi32ELi64ELi256ELi4ELi4ELi64ELi64ELi4ELc84ELc84ELb0ELb0ELb1EdKddEEviiiT16_PT17_ilS6_ilS4_S6_ilPT18_ili26rocblas_geam_ex_operation_
; %bb.0:
	s_load_dwordx4 s[16:19], s[0:1], 0x10
	s_load_dwordx4 s[12:15], s[0:1], 0x28
	s_mov_b64 s[20:21], 0
	s_waitcnt lgkmcnt(0)
	v_cmp_eq_f64_e64 s[22:23], s[16:17], 0
	s_and_b64 s[4:5], exec, s[22:23]
	s_mov_b64 vcc, s[4:5]
	s_cbranch_vccnz .LBB176_2
; %bb.1:
	s_mul_i32 s6, s13, s3
	s_mul_hi_u32 s7, s12, s3
	s_add_i32 s7, s7, s6
	s_mul_i32 s6, s12, s3
	s_lshl_b64 s[6:7], s[6:7], 3
	s_add_u32 s20, s18, s6
	s_addc_u32 s21, s19, s7
.LBB176_2:
	s_load_dwordx4 s[8:11], s[0:1], 0x40
	s_load_dwordx2 s[6:7], s[0:1], 0x50
	s_andn2_b64 vcc, exec, s[22:23]
	s_mov_b64 s[12:13], -1
	s_cbranch_vccnz .LBB176_4
; %bb.3:
	s_mov_b64 s[12:13], 0
.LBB176_4:
	s_mov_b64 s[18:19], 0
	s_andn2_b64 vcc, exec, s[12:13]
	s_mov_b64 s[22:23], 0
	s_cbranch_vccnz .LBB176_6
; %bb.5:
	s_waitcnt lgkmcnt(0)
	s_mul_i32 s9, s9, s3
	s_mul_hi_u32 s12, s8, s3
	s_add_i32 s9, s12, s9
	s_mul_i32 s8, s8, s3
	s_lshl_b64 s[8:9], s[8:9], 3
	s_add_u32 s22, s14, s8
	s_addc_u32 s23, s15, s9
.LBB176_6:
	s_load_dwordx4 s[12:15], s[0:1], 0x60
	s_waitcnt lgkmcnt(0)
	v_cmp_eq_f64_e64 s[8:9], s[10:11], 0
	s_and_b64 s[8:9], exec, s[8:9]
	v_cmp_neq_f64_e64 s[24:25], s[16:17], 0
	s_mov_b64 vcc, s[8:9]
	s_cbranch_vccnz .LBB176_8
; %bb.7:
	s_mul_i32 s13, s13, s3
	s_mul_hi_u32 s18, s12, s3
	s_add_i32 s13, s18, s13
	s_mul_i32 s12, s12, s3
	s_lshl_b64 s[12:13], s[12:13], 3
	s_add_u32 s18, s6, s12
	s_addc_u32 s19, s7, s13
.LBB176_8:
	s_load_dword s6, s[0:1], 0x0
	s_load_dword s28, s[0:1], 0x20
	v_and_b32_e32 v152, 0x3ff, v0
	v_bfe_u32 v153, v0, 10, 10
	v_lshl_add_u32 v6, v153, 3, v152
	s_waitcnt lgkmcnt(0)
	s_add_i32 s6, s6, -1
	s_ashr_i32 s7, s6, 31
	s_lshr_b32 s7, s7, 26
	s_add_i32 s6, s6, s7
	s_ashr_i32 s12, s6, 6
	s_add_i32 s26, s12, 1
	v_cvt_f32_u32_e32 v1, s26
	s_not_b32 s12, s12
	v_and_b32_e32 v2, 3, v0
	v_cndmask_b32_e64 v4, 0, 1, s[24:25]
	v_rcp_iflag_f32_e32 v3, v1
	v_lshrrev_b32_e32 v110, 2, v6
	v_mov_b64_e32 v[0:1], 0
	v_cmp_ne_u32_e64 s[6:7], 1, v4
	v_mul_f32_e32 v3, 0x4f7ffffe, v3
	v_cvt_u32_f32_e32 v3, v3
	v_lshlrev_b32_e32 v2, 3, v2
	v_mov_b64_e32 v[4:5], 0
	v_readfirstlane_b32 s13, v3
	s_mul_i32 s12, s12, s13
	s_mul_hi_u32 s12, s13, s12
	s_add_i32 s13, s13, s12
	s_mul_hi_u32 s12, s2, s13
	s_mul_i32 s13, s12, s26
	s_sub_i32 s13, s2, s13
	s_add_i32 s27, s12, 1
	s_sub_i32 s29, s13, s26
	s_cmp_ge_u32 s13, s26
	s_cselect_b32 s12, s27, s12
	s_cselect_b32 s13, s29, s13
	s_add_i32 s27, s12, 1
	s_cmp_ge_u32 s13, s26
	s_cselect_b32 s13, s27, s12
	s_mul_i32 s29, s13, s26
	s_sub_i32 s12, s2, s29
	s_lshl_b32 s26, s12, 6
	s_andn2_b64 vcc, exec, s[24:25]
	v_add_u32_e32 v16, s26, v110
	s_cbranch_vccnz .LBB176_10
; %bb.9:
	v_mad_i64_i32 v[4:5], s[24:25], v16, s28, 0
	v_lshl_add_u64 v[4:5], v[4:5], 3, s[20:21]
	v_mov_b32_e32 v3, 0
	v_lshl_add_u64 v[4:5], v[4:5], 0, v[2:3]
	global_load_dwordx2 v[4:5], v[4:5], off
	s_waitcnt vmcnt(0)
	v_mul_f64 v[4:5], s[16:17], v[4:5]
.LBB176_10:
	s_load_dword s12, s[0:1], 0x38
	v_and_b32_e32 v112, 63, v6
	v_lshrrev_b32_e32 v111, 6, v6
	s_lshl_b32 s27, s13, 8
	v_or_b32_e32 v8, s27, v112
	s_waitcnt lgkmcnt(0)
	v_mad_i64_i32 v[6:7], s[24:25], s12, v111, 0
	v_lshl_add_u64 v[14:15], v[6:7], 3, s[22:23]
	s_and_b64 vcc, exec, s[6:7]
	v_ashrrev_i32_e32 v9, 31, v8
	v_mov_b64_e32 v[6:7], 0
	s_cbranch_vccnz .LBB176_12
; %bb.11:
	v_lshl_add_u64 v[0:1], v[8:9], 3, v[14:15]
	global_load_dwordx2 v[6:7], v[0:1], off
	global_load_dwordx2 v[10:11], v[0:1], off offset:512
	s_waitcnt vmcnt(1)
	v_mul_f64 v[6:7], s[16:17], v[6:7]
	s_waitcnt vmcnt(0)
	v_mul_f64 v[0:1], s[16:17], v[10:11]
.LBB176_12:
	s_ashr_i32 s13, s12, 31
	s_mov_b64 vcc, s[4:5]
	s_cbranch_vccz .LBB176_14
; %bb.13:
	s_mov_b32 s24, 0
	v_mov_b32_e32 v10, s24
	v_mov_b32_e32 v11, s24
	v_mov_b64_e32 v[100:101], 0
	v_mov_b64_e32 v[12:13], 0
	s_cbranch_execz .LBB176_15
	s_branch .LBB176_16
.LBB176_14:
                                        ; implicit-def: $vgpr10_vgpr11
	v_mov_b64_e32 v[100:101], 0
	v_mov_b64_e32 v[12:13], 0
.LBB176_15:
	v_lshl_add_u64 v[10:11], v[8:9], 3, v[14:15]
	global_load_dwordx2 v[12:13], v[10:11], off offset:1024
	global_load_dwordx2 v[14:15], v[10:11], off offset:1536
	s_waitcnt vmcnt(1)
	v_mul_f64 v[10:11], s[16:17], v[12:13]
	s_waitcnt vmcnt(0)
	v_mul_f64 v[12:13], s[16:17], v[14:15]
.LBB176_16:
	s_and_b64 vcc, exec, s[6:7]
	s_cbranch_vccnz .LBB176_18
; %bb.17:
	v_mad_i64_i32 v[14:15], s[24:25], v16, s28, 0
	v_lshl_add_u64 v[14:15], v[14:15], 3, s[20:21]
	v_mov_b32_e32 v3, 0
	v_lshl_add_u64 v[14:15], v[14:15], 0, v[2:3]
	global_load_dwordx2 v[14:15], v[14:15], off offset:32
	s_waitcnt vmcnt(0)
	v_mul_f64 v[100:101], s[16:17], v[14:15]
.LBB176_18:
	v_add_u32_e32 v3, 4, v111
	v_mad_i64_i32 v[14:15], s[24:25], s12, v3, 0
	s_and_b64 vcc, exec, s[6:7]
	v_lshl_add_u64 v[14:15], v[14:15], 3, s[22:23]
	s_cbranch_vccnz .LBB176_21
; %bb.19:
	v_lshl_add_u64 v[16:17], v[8:9], 3, v[14:15]
	global_load_dwordx2 v[18:19], v[16:17], off
	global_load_dwordx2 v[20:21], v[16:17], off offset:512
	s_waitcnt vmcnt(1)
	v_mul_f64 v[104:105], s[16:17], v[18:19]
	s_waitcnt vmcnt(0)
	v_mul_f64 v[102:103], s[16:17], v[20:21]
	s_mov_b64 vcc, s[4:5]
	s_cbranch_vccz .LBB176_22
.LBB176_20:
	s_mov_b32 s24, 0
	v_mov_b32_e32 v106, s24
	v_mov_b32_e32 v107, s24
	v_mov_b64_e32 v[108:109], 0
	s_cbranch_execz .LBB176_23
	s_branch .LBB176_24
.LBB176_21:
	v_mov_b64_e32 v[102:103], 0
	v_mov_b64_e32 v[104:105], v[102:103]
	s_mov_b64 vcc, s[4:5]
	s_cbranch_vccnz .LBB176_20
.LBB176_22:
                                        ; implicit-def: $vgpr106_vgpr107
	v_mov_b64_e32 v[108:109], 0
.LBB176_23:
	v_lshl_add_u64 v[8:9], v[8:9], 3, v[14:15]
	global_load_dwordx2 v[14:15], v[8:9], off offset:1024
	global_load_dwordx2 v[16:17], v[8:9], off offset:1536
	s_waitcnt vmcnt(1)
	v_mul_f64 v[106:107], s[16:17], v[14:15]
	s_waitcnt vmcnt(0)
	v_mul_f64 v[108:109], s[16:17], v[16:17]
.LBB176_24:
	v_lshl_or_b32 v113, v110, 5, v2
	v_lshlrev_b32_e32 v2, 5, v112
	v_lshl_add_u32 v154, v111, 3, v2
	v_lshlrev_b32_e32 v157, 5, v152
	ds_write_b64 v113, v[4:5] offset:16384
	ds_write2st64_b64 v154, v[6:7], v[0:1] offset1:4
	ds_write2st64_b64 v154, v[10:11], v[12:13] offset0:8 offset1:12
	s_waitcnt lgkmcnt(0)
	s_barrier
	v_lshlrev_b32_e32 v156, 5, v153
	ds_read_b128 v[32:35], v157 offset:16640
	ds_read_b128 v[28:31], v157 offset:16896
	;; [unrolled: 1-line block ×13, first 2 shown]
	ds_read_b128 v[96:99], v156
	ds_read_b128 v[44:47], v156 offset:6144
	ds_read_b128 v[36:39], v156 offset:7168
	;; [unrolled: 1-line block ×4, first 2 shown]
	s_waitcnt lgkmcnt(5)
	v_add_f64 v[116:117], v[42:43], v[94:95]
	v_add_f64 v[118:119], v[40:41], v[92:93]
	s_mov_b32 s25, 0x7f800000
	v_cvt_f32_f64_e32 v115, v[118:119]
	v_cvt_f32_f64_e32 v116, v[116:117]
	v_min3_f32 v177, v115, v116, s25
	v_add_f64 v[116:117], v[34:35], v[94:95]
	v_add_f64 v[118:119], v[32:33], v[92:93]
	v_cvt_f32_f64_e32 v115, v[118:119]
	v_cvt_f32_f64_e32 v116, v[116:117]
	v_min3_f32 v178, v115, v116, s25
	v_add_f64 v[116:117], v[30:31], v[94:95]
	v_add_f64 v[118:119], v[28:29], v[92:93]
	;; [unrolled: 5-line block ×34, first 2 shown]
	v_cvt_f32_f64_e32 v115, v[118:119]
	v_cvt_f32_f64_e32 v116, v[116:117]
	v_min3_f32 v121, v115, v116, s25
	s_waitcnt lgkmcnt(3)
	v_add_f64 v[116:117], v[42:43], v[46:47]
	v_add_f64 v[166:167], v[40:41], v[44:45]
	v_cvt_f32_f64_e32 v115, v[166:167]
	v_cvt_f32_f64_e32 v116, v[116:117]
	v_min3_f32 v127, v115, v116, s25
	v_add_f64 v[116:117], v[34:35], v[46:47]
	v_add_f64 v[166:167], v[32:33], v[44:45]
	v_cvt_f32_f64_e32 v115, v[166:167]
	v_cvt_f32_f64_e32 v116, v[116:117]
	v_min3_f32 v124, v115, v116, s25
	v_add_f64 v[116:117], v[30:31], v[46:47]
	v_add_f64 v[166:167], v[28:29], v[44:45]
	v_cvt_f32_f64_e32 v115, v[166:167]
	v_cvt_f32_f64_e32 v116, v[116:117]
	v_add_f64 v[56:57], v[42:43], v[98:99]
	v_add_f64 v[58:59], v[40:41], v[96:97]
	v_min3_f32 v122, v115, v116, s25
	v_add_f64 v[116:117], v[26:27], v[46:47]
	v_add_f64 v[166:167], v[24:25], v[44:45]
	v_cvt_f32_f64_e32 v58, v[58:59]
	v_cvt_f32_f64_e32 v56, v[56:57]
	;; [unrolled: 1-line block ×4, first 2 shown]
	v_min3_f32 v114, v58, v56, s25
	ds_read_b128 v[56:59], v157 offset:16656
	v_add_f64 v[60:61], v[34:35], v[98:99]
	v_add_f64 v[62:63], v[32:33], v[96:97]
	v_min3_f32 v120, v115, v116, s25
	v_add_f64 v[116:117], v[22:23], v[46:47]
	v_add_f64 v[166:167], v[20:21], v[44:45]
	v_cvt_f32_f64_e32 v62, v[62:63]
	v_cvt_f32_f64_e32 v60, v[60:61]
	v_cvt_f32_f64_e32 v115, v[166:167]
	v_cvt_f32_f64_e32 v116, v[116:117]
	v_add_f64 v[166:167], v[16:17], v[44:45]
	v_min3_f32 v170, v62, v60, s25
	ds_read_b128 v[60:63], v157 offset:16912
	v_add_f64 v[64:65], v[30:31], v[98:99]
	v_add_f64 v[66:67], v[28:29], v[96:97]
	;; [unrolled: 1-line block ×22, first 2 shown]
	v_min3_f32 v118, v115, v116, s25
	v_add_f64 v[116:117], v[18:19], v[46:47]
	v_cvt_f32_f64_e32 v115, v[166:167]
	v_add_f64 v[166:167], v[14:15], v[46:47]
	v_add_f64 v[168:169], v[12:13], v[44:45]
	;; [unrolled: 1-line block ×4, first 2 shown]
	s_waitcnt lgkmcnt(4)
	v_add_f64 v[14:15], v[14:15], v[38:39]
	v_add_f64 v[12:13], v[12:13], v[36:37]
	;; [unrolled: 1-line block ×4, first 2 shown]
	v_cvt_f32_f64_e32 v66, v[66:67]
	v_cvt_f32_f64_e32 v64, v[64:65]
	;; [unrolled: 1-line block ×7, first 2 shown]
	s_waitcnt lgkmcnt(2)
	v_add_f64 v[10:11], v[2:3], v[6:7]
	v_add_f64 v[14:15], v[0:1], v[4:5]
	v_min3_f32 v171, v66, v64, s25
	ds_read_b128 v[64:67], v157 offset:17168
	v_min3_f32 v117, v115, v116, s25
	v_cvt_f32_f64_e32 v115, v[168:169]
	v_cvt_f32_f64_e32 v116, v[166:167]
	;; [unrolled: 1-line block ×4, first 2 shown]
	v_min3_f32 v8, v8, v9, s25
	v_cvt_f32_f64_e32 v9, v[14:15]
	v_cvt_f32_f64_e32 v10, v[10:11]
	;; [unrolled: 1-line block ×4, first 2 shown]
	v_min3_f32 v116, v115, v116, s25
	v_min3_f32 v115, v44, v45, s25
	ds_read_b128 v[44:47], v156 offset:7184
	v_min3_f32 v226, v9, v10, v114
	s_waitcnt lgkmcnt(3)
	v_add_f64 v[10:11], v[58:59], v[6:7]
	v_add_f64 v[14:15], v[56:57], v[4:5]
	v_min3_f32 v172, v70, v68, s25
	ds_read_b128 v[68:71], v157 offset:17424
	v_cvt_f32_f64_e32 v9, v[14:15]
	v_cvt_f32_f64_e32 v10, v[10:11]
	;; [unrolled: 1-line block ×4, first 2 shown]
	v_min3_f32 v224, v9, v10, v170
	s_waitcnt lgkmcnt(3)
	v_add_f64 v[10:11], v[62:63], v[6:7]
	v_add_f64 v[14:15], v[60:61], v[4:5]
	v_min3_f32 v173, v74, v72, s25
	ds_read_b128 v[72:75], v157 offset:17680
	v_cvt_f32_f64_e32 v9, v[14:15]
	v_cvt_f32_f64_e32 v10, v[10:11]
	;; [unrolled: 1-line block ×6, first 2 shown]
	v_min3_f32 v225, v9, v10, v171
	s_waitcnt lgkmcnt(3)
	v_add_f64 v[10:11], v[66:67], v[6:7]
	v_add_f64 v[14:15], v[64:65], v[4:5]
	v_min3_f32 v174, v78, v76, s25
	ds_read_b128 v[76:79], v157 offset:17936
	v_min3_f32 v175, v82, v80, s25
	ds_read_b128 v[80:83], v157 offset:18192
	v_cvt_f32_f64_e32 v9, v[14:15]
	v_cvt_f32_f64_e32 v10, v[10:11]
	;; [unrolled: 1-line block ×4, first 2 shown]
	v_min3_f32 v222, v9, v10, v172
	s_waitcnt lgkmcnt(3)
	v_add_f64 v[10:11], v[70:71], v[6:7]
	v_add_f64 v[14:15], v[68:69], v[4:5]
	v_min3_f32 v176, v96, v97, s25
	ds_read_b128 v[96:99], v156 offset:1040
	v_cvt_f32_f64_e32 v9, v[14:15]
	v_cvt_f32_f64_e32 v10, v[10:11]
	v_min3_f32 v223, v9, v10, v173
	s_waitcnt lgkmcnt(3)
	v_add_f64 v[10:11], v[74:75], v[6:7]
	v_add_f64 v[14:15], v[72:73], v[4:5]
	v_cvt_f32_f64_e32 v9, v[14:15]
	v_cvt_f32_f64_e32 v10, v[10:11]
	v_min3_f32 v220, v9, v10, v174
	s_waitcnt lgkmcnt(2)
	v_add_f64 v[10:11], v[78:79], v[6:7]
	v_add_f64 v[14:15], v[76:77], v[4:5]
	s_waitcnt lgkmcnt(1)
	v_add_f64 v[6:7], v[82:83], v[6:7]
	v_add_f64 v[4:5], v[80:81], v[4:5]
	v_cvt_f32_f64_e32 v92, v[92:93]
	v_cvt_f32_f64_e32 v93, v[94:95]
	v_cvt_f32_f64_e32 v4, v[4:5]
	v_cvt_f32_f64_e32 v5, v[6:7]
	v_min3_f32 v150, v92, v93, s25
	ds_read_b128 v[92:95], v156 offset:2064
	v_min3_f32 v215, v4, v5, v176
	s_waitcnt lgkmcnt(1)
	v_add_f64 v[4:5], v[2:3], v[98:99]
	v_add_f64 v[6:7], v[0:1], v[96:97]
	v_cvt_f32_f64_e32 v6, v[6:7]
	v_cvt_f32_f64_e32 v4, v[4:5]
	v_min3_f32 v214, v6, v4, v177
	v_add_f64 v[4:5], v[58:59], v[98:99]
	v_add_f64 v[6:7], v[56:57], v[96:97]
	v_cvt_f32_f64_e32 v6, v[6:7]
	v_cvt_f32_f64_e32 v4, v[4:5]
	v_min3_f32 v213, v6, v4, v178
	;; [unrolled: 5-line block ×8, first 2 shown]
	s_waitcnt lgkmcnt(0)
	v_add_f64 v[4:5], v[2:3], v[94:95]
	v_add_f64 v[6:7], v[0:1], v[92:93]
	v_cvt_f32_f64_e32 v6, v[6:7]
	v_cvt_f32_f64_e32 v4, v[4:5]
	v_min3_f32 v206, v6, v4, v163
	v_add_f64 v[4:5], v[58:59], v[94:95]
	v_add_f64 v[6:7], v[56:57], v[92:93]
	v_cvt_f32_f64_e32 v6, v[6:7]
	v_cvt_f32_f64_e32 v4, v[4:5]
	v_min3_f32 v204, v6, v4, v161
	;; [unrolled: 5-line block ×4, first 2 shown]
	v_add_f64 v[4:5], v[70:71], v[94:95]
	v_add_f64 v[6:7], v[68:69], v[92:93]
	v_cvt_f32_f64_e32 v6, v[6:7]
	v_cvt_f32_f64_e32 v4, v[4:5]
	;; [unrolled: 1-line block ×4, first 2 shown]
	v_min3_f32 v201, v6, v4, v149
	v_add_f64 v[4:5], v[74:75], v[94:95]
	v_add_f64 v[6:7], v[72:73], v[92:93]
	v_min3_f32 v142, v88, v89, s25
	ds_read_b128 v[88:91], v156 offset:3088
	v_cvt_f32_f64_e32 v6, v[6:7]
	v_cvt_f32_f64_e32 v4, v[4:5]
	v_min3_f32 v200, v6, v4, v147
	v_add_f64 v[4:5], v[78:79], v[94:95]
	v_add_f64 v[6:7], v[76:77], v[92:93]
	v_cvt_f32_f64_e32 v6, v[6:7]
	v_cvt_f32_f64_e32 v4, v[4:5]
	v_min3_f32 v199, v6, v4, v145
	v_add_f64 v[4:5], v[82:83], v[94:95]
	v_add_f64 v[6:7], v[80:81], v[92:93]
	v_cvt_f32_f64_e32 v84, v[84:85]
	v_cvt_f32_f64_e32 v85, v[86:87]
	;; [unrolled: 1-line block ×4, first 2 shown]
	v_min3_f32 v134, v84, v85, s25
	ds_read_b128 v[84:87], v156 offset:4112
	v_min3_f32 v198, v6, v4, v142
	s_waitcnt lgkmcnt(1)
	v_add_f64 v[4:5], v[2:3], v[90:91]
	v_add_f64 v[6:7], v[0:1], v[88:89]
	v_cvt_f32_f64_e32 v6, v[6:7]
	v_cvt_f32_f64_e32 v4, v[4:5]
	v_min3_f32 v197, v6, v4, v151
	v_add_f64 v[4:5], v[58:59], v[90:91]
	v_add_f64 v[6:7], v[56:57], v[88:89]
	v_cvt_f32_f64_e32 v6, v[6:7]
	v_cvt_f32_f64_e32 v4, v[4:5]
	v_min3_f32 v196, v6, v4, v148
	;; [unrolled: 5-line block ×8, first 2 shown]
	s_waitcnt lgkmcnt(0)
	v_add_f64 v[4:5], v[2:3], v[86:87]
	v_add_f64 v[6:7], v[0:1], v[84:85]
	v_cvt_f32_f64_e32 v6, v[6:7]
	v_cvt_f32_f64_e32 v4, v[4:5]
	v_min3_f32 v189, v6, v4, v143
	v_add_f64 v[4:5], v[58:59], v[86:87]
	v_add_f64 v[6:7], v[56:57], v[84:85]
	v_cvt_f32_f64_e32 v6, v[6:7]
	v_cvt_f32_f64_e32 v4, v[4:5]
	v_min3_f32 v188, v6, v4, v140
	;; [unrolled: 5-line block ×4, first 2 shown]
	v_add_f64 v[4:5], v[70:71], v[86:87]
	v_add_f64 v[6:7], v[68:69], v[84:85]
	v_cvt_f32_f64_e32 v6, v[6:7]
	v_cvt_f32_f64_e32 v4, v[4:5]
	;; [unrolled: 1-line block ×4, first 2 shown]
	v_min3_f32 v185, v6, v4, v133
	v_add_f64 v[4:5], v[74:75], v[86:87]
	v_add_f64 v[6:7], v[72:73], v[84:85]
	v_min3_f32 v126, v52, v53, s25
	ds_read_b128 v[52:55], v156 offset:5136
	v_cvt_f32_f64_e32 v6, v[6:7]
	v_cvt_f32_f64_e32 v4, v[4:5]
	v_min3_f32 v184, v6, v4, v131
	v_add_f64 v[4:5], v[78:79], v[86:87]
	v_add_f64 v[6:7], v[76:77], v[84:85]
	v_cvt_f32_f64_e32 v6, v[6:7]
	v_cvt_f32_f64_e32 v4, v[4:5]
	v_min3_f32 v183, v6, v4, v129
	v_add_f64 v[4:5], v[82:83], v[86:87]
	v_add_f64 v[6:7], v[80:81], v[84:85]
	v_cvt_f32_f64_e32 v48, v[48:49]
	v_cvt_f32_f64_e32 v49, v[50:51]
	v_cvt_f32_f64_e32 v6, v[6:7]
	v_cvt_f32_f64_e32 v4, v[4:5]
	v_min3_f32 v119, v48, v49, s25
	ds_read_b128 v[48:51], v156 offset:6160
	v_min3_f32 v182, v6, v4, v126
	s_waitcnt lgkmcnt(1)
	v_add_f64 v[4:5], v[2:3], v[54:55]
	v_add_f64 v[6:7], v[0:1], v[52:53]
	v_cvt_f32_f64_e32 v6, v[6:7]
	v_cvt_f32_f64_e32 v4, v[4:5]
	v_min3_f32 v181, v6, v4, v135
	v_add_f64 v[4:5], v[58:59], v[54:55]
	v_add_f64 v[6:7], v[56:57], v[52:53]
	v_cvt_f32_f64_e32 v6, v[6:7]
	v_cvt_f32_f64_e32 v4, v[4:5]
	v_min3_f32 v180, v6, v4, v132
	;; [unrolled: 5-line block ×6, first 2 shown]
	v_add_f64 v[4:5], v[78:79], v[54:55]
	v_add_f64 v[6:7], v[76:77], v[52:53]
	v_cvt_f32_f64_e32 v9, v[14:15]
	v_cvt_f32_f64_e32 v10, v[10:11]
	;; [unrolled: 1-line block ×4, first 2 shown]
	v_min3_f32 v221, v9, v10, v175
	v_min3_f32 v175, v6, v4, v121
	v_add_f64 v[4:5], v[82:83], v[54:55]
	v_add_f64 v[6:7], v[80:81], v[52:53]
	v_add_f64 v[42:43], v[42:43], v[38:39]
	v_add_f64 v[40:41], v[40:41], v[36:37]
	v_cvt_f32_f64_e32 v6, v[6:7]
	v_cvt_f32_f64_e32 v4, v[4:5]
	;; [unrolled: 1-line block ×4, first 2 shown]
	v_min3_f32 v174, v6, v4, v119
	s_waitcnt lgkmcnt(0)
	v_add_f64 v[4:5], v[2:3], v[50:51]
	v_add_f64 v[6:7], v[0:1], v[48:49]
	;; [unrolled: 1-line block ×4, first 2 shown]
	v_min3_f32 v40, v40, v41, s25
	v_add_f64 v[34:35], v[34:35], v[38:39]
	v_add_f64 v[32:33], v[32:33], v[36:37]
	v_cvt_f32_f64_e32 v6, v[6:7]
	v_cvt_f32_f64_e32 v4, v[4:5]
	v_cvt_f32_f64_e32 v0, v[0:1]
	v_cvt_f32_f64_e32 v1, v[2:3]
	v_cvt_f32_f64_e32 v32, v[32:33]
	v_cvt_f32_f64_e32 v33, v[34:35]
	v_min3_f32 v173, v6, v4, v127
	v_add_f64 v[4:5], v[58:59], v[50:51]
	v_add_f64 v[6:7], v[56:57], v[48:49]
	v_min3_f32 v165, v0, v1, v40
	v_add_f64 v[0:1], v[58:59], v[46:47]
	v_add_f64 v[2:3], v[56:57], v[44:45]
	v_min3_f32 v32, v32, v33, s25
	v_add_f64 v[30:31], v[30:31], v[38:39]
	v_add_f64 v[28:29], v[28:29], v[36:37]
	v_cvt_f32_f64_e32 v6, v[6:7]
	v_cvt_f32_f64_e32 v4, v[4:5]
	v_cvt_f32_f64_e32 v2, v[2:3]
	v_cvt_f32_f64_e32 v0, v[0:1]
	v_cvt_f32_f64_e32 v28, v[28:29]
	v_cvt_f32_f64_e32 v29, v[30:31]
	v_min3_f32 v172, v6, v4, v124
	v_add_f64 v[4:5], v[62:63], v[50:51]
	v_add_f64 v[6:7], v[60:61], v[48:49]
	v_min3_f32 v164, v2, v0, v32
	v_add_f64 v[0:1], v[62:63], v[46:47]
	v_add_f64 v[2:3], v[60:61], v[44:45]
	;; [unrolled: 15-line block ×5, first 2 shown]
	s_load_dword s24, s[0:1], 0x8
	v_min3_f32 v16, v16, v17, s25
	v_cvt_f32_f64_e32 v6, v[6:7]
	v_cvt_f32_f64_e32 v4, v[4:5]
	;; [unrolled: 1-line block ×4, first 2 shown]
	v_min3_f32 v168, v6, v4, v117
	v_add_f64 v[4:5], v[78:79], v[50:51]
	v_add_f64 v[6:7], v[76:77], v[48:49]
	v_min3_f32 v160, v2, v0, v16
	v_add_f64 v[0:1], v[78:79], v[46:47]
	v_add_f64 v[2:3], v[76:77], v[44:45]
	v_min3_f32 v12, v12, v13, s25
	v_cvt_f32_f64_e32 v6, v[6:7]
	v_cvt_f32_f64_e32 v4, v[4:5]
	;; [unrolled: 1-line block ×4, first 2 shown]
	v_min3_f32 v167, v6, v4, v116
	v_add_f64 v[4:5], v[82:83], v[50:51]
	v_add_f64 v[6:7], v[80:81], v[48:49]
	v_min3_f32 v159, v2, v0, v12
	v_add_f64 v[0:1], v[82:83], v[46:47]
	v_add_f64 v[2:3], v[80:81], v[44:45]
	v_cvt_f32_f64_e32 v6, v[6:7]
	v_cvt_f32_f64_e32 v4, v[4:5]
	v_cvt_f32_f64_e32 v2, v[2:3]
	v_cvt_f32_f64_e32 v0, v[0:1]
	v_min3_f32 v166, v6, v4, v115
	v_min3_f32 v158, v2, v0, v8
	s_waitcnt lgkmcnt(0)
	s_cmp_lt_i32 s24, 9
	ds_write_b64 v113, v[100:101] offset:18432
	ds_write2st64_b64 v154, v[104:105], v[102:103] offset0:16 offset1:20
	ds_write2st64_b64 v154, v[106:107], v[108:109] offset0:24 offset1:28
	s_waitcnt lgkmcnt(0)
	s_barrier
	s_cbranch_scc1 .LBB176_47
; %bb.25:
	v_mov_b32_e32 v0, 0x4800
	v_lshl_add_u32 v218, v152, 5, v0
	v_mov_b32_e32 v0, 0x2000
	v_lshl_add_u32 v219, v153, 5, v0
	v_lshl_add_u32 v0, s2, 6, v110
	s_lshl_b32 s2, s29, 6
	v_subrev_u32_e32 v0, s2, v0
	v_and_b32_e32 v2, 3, v152
	v_mad_i64_i32 v[0:1], s[28:29], s28, v0, 0
	v_lshlrev_b32_e32 v2, 3, v2
	v_mov_b32_e32 v3, 0
	v_lshl_add_u64 v[0:1], v[0:1], 3, v[2:3]
	v_lshl_add_u64 v[0:1], s[20:21], 0, v[0:1]
	;; [unrolled: 1-line block ×3, first 2 shown]
	v_add_u32_e32 v0, s27, v112
	v_ashrrev_i32_e32 v1, 31, v0
	v_lshlrev_b64 v[138:139], 3, v[0:1]
	v_add_u32_e32 v0, 8, v111
	v_mad_i64_i32 v[0:1], s[20:21], v0, s12, 0
	v_lshl_add_u64 v[140:141], v[0:1], 3, s[22:23]
	v_add_u32_e32 v0, 12, v111
	s_lshl_b64 s[20:21], s[12:13], 6
	v_mad_i64_i32 v[0:1], s[12:13], v0, s12, 0
	v_add_u32_e32 v155, 0x4000, v113
	v_add_u32_e32 v205, 0x4000, v157
	;; [unrolled: 1-line block ×3, first 2 shown]
	v_or_b32_e32 v217, 0x2000, v154
	s_add_i32 s24, s24, -8
	v_lshl_add_u64 v[142:143], v[0:1], 3, s[22:23]
	s_mov_b32 s2, 0
	s_mov_b32 s22, 0
	s_branch .LBB176_27
.LBB176_26:                             ;   in Loop: Header=BB176_27 Depth=1
	v_add_f64 v[2:3], v[106:107], v[134:135]
	v_add_f64 v[4:5], v[104:105], v[132:133]
	v_cvt_f32_f64_e32 v4, v[4:5]
	v_cvt_f32_f64_e32 v2, v[2:3]
	v_min3_f32 v6, v4, v2, v226
	v_add_f64 v[2:3], v[102:103], v[134:135]
	v_add_f64 v[4:5], v[100:101], v[132:133]
	v_cvt_f32_f64_e32 v4, v[4:5]
	v_cvt_f32_f64_e32 v2, v[2:3]
	v_min3_f32 v7, v4, v2, v224
	;; [unrolled: 5-line block ×128, first 2 shown]
	ds_read_b128 v[38:41], v205 offset:256
	ds_read_b128 v[34:37], v205 offset:512
	;; [unrolled: 1-line block ×12, first 2 shown]
	ds_read_b128 v[98:101], v156
	ds_read_b128 v[50:53], v205
	ds_read_b128 v[74:77], v156 offset:6144
	ds_read_b128 v[26:29], v156 offset:7168
	;; [unrolled: 1-line block ×4, first 2 shown]
	s_waitcnt lgkmcnt(5)
	v_add_f64 v[46:47], v[40:41], v[100:101]
	v_add_f64 v[48:49], v[38:39], v[98:99]
	;; [unrolled: 1-line block ×4, first 2 shown]
	v_cvt_f32_f64_e32 v48, v[48:49]
	v_cvt_f32_f64_e32 v46, v[46:47]
	;; [unrolled: 1-line block ×4, first 2 shown]
	v_min3_f32 v186, v48, v46, v72
	v_min3_f32 v187, v56, v54, v73
	v_add_f64 v[58:59], v[32:33], v[100:101]
	v_add_f64 v[60:61], v[30:31], v[98:99]
	;; [unrolled: 1-line block ×8, first 2 shown]
	v_cvt_f32_f64_e32 v60, v[60:61]
	v_cvt_f32_f64_e32 v58, v[58:59]
	v_cvt_f32_f64_e32 v64, v[64:65]
	v_cvt_f32_f64_e32 v62, v[62:63]
	v_cvt_f32_f64_e32 v68, v[68:69]
	v_cvt_f32_f64_e32 v66, v[66:67]
	v_cvt_f32_f64_e32 v72, v[72:73]
	v_cvt_f32_f64_e32 v70, v[70:71]
	v_min3_f32 v188, v60, v58, v102
	v_min3_f32 v189, v64, v62, v103
	;; [unrolled: 1-line block ×4, first 2 shown]
	s_waitcnt lgkmcnt(4)
	v_add_f64 v[102:103], v[52:53], v[96:97]
	v_add_f64 v[104:105], v[50:51], v[94:95]
	v_cvt_f32_f64_e32 v104, v[104:105]
	v_cvt_f32_f64_e32 v102, v[102:103]
	v_min3_f32 v107, v104, v102, v107
	v_add_f64 v[102:103], v[40:41], v[96:97]
	v_add_f64 v[104:105], v[38:39], v[94:95]
	v_cvt_f32_f64_e32 v104, v[104:105]
	v_cvt_f32_f64_e32 v102, v[102:103]
	v_min3_f32 v108, v104, v102, v108
	;; [unrolled: 5-line block ×35, first 2 shown]
	s_waitcnt lgkmcnt(3)
	v_add_f64 v[102:103], v[52:53], v[76:77]
	v_add_f64 v[104:105], v[50:51], v[74:75]
	v_cvt_f32_f64_e32 v104, v[104:105]
	v_cvt_f32_f64_e32 v102, v[102:103]
	v_min3_f32 v169, v104, v102, v169
	v_add_f64 v[102:103], v[40:41], v[76:77]
	v_add_f64 v[104:105], v[38:39], v[74:75]
	v_cvt_f32_f64_e32 v104, v[104:105]
	v_cvt_f32_f64_e32 v102, v[102:103]
	v_min3_f32 v170, v104, v102, v170
	;; [unrolled: 5-line block ×4, first 2 shown]
	v_add_f64 v[102:103], v[24:25], v[76:77]
	v_add_f64 v[104:105], v[22:23], v[74:75]
	;; [unrolled: 1-line block ×4, first 2 shown]
	v_cvt_f32_f64_e32 v104, v[104:105]
	v_cvt_f32_f64_e32 v102, v[102:103]
	;; [unrolled: 1-line block ×4, first 2 shown]
	v_min3_f32 v228, v104, v102, v173
	v_add_f64 v[102:103], v[20:21], v[76:77]
	v_add_f64 v[104:105], v[18:19], v[74:75]
	v_min3_f32 v185, v44, v42, v206
	ds_read_b128 v[42:45], v205 offset:272
	v_cvt_f32_f64_e32 v104, v[104:105]
	v_cvt_f32_f64_e32 v102, v[102:103]
	v_add_f64 v[100:101], v[12:13], v[100:101]
	v_add_f64 v[98:99], v[10:11], v[98:99]
	;; [unrolled: 1-line block ×12, first 2 shown]
	v_min3_f32 v229, v104, v102, v174
	v_add_f64 v[102:103], v[16:17], v[76:77]
	v_add_f64 v[104:105], v[14:15], v[74:75]
	;; [unrolled: 1-line block ×4, first 2 shown]
	s_waitcnt lgkmcnt(3)
	v_add_f64 v[16:17], v[16:17], v[28:29]
	v_add_f64 v[14:15], v[14:15], v[26:27]
	;; [unrolled: 1-line block ×4, first 2 shown]
	ds_read_b128 v[46:49], v205 offset:528
	ds_read_b128 v[54:57], v205 offset:784
	v_cvt_f32_f64_e32 v14, v[14:15]
	v_cvt_f32_f64_e32 v15, v[16:17]
	;; [unrolled: 1-line block ×4, first 2 shown]
	v_min3_f32 v14, v14, v15, v183
	v_min3_f32 v15, v10, v11, v184
	s_waitcnt lgkmcnt(3)
	v_add_f64 v[10:11], v[4:5], v[8:9]
	v_add_f64 v[12:13], v[2:3], v[6:7]
	v_cvt_f32_f64_e32 v74, v[74:75]
	v_cvt_f32_f64_e32 v75, v[76:77]
	;; [unrolled: 1-line block ×5, first 2 shown]
	v_min3_f32 v103, v74, v75, v176
	ds_read_b128 v[74:77], v156 offset:7184
	v_min3_f32 v226, v12, v10, v185
	s_waitcnt lgkmcnt(3)
	v_add_f64 v[10:11], v[44:45], v[8:9]
	v_add_f64 v[12:13], v[42:43], v[6:7]
	ds_read_b128 v[58:61], v205 offset:1040
	ds_read_b128 v[62:65], v205 offset:1296
	v_cvt_f32_f64_e32 v12, v[12:13]
	v_cvt_f32_f64_e32 v10, v[10:11]
	v_min3_f32 v224, v12, v10, v186
	s_waitcnt lgkmcnt(4)
	v_add_f64 v[10:11], v[48:49], v[8:9]
	v_add_f64 v[12:13], v[46:47], v[6:7]
	v_cvt_f32_f64_e32 v12, v[12:13]
	v_cvt_f32_f64_e32 v10, v[10:11]
	v_min3_f32 v225, v12, v10, v187
	s_waitcnt lgkmcnt(3)
	v_add_f64 v[10:11], v[56:57], v[8:9]
	v_add_f64 v[12:13], v[54:55], v[6:7]
	ds_read_b128 v[66:69], v205 offset:1552
	ds_read_b128 v[70:73], v205 offset:1808
	v_cvt_f32_f64_e32 v12, v[12:13]
	v_cvt_f32_f64_e32 v10, v[10:11]
	;; [unrolled: 1-line block ×4, first 2 shown]
	v_min3_f32 v222, v12, v10, v188
	s_waitcnt lgkmcnt(3)
	v_add_f64 v[10:11], v[60:61], v[8:9]
	v_add_f64 v[12:13], v[58:59], v[6:7]
	v_min3_f32 v106, v98, v99, v106
	ds_read_b128 v[98:101], v156 offset:1040
	v_cvt_f32_f64_e32 v12, v[12:13]
	v_cvt_f32_f64_e32 v10, v[10:11]
	v_min3_f32 v223, v12, v10, v189
	s_waitcnt lgkmcnt(3)
	v_add_f64 v[10:11], v[64:65], v[8:9]
	v_add_f64 v[12:13], v[62:63], v[6:7]
	v_cvt_f32_f64_e32 v12, v[12:13]
	v_cvt_f32_f64_e32 v10, v[10:11]
	v_min3_f32 v220, v12, v10, v190
	s_waitcnt lgkmcnt(2)
	v_add_f64 v[10:11], v[68:69], v[8:9]
	v_add_f64 v[12:13], v[66:67], v[6:7]
	s_waitcnt lgkmcnt(1)
	v_add_f64 v[8:9], v[72:73], v[8:9]
	v_add_f64 v[6:7], v[70:71], v[6:7]
	v_cvt_f32_f64_e32 v94, v[94:95]
	v_cvt_f32_f64_e32 v95, v[96:97]
	;; [unrolled: 1-line block ×4, first 2 shown]
	v_min3_f32 v114, v94, v95, v114
	ds_read_b128 v[94:97], v156 offset:2064
	v_min3_f32 v215, v6, v7, v106
	s_waitcnt lgkmcnt(1)
	v_add_f64 v[6:7], v[4:5], v[100:101]
	v_add_f64 v[8:9], v[2:3], v[98:99]
	v_cvt_f32_f64_e32 v8, v[8:9]
	v_cvt_f32_f64_e32 v6, v[6:7]
	v_min3_f32 v214, v8, v6, v107
	v_add_f64 v[6:7], v[44:45], v[100:101]
	v_add_f64 v[8:9], v[42:43], v[98:99]
	v_cvt_f32_f64_e32 v8, v[8:9]
	v_cvt_f32_f64_e32 v6, v[6:7]
	v_min3_f32 v213, v8, v6, v108
	v_add_f64 v[6:7], v[48:49], v[100:101]
	v_add_f64 v[8:9], v[46:47], v[98:99]
	v_cvt_f32_f64_e32 v8, v[8:9]
	v_cvt_f32_f64_e32 v6, v[6:7]
	v_min3_f32 v212, v8, v6, v109
	v_add_f64 v[6:7], v[56:57], v[100:101]
	v_add_f64 v[8:9], v[54:55], v[98:99]
	v_cvt_f32_f64_e32 v8, v[8:9]
	v_cvt_f32_f64_e32 v6, v[6:7]
	v_min3_f32 v211, v8, v6, v110
	v_add_f64 v[6:7], v[60:61], v[100:101]
	v_add_f64 v[8:9], v[58:59], v[98:99]
	v_cvt_f32_f64_e32 v8, v[8:9]
	v_cvt_f32_f64_e32 v6, v[6:7]
	v_min3_f32 v210, v8, v6, v111
	v_add_f64 v[6:7], v[64:65], v[100:101]
	v_add_f64 v[8:9], v[62:63], v[98:99]
	v_cvt_f32_f64_e32 v8, v[8:9]
	v_cvt_f32_f64_e32 v6, v[6:7]
	v_min3_f32 v209, v8, v6, v112
	v_add_f64 v[6:7], v[68:69], v[100:101]
	v_add_f64 v[8:9], v[66:67], v[98:99]
	v_cvt_f32_f64_e32 v8, v[8:9]
	v_cvt_f32_f64_e32 v6, v[6:7]
	v_min3_f32 v208, v8, v6, v113
	v_add_f64 v[6:7], v[72:73], v[100:101]
	v_add_f64 v[8:9], v[70:71], v[98:99]
	v_cvt_f32_f64_e32 v8, v[8:9]
	v_cvt_f32_f64_e32 v6, v[6:7]
	v_min3_f32 v207, v8, v6, v114
	s_waitcnt lgkmcnt(0)
	v_add_f64 v[6:7], v[4:5], v[96:97]
	v_add_f64 v[8:9], v[2:3], v[94:95]
	v_cvt_f32_f64_e32 v8, v[8:9]
	v_cvt_f32_f64_e32 v6, v[6:7]
	v_min3_f32 v206, v8, v6, v115
	v_add_f64 v[6:7], v[44:45], v[96:97]
	v_add_f64 v[8:9], v[42:43], v[94:95]
	v_cvt_f32_f64_e32 v8, v[8:9]
	v_cvt_f32_f64_e32 v6, v[6:7]
	v_min3_f32 v204, v8, v6, v116
	;; [unrolled: 5-line block ×4, first 2 shown]
	v_add_f64 v[6:7], v[60:61], v[96:97]
	v_add_f64 v[8:9], v[58:59], v[94:95]
	v_cvt_f32_f64_e32 v8, v[8:9]
	v_cvt_f32_f64_e32 v6, v[6:7]
	v_cvt_f32_f64_e32 v90, v[90:91]
	v_cvt_f32_f64_e32 v91, v[92:93]
	v_min3_f32 v201, v8, v6, v119
	v_add_f64 v[6:7], v[64:65], v[96:97]
	v_add_f64 v[8:9], v[62:63], v[94:95]
	v_min3_f32 v122, v90, v91, v122
	ds_read_b128 v[90:93], v156 offset:3088
	v_cvt_f32_f64_e32 v8, v[8:9]
	v_cvt_f32_f64_e32 v6, v[6:7]
	v_min3_f32 v200, v8, v6, v120
	v_add_f64 v[6:7], v[68:69], v[96:97]
	v_add_f64 v[8:9], v[66:67], v[94:95]
	v_cvt_f32_f64_e32 v8, v[8:9]
	v_cvt_f32_f64_e32 v6, v[6:7]
	v_min3_f32 v199, v8, v6, v121
	v_add_f64 v[6:7], v[72:73], v[96:97]
	v_add_f64 v[8:9], v[70:71], v[94:95]
	v_cvt_f32_f64_e32 v86, v[86:87]
	v_cvt_f32_f64_e32 v87, v[88:89]
	;; [unrolled: 1-line block ×4, first 2 shown]
	v_min3_f32 v130, v86, v87, v130
	ds_read_b128 v[86:89], v156 offset:4112
	v_min3_f32 v198, v8, v6, v122
	s_waitcnt lgkmcnt(1)
	v_add_f64 v[6:7], v[4:5], v[92:93]
	v_add_f64 v[8:9], v[2:3], v[90:91]
	v_cvt_f32_f64_e32 v8, v[8:9]
	v_cvt_f32_f64_e32 v6, v[6:7]
	v_min3_f32 v197, v8, v6, v123
	v_add_f64 v[6:7], v[44:45], v[92:93]
	v_add_f64 v[8:9], v[42:43], v[90:91]
	v_cvt_f32_f64_e32 v8, v[8:9]
	v_cvt_f32_f64_e32 v6, v[6:7]
	v_min3_f32 v196, v8, v6, v124
	;; [unrolled: 5-line block ×6, first 2 shown]
	v_add_f64 v[6:7], v[68:69], v[92:93]
	v_add_f64 v[8:9], v[66:67], v[90:91]
	v_cvt_f32_f64_e32 v12, v[12:13]
	v_cvt_f32_f64_e32 v10, v[10:11]
	;; [unrolled: 1-line block ×4, first 2 shown]
	v_min3_f32 v221, v12, v10, v191
	v_min3_f32 v191, v8, v6, v129
	v_add_f64 v[6:7], v[72:73], v[92:93]
	v_add_f64 v[8:9], v[70:71], v[90:91]
	v_cvt_f32_f64_e32 v8, v[8:9]
	v_cvt_f32_f64_e32 v6, v[6:7]
	v_min3_f32 v190, v8, v6, v130
	s_waitcnt lgkmcnt(0)
	v_add_f64 v[6:7], v[4:5], v[88:89]
	v_add_f64 v[8:9], v[2:3], v[86:87]
	v_cvt_f32_f64_e32 v8, v[8:9]
	v_cvt_f32_f64_e32 v6, v[6:7]
	v_min3_f32 v189, v8, v6, v131
	v_add_f64 v[6:7], v[44:45], v[88:89]
	v_add_f64 v[8:9], v[42:43], v[86:87]
	v_cvt_f32_f64_e32 v8, v[8:9]
	v_cvt_f32_f64_e32 v6, v[6:7]
	v_min3_f32 v188, v8, v6, v132
	;; [unrolled: 5-line block ×4, first 2 shown]
	v_add_f64 v[6:7], v[60:61], v[88:89]
	v_add_f64 v[8:9], v[58:59], v[86:87]
	v_cvt_f32_f64_e32 v8, v[8:9]
	v_cvt_f32_f64_e32 v6, v[6:7]
	v_cvt_f32_f64_e32 v82, v[82:83]
	v_cvt_f32_f64_e32 v83, v[84:85]
	v_min3_f32 v185, v8, v6, v135
	v_add_f64 v[6:7], v[64:65], v[88:89]
	v_add_f64 v[8:9], v[62:63], v[86:87]
	v_min3_f32 v160, v82, v83, v160
	ds_read_b128 v[82:85], v156 offset:5136
	v_cvt_f32_f64_e32 v8, v[8:9]
	v_cvt_f32_f64_e32 v6, v[6:7]
	v_min3_f32 v184, v8, v6, v158
	v_add_f64 v[6:7], v[68:69], v[88:89]
	v_add_f64 v[8:9], v[66:67], v[86:87]
	v_cvt_f32_f64_e32 v8, v[8:9]
	v_cvt_f32_f64_e32 v6, v[6:7]
	v_add_f64 v[20:21], v[20:21], v[28:29]
	v_add_f64 v[18:19], v[18:19], v[26:27]
	v_min3_f32 v183, v8, v6, v159
	v_add_f64 v[6:7], v[72:73], v[88:89]
	v_add_f64 v[8:9], v[70:71], v[86:87]
	v_cvt_f32_f64_e32 v78, v[78:79]
	v_cvt_f32_f64_e32 v79, v[80:81]
	;; [unrolled: 1-line block ×6, first 2 shown]
	v_min3_f32 v168, v78, v79, v168
	ds_read_b128 v[78:81], v156 offset:6160
	v_add_f64 v[24:25], v[24:25], v[28:29]
	v_add_f64 v[22:23], v[22:23], v[26:27]
	v_min3_f32 v18, v18, v19, v182
	v_min3_f32 v182, v8, v6, v160
	s_waitcnt lgkmcnt(1)
	v_add_f64 v[6:7], v[4:5], v[84:85]
	v_add_f64 v[8:9], v[2:3], v[82:83]
	v_cvt_f32_f64_e32 v22, v[22:23]
	v_cvt_f32_f64_e32 v23, v[24:25]
	v_cvt_f32_f64_e32 v8, v[8:9]
	v_cvt_f32_f64_e32 v6, v[6:7]
	v_add_f64 v[32:33], v[32:33], v[28:29]
	v_add_f64 v[30:31], v[30:31], v[26:27]
	v_min3_f32 v22, v22, v23, v181
	v_min3_f32 v181, v8, v6, v161
	v_add_f64 v[6:7], v[44:45], v[84:85]
	v_add_f64 v[8:9], v[42:43], v[82:83]
	v_cvt_f32_f64_e32 v30, v[30:31]
	v_cvt_f32_f64_e32 v31, v[32:33]
	v_cvt_f32_f64_e32 v8, v[8:9]
	v_cvt_f32_f64_e32 v6, v[6:7]
	v_add_f64 v[36:37], v[36:37], v[28:29]
	v_add_f64 v[34:35], v[34:35], v[26:27]
	v_min3_f32 v30, v30, v31, v180
	v_min3_f32 v180, v8, v6, v162
	;; [unrolled: 10-line block ×4, first 2 shown]
	v_add_f64 v[6:7], v[60:61], v[84:85]
	v_add_f64 v[8:9], v[58:59], v[82:83]
	v_cvt_f32_f64_e32 v50, v[50:51]
	v_cvt_f32_f64_e32 v51, v[52:53]
	;; [unrolled: 1-line block ×4, first 2 shown]
	v_min3_f32 v50, v50, v51, v177
	v_min3_f32 v177, v8, v6, v165
	v_add_f64 v[6:7], v[64:65], v[84:85]
	v_add_f64 v[8:9], v[62:63], v[82:83]
	v_cvt_f32_f64_e32 v8, v[8:9]
	v_cvt_f32_f64_e32 v6, v[6:7]
	v_min3_f32 v176, v8, v6, v166
	v_add_f64 v[6:7], v[68:69], v[84:85]
	v_add_f64 v[8:9], v[66:67], v[82:83]
	v_cvt_f32_f64_e32 v104, v[104:105]
	v_cvt_f32_f64_e32 v8, v[8:9]
	;; [unrolled: 1-line block ×3, first 2 shown]
	v_min3_f32 v102, v104, v102, v175
	v_min3_f32 v175, v8, v6, v167
	v_add_f64 v[6:7], v[72:73], v[84:85]
	v_add_f64 v[8:9], v[70:71], v[82:83]
	v_cvt_f32_f64_e32 v8, v[8:9]
	v_cvt_f32_f64_e32 v6, v[6:7]
	v_min3_f32 v174, v8, v6, v168
	s_waitcnt lgkmcnt(0)
	v_add_f64 v[6:7], v[4:5], v[80:81]
	v_add_f64 v[8:9], v[2:3], v[78:79]
	;; [unrolled: 1-line block ×4, first 2 shown]
	v_cvt_f32_f64_e32 v8, v[8:9]
	v_cvt_f32_f64_e32 v6, v[6:7]
	v_cvt_f32_f64_e32 v2, v[2:3]
	v_cvt_f32_f64_e32 v3, v[4:5]
	v_min3_f32 v173, v8, v6, v169
	v_add_f64 v[6:7], v[44:45], v[80:81]
	v_add_f64 v[8:9], v[42:43], v[78:79]
	v_min3_f32 v165, v2, v3, v50
	v_add_f64 v[2:3], v[44:45], v[76:77]
	v_add_f64 v[4:5], v[42:43], v[74:75]
	v_cvt_f32_f64_e32 v8, v[8:9]
	v_cvt_f32_f64_e32 v6, v[6:7]
	v_cvt_f32_f64_e32 v4, v[4:5]
	v_cvt_f32_f64_e32 v2, v[2:3]
	v_min3_f32 v172, v8, v6, v170
	v_add_f64 v[6:7], v[48:49], v[80:81]
	v_add_f64 v[8:9], v[46:47], v[78:79]
	v_min3_f32 v164, v4, v2, v38
	v_add_f64 v[2:3], v[48:49], v[76:77]
	v_add_f64 v[4:5], v[46:47], v[74:75]
	;; [unrolled: 10-line block ×7, first 2 shown]
	v_cvt_f32_f64_e32 v8, v[8:9]
	v_cvt_f32_f64_e32 v6, v[6:7]
	;; [unrolled: 1-line block ×4, first 2 shown]
	s_add_i32 s22, s22, 8
	v_min3_f32 v166, v8, v6, v103
	v_min3_f32 v158, v4, v2, v15
	v_lshl_add_u64 v[136:137], v[136:137], 0, 64
	v_lshl_add_u64 v[140:141], v[140:141], 0, s[20:21]
	s_cmp_ge_i32 s22, s24
	v_lshl_add_u64 v[142:143], v[142:143], 0, s[20:21]
	ds_write_b64 v216, v[144:145]
	ds_write2st64_b64 v217, v[0:1], v[146:147] offset1:4
	ds_write2st64_b64 v217, v[148:149], v[150:151] offset0:8 offset1:12
	s_waitcnt lgkmcnt(0)
	s_barrier
	s_cbranch_scc1 .LBB176_47
.LBB176_27:                             ; =>This Inner Loop Header: Depth=1
	s_and_b64 vcc, exec, s[6:7]
	s_cbranch_vccnz .LBB176_46
; %bb.28:                               ;   in Loop: Header=BB176_27 Depth=1
	global_load_dwordx2 v[0:1], v[136:137], off
	s_waitcnt vmcnt(0)
	v_mul_f64 v[146:147], s[16:17], v[0:1]
	s_mov_b64 s[12:13], -1
	s_mov_b64 vcc, s[4:5]
                                        ; implicit-def: $vgpr0_vgpr1_vgpr2_vgpr3_vgpr4_vgpr5_vgpr6_vgpr7
	s_cbranch_vccz .LBB176_30
.LBB176_29:                             ;   in Loop: Header=BB176_27 Depth=1
	v_mov_b32_e32 v0, s2
	v_mov_b32_e32 v1, s2
	s_mov_b64 s[12:13], 0
.LBB176_30:                             ;   in Loop: Header=BB176_27 Depth=1
	v_mov_b64_e32 v[2:3], 0
	s_andn2_b64 vcc, exec, s[12:13]
	v_lshl_add_u64 v[8:9], v[140:141], 0, v[138:139]
	s_cbranch_vccz .LBB176_40
; %bb.31:                               ;   in Loop: Header=BB176_27 Depth=1
	s_mov_b64 s[12:13], -1
	s_mov_b64 vcc, s[4:5]
                                        ; implicit-def: $vgpr4_vgpr5
	s_cbranch_vccnz .LBB176_41
.LBB176_32:                             ;   in Loop: Header=BB176_27 Depth=1
	v_mov_b64_e32 v[144:145], 0
	s_andn2_b64 vcc, exec, s[12:13]
	v_mov_b64_e32 v[6:7], 0
	s_cbranch_vccnz .LBB176_34
.LBB176_33:                             ;   in Loop: Header=BB176_27 Depth=1
	global_load_dwordx2 v[4:5], v[8:9], off offset:1024
	global_load_dwordx2 v[6:7], v[8:9], off offset:1536
	s_waitcnt vmcnt(1)
	v_mul_f64 v[4:5], s[16:17], v[4:5]
	s_waitcnt vmcnt(0)
	v_mul_f64 v[6:7], s[16:17], v[6:7]
.LBB176_34:                             ;   in Loop: Header=BB176_27 Depth=1
	ds_read_b128 v[132:135], v219
	ds_read_b128 v[68:71], v219 offset:16
	ds_read_b128 v[104:107], v218
	ds_read_b128 v[40:43], v218 offset:16
	ds_read_b128 v[100:103], v218 offset:256
	;; [unrolled: 1-line block ×29, first 2 shown]
	s_and_b64 vcc, exec, s[6:7]
	ds_write_b64 v155, v[146:147]
	ds_write2st64_b64 v154, v[0:1], v[2:3] offset1:4
	ds_write2st64_b64 v154, v[4:5], v[6:7] offset0:8 offset1:12
	s_waitcnt lgkmcnt(0)
	s_barrier
	s_cbranch_vccnz .LBB176_36
; %bb.35:                               ;   in Loop: Header=BB176_27 Depth=1
	global_load_dwordx2 v[0:1], v[136:137], off offset:32
	s_waitcnt vmcnt(0)
	v_mul_f64 v[144:145], s[16:17], v[0:1]
.LBB176_36:                             ;   in Loop: Header=BB176_27 Depth=1
	s_mov_b64 s[12:13], -1
	s_mov_b64 vcc, s[4:5]
                                        ; implicit-def: $vgpr0_vgpr1_vgpr2_vgpr3_vgpr4_vgpr5_vgpr6_vgpr7
	s_cbranch_vccnz .LBB176_42
; %bb.37:                               ;   in Loop: Header=BB176_27 Depth=1
	v_mov_b64_e32 v[146:147], 0
	s_andn2_b64 vcc, exec, s[12:13]
	v_lshl_add_u64 v[2:3], v[142:143], 0, v[138:139]
	s_cbranch_vccz .LBB176_43
.LBB176_38:                             ;   in Loop: Header=BB176_27 Depth=1
	s_mov_b64 s[12:13], -1
	s_mov_b64 vcc, s[4:5]
                                        ; implicit-def: $vgpr148_vgpr149
	s_cbranch_vccnz .LBB176_44
.LBB176_39:                             ;   in Loop: Header=BB176_27 Depth=1
	s_andn2_b64 vcc, exec, s[12:13]
	v_mov_b64_e32 v[150:151], 0
	s_cbranch_vccnz .LBB176_26
	s_branch .LBB176_45
.LBB176_40:                             ;   in Loop: Header=BB176_27 Depth=1
	global_load_dwordx2 v[0:1], v[8:9], off
	global_load_dwordx2 v[2:3], v[8:9], off offset:512
	s_waitcnt vmcnt(1)
	v_mul_f64 v[0:1], s[16:17], v[0:1]
	s_waitcnt vmcnt(0)
	v_mul_f64 v[2:3], s[16:17], v[2:3]
	s_mov_b64 s[12:13], -1
	s_mov_b64 vcc, s[4:5]
                                        ; implicit-def: $vgpr4_vgpr5
	s_cbranch_vccz .LBB176_32
.LBB176_41:                             ;   in Loop: Header=BB176_27 Depth=1
	v_mov_b32_e32 v4, s2
	v_mov_b32_e32 v5, s2
	v_mov_b64_e32 v[144:145], 0
	v_mov_b64_e32 v[6:7], 0
	s_cbranch_execz .LBB176_33
	s_branch .LBB176_34
.LBB176_42:                             ;   in Loop: Header=BB176_27 Depth=1
	v_mov_b32_e32 v0, s2
	v_mov_b32_e32 v1, s2
	v_mov_b64_e32 v[146:147], 0
	v_lshl_add_u64 v[2:3], v[142:143], 0, v[138:139]
	s_cbranch_execnz .LBB176_38
.LBB176_43:                             ;   in Loop: Header=BB176_27 Depth=1
	global_load_dwordx2 v[0:1], v[2:3], off
	global_load_dwordx2 v[4:5], v[2:3], off offset:512
	s_waitcnt vmcnt(1)
	v_mul_f64 v[0:1], s[16:17], v[0:1]
	s_waitcnt vmcnt(0)
	v_mul_f64 v[146:147], s[16:17], v[4:5]
	s_mov_b64 s[12:13], -1
	s_mov_b64 vcc, s[4:5]
                                        ; implicit-def: $vgpr148_vgpr149
	s_cbranch_vccz .LBB176_39
.LBB176_44:                             ;   in Loop: Header=BB176_27 Depth=1
	v_mov_b32_e32 v148, s2
	v_mov_b32_e32 v149, s2
	v_mov_b64_e32 v[150:151], 0
	s_cbranch_execnz .LBB176_26
.LBB176_45:                             ;   in Loop: Header=BB176_27 Depth=1
	global_load_dwordx2 v[4:5], v[2:3], off offset:1024
	s_nop 0
	global_load_dwordx2 v[2:3], v[2:3], off offset:1536
	s_waitcnt vmcnt(1)
	v_mul_f64 v[148:149], s[16:17], v[4:5]
	s_waitcnt vmcnt(0)
	v_mul_f64 v[150:151], s[16:17], v[2:3]
	s_branch .LBB176_26
.LBB176_46:                             ;   in Loop: Header=BB176_27 Depth=1
	v_mov_b64_e32 v[146:147], 0
	s_mov_b64 s[12:13], -1
	s_mov_b64 vcc, s[4:5]
                                        ; implicit-def: $vgpr0_vgpr1_vgpr2_vgpr3_vgpr4_vgpr5_vgpr6_vgpr7
	s_cbranch_vccnz .LBB176_29
	s_branch .LBB176_30
.LBB176_47:
	s_load_dwordx2 s[6:7], s[0:1], 0x78
	s_load_dword s4, s[0:1], 0x58
	s_load_dword s5, s[0:1], 0x70
	ds_read_b128 v[68:71], v157 offset:18432
	ds_read_b128 v[124:127], v156 offset:8192
	;; [unrolled: 1-line block ×4, first 2 shown]
	s_waitcnt lgkmcnt(0)
	s_mul_i32 s1, s7, s3
	s_mul_hi_u32 s2, s6, s3
	s_mul_i32 s0, s6, s3
	v_add_f64 v[0:1], v[70:71], v[126:127]
	v_add_f64 v[2:3], v[68:69], v[124:125]
	s_add_i32 s1, s2, s1
	v_cvt_f32_f64_e32 v2, v[2:3]
	v_cvt_f32_f64_e32 v0, v[0:1]
	s_lshl_b64 s[0:1], s[0:1], 3
	v_min3_f32 v4, v2, v0, v226
	v_add_f64 v[0:1], v[66:67], v[122:123]
	v_add_f64 v[2:3], v[64:65], v[120:121]
	s_add_u32 s0, s14, s0
	v_cvt_f32_f64_e32 v2, v[2:3]
	v_cvt_f32_f64_e32 v0, v[0:1]
	v_add_u32_e32 v205, s27, v153
	s_addc_u32 s1, s15, s1
	v_min3_f32 v2, v2, v0, v4
	v_add_u32_e32 v134, s26, v152
	v_mad_i64_i32 v[0:1], s[2:3], v205, s5, 0
	v_add_u32_e32 v128, 8, v134
	v_lshl_add_u64 v[152:153], v[0:1], 3, s[0:1]
	v_mad_i64_i32 v[0:1], s[2:3], v205, s4, 0
	v_ashrrev_i32_e32 v135, 31, v134
	v_ashrrev_i32_e32 v129, 31, v128
	s_mov_b64 s[2:3], -1
	v_max_f32_e32 v2, v2, v2
	s_mov_b64 vcc, s[8:9]
	s_cbranch_vccz .LBB176_49
; %bb.48:
	v_min_f32_e32 v3, 0, v2
	v_cvt_f64_f32_e32 v[4:5], v3
	v_lshl_add_u64 v[6:7], v[134:135], 3, v[152:153]
	global_store_dwordx2 v[6:7], v[4:5], off
	s_mov_b64 s[2:3], 0
.LBB176_49:
	ds_read_b128 v[60:63], v157 offset:18688
	ds_read_b128 v[52:55], v157 offset:18704
	;; [unrolled: 1-line block ×4, first 2 shown]
	v_lshl_add_u64 v[154:155], v[0:1], 3, s[18:19]
	v_mov_b32_e32 v132, 0
	s_andn2_b64 vcc, exec, s[2:3]
	v_lshlrev_b64 v[138:139], 3, v[134:135]
	s_cbranch_vccnz .LBB176_51
; %bb.50:
	v_lshl_add_u64 v[0:1], v[154:155], 0, v[138:139]
	global_load_dwordx2 v[0:1], v[0:1], off
	v_lshl_add_u64 v[4:5], v[152:153], 0, v[138:139]
	s_waitcnt vmcnt(0)
	v_mul_f64 v[0:1], s[10:11], v[0:1]
	v_cvt_f32_f64_e32 v0, v[0:1]
	v_min_f32_e32 v0, v0, v2
	v_cvt_f64_f32_e32 v[0:1], v0
	global_store_dwordx2 v[4:5], v[0:1], off
	v_lshl_add_u64 v[0:1], v[128:129], 3, v[154:155]
	global_load_dwordx2 v[0:1], v[0:1], off
	s_waitcnt vmcnt(0)
	v_mul_f64 v[0:1], s[10:11], v[0:1]
	v_cvt_f32_f64_e32 v132, v[0:1]
.LBB176_51:
	ds_read_b128 v[40:43], v157 offset:19200
	ds_read_b128 v[36:39], v157 offset:19216
	;; [unrolled: 1-line block ×24, first 2 shown]
	s_waitcnt lgkmcnt(14)
	v_add_f64 v[130:131], v[62:63], v[126:127]
	v_add_f64 v[136:137], v[60:61], v[124:125]
	v_cvt_f32_f64_e32 v133, v[136:137]
	v_cvt_f32_f64_e32 v130, v[130:131]
	v_min3_f32 v133, v133, v130, v224
	v_add_f64 v[130:131], v[58:59], v[126:127]
	v_add_f64 v[136:137], v[56:57], v[124:125]
	v_cvt_f32_f64_e32 v136, v[136:137]
	v_cvt_f32_f64_e32 v130, v[130:131]
	v_min3_f32 v140, v136, v130, v225
	v_add_f64 v[130:131], v[54:55], v[122:123]
	v_add_f64 v[136:137], v[52:53], v[120:121]
	v_cvt_f32_f64_e32 v136, v[136:137]
	v_cvt_f32_f64_e32 v130, v[130:131]
	v_min_f32_e32 v142, v136, v130
	v_add_f64 v[130:131], v[50:51], v[122:123]
	v_add_f64 v[136:137], v[48:49], v[120:121]
	v_cvt_f32_f64_e32 v136, v[136:137]
	v_cvt_f32_f64_e32 v130, v[130:131]
	v_min3_f32 v132, v132, v142, v133
	v_min3_f32 v143, v136, v130, v140
	v_add_u32_e32 v140, 16, v134
	v_add_u32_e32 v130, 24, v134
	v_cvt_f64_f32_e32 v[132:133], v132
	v_lshl_add_u64 v[136:137], v[128:129], 3, v[152:153]
	v_ashrrev_i32_e32 v141, 31, v140
	v_ashrrev_i32_e32 v131, 31, v130
	global_store_dwordx2 v[136:137], v[132:133], off
	s_mov_b64 s[2:3], -1
	v_max_f32_e32 v132, v143, v143
	s_mov_b64 vcc, s[8:9]
	s_cbranch_vccz .LBB176_53
; %bb.52:
	v_min_f32_e32 v133, 0, v132
	v_cvt_f64_f32_e32 v[136:137], v133
	v_lshl_add_u64 v[142:143], v[140:141], 3, v[152:153]
	global_store_dwordx2 v[142:143], v[136:137], off
	s_mov_b64 s[2:3], 0
.LBB176_53:
	v_mov_b32_e32 v136, 0
	s_andn2_b64 vcc, exec, s[2:3]
	v_lshlrev_b64 v[144:145], 3, v[140:141]
	s_cbranch_vccnz .LBB176_55
; %bb.54:
	v_lshl_add_u64 v[136:137], v[154:155], 0, v[144:145]
	global_load_dwordx2 v[136:137], v[136:137], off
	v_lshl_add_u64 v[142:143], v[152:153], 0, v[144:145]
	s_waitcnt vmcnt(0)
	v_mul_f64 v[136:137], s[10:11], v[136:137]
	v_cvt_f32_f64_e32 v133, v[136:137]
	v_min_f32_e32 v132, v133, v132
	v_cvt_f64_f32_e32 v[132:133], v132
	global_store_dwordx2 v[142:143], v[132:133], off
	v_lshl_add_u64 v[132:133], v[130:131], 3, v[154:155]
	global_load_dwordx2 v[132:133], v[132:133], off
	s_waitcnt vmcnt(0)
	v_mul_f64 v[132:133], s[10:11], v[132:133]
	v_cvt_f32_f64_e32 v136, v[132:133]
.LBB176_55:
	v_add_f64 v[132:133], v[42:43], v[126:127]
	v_add_f64 v[142:143], v[40:41], v[124:125]
	v_cvt_f32_f64_e32 v137, v[142:143]
	v_cvt_f32_f64_e32 v132, v[132:133]
	v_min3_f32 v137, v137, v132, v222
	v_add_f64 v[132:133], v[46:47], v[126:127]
	v_add_f64 v[142:143], v[44:45], v[124:125]
	v_cvt_f32_f64_e32 v142, v[142:143]
	v_cvt_f32_f64_e32 v132, v[132:133]
	v_min3_f32 v146, v142, v132, v223
	v_add_f64 v[132:133], v[38:39], v[122:123]
	v_add_f64 v[142:143], v[36:37], v[120:121]
	v_cvt_f32_f64_e32 v142, v[142:143]
	v_cvt_f32_f64_e32 v132, v[132:133]
	v_min_f32_e32 v147, v142, v132
	v_add_f64 v[132:133], v[34:35], v[122:123]
	v_add_f64 v[142:143], v[32:33], v[120:121]
	v_cvt_f32_f64_e32 v142, v[142:143]
	v_cvt_f32_f64_e32 v132, v[132:133]
	v_min3_f32 v136, v136, v147, v137
	v_min3_f32 v148, v142, v132, v146
	v_add_u32_e32 v142, 32, v134
	v_add_u32_e32 v132, 40, v134
	v_cvt_f64_f32_e32 v[136:137], v136
	v_lshl_add_u64 v[146:147], v[130:131], 3, v[152:153]
	v_ashrrev_i32_e32 v143, 31, v142
	v_ashrrev_i32_e32 v133, 31, v132
	global_store_dwordx2 v[146:147], v[136:137], off
	s_mov_b64 s[2:3], -1
	v_max_f32_e32 v136, v148, v148
	s_mov_b64 vcc, s[8:9]
	s_cbranch_vccz .LBB176_57
; %bb.56:
	v_min_f32_e32 v137, 0, v136
	v_cvt_f64_f32_e32 v[146:147], v137
	v_lshl_add_u64 v[148:149], v[142:143], 3, v[152:153]
	global_store_dwordx2 v[148:149], v[146:147], off
	s_mov_b64 s[2:3], 0
.LBB176_57:
	v_mov_b32_e32 v150, 0
	s_andn2_b64 vcc, exec, s[2:3]
	v_lshlrev_b64 v[148:149], 3, v[142:143]
	s_cbranch_vccnz .LBB176_59
; %bb.58:
	v_lshl_add_u64 v[146:147], v[154:155], 0, v[148:149]
	global_load_dwordx2 v[146:147], v[146:147], off
	v_lshl_add_u64 v[150:151], v[152:153], 0, v[148:149]
	s_waitcnt vmcnt(0)
	v_mul_f64 v[146:147], s[10:11], v[146:147]
	v_cvt_f32_f64_e32 v137, v[146:147]
	v_min_f32_e32 v136, v137, v136
	v_cvt_f64_f32_e32 v[136:137], v136
	global_store_dwordx2 v[150:151], v[136:137], off
	v_lshl_add_u64 v[136:137], v[132:133], 3, v[154:155]
	global_load_dwordx2 v[136:137], v[136:137], off
	s_waitcnt vmcnt(0)
	v_mul_f64 v[136:137], s[10:11], v[136:137]
	v_cvt_f32_f64_e32 v150, v[136:137]
.LBB176_59:
	v_add_f64 v[136:137], v[30:31], v[126:127]
	v_add_f64 v[146:147], v[28:29], v[124:125]
	v_cvt_f32_f64_e32 v146, v[146:147]
	v_cvt_f32_f64_e32 v136, v[136:137]
	v_min3_f32 v151, v146, v136, v220
	v_add_f64 v[136:137], v[26:27], v[126:127]
	v_add_f64 v[146:147], v[24:25], v[124:125]
	v_cvt_f32_f64_e32 v146, v[146:147]
	v_cvt_f32_f64_e32 v136, v[136:137]
	v_min3_f32 v156, v146, v136, v221
	v_add_f64 v[136:137], v[22:23], v[122:123]
	v_add_f64 v[146:147], v[20:21], v[120:121]
	v_cvt_f32_f64_e32 v146, v[146:147]
	v_cvt_f32_f64_e32 v136, v[136:137]
	v_min_f32_e32 v157, v146, v136
	v_add_f64 v[136:137], v[18:19], v[122:123]
	v_add_f64 v[146:147], v[16:17], v[120:121]
	v_cvt_f32_f64_e32 v146, v[146:147]
	v_cvt_f32_f64_e32 v136, v[136:137]
	v_min3_f32 v150, v150, v157, v151
	v_min3_f32 v216, v146, v136, v156
	v_add_u32_e32 v146, 48, v134
	v_add_u32_e32 v136, 56, v134
	v_cvt_f64_f32_e32 v[150:151], v150
	v_lshl_add_u64 v[156:157], v[132:133], 3, v[152:153]
	v_ashrrev_i32_e32 v147, 31, v146
	v_ashrrev_i32_e32 v137, 31, v136
	global_store_dwordx2 v[156:157], v[150:151], off
	s_mov_b64 s[2:3], -1
	v_max_f32_e32 v157, v216, v216
	s_mov_b64 vcc, s[8:9]
	s_cbranch_vccz .LBB176_61
; %bb.60:
	v_min_f32_e32 v150, 0, v157
	v_cvt_f64_f32_e32 v[150:151], v150
	v_lshl_add_u64 v[216:217], v[146:147], 3, v[152:153]
	global_store_dwordx2 v[216:217], v[150:151], off
	s_mov_b64 s[2:3], 0
.LBB176_61:
	v_mov_b32_e32 v156, 0
	s_andn2_b64 vcc, exec, s[2:3]
	v_lshlrev_b64 v[150:151], 3, v[146:147]
	s_cbranch_vccnz .LBB176_63
; %bb.62:
	v_lshl_add_u64 v[216:217], v[154:155], 0, v[150:151]
	global_load_dwordx2 v[216:217], v[216:217], off
	v_lshl_add_u64 v[218:219], v[152:153], 0, v[150:151]
	v_lshl_add_u64 v[154:155], v[136:137], 3, v[154:155]
	s_waitcnt vmcnt(0)
	v_mul_f64 v[216:217], s[10:11], v[216:217]
	v_cvt_f32_f64_e32 v156, v[216:217]
	v_min_f32_e32 v156, v156, v157
	v_cvt_f64_f32_e32 v[156:157], v156
	global_store_dwordx2 v[218:219], v[156:157], off
	global_load_dwordx2 v[154:155], v[154:155], off
	s_waitcnt vmcnt(0)
	v_mul_f64 v[154:155], s[10:11], v[154:155]
	v_cvt_f32_f64_e32 v156, v[154:155]
.LBB176_63:
	v_add_f64 v[126:127], v[2:3], v[126:127]
	v_add_f64 v[124:125], v[0:1], v[124:125]
	v_cvt_f32_f64_e32 v124, v[124:125]
	v_cvt_f32_f64_e32 v125, v[126:127]
	v_add_f64 v[122:123], v[10:11], v[122:123]
	v_add_f64 v[120:121], v[8:9], v[120:121]
	v_min3_f32 v154, v124, v125, v215
	s_waitcnt lgkmcnt(13)
	v_add_f64 v[124:125], v[70:71], v[118:119]
	v_add_f64 v[126:127], v[68:69], v[116:117]
	v_cvt_f32_f64_e32 v120, v[120:121]
	v_cvt_f32_f64_e32 v121, v[122:123]
	;; [unrolled: 1-line block ×4, first 2 shown]
	v_min_f32_e32 v125, v120, v121
	s_waitcnt lgkmcnt(12)
	v_add_f64 v[120:121], v[66:67], v[114:115]
	v_add_f64 v[122:123], v[64:65], v[112:113]
	v_min3_f32 v124, v126, v124, v214
	v_cvt_f32_f64_e32 v122, v[122:123]
	v_cvt_f32_f64_e32 v120, v[120:121]
	v_min3_f32 v124, v122, v120, v124
	v_min3_f32 v120, v156, v125, v154
	v_cvt_f64_f32_e32 v[120:121], v120
	v_lshl_add_u64 v[122:123], v[136:137], 3, v[152:153]
	global_store_dwordx2 v[122:123], v[120:121], off
	v_add_u32_e32 v122, 32, v205
	v_mad_i64_i32 v[120:121], s[2:3], v122, s5, 0
	v_mad_i64_i32 v[122:123], s[2:3], v122, s4, 0
	v_lshl_add_u64 v[120:121], v[120:121], 3, s[0:1]
	s_mov_b64 s[2:3], -1
	v_max_f32_e32 v125, v124, v124
	s_mov_b64 vcc, s[8:9]
	s_cbranch_vccz .LBB176_65
; %bb.64:
	v_min_f32_e32 v124, 0, v125
	v_cvt_f64_f32_e32 v[126:127], v124
	v_lshl_add_u64 v[152:153], v[134:135], 3, v[120:121]
	global_store_dwordx2 v[152:153], v[126:127], off
	s_mov_b64 s[2:3], 0
.LBB176_65:
	v_lshl_add_u64 v[122:123], v[122:123], 3, s[18:19]
	s_andn2_b64 vcc, exec, s[2:3]
	v_mov_b32_e32 v124, 0
	s_cbranch_vccnz .LBB176_67
; %bb.66:
	v_lshl_add_u64 v[126:127], v[122:123], 0, v[138:139]
	global_load_dwordx2 v[126:127], v[126:127], off
	v_lshl_add_u64 v[152:153], v[120:121], 0, v[138:139]
	s_waitcnt vmcnt(0)
	v_mul_f64 v[126:127], s[10:11], v[126:127]
	v_cvt_f32_f64_e32 v124, v[126:127]
	v_min_f32_e32 v124, v124, v125
	v_cvt_f64_f32_e32 v[124:125], v124
	global_store_dwordx2 v[152:153], v[124:125], off
	v_lshl_add_u64 v[124:125], v[128:129], 3, v[122:123]
	global_load_dwordx2 v[124:125], v[124:125], off
	s_waitcnt vmcnt(0)
	v_mul_f64 v[124:125], s[10:11], v[124:125]
	v_cvt_f32_f64_e32 v124, v[124:125]
.LBB176_67:
	v_add_f64 v[126:127], v[62:63], v[118:119]
	v_add_f64 v[152:153], v[60:61], v[116:117]
	v_cvt_f32_f64_e32 v125, v[152:153]
	v_cvt_f32_f64_e32 v126, v[126:127]
	v_min3_f32 v125, v125, v126, v213
	v_add_f64 v[126:127], v[58:59], v[118:119]
	v_add_f64 v[152:153], v[56:57], v[116:117]
	v_cvt_f32_f64_e32 v152, v[152:153]
	v_cvt_f32_f64_e32 v126, v[126:127]
	v_min3_f32 v154, v152, v126, v212
	v_add_f64 v[126:127], v[54:55], v[114:115]
	v_add_f64 v[152:153], v[52:53], v[112:113]
	v_cvt_f32_f64_e32 v152, v[152:153]
	v_cvt_f32_f64_e32 v126, v[126:127]
	v_min_f32_e32 v155, v152, v126
	v_add_f64 v[126:127], v[50:51], v[114:115]
	v_add_f64 v[152:153], v[48:49], v[112:113]
	v_cvt_f32_f64_e32 v152, v[152:153]
	v_cvt_f32_f64_e32 v126, v[126:127]
	v_min3_f32 v124, v124, v155, v125
	v_min3_f32 v152, v152, v126, v154
	v_cvt_f64_f32_e32 v[124:125], v124
	v_lshl_add_u64 v[126:127], v[128:129], 3, v[120:121]
	global_store_dwordx2 v[126:127], v[124:125], off
	s_mov_b64 s[2:3], -1
	v_max_f32_e32 v125, v152, v152
	s_mov_b64 vcc, s[8:9]
	s_cbranch_vccz .LBB176_69
; %bb.68:
	v_min_f32_e32 v124, 0, v125
	v_cvt_f64_f32_e32 v[126:127], v124
	v_lshl_add_u64 v[152:153], v[140:141], 3, v[120:121]
	global_store_dwordx2 v[152:153], v[126:127], off
	s_mov_b64 s[2:3], 0
.LBB176_69:
	s_andn2_b64 vcc, exec, s[2:3]
	v_mov_b32_e32 v124, 0
	s_cbranch_vccnz .LBB176_71
; %bb.70:
	v_lshl_add_u64 v[126:127], v[122:123], 0, v[144:145]
	global_load_dwordx2 v[126:127], v[126:127], off
	v_lshl_add_u64 v[152:153], v[120:121], 0, v[144:145]
	s_waitcnt vmcnt(0)
	v_mul_f64 v[126:127], s[10:11], v[126:127]
	v_cvt_f32_f64_e32 v124, v[126:127]
	v_min_f32_e32 v124, v124, v125
	v_cvt_f64_f32_e32 v[124:125], v124
	global_store_dwordx2 v[152:153], v[124:125], off
	v_lshl_add_u64 v[124:125], v[130:131], 3, v[122:123]
	global_load_dwordx2 v[124:125], v[124:125], off
	s_waitcnt vmcnt(0)
	v_mul_f64 v[124:125], s[10:11], v[124:125]
	v_cvt_f32_f64_e32 v124, v[124:125]
.LBB176_71:
	v_add_f64 v[126:127], v[42:43], v[118:119]
	v_add_f64 v[152:153], v[40:41], v[116:117]
	v_cvt_f32_f64_e32 v125, v[152:153]
	v_cvt_f32_f64_e32 v126, v[126:127]
	v_min3_f32 v125, v125, v126, v211
	v_add_f64 v[126:127], v[46:47], v[118:119]
	v_add_f64 v[152:153], v[44:45], v[116:117]
	v_cvt_f32_f64_e32 v152, v[152:153]
	v_cvt_f32_f64_e32 v126, v[126:127]
	v_min3_f32 v154, v152, v126, v210
	v_add_f64 v[126:127], v[38:39], v[114:115]
	v_add_f64 v[152:153], v[36:37], v[112:113]
	v_cvt_f32_f64_e32 v152, v[152:153]
	v_cvt_f32_f64_e32 v126, v[126:127]
	v_min_f32_e32 v155, v152, v126
	v_add_f64 v[126:127], v[34:35], v[114:115]
	v_add_f64 v[152:153], v[32:33], v[112:113]
	v_cvt_f32_f64_e32 v152, v[152:153]
	v_cvt_f32_f64_e32 v126, v[126:127]
	v_min3_f32 v124, v124, v155, v125
	v_min3_f32 v152, v152, v126, v154
	v_cvt_f64_f32_e32 v[124:125], v124
	v_lshl_add_u64 v[126:127], v[130:131], 3, v[120:121]
	global_store_dwordx2 v[126:127], v[124:125], off
	s_mov_b64 s[2:3], -1
	v_max_f32_e32 v125, v152, v152
	s_mov_b64 vcc, s[8:9]
	s_cbranch_vccz .LBB176_73
; %bb.72:
	v_min_f32_e32 v124, 0, v125
	v_cvt_f64_f32_e32 v[126:127], v124
	v_lshl_add_u64 v[152:153], v[142:143], 3, v[120:121]
	global_store_dwordx2 v[152:153], v[126:127], off
	s_mov_b64 s[2:3], 0
.LBB176_73:
	;; [unrolled: 54-line block ×3, first 2 shown]
	s_andn2_b64 vcc, exec, s[2:3]
	v_mov_b32_e32 v124, 0
	s_cbranch_vccnz .LBB176_79
; %bb.78:
	v_lshl_add_u64 v[126:127], v[122:123], 0, v[150:151]
	global_load_dwordx2 v[126:127], v[126:127], off
	v_lshl_add_u64 v[152:153], v[120:121], 0, v[150:151]
	v_lshl_add_u64 v[122:123], v[136:137], 3, v[122:123]
	s_waitcnt vmcnt(0)
	v_mul_f64 v[126:127], s[10:11], v[126:127]
	v_cvt_f32_f64_e32 v124, v[126:127]
	v_min_f32_e32 v124, v124, v125
	v_cvt_f64_f32_e32 v[124:125], v124
	global_store_dwordx2 v[152:153], v[124:125], off
	global_load_dwordx2 v[122:123], v[122:123], off
	s_waitcnt vmcnt(0)
	v_mul_f64 v[122:123], s[10:11], v[122:123]
	v_cvt_f32_f64_e32 v124, v[122:123]
.LBB176_79:
	v_add_f64 v[118:119], v[2:3], v[118:119]
	v_add_f64 v[116:117], v[0:1], v[116:117]
	v_cvt_f32_f64_e32 v116, v[116:117]
	v_cvt_f32_f64_e32 v117, v[118:119]
	v_add_f64 v[114:115], v[10:11], v[114:115]
	v_add_f64 v[112:113], v[8:9], v[112:113]
	v_min3_f32 v122, v116, v117, v207
	s_waitcnt lgkmcnt(11)
	v_add_f64 v[116:117], v[70:71], v[110:111]
	v_add_f64 v[118:119], v[68:69], v[108:109]
	v_cvt_f32_f64_e32 v112, v[112:113]
	v_cvt_f32_f64_e32 v113, v[114:115]
	;; [unrolled: 1-line block ×4, first 2 shown]
	v_min_f32_e32 v117, v112, v113
	s_waitcnt lgkmcnt(10)
	v_add_f64 v[112:113], v[66:67], v[106:107]
	v_add_f64 v[114:115], v[64:65], v[104:105]
	v_min3_f32 v116, v118, v116, v206
	v_cvt_f32_f64_e32 v114, v[114:115]
	v_cvt_f32_f64_e32 v112, v[112:113]
	v_min3_f32 v116, v114, v112, v116
	v_min3_f32 v112, v124, v117, v122
	v_cvt_f64_f32_e32 v[112:113], v112
	v_lshl_add_u64 v[114:115], v[136:137], 3, v[120:121]
	global_store_dwordx2 v[114:115], v[112:113], off
	v_add_u32_e32 v114, 64, v205
	v_mad_i64_i32 v[112:113], s[2:3], v114, s5, 0
	v_mad_i64_i32 v[114:115], s[2:3], v114, s4, 0
	v_lshl_add_u64 v[112:113], v[112:113], 3, s[0:1]
	s_mov_b64 s[2:3], -1
	v_max_f32_e32 v117, v116, v116
	s_mov_b64 vcc, s[8:9]
	s_cbranch_vccz .LBB176_81
; %bb.80:
	v_min_f32_e32 v116, 0, v117
	v_cvt_f64_f32_e32 v[118:119], v116
	v_lshl_add_u64 v[120:121], v[134:135], 3, v[112:113]
	global_store_dwordx2 v[120:121], v[118:119], off
	s_mov_b64 s[2:3], 0
.LBB176_81:
	v_lshl_add_u64 v[114:115], v[114:115], 3, s[18:19]
	s_andn2_b64 vcc, exec, s[2:3]
	v_mov_b32_e32 v116, 0
	s_cbranch_vccnz .LBB176_83
; %bb.82:
	v_lshl_add_u64 v[118:119], v[114:115], 0, v[138:139]
	global_load_dwordx2 v[118:119], v[118:119], off
	v_lshl_add_u64 v[120:121], v[112:113], 0, v[138:139]
	s_waitcnt vmcnt(0)
	v_mul_f64 v[118:119], s[10:11], v[118:119]
	v_cvt_f32_f64_e32 v116, v[118:119]
	v_min_f32_e32 v116, v116, v117
	v_cvt_f64_f32_e32 v[116:117], v116
	global_store_dwordx2 v[120:121], v[116:117], off
	v_lshl_add_u64 v[116:117], v[128:129], 3, v[114:115]
	global_load_dwordx2 v[116:117], v[116:117], off
	s_waitcnt vmcnt(0)
	v_mul_f64 v[116:117], s[10:11], v[116:117]
	v_cvt_f32_f64_e32 v116, v[116:117]
.LBB176_83:
	v_add_f64 v[118:119], v[62:63], v[110:111]
	v_add_f64 v[120:121], v[60:61], v[108:109]
	v_cvt_f32_f64_e32 v117, v[120:121]
	v_cvt_f32_f64_e32 v118, v[118:119]
	v_min3_f32 v117, v117, v118, v204
	v_add_f64 v[118:119], v[58:59], v[110:111]
	v_add_f64 v[120:121], v[56:57], v[108:109]
	v_cvt_f32_f64_e32 v120, v[120:121]
	v_cvt_f32_f64_e32 v118, v[118:119]
	v_min3_f32 v122, v120, v118, v203
	v_add_f64 v[118:119], v[54:55], v[106:107]
	v_add_f64 v[120:121], v[52:53], v[104:105]
	v_cvt_f32_f64_e32 v120, v[120:121]
	v_cvt_f32_f64_e32 v118, v[118:119]
	v_min_f32_e32 v123, v120, v118
	v_add_f64 v[118:119], v[50:51], v[106:107]
	v_add_f64 v[120:121], v[48:49], v[104:105]
	v_cvt_f32_f64_e32 v120, v[120:121]
	v_cvt_f32_f64_e32 v118, v[118:119]
	v_min3_f32 v116, v116, v123, v117
	v_min3_f32 v120, v120, v118, v122
	v_cvt_f64_f32_e32 v[116:117], v116
	v_lshl_add_u64 v[118:119], v[128:129], 3, v[112:113]
	global_store_dwordx2 v[118:119], v[116:117], off
	s_mov_b64 s[2:3], -1
	v_max_f32_e32 v117, v120, v120
	s_mov_b64 vcc, s[8:9]
	s_cbranch_vccz .LBB176_85
; %bb.84:
	v_min_f32_e32 v116, 0, v117
	v_cvt_f64_f32_e32 v[118:119], v116
	v_lshl_add_u64 v[120:121], v[140:141], 3, v[112:113]
	global_store_dwordx2 v[120:121], v[118:119], off
	s_mov_b64 s[2:3], 0
.LBB176_85:
	s_andn2_b64 vcc, exec, s[2:3]
	v_mov_b32_e32 v116, 0
	s_cbranch_vccnz .LBB176_87
; %bb.86:
	v_lshl_add_u64 v[118:119], v[114:115], 0, v[144:145]
	global_load_dwordx2 v[118:119], v[118:119], off
	v_lshl_add_u64 v[120:121], v[112:113], 0, v[144:145]
	s_waitcnt vmcnt(0)
	v_mul_f64 v[118:119], s[10:11], v[118:119]
	v_cvt_f32_f64_e32 v116, v[118:119]
	v_min_f32_e32 v116, v116, v117
	v_cvt_f64_f32_e32 v[116:117], v116
	global_store_dwordx2 v[120:121], v[116:117], off
	v_lshl_add_u64 v[116:117], v[130:131], 3, v[114:115]
	global_load_dwordx2 v[116:117], v[116:117], off
	s_waitcnt vmcnt(0)
	v_mul_f64 v[116:117], s[10:11], v[116:117]
	v_cvt_f32_f64_e32 v116, v[116:117]
.LBB176_87:
	v_add_f64 v[118:119], v[42:43], v[110:111]
	v_add_f64 v[120:121], v[40:41], v[108:109]
	v_cvt_f32_f64_e32 v117, v[120:121]
	v_cvt_f32_f64_e32 v118, v[118:119]
	v_min3_f32 v117, v117, v118, v202
	v_add_f64 v[118:119], v[46:47], v[110:111]
	v_add_f64 v[120:121], v[44:45], v[108:109]
	v_cvt_f32_f64_e32 v120, v[120:121]
	v_cvt_f32_f64_e32 v118, v[118:119]
	v_min3_f32 v122, v120, v118, v201
	v_add_f64 v[118:119], v[38:39], v[106:107]
	v_add_f64 v[120:121], v[36:37], v[104:105]
	v_cvt_f32_f64_e32 v120, v[120:121]
	v_cvt_f32_f64_e32 v118, v[118:119]
	v_min_f32_e32 v123, v120, v118
	v_add_f64 v[118:119], v[34:35], v[106:107]
	v_add_f64 v[120:121], v[32:33], v[104:105]
	v_cvt_f32_f64_e32 v120, v[120:121]
	v_cvt_f32_f64_e32 v118, v[118:119]
	v_min3_f32 v116, v116, v123, v117
	v_min3_f32 v120, v120, v118, v122
	v_cvt_f64_f32_e32 v[116:117], v116
	v_lshl_add_u64 v[118:119], v[130:131], 3, v[112:113]
	global_store_dwordx2 v[118:119], v[116:117], off
	s_mov_b64 s[2:3], -1
	v_max_f32_e32 v117, v120, v120
	s_mov_b64 vcc, s[8:9]
	s_cbranch_vccz .LBB176_89
; %bb.88:
	v_min_f32_e32 v116, 0, v117
	v_cvt_f64_f32_e32 v[118:119], v116
	v_lshl_add_u64 v[120:121], v[142:143], 3, v[112:113]
	global_store_dwordx2 v[120:121], v[118:119], off
	s_mov_b64 s[2:3], 0
.LBB176_89:
	;; [unrolled: 54-line block ×3, first 2 shown]
	s_andn2_b64 vcc, exec, s[2:3]
	v_mov_b32_e32 v116, 0
	s_cbranch_vccnz .LBB176_95
; %bb.94:
	v_lshl_add_u64 v[118:119], v[114:115], 0, v[150:151]
	global_load_dwordx2 v[118:119], v[118:119], off
	v_lshl_add_u64 v[120:121], v[112:113], 0, v[150:151]
	v_lshl_add_u64 v[114:115], v[136:137], 3, v[114:115]
	s_waitcnt vmcnt(0)
	v_mul_f64 v[118:119], s[10:11], v[118:119]
	v_cvt_f32_f64_e32 v116, v[118:119]
	v_min_f32_e32 v116, v116, v117
	v_cvt_f64_f32_e32 v[116:117], v116
	global_store_dwordx2 v[120:121], v[116:117], off
	global_load_dwordx2 v[114:115], v[114:115], off
	s_waitcnt vmcnt(0)
	v_mul_f64 v[114:115], s[10:11], v[114:115]
	v_cvt_f32_f64_e32 v116, v[114:115]
.LBB176_95:
	v_add_f64 v[110:111], v[2:3], v[110:111]
	v_add_f64 v[108:109], v[0:1], v[108:109]
	v_cvt_f32_f64_e32 v108, v[108:109]
	v_cvt_f32_f64_e32 v109, v[110:111]
	v_add_f64 v[106:107], v[10:11], v[106:107]
	v_add_f64 v[104:105], v[8:9], v[104:105]
	v_min3_f32 v114, v108, v109, v198
	s_waitcnt lgkmcnt(9)
	v_add_f64 v[108:109], v[70:71], v[102:103]
	v_add_f64 v[110:111], v[68:69], v[100:101]
	v_cvt_f32_f64_e32 v104, v[104:105]
	v_cvt_f32_f64_e32 v105, v[106:107]
	;; [unrolled: 1-line block ×4, first 2 shown]
	v_min_f32_e32 v109, v104, v105
	s_waitcnt lgkmcnt(8)
	v_add_f64 v[104:105], v[66:67], v[98:99]
	v_add_f64 v[106:107], v[64:65], v[96:97]
	v_min3_f32 v108, v110, v108, v197
	v_cvt_f32_f64_e32 v106, v[106:107]
	v_cvt_f32_f64_e32 v104, v[104:105]
	v_min3_f32 v108, v106, v104, v108
	v_min3_f32 v104, v116, v109, v114
	v_cvt_f64_f32_e32 v[104:105], v104
	v_lshl_add_u64 v[106:107], v[136:137], 3, v[112:113]
	global_store_dwordx2 v[106:107], v[104:105], off
	v_add_u32_e32 v106, 0x60, v205
	v_mad_i64_i32 v[104:105], s[2:3], v106, s5, 0
	v_mad_i64_i32 v[106:107], s[2:3], v106, s4, 0
	v_lshl_add_u64 v[104:105], v[104:105], 3, s[0:1]
	s_mov_b64 s[2:3], -1
	v_max_f32_e32 v109, v108, v108
	s_mov_b64 vcc, s[8:9]
	s_cbranch_vccz .LBB176_97
; %bb.96:
	v_min_f32_e32 v108, 0, v109
	v_cvt_f64_f32_e32 v[110:111], v108
	v_lshl_add_u64 v[112:113], v[134:135], 3, v[104:105]
	global_store_dwordx2 v[112:113], v[110:111], off
	s_mov_b64 s[2:3], 0
.LBB176_97:
	v_lshl_add_u64 v[106:107], v[106:107], 3, s[18:19]
	s_andn2_b64 vcc, exec, s[2:3]
	v_mov_b32_e32 v108, 0
	s_cbranch_vccnz .LBB176_99
; %bb.98:
	v_lshl_add_u64 v[110:111], v[106:107], 0, v[138:139]
	global_load_dwordx2 v[110:111], v[110:111], off
	v_lshl_add_u64 v[112:113], v[104:105], 0, v[138:139]
	s_waitcnt vmcnt(0)
	v_mul_f64 v[110:111], s[10:11], v[110:111]
	v_cvt_f32_f64_e32 v108, v[110:111]
	v_min_f32_e32 v108, v108, v109
	v_cvt_f64_f32_e32 v[108:109], v108
	global_store_dwordx2 v[112:113], v[108:109], off
	v_lshl_add_u64 v[108:109], v[128:129], 3, v[106:107]
	global_load_dwordx2 v[108:109], v[108:109], off
	s_waitcnt vmcnt(0)
	v_mul_f64 v[108:109], s[10:11], v[108:109]
	v_cvt_f32_f64_e32 v108, v[108:109]
.LBB176_99:
	v_add_f64 v[110:111], v[62:63], v[102:103]
	v_add_f64 v[112:113], v[60:61], v[100:101]
	v_cvt_f32_f64_e32 v109, v[112:113]
	v_cvt_f32_f64_e32 v110, v[110:111]
	v_min3_f32 v109, v109, v110, v196
	v_add_f64 v[110:111], v[58:59], v[102:103]
	v_add_f64 v[112:113], v[56:57], v[100:101]
	v_cvt_f32_f64_e32 v112, v[112:113]
	v_cvt_f32_f64_e32 v110, v[110:111]
	v_min3_f32 v114, v112, v110, v195
	v_add_f64 v[110:111], v[54:55], v[98:99]
	v_add_f64 v[112:113], v[52:53], v[96:97]
	v_cvt_f32_f64_e32 v112, v[112:113]
	v_cvt_f32_f64_e32 v110, v[110:111]
	v_min_f32_e32 v115, v112, v110
	v_add_f64 v[110:111], v[50:51], v[98:99]
	v_add_f64 v[112:113], v[48:49], v[96:97]
	v_cvt_f32_f64_e32 v112, v[112:113]
	v_cvt_f32_f64_e32 v110, v[110:111]
	v_min3_f32 v108, v108, v115, v109
	v_min3_f32 v112, v112, v110, v114
	v_cvt_f64_f32_e32 v[108:109], v108
	v_lshl_add_u64 v[110:111], v[128:129], 3, v[104:105]
	global_store_dwordx2 v[110:111], v[108:109], off
	s_mov_b64 s[2:3], -1
	v_max_f32_e32 v109, v112, v112
	s_mov_b64 vcc, s[8:9]
	s_cbranch_vccz .LBB176_101
; %bb.100:
	v_min_f32_e32 v108, 0, v109
	v_cvt_f64_f32_e32 v[110:111], v108
	v_lshl_add_u64 v[112:113], v[140:141], 3, v[104:105]
	global_store_dwordx2 v[112:113], v[110:111], off
	s_mov_b64 s[2:3], 0
.LBB176_101:
	s_andn2_b64 vcc, exec, s[2:3]
	v_mov_b32_e32 v108, 0
	s_cbranch_vccnz .LBB176_103
; %bb.102:
	v_lshl_add_u64 v[110:111], v[106:107], 0, v[144:145]
	global_load_dwordx2 v[110:111], v[110:111], off
	v_lshl_add_u64 v[112:113], v[104:105], 0, v[144:145]
	s_waitcnt vmcnt(0)
	v_mul_f64 v[110:111], s[10:11], v[110:111]
	v_cvt_f32_f64_e32 v108, v[110:111]
	v_min_f32_e32 v108, v108, v109
	v_cvt_f64_f32_e32 v[108:109], v108
	global_store_dwordx2 v[112:113], v[108:109], off
	v_lshl_add_u64 v[108:109], v[130:131], 3, v[106:107]
	global_load_dwordx2 v[108:109], v[108:109], off
	s_waitcnt vmcnt(0)
	v_mul_f64 v[108:109], s[10:11], v[108:109]
	v_cvt_f32_f64_e32 v108, v[108:109]
.LBB176_103:
	v_add_f64 v[110:111], v[42:43], v[102:103]
	v_add_f64 v[112:113], v[40:41], v[100:101]
	v_cvt_f32_f64_e32 v109, v[112:113]
	v_cvt_f32_f64_e32 v110, v[110:111]
	v_min3_f32 v109, v109, v110, v194
	v_add_f64 v[110:111], v[46:47], v[102:103]
	v_add_f64 v[112:113], v[44:45], v[100:101]
	v_cvt_f32_f64_e32 v112, v[112:113]
	v_cvt_f32_f64_e32 v110, v[110:111]
	v_min3_f32 v114, v112, v110, v193
	v_add_f64 v[110:111], v[38:39], v[98:99]
	v_add_f64 v[112:113], v[36:37], v[96:97]
	v_cvt_f32_f64_e32 v112, v[112:113]
	v_cvt_f32_f64_e32 v110, v[110:111]
	v_min_f32_e32 v115, v112, v110
	v_add_f64 v[110:111], v[34:35], v[98:99]
	v_add_f64 v[112:113], v[32:33], v[96:97]
	v_cvt_f32_f64_e32 v112, v[112:113]
	v_cvt_f32_f64_e32 v110, v[110:111]
	v_min3_f32 v108, v108, v115, v109
	v_min3_f32 v112, v112, v110, v114
	v_cvt_f64_f32_e32 v[108:109], v108
	v_lshl_add_u64 v[110:111], v[130:131], 3, v[104:105]
	global_store_dwordx2 v[110:111], v[108:109], off
	s_mov_b64 s[2:3], -1
	v_max_f32_e32 v109, v112, v112
	s_mov_b64 vcc, s[8:9]
	s_cbranch_vccz .LBB176_105
; %bb.104:
	v_min_f32_e32 v108, 0, v109
	v_cvt_f64_f32_e32 v[110:111], v108
	v_lshl_add_u64 v[112:113], v[142:143], 3, v[104:105]
	global_store_dwordx2 v[112:113], v[110:111], off
	s_mov_b64 s[2:3], 0
.LBB176_105:
	;; [unrolled: 54-line block ×3, first 2 shown]
	s_andn2_b64 vcc, exec, s[2:3]
	v_mov_b32_e32 v108, 0
	s_cbranch_vccnz .LBB176_111
; %bb.110:
	v_lshl_add_u64 v[110:111], v[106:107], 0, v[150:151]
	global_load_dwordx2 v[110:111], v[110:111], off
	v_lshl_add_u64 v[112:113], v[104:105], 0, v[150:151]
	v_lshl_add_u64 v[106:107], v[136:137], 3, v[106:107]
	s_waitcnt vmcnt(0)
	v_mul_f64 v[110:111], s[10:11], v[110:111]
	v_cvt_f32_f64_e32 v108, v[110:111]
	v_min_f32_e32 v108, v108, v109
	v_cvt_f64_f32_e32 v[108:109], v108
	global_store_dwordx2 v[112:113], v[108:109], off
	global_load_dwordx2 v[106:107], v[106:107], off
	s_waitcnt vmcnt(0)
	v_mul_f64 v[106:107], s[10:11], v[106:107]
	v_cvt_f32_f64_e32 v108, v[106:107]
.LBB176_111:
	v_add_f64 v[102:103], v[2:3], v[102:103]
	v_add_f64 v[100:101], v[0:1], v[100:101]
	v_cvt_f32_f64_e32 v100, v[100:101]
	v_cvt_f32_f64_e32 v101, v[102:103]
	v_add_f64 v[98:99], v[10:11], v[98:99]
	v_add_f64 v[96:97], v[8:9], v[96:97]
	v_min3_f32 v106, v100, v101, v190
	s_waitcnt lgkmcnt(7)
	v_add_f64 v[100:101], v[70:71], v[94:95]
	v_add_f64 v[102:103], v[68:69], v[92:93]
	v_cvt_f32_f64_e32 v96, v[96:97]
	v_cvt_f32_f64_e32 v97, v[98:99]
	;; [unrolled: 1-line block ×4, first 2 shown]
	v_min_f32_e32 v101, v96, v97
	s_waitcnt lgkmcnt(6)
	v_add_f64 v[96:97], v[66:67], v[90:91]
	v_add_f64 v[98:99], v[64:65], v[88:89]
	v_min3_f32 v100, v102, v100, v189
	v_cvt_f32_f64_e32 v98, v[98:99]
	v_cvt_f32_f64_e32 v96, v[96:97]
	v_min3_f32 v100, v98, v96, v100
	v_min3_f32 v96, v108, v101, v106
	v_cvt_f64_f32_e32 v[96:97], v96
	v_lshl_add_u64 v[98:99], v[136:137], 3, v[104:105]
	global_store_dwordx2 v[98:99], v[96:97], off
	v_add_u32_e32 v98, 0x80, v205
	v_mad_i64_i32 v[96:97], s[2:3], v98, s5, 0
	v_mad_i64_i32 v[98:99], s[2:3], v98, s4, 0
	v_lshl_add_u64 v[96:97], v[96:97], 3, s[0:1]
	s_mov_b64 s[2:3], -1
	v_max_f32_e32 v101, v100, v100
	s_mov_b64 vcc, s[8:9]
	s_cbranch_vccz .LBB176_113
; %bb.112:
	v_min_f32_e32 v100, 0, v101
	v_cvt_f64_f32_e32 v[102:103], v100
	v_lshl_add_u64 v[104:105], v[134:135], 3, v[96:97]
	global_store_dwordx2 v[104:105], v[102:103], off
	s_mov_b64 s[2:3], 0
.LBB176_113:
	v_lshl_add_u64 v[98:99], v[98:99], 3, s[18:19]
	s_andn2_b64 vcc, exec, s[2:3]
	v_mov_b32_e32 v100, 0
	s_cbranch_vccnz .LBB176_115
; %bb.114:
	v_lshl_add_u64 v[102:103], v[98:99], 0, v[138:139]
	global_load_dwordx2 v[102:103], v[102:103], off
	v_lshl_add_u64 v[104:105], v[96:97], 0, v[138:139]
	s_waitcnt vmcnt(0)
	v_mul_f64 v[102:103], s[10:11], v[102:103]
	v_cvt_f32_f64_e32 v100, v[102:103]
	v_min_f32_e32 v100, v100, v101
	v_cvt_f64_f32_e32 v[100:101], v100
	global_store_dwordx2 v[104:105], v[100:101], off
	v_lshl_add_u64 v[100:101], v[128:129], 3, v[98:99]
	global_load_dwordx2 v[100:101], v[100:101], off
	s_waitcnt vmcnt(0)
	v_mul_f64 v[100:101], s[10:11], v[100:101]
	v_cvt_f32_f64_e32 v100, v[100:101]
.LBB176_115:
	v_add_f64 v[102:103], v[62:63], v[94:95]
	v_add_f64 v[104:105], v[60:61], v[92:93]
	v_cvt_f32_f64_e32 v101, v[104:105]
	v_cvt_f32_f64_e32 v102, v[102:103]
	v_min3_f32 v101, v101, v102, v188
	v_add_f64 v[102:103], v[58:59], v[94:95]
	v_add_f64 v[104:105], v[56:57], v[92:93]
	v_cvt_f32_f64_e32 v104, v[104:105]
	v_cvt_f32_f64_e32 v102, v[102:103]
	v_min3_f32 v106, v104, v102, v187
	v_add_f64 v[102:103], v[54:55], v[90:91]
	v_add_f64 v[104:105], v[52:53], v[88:89]
	v_cvt_f32_f64_e32 v104, v[104:105]
	v_cvt_f32_f64_e32 v102, v[102:103]
	v_min_f32_e32 v107, v104, v102
	v_add_f64 v[102:103], v[50:51], v[90:91]
	v_add_f64 v[104:105], v[48:49], v[88:89]
	v_cvt_f32_f64_e32 v104, v[104:105]
	v_cvt_f32_f64_e32 v102, v[102:103]
	v_min3_f32 v100, v100, v107, v101
	v_min3_f32 v104, v104, v102, v106
	v_cvt_f64_f32_e32 v[100:101], v100
	v_lshl_add_u64 v[102:103], v[128:129], 3, v[96:97]
	global_store_dwordx2 v[102:103], v[100:101], off
	s_mov_b64 s[2:3], -1
	v_max_f32_e32 v101, v104, v104
	s_mov_b64 vcc, s[8:9]
	s_cbranch_vccz .LBB176_117
; %bb.116:
	v_min_f32_e32 v100, 0, v101
	v_cvt_f64_f32_e32 v[102:103], v100
	v_lshl_add_u64 v[104:105], v[140:141], 3, v[96:97]
	global_store_dwordx2 v[104:105], v[102:103], off
	s_mov_b64 s[2:3], 0
.LBB176_117:
	s_andn2_b64 vcc, exec, s[2:3]
	v_mov_b32_e32 v100, 0
	s_cbranch_vccnz .LBB176_119
; %bb.118:
	v_lshl_add_u64 v[102:103], v[98:99], 0, v[144:145]
	global_load_dwordx2 v[102:103], v[102:103], off
	v_lshl_add_u64 v[104:105], v[96:97], 0, v[144:145]
	s_waitcnt vmcnt(0)
	v_mul_f64 v[102:103], s[10:11], v[102:103]
	v_cvt_f32_f64_e32 v100, v[102:103]
	v_min_f32_e32 v100, v100, v101
	v_cvt_f64_f32_e32 v[100:101], v100
	global_store_dwordx2 v[104:105], v[100:101], off
	v_lshl_add_u64 v[100:101], v[130:131], 3, v[98:99]
	global_load_dwordx2 v[100:101], v[100:101], off
	s_waitcnt vmcnt(0)
	v_mul_f64 v[100:101], s[10:11], v[100:101]
	v_cvt_f32_f64_e32 v100, v[100:101]
.LBB176_119:
	v_add_f64 v[102:103], v[42:43], v[94:95]
	v_add_f64 v[104:105], v[40:41], v[92:93]
	v_cvt_f32_f64_e32 v101, v[104:105]
	v_cvt_f32_f64_e32 v102, v[102:103]
	v_min3_f32 v101, v101, v102, v186
	v_add_f64 v[102:103], v[46:47], v[94:95]
	v_add_f64 v[104:105], v[44:45], v[92:93]
	v_cvt_f32_f64_e32 v104, v[104:105]
	v_cvt_f32_f64_e32 v102, v[102:103]
	v_min3_f32 v106, v104, v102, v185
	v_add_f64 v[102:103], v[38:39], v[90:91]
	v_add_f64 v[104:105], v[36:37], v[88:89]
	v_cvt_f32_f64_e32 v104, v[104:105]
	v_cvt_f32_f64_e32 v102, v[102:103]
	v_min_f32_e32 v107, v104, v102
	v_add_f64 v[102:103], v[34:35], v[90:91]
	v_add_f64 v[104:105], v[32:33], v[88:89]
	v_cvt_f32_f64_e32 v104, v[104:105]
	v_cvt_f32_f64_e32 v102, v[102:103]
	v_min3_f32 v100, v100, v107, v101
	v_min3_f32 v104, v104, v102, v106
	v_cvt_f64_f32_e32 v[100:101], v100
	v_lshl_add_u64 v[102:103], v[130:131], 3, v[96:97]
	global_store_dwordx2 v[102:103], v[100:101], off
	s_mov_b64 s[2:3], -1
	v_max_f32_e32 v101, v104, v104
	s_mov_b64 vcc, s[8:9]
	s_cbranch_vccz .LBB176_121
; %bb.120:
	v_min_f32_e32 v100, 0, v101
	v_cvt_f64_f32_e32 v[102:103], v100
	v_lshl_add_u64 v[104:105], v[142:143], 3, v[96:97]
	global_store_dwordx2 v[104:105], v[102:103], off
	s_mov_b64 s[2:3], 0
.LBB176_121:
	;; [unrolled: 54-line block ×3, first 2 shown]
	s_andn2_b64 vcc, exec, s[2:3]
	v_mov_b32_e32 v100, 0
	s_cbranch_vccnz .LBB176_127
; %bb.126:
	v_lshl_add_u64 v[102:103], v[98:99], 0, v[150:151]
	global_load_dwordx2 v[102:103], v[102:103], off
	v_lshl_add_u64 v[104:105], v[96:97], 0, v[150:151]
	v_lshl_add_u64 v[98:99], v[136:137], 3, v[98:99]
	s_waitcnt vmcnt(0)
	v_mul_f64 v[102:103], s[10:11], v[102:103]
	v_cvt_f32_f64_e32 v100, v[102:103]
	v_min_f32_e32 v100, v100, v101
	v_cvt_f64_f32_e32 v[100:101], v100
	global_store_dwordx2 v[104:105], v[100:101], off
	global_load_dwordx2 v[98:99], v[98:99], off
	s_waitcnt vmcnt(0)
	v_mul_f64 v[98:99], s[10:11], v[98:99]
	v_cvt_f32_f64_e32 v100, v[98:99]
.LBB176_127:
	v_add_f64 v[94:95], v[2:3], v[94:95]
	v_add_f64 v[92:93], v[0:1], v[92:93]
	v_cvt_f32_f64_e32 v92, v[92:93]
	v_cvt_f32_f64_e32 v93, v[94:95]
	v_add_f64 v[90:91], v[10:11], v[90:91]
	v_add_f64 v[88:89], v[8:9], v[88:89]
	v_min3_f32 v98, v92, v93, v182
	s_waitcnt lgkmcnt(5)
	v_add_f64 v[92:93], v[70:71], v[86:87]
	v_add_f64 v[94:95], v[68:69], v[84:85]
	v_cvt_f32_f64_e32 v88, v[88:89]
	v_cvt_f32_f64_e32 v89, v[90:91]
	;; [unrolled: 1-line block ×4, first 2 shown]
	v_min_f32_e32 v93, v88, v89
	s_waitcnt lgkmcnt(4)
	v_add_f64 v[88:89], v[66:67], v[82:83]
	v_add_f64 v[90:91], v[64:65], v[80:81]
	v_min3_f32 v92, v94, v92, v181
	v_cvt_f32_f64_e32 v90, v[90:91]
	v_cvt_f32_f64_e32 v88, v[88:89]
	v_min3_f32 v92, v90, v88, v92
	v_min3_f32 v88, v100, v93, v98
	v_cvt_f64_f32_e32 v[88:89], v88
	v_lshl_add_u64 v[90:91], v[136:137], 3, v[96:97]
	global_store_dwordx2 v[90:91], v[88:89], off
	v_add_u32_e32 v90, 0xa0, v205
	v_mad_i64_i32 v[88:89], s[2:3], v90, s5, 0
	v_mad_i64_i32 v[90:91], s[2:3], v90, s4, 0
	v_lshl_add_u64 v[88:89], v[88:89], 3, s[0:1]
	s_mov_b64 s[2:3], -1
	v_max_f32_e32 v93, v92, v92
	s_mov_b64 vcc, s[8:9]
	s_cbranch_vccz .LBB176_129
; %bb.128:
	v_min_f32_e32 v92, 0, v93
	v_cvt_f64_f32_e32 v[94:95], v92
	v_lshl_add_u64 v[96:97], v[134:135], 3, v[88:89]
	global_store_dwordx2 v[96:97], v[94:95], off
	s_mov_b64 s[2:3], 0
.LBB176_129:
	v_lshl_add_u64 v[90:91], v[90:91], 3, s[18:19]
	s_andn2_b64 vcc, exec, s[2:3]
	v_mov_b32_e32 v92, 0
	s_cbranch_vccnz .LBB176_131
; %bb.130:
	v_lshl_add_u64 v[94:95], v[90:91], 0, v[138:139]
	global_load_dwordx2 v[94:95], v[94:95], off
	v_lshl_add_u64 v[96:97], v[88:89], 0, v[138:139]
	s_waitcnt vmcnt(0)
	v_mul_f64 v[94:95], s[10:11], v[94:95]
	v_cvt_f32_f64_e32 v92, v[94:95]
	v_min_f32_e32 v92, v92, v93
	v_cvt_f64_f32_e32 v[92:93], v92
	global_store_dwordx2 v[96:97], v[92:93], off
	v_lshl_add_u64 v[92:93], v[128:129], 3, v[90:91]
	global_load_dwordx2 v[92:93], v[92:93], off
	s_waitcnt vmcnt(0)
	v_mul_f64 v[92:93], s[10:11], v[92:93]
	v_cvt_f32_f64_e32 v92, v[92:93]
.LBB176_131:
	v_add_f64 v[94:95], v[62:63], v[86:87]
	v_add_f64 v[96:97], v[60:61], v[84:85]
	v_cvt_f32_f64_e32 v93, v[96:97]
	v_cvt_f32_f64_e32 v94, v[94:95]
	v_min3_f32 v93, v93, v94, v180
	v_add_f64 v[94:95], v[58:59], v[86:87]
	v_add_f64 v[96:97], v[56:57], v[84:85]
	v_cvt_f32_f64_e32 v96, v[96:97]
	v_cvt_f32_f64_e32 v94, v[94:95]
	v_min3_f32 v98, v96, v94, v179
	v_add_f64 v[94:95], v[54:55], v[82:83]
	v_add_f64 v[96:97], v[52:53], v[80:81]
	v_cvt_f32_f64_e32 v96, v[96:97]
	v_cvt_f32_f64_e32 v94, v[94:95]
	v_min_f32_e32 v99, v96, v94
	v_add_f64 v[94:95], v[50:51], v[82:83]
	v_add_f64 v[96:97], v[48:49], v[80:81]
	v_cvt_f32_f64_e32 v96, v[96:97]
	v_cvt_f32_f64_e32 v94, v[94:95]
	v_min3_f32 v92, v92, v99, v93
	v_min3_f32 v96, v96, v94, v98
	v_cvt_f64_f32_e32 v[92:93], v92
	v_lshl_add_u64 v[94:95], v[128:129], 3, v[88:89]
	global_store_dwordx2 v[94:95], v[92:93], off
	s_mov_b64 s[2:3], -1
	v_max_f32_e32 v93, v96, v96
	s_mov_b64 vcc, s[8:9]
	s_cbranch_vccz .LBB176_133
; %bb.132:
	v_min_f32_e32 v92, 0, v93
	v_cvt_f64_f32_e32 v[94:95], v92
	v_lshl_add_u64 v[96:97], v[140:141], 3, v[88:89]
	global_store_dwordx2 v[96:97], v[94:95], off
	s_mov_b64 s[2:3], 0
.LBB176_133:
	s_andn2_b64 vcc, exec, s[2:3]
	v_mov_b32_e32 v92, 0
	s_cbranch_vccnz .LBB176_135
; %bb.134:
	v_lshl_add_u64 v[94:95], v[90:91], 0, v[144:145]
	global_load_dwordx2 v[94:95], v[94:95], off
	v_lshl_add_u64 v[96:97], v[88:89], 0, v[144:145]
	s_waitcnt vmcnt(0)
	v_mul_f64 v[94:95], s[10:11], v[94:95]
	v_cvt_f32_f64_e32 v92, v[94:95]
	v_min_f32_e32 v92, v92, v93
	v_cvt_f64_f32_e32 v[92:93], v92
	global_store_dwordx2 v[96:97], v[92:93], off
	v_lshl_add_u64 v[92:93], v[130:131], 3, v[90:91]
	global_load_dwordx2 v[92:93], v[92:93], off
	s_waitcnt vmcnt(0)
	v_mul_f64 v[92:93], s[10:11], v[92:93]
	v_cvt_f32_f64_e32 v92, v[92:93]
.LBB176_135:
	v_add_f64 v[94:95], v[42:43], v[86:87]
	v_add_f64 v[96:97], v[40:41], v[84:85]
	v_cvt_f32_f64_e32 v93, v[96:97]
	v_cvt_f32_f64_e32 v94, v[94:95]
	v_min3_f32 v93, v93, v94, v178
	v_add_f64 v[94:95], v[46:47], v[86:87]
	v_add_f64 v[96:97], v[44:45], v[84:85]
	v_cvt_f32_f64_e32 v96, v[96:97]
	v_cvt_f32_f64_e32 v94, v[94:95]
	v_min3_f32 v98, v96, v94, v177
	v_add_f64 v[94:95], v[38:39], v[82:83]
	v_add_f64 v[96:97], v[36:37], v[80:81]
	v_cvt_f32_f64_e32 v96, v[96:97]
	v_cvt_f32_f64_e32 v94, v[94:95]
	v_min_f32_e32 v99, v96, v94
	v_add_f64 v[94:95], v[34:35], v[82:83]
	v_add_f64 v[96:97], v[32:33], v[80:81]
	v_cvt_f32_f64_e32 v96, v[96:97]
	v_cvt_f32_f64_e32 v94, v[94:95]
	v_min3_f32 v92, v92, v99, v93
	v_min3_f32 v96, v96, v94, v98
	v_cvt_f64_f32_e32 v[92:93], v92
	v_lshl_add_u64 v[94:95], v[130:131], 3, v[88:89]
	global_store_dwordx2 v[94:95], v[92:93], off
	s_mov_b64 s[2:3], -1
	v_max_f32_e32 v93, v96, v96
	s_mov_b64 vcc, s[8:9]
	s_cbranch_vccz .LBB176_137
; %bb.136:
	v_min_f32_e32 v92, 0, v93
	v_cvt_f64_f32_e32 v[94:95], v92
	v_lshl_add_u64 v[96:97], v[142:143], 3, v[88:89]
	global_store_dwordx2 v[96:97], v[94:95], off
	s_mov_b64 s[2:3], 0
.LBB176_137:
	;; [unrolled: 54-line block ×3, first 2 shown]
	s_andn2_b64 vcc, exec, s[2:3]
	v_mov_b32_e32 v92, 0
	s_cbranch_vccnz .LBB176_143
; %bb.142:
	v_lshl_add_u64 v[94:95], v[90:91], 0, v[150:151]
	global_load_dwordx2 v[94:95], v[94:95], off
	v_lshl_add_u64 v[96:97], v[88:89], 0, v[150:151]
	v_lshl_add_u64 v[90:91], v[136:137], 3, v[90:91]
	s_waitcnt vmcnt(0)
	v_mul_f64 v[94:95], s[10:11], v[94:95]
	v_cvt_f32_f64_e32 v92, v[94:95]
	v_min_f32_e32 v92, v92, v93
	v_cvt_f64_f32_e32 v[92:93], v92
	global_store_dwordx2 v[96:97], v[92:93], off
	global_load_dwordx2 v[90:91], v[90:91], off
	s_waitcnt vmcnt(0)
	v_mul_f64 v[90:91], s[10:11], v[90:91]
	v_cvt_f32_f64_e32 v92, v[90:91]
.LBB176_143:
	v_add_f64 v[86:87], v[2:3], v[86:87]
	v_add_f64 v[84:85], v[0:1], v[84:85]
	v_cvt_f32_f64_e32 v84, v[84:85]
	v_cvt_f32_f64_e32 v85, v[86:87]
	v_add_f64 v[82:83], v[10:11], v[82:83]
	v_add_f64 v[80:81], v[8:9], v[80:81]
	v_min3_f32 v90, v84, v85, v174
	s_waitcnt lgkmcnt(3)
	v_add_f64 v[84:85], v[70:71], v[78:79]
	v_add_f64 v[86:87], v[68:69], v[76:77]
	v_cvt_f32_f64_e32 v80, v[80:81]
	v_cvt_f32_f64_e32 v81, v[82:83]
	v_cvt_f32_f64_e32 v86, v[86:87]
	v_cvt_f32_f64_e32 v84, v[84:85]
	v_min_f32_e32 v85, v80, v81
	s_waitcnt lgkmcnt(2)
	v_add_f64 v[80:81], v[66:67], v[74:75]
	v_add_f64 v[82:83], v[64:65], v[72:73]
	v_min3_f32 v84, v86, v84, v173
	v_cvt_f32_f64_e32 v82, v[82:83]
	v_cvt_f32_f64_e32 v80, v[80:81]
	v_min3_f32 v84, v82, v80, v84
	v_min3_f32 v80, v92, v85, v90
	v_cvt_f64_f32_e32 v[80:81], v80
	v_lshl_add_u64 v[82:83], v[136:137], 3, v[88:89]
	global_store_dwordx2 v[82:83], v[80:81], off
	v_add_u32_e32 v82, 0xc0, v205
	v_mad_i64_i32 v[80:81], s[2:3], v82, s5, 0
	v_mad_i64_i32 v[82:83], s[2:3], v82, s4, 0
	v_lshl_add_u64 v[80:81], v[80:81], 3, s[0:1]
	s_mov_b64 s[2:3], -1
	v_max_f32_e32 v85, v84, v84
	s_mov_b64 vcc, s[8:9]
	s_cbranch_vccz .LBB176_145
; %bb.144:
	v_min_f32_e32 v84, 0, v85
	v_cvt_f64_f32_e32 v[86:87], v84
	v_lshl_add_u64 v[88:89], v[134:135], 3, v[80:81]
	global_store_dwordx2 v[88:89], v[86:87], off
	s_mov_b64 s[2:3], 0
.LBB176_145:
	v_lshl_add_u64 v[82:83], v[82:83], 3, s[18:19]
	s_andn2_b64 vcc, exec, s[2:3]
	v_mov_b32_e32 v84, 0
	s_cbranch_vccnz .LBB176_147
; %bb.146:
	v_lshl_add_u64 v[86:87], v[82:83], 0, v[138:139]
	global_load_dwordx2 v[86:87], v[86:87], off
	v_lshl_add_u64 v[88:89], v[80:81], 0, v[138:139]
	s_waitcnt vmcnt(0)
	v_mul_f64 v[86:87], s[10:11], v[86:87]
	v_cvt_f32_f64_e32 v84, v[86:87]
	v_min_f32_e32 v84, v84, v85
	v_cvt_f64_f32_e32 v[84:85], v84
	global_store_dwordx2 v[88:89], v[84:85], off
	v_lshl_add_u64 v[84:85], v[128:129], 3, v[82:83]
	global_load_dwordx2 v[84:85], v[84:85], off
	s_waitcnt vmcnt(0)
	v_mul_f64 v[84:85], s[10:11], v[84:85]
	v_cvt_f32_f64_e32 v84, v[84:85]
.LBB176_147:
	v_add_f64 v[86:87], v[62:63], v[78:79]
	v_add_f64 v[88:89], v[60:61], v[76:77]
	v_cvt_f32_f64_e32 v85, v[88:89]
	v_cvt_f32_f64_e32 v86, v[86:87]
	v_min3_f32 v85, v85, v86, v172
	v_add_f64 v[86:87], v[58:59], v[78:79]
	v_add_f64 v[88:89], v[56:57], v[76:77]
	v_cvt_f32_f64_e32 v88, v[88:89]
	v_cvt_f32_f64_e32 v86, v[86:87]
	v_min3_f32 v90, v88, v86, v171
	v_add_f64 v[86:87], v[54:55], v[74:75]
	v_add_f64 v[88:89], v[52:53], v[72:73]
	v_cvt_f32_f64_e32 v88, v[88:89]
	v_cvt_f32_f64_e32 v86, v[86:87]
	v_min_f32_e32 v91, v88, v86
	v_add_f64 v[86:87], v[50:51], v[74:75]
	v_add_f64 v[88:89], v[48:49], v[72:73]
	v_cvt_f32_f64_e32 v88, v[88:89]
	v_cvt_f32_f64_e32 v86, v[86:87]
	v_min3_f32 v84, v84, v91, v85
	v_min3_f32 v88, v88, v86, v90
	v_cvt_f64_f32_e32 v[84:85], v84
	v_lshl_add_u64 v[86:87], v[128:129], 3, v[80:81]
	global_store_dwordx2 v[86:87], v[84:85], off
	s_mov_b64 s[2:3], -1
	v_max_f32_e32 v85, v88, v88
	s_mov_b64 vcc, s[8:9]
	s_cbranch_vccz .LBB176_149
; %bb.148:
	v_min_f32_e32 v84, 0, v85
	v_cvt_f64_f32_e32 v[86:87], v84
	v_lshl_add_u64 v[88:89], v[140:141], 3, v[80:81]
	global_store_dwordx2 v[88:89], v[86:87], off
	s_mov_b64 s[2:3], 0
.LBB176_149:
	s_andn2_b64 vcc, exec, s[2:3]
	v_mov_b32_e32 v84, 0
	s_cbranch_vccnz .LBB176_151
; %bb.150:
	v_lshl_add_u64 v[86:87], v[82:83], 0, v[144:145]
	global_load_dwordx2 v[86:87], v[86:87], off
	v_lshl_add_u64 v[88:89], v[80:81], 0, v[144:145]
	s_waitcnt vmcnt(0)
	v_mul_f64 v[86:87], s[10:11], v[86:87]
	v_cvt_f32_f64_e32 v84, v[86:87]
	v_min_f32_e32 v84, v84, v85
	v_cvt_f64_f32_e32 v[84:85], v84
	global_store_dwordx2 v[88:89], v[84:85], off
	v_lshl_add_u64 v[84:85], v[130:131], 3, v[82:83]
	global_load_dwordx2 v[84:85], v[84:85], off
	s_waitcnt vmcnt(0)
	v_mul_f64 v[84:85], s[10:11], v[84:85]
	v_cvt_f32_f64_e32 v84, v[84:85]
.LBB176_151:
	v_add_f64 v[86:87], v[42:43], v[78:79]
	v_add_f64 v[88:89], v[40:41], v[76:77]
	v_cvt_f32_f64_e32 v85, v[88:89]
	v_cvt_f32_f64_e32 v86, v[86:87]
	v_min3_f32 v85, v85, v86, v170
	v_add_f64 v[86:87], v[46:47], v[78:79]
	v_add_f64 v[88:89], v[44:45], v[76:77]
	v_cvt_f32_f64_e32 v88, v[88:89]
	v_cvt_f32_f64_e32 v86, v[86:87]
	v_min3_f32 v90, v88, v86, v169
	v_add_f64 v[86:87], v[38:39], v[74:75]
	v_add_f64 v[88:89], v[36:37], v[72:73]
	v_cvt_f32_f64_e32 v88, v[88:89]
	v_cvt_f32_f64_e32 v86, v[86:87]
	v_min_f32_e32 v91, v88, v86
	v_add_f64 v[86:87], v[34:35], v[74:75]
	v_add_f64 v[88:89], v[32:33], v[72:73]
	v_cvt_f32_f64_e32 v88, v[88:89]
	v_cvt_f32_f64_e32 v86, v[86:87]
	v_min3_f32 v84, v84, v91, v85
	v_min3_f32 v88, v88, v86, v90
	v_cvt_f64_f32_e32 v[84:85], v84
	v_lshl_add_u64 v[86:87], v[130:131], 3, v[80:81]
	global_store_dwordx2 v[86:87], v[84:85], off
	s_mov_b64 s[2:3], -1
	v_max_f32_e32 v85, v88, v88
	s_mov_b64 vcc, s[8:9]
	s_cbranch_vccz .LBB176_153
; %bb.152:
	v_min_f32_e32 v84, 0, v85
	v_cvt_f64_f32_e32 v[86:87], v84
	v_lshl_add_u64 v[88:89], v[142:143], 3, v[80:81]
	global_store_dwordx2 v[88:89], v[86:87], off
	s_mov_b64 s[2:3], 0
.LBB176_153:
	;; [unrolled: 54-line block ×3, first 2 shown]
	s_andn2_b64 vcc, exec, s[2:3]
	v_mov_b32_e32 v84, 0
	s_cbranch_vccnz .LBB176_159
; %bb.158:
	v_lshl_add_u64 v[86:87], v[82:83], 0, v[150:151]
	global_load_dwordx2 v[86:87], v[86:87], off
	v_lshl_add_u64 v[88:89], v[80:81], 0, v[150:151]
	v_lshl_add_u64 v[82:83], v[136:137], 3, v[82:83]
	s_waitcnt vmcnt(0)
	v_mul_f64 v[86:87], s[10:11], v[86:87]
	v_cvt_f32_f64_e32 v84, v[86:87]
	v_min_f32_e32 v84, v84, v85
	v_cvt_f64_f32_e32 v[84:85], v84
	global_store_dwordx2 v[88:89], v[84:85], off
	global_load_dwordx2 v[82:83], v[82:83], off
	s_waitcnt vmcnt(0)
	v_mul_f64 v[82:83], s[10:11], v[82:83]
	v_cvt_f32_f64_e32 v84, v[82:83]
.LBB176_159:
	v_add_f64 v[78:79], v[2:3], v[78:79]
	v_add_f64 v[76:77], v[0:1], v[76:77]
	s_waitcnt lgkmcnt(1)
	v_add_f64 v[70:71], v[70:71], v[6:7]
	v_add_f64 v[68:69], v[68:69], v[4:5]
	v_cvt_f32_f64_e32 v76, v[76:77]
	v_cvt_f32_f64_e32 v77, v[78:79]
	;; [unrolled: 1-line block ×4, first 2 shown]
	v_min3_f32 v76, v76, v77, v166
	v_min3_f32 v77, v68, v69, v165
	v_add_f64 v[68:69], v[10:11], v[74:75]
	v_add_f64 v[70:71], v[8:9], v[72:73]
	v_cvt_f32_f64_e32 v70, v[70:71]
	v_cvt_f32_f64_e32 v68, v[68:69]
	s_waitcnt lgkmcnt(0)
	v_add_f64 v[66:67], v[66:67], v[14:15]
	v_add_f64 v[64:65], v[64:65], v[12:13]
	v_min_f32_e32 v68, v70, v68
	v_cvt_f32_f64_e32 v64, v[64:65]
	v_cvt_f32_f64_e32 v65, v[66:67]
	v_min3_f32 v69, v64, v65, v77
	v_min3_f32 v64, v84, v68, v76
	v_cvt_f64_f32_e32 v[64:65], v64
	v_lshl_add_u64 v[66:67], v[136:137], 3, v[80:81]
	global_store_dwordx2 v[66:67], v[64:65], off
	v_add_u32_e32 v66, 0xe0, v205
	v_mad_i64_i32 v[64:65], s[2:3], v66, s5, 0
	v_lshl_add_u64 v[64:65], v[64:65], 3, s[0:1]
	v_mad_i64_i32 v[66:67], s[0:1], v66, s4, 0
	s_mov_b64 s[0:1], -1
	v_max_f32_e32 v69, v69, v69
	s_mov_b64 vcc, s[8:9]
	s_cbranch_vccz .LBB176_161
; %bb.160:
	v_min_f32_e32 v68, 0, v69
	v_cvt_f64_f32_e32 v[70:71], v68
	v_lshl_add_u64 v[72:73], v[134:135], 3, v[64:65]
	global_store_dwordx2 v[72:73], v[70:71], off
	s_mov_b64 s[0:1], 0
.LBB176_161:
	v_lshl_add_u64 v[66:67], v[66:67], 3, s[18:19]
	s_andn2_b64 vcc, exec, s[0:1]
	v_mov_b32_e32 v68, 0
	s_cbranch_vccnz .LBB176_163
; %bb.162:
	v_lshl_add_u64 v[70:71], v[66:67], 0, v[138:139]
	global_load_dwordx2 v[70:71], v[70:71], off
	v_lshl_add_u64 v[72:73], v[64:65], 0, v[138:139]
	s_waitcnt vmcnt(0)
	v_mul_f64 v[70:71], s[10:11], v[70:71]
	v_cvt_f32_f64_e32 v68, v[70:71]
	v_min_f32_e32 v68, v68, v69
	v_cvt_f64_f32_e32 v[68:69], v68
	global_store_dwordx2 v[72:73], v[68:69], off
	v_lshl_add_u64 v[68:69], v[128:129], 3, v[66:67]
	global_load_dwordx2 v[68:69], v[68:69], off
	s_waitcnt vmcnt(0)
	v_mul_f64 v[68:69], s[10:11], v[68:69]
	v_cvt_f32_f64_e32 v68, v[68:69]
.LBB176_163:
	v_add_f64 v[62:63], v[62:63], v[6:7]
	v_add_f64 v[60:61], v[60:61], v[4:5]
	;; [unrolled: 1-line block ×6, first 2 shown]
	v_cvt_f32_f64_e32 v60, v[60:61]
	v_cvt_f32_f64_e32 v61, v[62:63]
	v_cvt_f32_f64_e32 v56, v[56:57]
	v_cvt_f32_f64_e32 v57, v[58:59]
	v_cvt_f32_f64_e32 v52, v[52:53]
	v_cvt_f32_f64_e32 v53, v[54:55]
	v_add_f64 v[50:51], v[50:51], v[14:15]
	v_add_f64 v[48:49], v[48:49], v[12:13]
	v_min3_f32 v60, v60, v61, v164
	v_min3_f32 v56, v56, v57, v163
	v_min_f32_e32 v52, v52, v53
	v_cvt_f32_f64_e32 v48, v[48:49]
	v_cvt_f32_f64_e32 v49, v[50:51]
	v_min3_f32 v53, v48, v49, v56
	v_min3_f32 v48, v68, v52, v60
	v_cvt_f64_f32_e32 v[48:49], v48
	v_lshl_add_u64 v[50:51], v[128:129], 3, v[64:65]
	global_store_dwordx2 v[50:51], v[48:49], off
	s_mov_b64 s[0:1], -1
	v_max_f32_e32 v49, v53, v53
	s_mov_b64 vcc, s[8:9]
	s_cbranch_vccz .LBB176_165
; %bb.164:
	v_min_f32_e32 v48, 0, v49
	v_cvt_f64_f32_e32 v[50:51], v48
	v_lshl_add_u64 v[52:53], v[140:141], 3, v[64:65]
	global_store_dwordx2 v[52:53], v[50:51], off
	s_mov_b64 s[0:1], 0
.LBB176_165:
	s_andn2_b64 vcc, exec, s[0:1]
	v_mov_b32_e32 v48, 0
	s_cbranch_vccnz .LBB176_167
; %bb.166:
	v_lshl_add_u64 v[50:51], v[66:67], 0, v[144:145]
	global_load_dwordx2 v[50:51], v[50:51], off
	v_lshl_add_u64 v[52:53], v[64:65], 0, v[144:145]
	s_waitcnt vmcnt(0)
	v_mul_f64 v[50:51], s[10:11], v[50:51]
	v_cvt_f32_f64_e32 v48, v[50:51]
	v_min_f32_e32 v48, v48, v49
	v_cvt_f64_f32_e32 v[48:49], v48
	global_store_dwordx2 v[52:53], v[48:49], off
	v_lshl_add_u64 v[48:49], v[130:131], 3, v[66:67]
	global_load_dwordx2 v[48:49], v[48:49], off
	s_waitcnt vmcnt(0)
	v_mul_f64 v[48:49], s[10:11], v[48:49]
	v_cvt_f32_f64_e32 v48, v[48:49]
.LBB176_167:
	v_add_f64 v[42:43], v[42:43], v[6:7]
	v_add_f64 v[40:41], v[40:41], v[4:5]
	v_cvt_f32_f64_e32 v40, v[40:41]
	v_cvt_f32_f64_e32 v41, v[42:43]
	v_min3_f32 v49, v40, v41, v162
	v_add_f64 v[40:41], v[46:47], v[6:7]
	v_add_f64 v[42:43], v[44:45], v[4:5]
	;; [unrolled: 1-line block ×4, first 2 shown]
	v_cvt_f32_f64_e32 v42, v[42:43]
	v_cvt_f32_f64_e32 v40, v[40:41]
	;; [unrolled: 1-line block ×4, first 2 shown]
	v_add_f64 v[34:35], v[34:35], v[14:15]
	v_add_f64 v[32:33], v[32:33], v[12:13]
	v_min3_f32 v40, v42, v40, v161
	v_min_f32_e32 v36, v36, v37
	v_cvt_f32_f64_e32 v32, v[32:33]
	v_cvt_f32_f64_e32 v33, v[34:35]
	v_min3_f32 v37, v32, v33, v40
	v_min3_f32 v32, v48, v36, v49
	v_cvt_f64_f32_e32 v[32:33], v32
	v_lshl_add_u64 v[34:35], v[130:131], 3, v[64:65]
	global_store_dwordx2 v[34:35], v[32:33], off
	s_mov_b64 s[0:1], -1
	v_max_f32_e32 v33, v37, v37
	s_mov_b64 vcc, s[8:9]
	s_cbranch_vccz .LBB176_169
; %bb.168:
	v_min_f32_e32 v32, 0, v33
	v_cvt_f64_f32_e32 v[34:35], v32
	v_lshl_add_u64 v[36:37], v[142:143], 3, v[64:65]
	global_store_dwordx2 v[36:37], v[34:35], off
	s_mov_b64 s[0:1], 0
.LBB176_169:
	s_andn2_b64 vcc, exec, s[0:1]
	v_mov_b32_e32 v32, 0
	s_cbranch_vccnz .LBB176_171
; %bb.170:
	v_lshl_add_u64 v[34:35], v[66:67], 0, v[148:149]
	global_load_dwordx2 v[34:35], v[34:35], off
	v_lshl_add_u64 v[36:37], v[64:65], 0, v[148:149]
	s_waitcnt vmcnt(0)
	v_mul_f64 v[34:35], s[10:11], v[34:35]
	v_cvt_f32_f64_e32 v32, v[34:35]
	v_min_f32_e32 v32, v32, v33
	v_cvt_f64_f32_e32 v[32:33], v32
	global_store_dwordx2 v[36:37], v[32:33], off
	v_lshl_add_u64 v[32:33], v[132:133], 3, v[66:67]
	global_load_dwordx2 v[32:33], v[32:33], off
	s_waitcnt vmcnt(0)
	v_mul_f64 v[32:33], s[10:11], v[32:33]
	v_cvt_f32_f64_e32 v32, v[32:33]
.LBB176_171:
	v_add_f64 v[30:31], v[30:31], v[6:7]
	v_add_f64 v[28:29], v[28:29], v[4:5]
	;; [unrolled: 1-line block ×6, first 2 shown]
	v_cvt_f32_f64_e32 v28, v[28:29]
	v_cvt_f32_f64_e32 v29, v[30:31]
	;; [unrolled: 1-line block ×6, first 2 shown]
	v_add_f64 v[18:19], v[18:19], v[14:15]
	v_add_f64 v[16:17], v[16:17], v[12:13]
	v_min3_f32 v28, v28, v29, v160
	v_min3_f32 v24, v24, v25, v159
	v_min_f32_e32 v20, v20, v21
	v_cvt_f32_f64_e32 v16, v[16:17]
	v_cvt_f32_f64_e32 v17, v[18:19]
	v_min3_f32 v21, v16, v17, v24
	v_min3_f32 v16, v32, v20, v28
	v_cvt_f64_f32_e32 v[16:17], v16
	v_lshl_add_u64 v[18:19], v[132:133], 3, v[64:65]
	global_store_dwordx2 v[18:19], v[16:17], off
	s_mov_b64 s[0:1], -1
	v_max_f32_e32 v17, v21, v21
	s_mov_b64 vcc, s[8:9]
	s_cbranch_vccz .LBB176_173
; %bb.172:
	v_min_f32_e32 v16, 0, v17
	v_cvt_f64_f32_e32 v[18:19], v16
	v_lshl_add_u64 v[20:21], v[146:147], 3, v[64:65]
	global_store_dwordx2 v[20:21], v[18:19], off
	s_mov_b64 s[0:1], 0
.LBB176_173:
	s_andn2_b64 vcc, exec, s[0:1]
	v_mov_b32_e32 v16, 0
	s_cbranch_vccnz .LBB176_175
; %bb.174:
	v_lshl_add_u64 v[18:19], v[66:67], 0, v[150:151]
	global_load_dwordx2 v[18:19], v[18:19], off
	v_lshl_add_u64 v[20:21], v[64:65], 0, v[150:151]
	s_waitcnt vmcnt(0)
	v_mul_f64 v[18:19], s[10:11], v[18:19]
	v_cvt_f32_f64_e32 v16, v[18:19]
	v_min_f32_e32 v16, v16, v17
	v_cvt_f64_f32_e32 v[16:17], v16
	global_store_dwordx2 v[20:21], v[16:17], off
	v_lshl_add_u64 v[16:17], v[136:137], 3, v[66:67]
	global_load_dwordx2 v[16:17], v[16:17], off
	s_waitcnt vmcnt(0)
	v_mul_f64 v[16:17], s[10:11], v[16:17]
	v_cvt_f32_f64_e32 v16, v[16:17]
.LBB176_175:
	v_add_f64 v[10:11], v[10:11], v[14:15]
	v_add_f64 v[8:9], v[8:9], v[12:13]
	;; [unrolled: 1-line block ×4, first 2 shown]
	v_cvt_f32_f64_e32 v8, v[8:9]
	v_cvt_f32_f64_e32 v9, v[10:11]
	;; [unrolled: 1-line block ×4, first 2 shown]
	v_min_f32_e32 v8, v8, v9
	v_min3_f32 v0, v0, v1, v158
	v_min3_f32 v0, v16, v8, v0
	v_cvt_f64_f32_e32 v[0:1], v0
	v_lshl_add_u64 v[2:3], v[136:137], 3, v[64:65]
	global_store_dwordx2 v[2:3], v[0:1], off
	s_endpgm
	.section	.rodata,"a",@progbits
	.p2align	6, 0x0
	.amdhsa_kernel _ZN12_GLOBAL__N_120geam_min_plus_kernelId15HIP_vector_typeIdLj2EEdLi8ELi32ELi64ELi256ELi4ELi4ELi64ELi64ELi4ELc84ELc84ELb0ELb0ELb1EdKddEEviiiT16_PT17_ilS6_ilS4_S6_ilPT18_ili26rocblas_geam_ex_operation_
		.amdhsa_group_segment_fixed_size 20480
		.amdhsa_private_segment_fixed_size 0
		.amdhsa_kernarg_size 136
		.amdhsa_user_sgpr_count 2
		.amdhsa_user_sgpr_dispatch_ptr 0
		.amdhsa_user_sgpr_queue_ptr 0
		.amdhsa_user_sgpr_kernarg_segment_ptr 1
		.amdhsa_user_sgpr_dispatch_id 0
		.amdhsa_user_sgpr_kernarg_preload_length 0
		.amdhsa_user_sgpr_kernarg_preload_offset 0
		.amdhsa_user_sgpr_private_segment_size 0
		.amdhsa_uses_dynamic_stack 0
		.amdhsa_enable_private_segment 0
		.amdhsa_system_sgpr_workgroup_id_x 1
		.amdhsa_system_sgpr_workgroup_id_y 0
		.amdhsa_system_sgpr_workgroup_id_z 1
		.amdhsa_system_sgpr_workgroup_info 0
		.amdhsa_system_vgpr_workitem_id 1
		.amdhsa_next_free_vgpr 230
		.amdhsa_next_free_sgpr 30
		.amdhsa_accum_offset 232
		.amdhsa_reserve_vcc 1
		.amdhsa_float_round_mode_32 0
		.amdhsa_float_round_mode_16_64 0
		.amdhsa_float_denorm_mode_32 3
		.amdhsa_float_denorm_mode_16_64 3
		.amdhsa_dx10_clamp 1
		.amdhsa_ieee_mode 1
		.amdhsa_fp16_overflow 0
		.amdhsa_tg_split 0
		.amdhsa_exception_fp_ieee_invalid_op 0
		.amdhsa_exception_fp_denorm_src 0
		.amdhsa_exception_fp_ieee_div_zero 0
		.amdhsa_exception_fp_ieee_overflow 0
		.amdhsa_exception_fp_ieee_underflow 0
		.amdhsa_exception_fp_ieee_inexact 0
		.amdhsa_exception_int_div_zero 0
	.end_amdhsa_kernel
	.section	.text._ZN12_GLOBAL__N_120geam_min_plus_kernelId15HIP_vector_typeIdLj2EEdLi8ELi32ELi64ELi256ELi4ELi4ELi64ELi64ELi4ELc84ELc84ELb0ELb0ELb1EdKddEEviiiT16_PT17_ilS6_ilS4_S6_ilPT18_ili26rocblas_geam_ex_operation_,"axG",@progbits,_ZN12_GLOBAL__N_120geam_min_plus_kernelId15HIP_vector_typeIdLj2EEdLi8ELi32ELi64ELi256ELi4ELi4ELi64ELi64ELi4ELc84ELc84ELb0ELb0ELb1EdKddEEviiiT16_PT17_ilS6_ilS4_S6_ilPT18_ili26rocblas_geam_ex_operation_,comdat
.Lfunc_end176:
	.size	_ZN12_GLOBAL__N_120geam_min_plus_kernelId15HIP_vector_typeIdLj2EEdLi8ELi32ELi64ELi256ELi4ELi4ELi64ELi64ELi4ELc84ELc84ELb0ELb0ELb1EdKddEEviiiT16_PT17_ilS6_ilS4_S6_ilPT18_ili26rocblas_geam_ex_operation_, .Lfunc_end176-_ZN12_GLOBAL__N_120geam_min_plus_kernelId15HIP_vector_typeIdLj2EEdLi8ELi32ELi64ELi256ELi4ELi4ELi64ELi64ELi4ELc84ELc84ELb0ELb0ELb1EdKddEEviiiT16_PT17_ilS6_ilS4_S6_ilPT18_ili26rocblas_geam_ex_operation_
                                        ; -- End function
	.set _ZN12_GLOBAL__N_120geam_min_plus_kernelId15HIP_vector_typeIdLj2EEdLi8ELi32ELi64ELi256ELi4ELi4ELi64ELi64ELi4ELc84ELc84ELb0ELb0ELb1EdKddEEviiiT16_PT17_ilS6_ilS4_S6_ilPT18_ili26rocblas_geam_ex_operation_.num_vgpr, 230
	.set _ZN12_GLOBAL__N_120geam_min_plus_kernelId15HIP_vector_typeIdLj2EEdLi8ELi32ELi64ELi256ELi4ELi4ELi64ELi64ELi4ELc84ELc84ELb0ELb0ELb1EdKddEEviiiT16_PT17_ilS6_ilS4_S6_ilPT18_ili26rocblas_geam_ex_operation_.num_agpr, 0
	.set _ZN12_GLOBAL__N_120geam_min_plus_kernelId15HIP_vector_typeIdLj2EEdLi8ELi32ELi64ELi256ELi4ELi4ELi64ELi64ELi4ELc84ELc84ELb0ELb0ELb1EdKddEEviiiT16_PT17_ilS6_ilS4_S6_ilPT18_ili26rocblas_geam_ex_operation_.numbered_sgpr, 30
	.set _ZN12_GLOBAL__N_120geam_min_plus_kernelId15HIP_vector_typeIdLj2EEdLi8ELi32ELi64ELi256ELi4ELi4ELi64ELi64ELi4ELc84ELc84ELb0ELb0ELb1EdKddEEviiiT16_PT17_ilS6_ilS4_S6_ilPT18_ili26rocblas_geam_ex_operation_.num_named_barrier, 0
	.set _ZN12_GLOBAL__N_120geam_min_plus_kernelId15HIP_vector_typeIdLj2EEdLi8ELi32ELi64ELi256ELi4ELi4ELi64ELi64ELi4ELc84ELc84ELb0ELb0ELb1EdKddEEviiiT16_PT17_ilS6_ilS4_S6_ilPT18_ili26rocblas_geam_ex_operation_.private_seg_size, 0
	.set _ZN12_GLOBAL__N_120geam_min_plus_kernelId15HIP_vector_typeIdLj2EEdLi8ELi32ELi64ELi256ELi4ELi4ELi64ELi64ELi4ELc84ELc84ELb0ELb0ELb1EdKddEEviiiT16_PT17_ilS6_ilS4_S6_ilPT18_ili26rocblas_geam_ex_operation_.uses_vcc, 1
	.set _ZN12_GLOBAL__N_120geam_min_plus_kernelId15HIP_vector_typeIdLj2EEdLi8ELi32ELi64ELi256ELi4ELi4ELi64ELi64ELi4ELc84ELc84ELb0ELb0ELb1EdKddEEviiiT16_PT17_ilS6_ilS4_S6_ilPT18_ili26rocblas_geam_ex_operation_.uses_flat_scratch, 0
	.set _ZN12_GLOBAL__N_120geam_min_plus_kernelId15HIP_vector_typeIdLj2EEdLi8ELi32ELi64ELi256ELi4ELi4ELi64ELi64ELi4ELc84ELc84ELb0ELb0ELb1EdKddEEviiiT16_PT17_ilS6_ilS4_S6_ilPT18_ili26rocblas_geam_ex_operation_.has_dyn_sized_stack, 0
	.set _ZN12_GLOBAL__N_120geam_min_plus_kernelId15HIP_vector_typeIdLj2EEdLi8ELi32ELi64ELi256ELi4ELi4ELi64ELi64ELi4ELc84ELc84ELb0ELb0ELb1EdKddEEviiiT16_PT17_ilS6_ilS4_S6_ilPT18_ili26rocblas_geam_ex_operation_.has_recursion, 0
	.set _ZN12_GLOBAL__N_120geam_min_plus_kernelId15HIP_vector_typeIdLj2EEdLi8ELi32ELi64ELi256ELi4ELi4ELi64ELi64ELi4ELc84ELc84ELb0ELb0ELb1EdKddEEviiiT16_PT17_ilS6_ilS4_S6_ilPT18_ili26rocblas_geam_ex_operation_.has_indirect_call, 0
	.section	.AMDGPU.csdata,"",@progbits
; Kernel info:
; codeLenInByte = 25248
; TotalNumSgprs: 36
; NumVgprs: 230
; NumAgprs: 0
; TotalNumVgprs: 230
; ScratchSize: 0
; MemoryBound: 1
; FloatMode: 240
; IeeeMode: 1
; LDSByteSize: 20480 bytes/workgroup (compile time only)
; SGPRBlocks: 4
; VGPRBlocks: 28
; NumSGPRsForWavesPerEU: 36
; NumVGPRsForWavesPerEU: 230
; AccumOffset: 232
; Occupancy: 2
; WaveLimiterHint : 1
; COMPUTE_PGM_RSRC2:SCRATCH_EN: 0
; COMPUTE_PGM_RSRC2:USER_SGPR: 2
; COMPUTE_PGM_RSRC2:TRAP_HANDLER: 0
; COMPUTE_PGM_RSRC2:TGID_X_EN: 1
; COMPUTE_PGM_RSRC2:TGID_Y_EN: 0
; COMPUTE_PGM_RSRC2:TGID_Z_EN: 1
; COMPUTE_PGM_RSRC2:TIDIG_COMP_CNT: 1
; COMPUTE_PGM_RSRC3_GFX90A:ACCUM_OFFSET: 57
; COMPUTE_PGM_RSRC3_GFX90A:TG_SPLIT: 0
	.section	.text._ZN12_GLOBAL__N_120geam_min_plus_kernelId15HIP_vector_typeIdLj2EEdLi8ELi32ELi64ELi256ELi4ELi4ELi64ELi64ELi4ELc84ELc84ELb0ELb1ELb1EPKdS3_dEEviiiT16_PT17_ilS7_ilS5_S7_ilPT18_ili26rocblas_geam_ex_operation_,"axG",@progbits,_ZN12_GLOBAL__N_120geam_min_plus_kernelId15HIP_vector_typeIdLj2EEdLi8ELi32ELi64ELi256ELi4ELi4ELi64ELi64ELi4ELc84ELc84ELb0ELb1ELb1EPKdS3_dEEviiiT16_PT17_ilS7_ilS5_S7_ilPT18_ili26rocblas_geam_ex_operation_,comdat
	.globl	_ZN12_GLOBAL__N_120geam_min_plus_kernelId15HIP_vector_typeIdLj2EEdLi8ELi32ELi64ELi256ELi4ELi4ELi64ELi64ELi4ELc84ELc84ELb0ELb1ELb1EPKdS3_dEEviiiT16_PT17_ilS7_ilS5_S7_ilPT18_ili26rocblas_geam_ex_operation_ ; -- Begin function _ZN12_GLOBAL__N_120geam_min_plus_kernelId15HIP_vector_typeIdLj2EEdLi8ELi32ELi64ELi256ELi4ELi4ELi64ELi64ELi4ELc84ELc84ELb0ELb1ELb1EPKdS3_dEEviiiT16_PT17_ilS7_ilS5_S7_ilPT18_ili26rocblas_geam_ex_operation_
	.p2align	8
	.type	_ZN12_GLOBAL__N_120geam_min_plus_kernelId15HIP_vector_typeIdLj2EEdLi8ELi32ELi64ELi256ELi4ELi4ELi64ELi64ELi4ELc84ELc84ELb0ELb1ELb1EPKdS3_dEEviiiT16_PT17_ilS7_ilS5_S7_ilPT18_ili26rocblas_geam_ex_operation_,@function
_ZN12_GLOBAL__N_120geam_min_plus_kernelId15HIP_vector_typeIdLj2EEdLi8ELi32ELi64ELi256ELi4ELi4ELi64ELi64ELi4ELc84ELc84ELb0ELb1ELb1EPKdS3_dEEviiiT16_PT17_ilS7_ilS5_S7_ilPT18_ili26rocblas_geam_ex_operation_: ; @_ZN12_GLOBAL__N_120geam_min_plus_kernelId15HIP_vector_typeIdLj2EEdLi8ELi32ELi64ELi256ELi4ELi4ELi64ELi64ELi4ELc84ELc84ELb0ELb1ELb1EPKdS3_dEEviiiT16_PT17_ilS7_ilS5_S7_ilPT18_ili26rocblas_geam_ex_operation_
; %bb.0:
	s_load_dwordx4 s[12:15], s[0:1], 0x10
	s_load_dwordx4 s[4:7], s[0:1], 0x28
	;; [unrolled: 1-line block ×3, first 2 shown]
	s_mov_b32 s18, s3
	s_mov_b32 s19, 0
	s_lshl_b64 s[16:17], s[18:19], 3
	s_waitcnt lgkmcnt(0)
	s_add_u32 s12, s12, s16
	s_addc_u32 s13, s13, s17
	s_load_dwordx2 s[28:29], s[12:13], 0x0
	s_load_dwordx2 s[20:21], s[0:1], 0x50
	s_add_u32 s10, s10, s16
	s_addc_u32 s11, s11, s17
	s_mov_b64 s[30:31], 0
	s_waitcnt lgkmcnt(0)
	v_cmp_eq_f64_e64 s[16:17], s[28:29], 0
	v_cmp_neq_f64_e64 s[12:13], s[28:29], 0
	s_and_b64 vcc, exec, s[16:17]
	s_mov_b64 s[36:37], 0
	s_cbranch_vccnz .LBB177_2
; %bb.1:
	s_mul_i32 s3, s5, s18
	s_mul_hi_u32 s5, s4, s18
	s_add_i32 s5, s5, s3
	s_mul_i32 s4, s4, s18
	s_lshl_b64 s[4:5], s[4:5], 3
	s_add_u32 s36, s14, s4
	s_addc_u32 s37, s15, s5
.LBB177_2:
	s_load_dwordx2 s[24:25], s[10:11], 0x0
	s_andn2_b64 vcc, exec, s[12:13]
	s_cbranch_vccnz .LBB177_4
; %bb.3:
	s_mul_i32 s3, s9, s18
	s_mul_hi_u32 s4, s8, s18
	s_add_i32 s5, s4, s3
	s_mul_i32 s4, s8, s18
	s_lshl_b64 s[4:5], s[4:5], 3
	s_add_u32 s30, s6, s4
	s_addc_u32 s31, s7, s5
.LBB177_4:
	s_load_dwordx4 s[12:15], s[0:1], 0x60
	s_waitcnt lgkmcnt(0)
	v_cmp_eq_f64_e64 s[4:5], s[24:25], 0
	s_mov_b64 s[26:27], 0
	v_cmp_neq_f64_e64 s[16:17], s[24:25], 0
	s_and_b64 vcc, exec, s[4:5]
	s_cbranch_vccnz .LBB177_6
; %bb.5:
	s_mul_i32 s3, s13, s18
	s_mul_hi_u32 s4, s12, s18
	s_add_i32 s5, s4, s3
	s_mul_i32 s4, s12, s18
	s_lshl_b64 s[4:5], s[4:5], 3
	s_add_u32 s26, s20, s4
	s_addc_u32 s27, s21, s5
.LBB177_6:
	s_load_dwordx4 s[20:23], s[0:1], 0x0
	s_load_dword s38, s[0:1], 0x20
	v_and_b32_e32 v144, 0x3ff, v0
	v_bfe_u32 v145, v0, 10, 10
	v_and_b32_e32 v146, 3, v0
	s_waitcnt lgkmcnt(0)
	s_add_i32 s3, s20, -1
	s_ashr_i32 s4, s3, 31
	s_lshr_b32 s4, s4, 26
	s_add_i32 s3, s3, s4
	s_ashr_i32 s3, s3, 6
	s_add_i32 s7, s3, 1
	v_cvt_f32_u32_e32 v1, s7
	s_not_b32 s3, s3
	v_lshl_add_u32 v2, v145, 3, v144
	v_lshrrev_b32_e32 v12, 2, v2
	v_rcp_iflag_f32_e32 v1, v1
	v_cmp_le_i32_e64 s[4:5], s22, v146
	v_cmp_eq_f64_e64 s[34:35], s[28:29], 0
	v_mul_f32_e32 v0, 0x4f7ffffe, v1
	v_cvt_u32_f32_e32 v0, v0
	s_nop 0
	v_readfirstlane_b32 s6, v0
	s_mul_i32 s3, s3, s6
	s_mul_hi_u32 s3, s6, s3
	s_add_i32 s6, s6, s3
	s_mul_hi_u32 s3, s2, s6
	s_mul_i32 s6, s3, s7
	s_sub_i32 s6, s2, s6
	s_add_i32 s8, s3, 1
	s_sub_i32 s9, s6, s7
	s_cmp_ge_u32 s6, s7
	s_cselect_b32 s3, s8, s3
	s_cselect_b32 s6, s9, s6
	s_add_i32 s8, s3, 1
	s_cmp_ge_u32 s6, s7
	s_cselect_b32 s6, s8, s3
	s_mul_i32 s3, s6, s7
	s_sub_i32 s2, s2, s3
	s_lshl_b32 s19, s2, 6
	v_add_u32_e32 v110, s19, v12
	v_cmp_le_i32_e32 vcc, s20, v110
	s_or_b64 s[2:3], s[4:5], vcc
	s_nor_b64 s[4:5], s[34:35], s[2:3]
                                        ; implicit-def: $vgpr0_vgpr1
                                        ; implicit-def: $sgpr7
	s_and_saveexec_b64 s[8:9], s[4:5]
	s_xor_b64 s[4:5], exec, s[8:9]
	s_cbranch_execz .LBB177_8
; %bb.7:
	s_add_i32 s7, s22, -1
	v_mad_i64_i32 v[0:1], s[8:9], v110, s38, 0
	v_min_u32_e32 v3, s7, v146
	v_lshl_add_u64 v[0:1], v[0:1], 3, s[36:37]
	v_lshlrev_b32_e32 v4, 3, v3
	v_mov_b32_e32 v5, 0
	v_lshl_add_u64 v[0:1], v[0:1], 0, v[4:5]
	global_load_dwordx2 v[0:1], v[0:1], off
	s_waitcnt vmcnt(0)
	v_mul_f64 v[0:1], s[28:29], v[0:1]
.LBB177_8:
	s_or_saveexec_b64 s[4:5], s[4:5]
	v_mov_b32_e32 v3, s7
	s_xor_b64 exec, exec, s[4:5]
; %bb.9:
	v_mov_b32_e32 v0, 0x7fefffff
	v_cndmask_b32_e64 v1, 0, v0, s[2:3]
	v_cndmask_b32_e64 v0, 0, -1, s[2:3]
	s_add_i32 s2, s22, -1
	v_mov_b32_e32 v3, s2
; %bb.10:
	s_or_b64 exec, exec, s[4:5]
	s_load_dword s23, s[0:1], 0x38
	v_lshrrev_b32_e32 v147, 6, v2
	v_and_b32_e32 v13, 63, v2
	s_lshl_b32 s33, s6, 8
	v_min_i32_e32 v2, v147, v3
	v_or_b32_e32 v128, s33, v13
	s_waitcnt lgkmcnt(0)
	v_mad_i64_i32 v[2:3], s[2:3], v2, s23, 0
	v_cmp_le_i32_e64 s[10:11], s22, v147
	v_cmp_le_i32_e64 s[2:3], s21, v128
	v_mov_b32_e32 v4, 0x7fefffff
	s_or_b64 s[4:5], s[2:3], s[10:11]
	v_lshl_add_u64 v[10:11], v[2:3], 3, s[30:31]
	v_cndmask_b32_e64 v3, 0, v4, s[4:5]
	s_nor_b64 s[6:7], s[34:35], s[4:5]
	v_cndmask_b32_e64 v2, 0, -1, s[4:5]
	v_ashrrev_i32_e32 v129, 31, v128
	s_and_saveexec_b64 s[4:5], s[6:7]
	s_cbranch_execz .LBB177_12
; %bb.11:
	v_lshl_add_u64 v[2:3], v[128:129], 3, v[10:11]
	global_load_dwordx2 v[2:3], v[2:3], off
	s_waitcnt vmcnt(0)
	v_mul_f64 v[2:3], s[28:29], v[2:3]
.LBB177_12:
	s_or_b64 exec, exec, s[4:5]
	v_or_b32_e32 v5, 64, v128
	v_cmp_le_i32_e64 s[4:5], s21, v5
	s_or_b64 s[6:7], s[4:5], s[10:11]
	v_cndmask_b32_e64 v5, 0, v4, s[6:7]
	s_nor_b64 s[8:9], s[34:35], s[6:7]
	v_cndmask_b32_e64 v4, 0, -1, s[6:7]
	s_and_saveexec_b64 s[6:7], s[8:9]
	s_cbranch_execz .LBB177_14
; %bb.13:
	v_lshl_add_u64 v[4:5], v[128:129], 3, v[10:11]
	global_load_dwordx2 v[4:5], v[4:5], off offset:512
	s_waitcnt vmcnt(0)
	v_mul_f64 v[4:5], s[28:29], v[4:5]
.LBB177_14:
	s_or_b64 exec, exec, s[6:7]
	v_or_b32_e32 v6, 0x80, v128
	v_cmp_le_i32_e64 s[6:7], s21, v6
	v_mov_b32_e32 v8, 0x7fefffff
	s_or_b64 s[8:9], s[6:7], s[10:11]
	v_cndmask_b32_e64 v7, 0, v8, s[8:9]
	s_nor_b64 s[12:13], s[34:35], s[8:9]
	v_cndmask_b32_e64 v6, 0, -1, s[8:9]
	s_and_saveexec_b64 s[8:9], s[12:13]
	s_cbranch_execz .LBB177_16
; %bb.15:
	v_lshl_add_u64 v[6:7], v[128:129], 3, v[10:11]
	global_load_dwordx2 v[6:7], v[6:7], off offset:1024
	s_waitcnt vmcnt(0)
	v_mul_f64 v[6:7], s[28:29], v[6:7]
.LBB177_16:
	s_or_b64 exec, exec, s[8:9]
	v_or_b32_e32 v9, 0xc0, v128
	v_cmp_le_i32_e64 s[8:9], s21, v9
	s_or_b64 s[10:11], s[8:9], s[10:11]
	v_cndmask_b32_e64 v9, 0, v8, s[10:11]
	s_nor_b64 s[12:13], s[34:35], s[10:11]
	v_cndmask_b32_e64 v8, 0, -1, s[10:11]
	s_and_saveexec_b64 s[10:11], s[12:13]
	s_cbranch_execz .LBB177_18
; %bb.17:
	v_lshl_add_u64 v[8:9], v[128:129], 3, v[10:11]
	global_load_dwordx2 v[8:9], v[8:9], off offset:1536
	s_waitcnt vmcnt(0)
	v_mul_f64 v[8:9], s[28:29], v[8:9]
.LBB177_18:
	s_or_b64 exec, exec, s[10:11]
	v_or_b32_e32 v10, 4, v146
	v_cmp_le_i32_e64 s[10:11], s22, v10
	s_or_b64 s[10:11], s[10:11], vcc
	s_nor_b64 s[12:13], s[34:35], s[10:11]
                                        ; implicit-def: $vgpr100_vgpr101
                                        ; implicit-def: $sgpr39
	s_and_saveexec_b64 s[40:41], s[12:13]
	s_xor_b64 s[12:13], exec, s[40:41]
	s_cbranch_execz .LBB177_20
; %bb.19:
	s_add_i32 s39, s22, -1
	v_mad_i64_i32 v[14:15], s[40:41], v110, s38, 0
	v_min_u32_e32 v10, s39, v10
	v_lshl_add_u64 v[14:15], v[14:15], 3, s[36:37]
	v_lshlrev_b32_e32 v10, 3, v10
	v_mov_b32_e32 v11, 0
	v_lshl_add_u64 v[10:11], v[14:15], 0, v[10:11]
	global_load_dwordx2 v[10:11], v[10:11], off
	s_waitcnt vmcnt(0)
	v_mul_f64 v[100:101], s[28:29], v[10:11]
.LBB177_20:
	s_or_saveexec_b64 s[12:13], s[12:13]
	v_mov_b32_e32 v10, s39
	s_xor_b64 exec, exec, s[12:13]
; %bb.21:
	v_mov_b32_e32 v10, 0x7fefffff
	v_cndmask_b32_e64 v101, 0, v10, s[10:11]
	v_cndmask_b32_e64 v100, 0, -1, s[10:11]
	s_add_i32 s10, s22, -1
	v_mov_b32_e32 v10, s10
; %bb.22:
	s_or_b64 exec, exec, s[12:13]
	v_add_u32_e32 v11, 4, v147
	v_min_i32_e32 v10, v11, v10
	v_cmp_le_i32_e64 s[10:11], s22, v11
	v_mad_i64_i32 v[10:11], s[12:13], v10, s23, 0
	v_mov_b32_e32 v14, 0x7fefffff
	s_or_b64 s[12:13], s[2:3], s[10:11]
	v_lshl_add_u64 v[10:11], v[10:11], 3, s[30:31]
	v_cndmask_b32_e64 v103, 0, v14, s[12:13]
	s_nor_b64 s[40:41], s[34:35], s[12:13]
	v_cndmask_b32_e64 v102, 0, -1, s[12:13]
	s_and_saveexec_b64 s[12:13], s[40:41]
	s_cbranch_execz .LBB177_24
; %bb.23:
	v_lshl_add_u64 v[16:17], v[128:129], 3, v[10:11]
	global_load_dwordx2 v[16:17], v[16:17], off
	s_waitcnt vmcnt(0)
	v_mul_f64 v[102:103], s[28:29], v[16:17]
.LBB177_24:
	s_or_b64 exec, exec, s[12:13]
	s_or_b64 s[12:13], s[4:5], s[10:11]
	v_cndmask_b32_e64 v105, 0, v14, s[12:13]
	s_nor_b64 s[40:41], s[34:35], s[12:13]
	v_cndmask_b32_e64 v104, 0, -1, s[12:13]
	s_and_saveexec_b64 s[12:13], s[40:41]
	s_cbranch_execz .LBB177_26
; %bb.25:
	v_lshl_add_u64 v[14:15], v[128:129], 3, v[10:11]
	global_load_dwordx2 v[14:15], v[14:15], off offset:512
	s_waitcnt vmcnt(0)
	v_mul_f64 v[104:105], s[28:29], v[14:15]
.LBB177_26:
	s_or_b64 exec, exec, s[12:13]
	v_mov_b32_e32 v14, 0x7fefffff
	s_or_b64 s[12:13], s[6:7], s[10:11]
	v_cndmask_b32_e64 v107, 0, v14, s[12:13]
	s_nor_b64 s[40:41], s[34:35], s[12:13]
	v_cndmask_b32_e64 v106, 0, -1, s[12:13]
	s_and_saveexec_b64 s[12:13], s[40:41]
	s_cbranch_execz .LBB177_28
; %bb.27:
	v_lshl_add_u64 v[16:17], v[128:129], 3, v[10:11]
	global_load_dwordx2 v[16:17], v[16:17], off offset:1024
	s_waitcnt vmcnt(0)
	v_mul_f64 v[106:107], s[28:29], v[16:17]
.LBB177_28:
	s_or_b64 exec, exec, s[12:13]
	s_or_b64 s[10:11], s[8:9], s[10:11]
	v_cndmask_b32_e64 v109, 0, v14, s[10:11]
	s_nor_b64 s[12:13], s[34:35], s[10:11]
	v_cndmask_b32_e64 v108, 0, -1, s[10:11]
	s_and_saveexec_b64 s[10:11], s[12:13]
	s_cbranch_execz .LBB177_30
; %bb.29:
	v_lshl_add_u64 v[10:11], v[128:129], 3, v[10:11]
	global_load_dwordx2 v[10:11], v[10:11], off offset:1536
	s_waitcnt vmcnt(0)
	v_mul_f64 v[108:109], s[28:29], v[10:11]
.LBB177_30:
	s_or_b64 exec, exec, s[10:11]
	v_lshlrev_b32_e32 v10, 3, v146
	v_lshl_or_b32 v111, v12, 5, v10
	ds_write_b64 v111, v[0:1] offset:16384
	v_lshlrev_b32_e32 v0, 5, v13
	v_lshl_add_u32 v165, v147, 3, v0
	v_lshlrev_b32_e32 v159, 5, v144
	ds_write2st64_b64 v165, v[2:3], v[4:5] offset1:4
	ds_write2st64_b64 v165, v[6:7], v[8:9] offset0:8 offset1:12
	s_waitcnt lgkmcnt(0)
	s_barrier
	v_lshlrev_b32_e32 v158, 5, v145
	ds_read_b128 v[32:35], v159 offset:16640
	ds_read_b128 v[28:31], v159 offset:16896
	;; [unrolled: 1-line block ×13, first 2 shown]
	ds_read_b128 v[96:99], v158
	ds_read_b128 v[44:47], v158 offset:6144
	ds_read_b128 v[36:39], v158 offset:7168
	;; [unrolled: 1-line block ×4, first 2 shown]
	s_waitcnt lgkmcnt(5)
	v_add_f64 v[114:115], v[42:43], v[94:95]
	v_add_f64 v[116:117], v[40:41], v[92:93]
	s_mov_b32 s10, 0x7f800000
	v_cvt_f32_f64_e32 v113, v[116:117]
	v_cvt_f32_f64_e32 v114, v[114:115]
	v_min3_f32 v179, v113, v114, s10
	v_add_f64 v[114:115], v[34:35], v[94:95]
	v_add_f64 v[116:117], v[32:33], v[92:93]
	v_cvt_f32_f64_e32 v113, v[116:117]
	v_cvt_f32_f64_e32 v114, v[114:115]
	v_min3_f32 v180, v113, v114, s10
	v_add_f64 v[114:115], v[30:31], v[94:95]
	v_add_f64 v[116:117], v[28:29], v[92:93]
	;; [unrolled: 5-line block ×34, first 2 shown]
	v_cvt_f32_f64_e32 v113, v[116:117]
	v_cvt_f32_f64_e32 v114, v[114:115]
	v_min3_f32 v119, v113, v114, s10
	s_waitcnt lgkmcnt(3)
	v_add_f64 v[114:115], v[42:43], v[46:47]
	v_add_f64 v[168:169], v[40:41], v[44:45]
	v_cvt_f32_f64_e32 v113, v[168:169]
	v_cvt_f32_f64_e32 v114, v[114:115]
	v_min3_f32 v125, v113, v114, s10
	v_add_f64 v[114:115], v[34:35], v[46:47]
	v_add_f64 v[168:169], v[32:33], v[44:45]
	v_cvt_f32_f64_e32 v113, v[168:169]
	v_cvt_f32_f64_e32 v114, v[114:115]
	v_min3_f32 v122, v113, v114, s10
	v_add_f64 v[114:115], v[30:31], v[46:47]
	v_add_f64 v[168:169], v[28:29], v[44:45]
	v_cvt_f32_f64_e32 v113, v[168:169]
	v_cvt_f32_f64_e32 v114, v[114:115]
	v_add_f64 v[56:57], v[42:43], v[98:99]
	v_add_f64 v[58:59], v[40:41], v[96:97]
	v_min3_f32 v120, v113, v114, s10
	v_add_f64 v[114:115], v[26:27], v[46:47]
	v_add_f64 v[168:169], v[24:25], v[44:45]
	v_cvt_f32_f64_e32 v58, v[58:59]
	v_cvt_f32_f64_e32 v56, v[56:57]
	;; [unrolled: 1-line block ×4, first 2 shown]
	v_min3_f32 v112, v58, v56, s10
	ds_read_b128 v[56:59], v159 offset:16656
	v_add_f64 v[60:61], v[34:35], v[98:99]
	v_add_f64 v[62:63], v[32:33], v[96:97]
	v_min3_f32 v118, v113, v114, s10
	v_add_f64 v[114:115], v[22:23], v[46:47]
	v_add_f64 v[168:169], v[20:21], v[44:45]
	v_cvt_f32_f64_e32 v62, v[62:63]
	v_cvt_f32_f64_e32 v60, v[60:61]
	;; [unrolled: 1-line block ×4, first 2 shown]
	v_add_f64 v[168:169], v[16:17], v[44:45]
	v_min3_f32 v172, v62, v60, s10
	ds_read_b128 v[60:63], v159 offset:16912
	v_add_f64 v[64:65], v[30:31], v[98:99]
	v_add_f64 v[66:67], v[28:29], v[96:97]
	;; [unrolled: 1-line block ×22, first 2 shown]
	v_min3_f32 v116, v113, v114, s10
	v_add_f64 v[114:115], v[18:19], v[46:47]
	v_cvt_f32_f64_e32 v113, v[168:169]
	v_add_f64 v[168:169], v[14:15], v[46:47]
	v_add_f64 v[170:171], v[12:13], v[44:45]
	;; [unrolled: 1-line block ×4, first 2 shown]
	s_waitcnt lgkmcnt(4)
	v_add_f64 v[14:15], v[14:15], v[38:39]
	v_add_f64 v[12:13], v[12:13], v[36:37]
	;; [unrolled: 1-line block ×4, first 2 shown]
	v_cvt_f32_f64_e32 v66, v[66:67]
	v_cvt_f32_f64_e32 v64, v[64:65]
	;; [unrolled: 1-line block ×7, first 2 shown]
	s_waitcnt lgkmcnt(2)
	v_add_f64 v[10:11], v[2:3], v[6:7]
	v_add_f64 v[14:15], v[0:1], v[4:5]
	v_min3_f32 v173, v66, v64, s10
	ds_read_b128 v[64:67], v159 offset:17168
	v_min3_f32 v115, v113, v114, s10
	v_cvt_f32_f64_e32 v113, v[170:171]
	v_cvt_f32_f64_e32 v114, v[168:169]
	;; [unrolled: 1-line block ×4, first 2 shown]
	v_min3_f32 v8, v8, v9, s10
	v_cvt_f32_f64_e32 v9, v[14:15]
	v_cvt_f32_f64_e32 v10, v[10:11]
	;; [unrolled: 1-line block ×4, first 2 shown]
	v_min3_f32 v114, v113, v114, s10
	v_min3_f32 v113, v44, v45, s10
	ds_read_b128 v[44:47], v158 offset:7184
	v_min3_f32 v221, v9, v10, v112
	s_waitcnt lgkmcnt(3)
	v_add_f64 v[10:11], v[58:59], v[6:7]
	v_add_f64 v[14:15], v[56:57], v[4:5]
	v_min3_f32 v174, v70, v68, s10
	ds_read_b128 v[68:71], v159 offset:17424
	v_cvt_f32_f64_e32 v9, v[14:15]
	v_cvt_f32_f64_e32 v10, v[10:11]
	;; [unrolled: 1-line block ×4, first 2 shown]
	v_min3_f32 v220, v9, v10, v172
	s_waitcnt lgkmcnt(3)
	v_add_f64 v[10:11], v[62:63], v[6:7]
	v_add_f64 v[14:15], v[60:61], v[4:5]
	v_min3_f32 v175, v74, v72, s10
	ds_read_b128 v[72:75], v159 offset:17680
	v_cvt_f32_f64_e32 v9, v[14:15]
	v_cvt_f32_f64_e32 v10, v[10:11]
	;; [unrolled: 1-line block ×6, first 2 shown]
	v_min3_f32 v219, v9, v10, v173
	s_waitcnt lgkmcnt(3)
	v_add_f64 v[10:11], v[66:67], v[6:7]
	v_add_f64 v[14:15], v[64:65], v[4:5]
	v_min3_f32 v176, v78, v76, s10
	ds_read_b128 v[76:79], v159 offset:17936
	v_min3_f32 v177, v82, v80, s10
	ds_read_b128 v[80:83], v159 offset:18192
	v_cvt_f32_f64_e32 v9, v[14:15]
	v_cvt_f32_f64_e32 v10, v[10:11]
	;; [unrolled: 1-line block ×4, first 2 shown]
	v_min3_f32 v218, v9, v10, v174
	s_waitcnt lgkmcnt(3)
	v_add_f64 v[10:11], v[70:71], v[6:7]
	v_add_f64 v[14:15], v[68:69], v[4:5]
	v_min3_f32 v178, v96, v97, s10
	ds_read_b128 v[96:99], v158 offset:1040
	v_cvt_f32_f64_e32 v9, v[14:15]
	v_cvt_f32_f64_e32 v10, v[10:11]
	v_min3_f32 v216, v9, v10, v175
	s_waitcnt lgkmcnt(3)
	v_add_f64 v[10:11], v[74:75], v[6:7]
	v_add_f64 v[14:15], v[72:73], v[4:5]
	v_cvt_f32_f64_e32 v9, v[14:15]
	v_cvt_f32_f64_e32 v10, v[10:11]
	v_min3_f32 v209, v9, v10, v176
	s_waitcnt lgkmcnt(2)
	v_add_f64 v[10:11], v[78:79], v[6:7]
	v_add_f64 v[14:15], v[76:77], v[4:5]
	s_waitcnt lgkmcnt(1)
	v_add_f64 v[6:7], v[82:83], v[6:7]
	v_add_f64 v[4:5], v[80:81], v[4:5]
	v_cvt_f32_f64_e32 v92, v[92:93]
	v_cvt_f32_f64_e32 v93, v[94:95]
	;; [unrolled: 1-line block ×4, first 2 shown]
	v_min3_f32 v154, v92, v93, s10
	ds_read_b128 v[92:95], v158 offset:2064
	v_min3_f32 v207, v4, v5, v178
	s_waitcnt lgkmcnt(1)
	v_add_f64 v[4:5], v[2:3], v[98:99]
	v_add_f64 v[6:7], v[0:1], v[96:97]
	v_cvt_f32_f64_e32 v6, v[6:7]
	v_cvt_f32_f64_e32 v4, v[4:5]
	v_min3_f32 v206, v6, v4, v179
	v_add_f64 v[4:5], v[58:59], v[98:99]
	v_add_f64 v[6:7], v[56:57], v[96:97]
	v_cvt_f32_f64_e32 v6, v[6:7]
	v_cvt_f32_f64_e32 v4, v[4:5]
	v_min3_f32 v205, v6, v4, v180
	;; [unrolled: 5-line block ×8, first 2 shown]
	s_waitcnt lgkmcnt(0)
	v_add_f64 v[4:5], v[2:3], v[94:95]
	v_add_f64 v[6:7], v[0:1], v[92:93]
	v_cvt_f32_f64_e32 v6, v[6:7]
	v_cvt_f32_f64_e32 v4, v[4:5]
	v_min3_f32 v198, v6, v4, v164
	v_add_f64 v[4:5], v[58:59], v[94:95]
	v_add_f64 v[6:7], v[56:57], v[92:93]
	v_cvt_f32_f64_e32 v6, v[6:7]
	v_cvt_f32_f64_e32 v4, v[4:5]
	v_min3_f32 v197, v6, v4, v162
	;; [unrolled: 5-line block ×4, first 2 shown]
	v_add_f64 v[4:5], v[70:71], v[94:95]
	v_add_f64 v[6:7], v[68:69], v[92:93]
	v_cvt_f32_f64_e32 v6, v[6:7]
	v_cvt_f32_f64_e32 v4, v[4:5]
	;; [unrolled: 1-line block ×4, first 2 shown]
	v_min3_f32 v194, v6, v4, v153
	v_add_f64 v[4:5], v[74:75], v[94:95]
	v_add_f64 v[6:7], v[72:73], v[92:93]
	v_min3_f32 v142, v88, v89, s10
	ds_read_b128 v[88:91], v158 offset:3088
	v_cvt_f32_f64_e32 v6, v[6:7]
	v_cvt_f32_f64_e32 v4, v[4:5]
	v_min3_f32 v193, v6, v4, v151
	v_add_f64 v[4:5], v[78:79], v[94:95]
	v_add_f64 v[6:7], v[76:77], v[92:93]
	v_cvt_f32_f64_e32 v6, v[6:7]
	v_cvt_f32_f64_e32 v4, v[4:5]
	v_min3_f32 v192, v6, v4, v149
	v_add_f64 v[4:5], v[82:83], v[94:95]
	v_add_f64 v[6:7], v[80:81], v[92:93]
	v_cvt_f32_f64_e32 v84, v[84:85]
	v_cvt_f32_f64_e32 v85, v[86:87]
	v_cvt_f32_f64_e32 v6, v[6:7]
	v_cvt_f32_f64_e32 v4, v[4:5]
	v_min3_f32 v134, v84, v85, s10
	ds_read_b128 v[84:87], v158 offset:4112
	v_min3_f32 v191, v6, v4, v142
	s_waitcnt lgkmcnt(1)
	v_add_f64 v[4:5], v[2:3], v[90:91]
	v_add_f64 v[6:7], v[0:1], v[88:89]
	v_cvt_f32_f64_e32 v6, v[6:7]
	v_cvt_f32_f64_e32 v4, v[4:5]
	v_min3_f32 v190, v6, v4, v155
	v_add_f64 v[4:5], v[58:59], v[90:91]
	v_add_f64 v[6:7], v[56:57], v[88:89]
	v_cvt_f32_f64_e32 v6, v[6:7]
	v_cvt_f32_f64_e32 v4, v[4:5]
	v_min3_f32 v189, v6, v4, v152
	;; [unrolled: 5-line block ×8, first 2 shown]
	s_waitcnt lgkmcnt(0)
	v_add_f64 v[4:5], v[2:3], v[86:87]
	v_add_f64 v[6:7], v[0:1], v[84:85]
	v_cvt_f32_f64_e32 v6, v[6:7]
	v_cvt_f32_f64_e32 v4, v[4:5]
	v_min3_f32 v182, v6, v4, v143
	v_add_f64 v[4:5], v[58:59], v[86:87]
	v_add_f64 v[6:7], v[56:57], v[84:85]
	v_cvt_f32_f64_e32 v6, v[6:7]
	v_cvt_f32_f64_e32 v4, v[4:5]
	v_min3_f32 v181, v6, v4, v140
	;; [unrolled: 5-line block ×4, first 2 shown]
	v_add_f64 v[4:5], v[70:71], v[86:87]
	v_add_f64 v[6:7], v[68:69], v[84:85]
	v_cvt_f32_f64_e32 v6, v[6:7]
	v_cvt_f32_f64_e32 v4, v[4:5]
	;; [unrolled: 1-line block ×4, first 2 shown]
	v_min3_f32 v178, v6, v4, v133
	v_add_f64 v[4:5], v[74:75], v[86:87]
	v_add_f64 v[6:7], v[72:73], v[84:85]
	v_min3_f32 v124, v52, v53, s10
	ds_read_b128 v[52:55], v158 offset:5136
	v_cvt_f32_f64_e32 v9, v[14:15]
	v_cvt_f32_f64_e32 v10, v[10:11]
	;; [unrolled: 1-line block ×4, first 2 shown]
	v_min3_f32 v208, v9, v10, v177
	v_min3_f32 v177, v6, v4, v131
	v_add_f64 v[4:5], v[78:79], v[86:87]
	v_add_f64 v[6:7], v[76:77], v[84:85]
	v_cvt_f32_f64_e32 v6, v[6:7]
	v_cvt_f32_f64_e32 v4, v[4:5]
	v_min3_f32 v176, v6, v4, v127
	v_add_f64 v[4:5], v[82:83], v[86:87]
	v_add_f64 v[6:7], v[80:81], v[84:85]
	v_cvt_f32_f64_e32 v48, v[48:49]
	v_cvt_f32_f64_e32 v49, v[50:51]
	v_cvt_f32_f64_e32 v6, v[6:7]
	v_cvt_f32_f64_e32 v4, v[4:5]
	v_min3_f32 v117, v48, v49, s10
	ds_read_b128 v[48:51], v158 offset:6160
	v_min3_f32 v175, v6, v4, v124
	s_waitcnt lgkmcnt(1)
	v_add_f64 v[4:5], v[2:3], v[54:55]
	v_add_f64 v[6:7], v[0:1], v[52:53]
	v_cvt_f32_f64_e32 v6, v[6:7]
	v_cvt_f32_f64_e32 v4, v[4:5]
	v_min3_f32 v174, v6, v4, v135
	v_add_f64 v[4:5], v[58:59], v[54:55]
	v_add_f64 v[6:7], v[56:57], v[52:53]
	v_cvt_f32_f64_e32 v6, v[6:7]
	v_cvt_f32_f64_e32 v4, v[4:5]
	v_min3_f32 v173, v6, v4, v132
	;; [unrolled: 5-line block ×7, first 2 shown]
	v_add_f64 v[4:5], v[82:83], v[54:55]
	v_add_f64 v[6:7], v[80:81], v[52:53]
	;; [unrolled: 1-line block ×4, first 2 shown]
	v_cvt_f32_f64_e32 v6, v[6:7]
	v_cvt_f32_f64_e32 v4, v[4:5]
	;; [unrolled: 1-line block ×4, first 2 shown]
	v_min3_f32 v167, v6, v4, v117
	s_waitcnt lgkmcnt(0)
	v_add_f64 v[4:5], v[2:3], v[50:51]
	v_add_f64 v[6:7], v[0:1], v[48:49]
	;; [unrolled: 1-line block ×4, first 2 shown]
	v_min3_f32 v40, v40, v41, s10
	v_add_f64 v[34:35], v[34:35], v[38:39]
	v_add_f64 v[32:33], v[32:33], v[36:37]
	v_cvt_f32_f64_e32 v6, v[6:7]
	v_cvt_f32_f64_e32 v4, v[4:5]
	v_cvt_f32_f64_e32 v0, v[0:1]
	v_cvt_f32_f64_e32 v1, v[2:3]
	v_cvt_f32_f64_e32 v32, v[32:33]
	v_cvt_f32_f64_e32 v33, v[34:35]
	v_min3_f32 v166, v6, v4, v125
	v_add_f64 v[4:5], v[58:59], v[50:51]
	v_add_f64 v[6:7], v[56:57], v[48:49]
	v_min3_f32 v155, v0, v1, v40
	v_add_f64 v[0:1], v[58:59], v[46:47]
	v_add_f64 v[2:3], v[56:57], v[44:45]
	v_min3_f32 v32, v32, v33, s10
	v_add_f64 v[30:31], v[30:31], v[38:39]
	v_add_f64 v[28:29], v[28:29], v[36:37]
	v_cvt_f32_f64_e32 v6, v[6:7]
	v_cvt_f32_f64_e32 v4, v[4:5]
	v_cvt_f32_f64_e32 v2, v[2:3]
	v_cvt_f32_f64_e32 v0, v[0:1]
	v_cvt_f32_f64_e32 v28, v[28:29]
	v_cvt_f32_f64_e32 v29, v[30:31]
	v_min3_f32 v164, v6, v4, v122
	v_add_f64 v[4:5], v[62:63], v[50:51]
	v_add_f64 v[6:7], v[60:61], v[48:49]
	v_min3_f32 v154, v2, v0, v32
	v_add_f64 v[0:1], v[62:63], v[46:47]
	v_add_f64 v[2:3], v[60:61], v[44:45]
	;; [unrolled: 15-line block ×5, first 2 shown]
	v_min3_f32 v16, v16, v17, s10
	v_cvt_f32_f64_e32 v6, v[6:7]
	v_cvt_f32_f64_e32 v4, v[4:5]
	;; [unrolled: 1-line block ×4, first 2 shown]
	v_min3_f32 v160, v6, v4, v115
	v_add_f64 v[4:5], v[78:79], v[50:51]
	v_add_f64 v[6:7], v[76:77], v[48:49]
	v_min3_f32 v150, v2, v0, v16
	v_add_f64 v[0:1], v[78:79], v[46:47]
	v_add_f64 v[2:3], v[76:77], v[44:45]
	v_min3_f32 v12, v12, v13, s10
	v_cvt_f32_f64_e32 v6, v[6:7]
	v_cvt_f32_f64_e32 v4, v[4:5]
	;; [unrolled: 1-line block ×4, first 2 shown]
	v_min3_f32 v157, v6, v4, v114
	v_add_f64 v[4:5], v[82:83], v[50:51]
	v_add_f64 v[6:7], v[80:81], v[48:49]
	v_min3_f32 v149, v2, v0, v12
	v_add_f64 v[0:1], v[82:83], v[46:47]
	v_add_f64 v[2:3], v[80:81], v[44:45]
	v_cvt_f32_f64_e32 v6, v[6:7]
	v_cvt_f32_f64_e32 v4, v[4:5]
	;; [unrolled: 1-line block ×4, first 2 shown]
	v_min3_f32 v156, v6, v4, v113
	v_min3_f32 v148, v2, v0, v8
	s_cmp_lt_i32 s22, 9
	ds_write_b64 v111, v[100:101] offset:18432
	ds_write2st64_b64 v165, v[102:103], v[104:105] offset0:16 offset1:20
	ds_write2st64_b64 v165, v[106:107], v[108:109] offset0:24 offset1:28
	s_waitcnt lgkmcnt(0)
	s_barrier
	s_cbranch_scc1 .LBB177_57
; %bb.31:
	v_mov_b32_e32 v0, 0x4800
	v_lshl_add_u32 v214, v144, 5, v0
	v_mov_b32_e32 v0, 0x2000
	v_and_b32_e32 v2, 3, v144
	v_lshl_add_u32 v215, v145, 5, v0
	v_mad_i64_i32 v[0:1], s[10:11], s38, v110, 0
	v_lshlrev_b32_e32 v2, 3, v2
	v_mov_b32_e32 v3, 0
	v_lshl_add_u64 v[0:1], v[0:1], 3, v[2:3]
	v_lshl_add_u64 v[0:1], s[36:37], 0, v[0:1]
	v_add_u32_e32 v210, 0x4000, v111
	v_add_u32_e32 v211, 0x4000, v159
	;; [unrolled: 1-line block ×4, first 2 shown]
	s_add_i32 s39, s22, -8
	s_add_i32 s40, s22, -1
	v_lshl_add_u64 v[130:131], v[0:1], 0, 64
	s_mov_b32 s36, 0
	v_mov_b32_e32 v217, 0x7fefffff
	s_branch .LBB177_33
.LBB177_32:                             ;   in Loop: Header=BB177_33 Depth=1
	s_or_b64 exec, exec, s[10:11]
	v_add_f64 v[142:143], v[98:99], v[126:127]
	v_add_f64 v[222:223], v[96:97], v[124:125]
	v_cvt_f32_f64_e32 v222, v[222:223]
	v_cvt_f32_f64_e32 v142, v[142:143]
	v_min3_f32 v224, v222, v142, v221
	v_add_f64 v[142:143], v[94:95], v[126:127]
	v_add_f64 v[222:223], v[92:93], v[124:125]
	v_cvt_f32_f64_e32 v221, v[222:223]
	v_cvt_f32_f64_e32 v142, v[142:143]
	v_min3_f32 v222, v221, v142, v220
	;; [unrolled: 5-line block ×6, first 2 shown]
	v_add_f64 v[142:143], v[70:71], v[126:127]
	v_add_f64 v[218:219], v[68:69], v[124:125]
	v_add_f64 v[126:127], v[66:67], v[126:127]
	v_add_f64 v[124:125], v[64:65], v[124:125]
	v_cvt_f32_f64_e32 v124, v[124:125]
	v_cvt_f32_f64_e32 v125, v[126:127]
	;; [unrolled: 1-line block ×3, first 2 shown]
	v_min3_f32 v143, v124, v125, v207
	v_add_f64 v[124:125], v[98:99], v[122:123]
	v_add_f64 v[126:127], v[96:97], v[120:121]
	v_cvt_f32_f64_e32 v126, v[126:127]
	v_cvt_f32_f64_e32 v124, v[124:125]
	v_min3_f32 v206, v126, v124, v206
	v_add_f64 v[124:125], v[94:95], v[122:123]
	v_add_f64 v[126:127], v[92:93], v[120:121]
	v_cvt_f32_f64_e32 v126, v[126:127]
	v_cvt_f32_f64_e32 v124, v[124:125]
	;; [unrolled: 5-line block ×6, first 2 shown]
	v_min3_f32 v201, v126, v124, v201
	v_add_f64 v[124:125], v[70:71], v[122:123]
	v_add_f64 v[126:127], v[68:69], v[120:121]
	;; [unrolled: 1-line block ×4, first 2 shown]
	v_cvt_f32_f64_e32 v120, v[120:121]
	v_cvt_f32_f64_e32 v121, v[122:123]
	;; [unrolled: 1-line block ×3, first 2 shown]
	v_min3_f32 v125, v120, v121, v199
	v_add_f64 v[120:121], v[98:99], v[118:119]
	v_add_f64 v[122:123], v[96:97], v[116:117]
	v_cvt_f32_f64_e32 v126, v[126:127]
	v_cvt_f32_f64_e32 v122, v[122:123]
	;; [unrolled: 1-line block ×3, first 2 shown]
	v_min3_f32 v124, v126, v124, v200
	v_min3_f32 v126, v122, v120, v198
	v_add_f64 v[120:121], v[94:95], v[118:119]
	v_add_f64 v[122:123], v[92:93], v[116:117]
	v_cvt_f32_f64_e32 v122, v[122:123]
	v_cvt_f32_f64_e32 v120, v[120:121]
	v_min3_f32 v127, v122, v120, v197
	v_add_f64 v[120:121], v[90:91], v[118:119]
	v_add_f64 v[122:123], v[88:89], v[116:117]
	v_cvt_f32_f64_e32 v122, v[122:123]
	v_cvt_f32_f64_e32 v120, v[120:121]
	;; [unrolled: 5-line block ×5, first 2 shown]
	v_min3_f32 v193, v122, v120, v193
	v_add_f64 v[120:121], v[70:71], v[118:119]
	v_add_f64 v[122:123], v[68:69], v[116:117]
	;; [unrolled: 1-line block ×4, first 2 shown]
	v_cvt_f32_f64_e32 v116, v[116:117]
	v_cvt_f32_f64_e32 v117, v[118:119]
	;; [unrolled: 1-line block ×3, first 2 shown]
	v_min3_f32 v121, v116, v117, v191
	v_add_f64 v[116:117], v[98:99], v[114:115]
	v_add_f64 v[118:119], v[96:97], v[112:113]
	v_cvt_f32_f64_e32 v122, v[122:123]
	v_cvt_f32_f64_e32 v118, v[118:119]
	;; [unrolled: 1-line block ×3, first 2 shown]
	v_min3_f32 v120, v122, v120, v192
	v_min3_f32 v122, v118, v116, v190
	v_add_f64 v[116:117], v[94:95], v[114:115]
	v_add_f64 v[118:119], v[92:93], v[112:113]
	v_cvt_f32_f64_e32 v118, v[118:119]
	v_cvt_f32_f64_e32 v116, v[116:117]
	v_min3_f32 v123, v118, v116, v189
	v_add_f64 v[116:117], v[90:91], v[114:115]
	v_add_f64 v[118:119], v[88:89], v[112:113]
	v_cvt_f32_f64_e32 v118, v[118:119]
	v_cvt_f32_f64_e32 v116, v[116:117]
	v_min3_f32 v188, v118, v116, v188
	v_add_f64 v[116:117], v[82:83], v[114:115]
	v_add_f64 v[118:119], v[80:81], v[112:113]
	v_cvt_f32_f64_e32 v118, v[118:119]
	v_cvt_f32_f64_e32 v116, v[116:117]
	v_min3_f32 v187, v118, v116, v187
	v_add_f64 v[116:117], v[78:79], v[114:115]
	v_add_f64 v[118:119], v[76:77], v[112:113]
	v_cvt_f32_f64_e32 v118, v[118:119]
	v_cvt_f32_f64_e32 v116, v[116:117]
	v_min3_f32 v186, v118, v116, v186
	v_add_f64 v[116:117], v[74:75], v[114:115]
	v_add_f64 v[118:119], v[72:73], v[112:113]
	v_cvt_f32_f64_e32 v118, v[118:119]
	v_cvt_f32_f64_e32 v116, v[116:117]
	v_min3_f32 v185, v118, v116, v185
	v_add_f64 v[116:117], v[70:71], v[114:115]
	v_add_f64 v[118:119], v[68:69], v[112:113]
	v_add_f64 v[114:115], v[66:67], v[114:115]
	v_add_f64 v[112:113], v[64:65], v[112:113]
	v_cvt_f32_f64_e32 v112, v[112:113]
	v_cvt_f32_f64_e32 v113, v[114:115]
	v_min3_f32 v183, v112, v113, v183
	v_add_f64 v[112:113], v[98:99], v[110:111]
	v_add_f64 v[114:115], v[96:97], v[108:109]
	v_cvt_f32_f64_e32 v114, v[114:115]
	v_cvt_f32_f64_e32 v112, v[112:113]
	v_min3_f32 v182, v114, v112, v182
	v_add_f64 v[112:113], v[94:95], v[110:111]
	v_add_f64 v[114:115], v[92:93], v[108:109]
	v_cvt_f32_f64_e32 v114, v[114:115]
	v_cvt_f32_f64_e32 v112, v[112:113]
	v_min3_f32 v181, v114, v112, v181
	v_add_f64 v[112:113], v[90:91], v[110:111]
	v_add_f64 v[114:115], v[88:89], v[108:109]
	v_cvt_f32_f64_e32 v114, v[114:115]
	v_cvt_f32_f64_e32 v112, v[112:113]
	v_min3_f32 v180, v114, v112, v180
	v_add_f64 v[112:113], v[82:83], v[110:111]
	v_add_f64 v[114:115], v[80:81], v[108:109]
	v_cvt_f32_f64_e32 v114, v[114:115]
	v_cvt_f32_f64_e32 v112, v[112:113]
	v_min3_f32 v179, v114, v112, v179
	v_add_f64 v[112:113], v[78:79], v[110:111]
	v_add_f64 v[114:115], v[76:77], v[108:109]
	v_cvt_f32_f64_e32 v114, v[114:115]
	v_cvt_f32_f64_e32 v112, v[112:113]
	v_min3_f32 v178, v114, v112, v178
	v_add_f64 v[112:113], v[74:75], v[110:111]
	v_add_f64 v[114:115], v[72:73], v[108:109]
	v_cvt_f32_f64_e32 v114, v[114:115]
	v_cvt_f32_f64_e32 v112, v[112:113]
	v_min3_f32 v177, v114, v112, v177
	v_add_f64 v[112:113], v[70:71], v[110:111]
	v_add_f64 v[114:115], v[68:69], v[108:109]
	v_add_f64 v[110:111], v[66:67], v[110:111]
	v_add_f64 v[108:109], v[64:65], v[108:109]
	v_cvt_f32_f64_e32 v108, v[108:109]
	v_cvt_f32_f64_e32 v109, v[110:111]
	v_min3_f32 v175, v108, v109, v175
	v_add_f64 v[108:109], v[98:99], v[106:107]
	v_add_f64 v[110:111], v[96:97], v[104:105]
	v_cvt_f32_f64_e32 v110, v[110:111]
	v_cvt_f32_f64_e32 v108, v[108:109]
	;; [unrolled: 37-line block ×3, first 2 shown]
	v_min3_f32 v166, v106, v104, v166
	v_add_f64 v[104:105], v[94:95], v[102:103]
	v_add_f64 v[106:107], v[92:93], v[100:101]
	v_cvt_f32_f64_e32 v106, v[106:107]
	v_cvt_f32_f64_e32 v104, v[104:105]
	v_min3_f32 v164, v106, v104, v164
	v_add_f64 v[104:105], v[90:91], v[102:103]
	v_add_f64 v[106:107], v[88:89], v[100:101]
	v_cvt_f32_f64_e32 v106, v[106:107]
	v_cvt_f32_f64_e32 v104, v[104:105]
	;; [unrolled: 5-line block ×5, first 2 shown]
	v_min3_f32 v191, v106, v104, v160
	v_add_f64 v[104:105], v[70:71], v[102:103]
	v_add_f64 v[106:107], v[68:69], v[100:101]
	;; [unrolled: 1-line block ×8, first 2 shown]
	v_cvt_f32_f64_e32 v76, v[76:77]
	v_cvt_f32_f64_e32 v77, v[78:79]
	;; [unrolled: 1-line block ×4, first 2 shown]
	v_min3_f32 v76, v76, v77, v151
	v_min3_f32 v77, v64, v65, v148
	v_add_f64 v[64:65], v[34:35], v[62:63]
	v_add_f64 v[66:67], v[32:33], v[60:61]
	v_cvt_f32_f64_e32 v66, v[66:67]
	v_cvt_f32_f64_e32 v64, v[64:65]
	v_add_f64 v[70:71], v[70:71], v[86:87]
	v_add_f64 v[68:69], v[68:69], v[84:85]
	v_min3_f32 v198, v66, v64, v224
	v_add_f64 v[64:65], v[30:31], v[62:63]
	v_add_f64 v[66:67], v[28:29], v[60:61]
	;; [unrolled: 1-line block ×4, first 2 shown]
	v_cvt_f32_f64_e32 v68, v[68:69]
	v_cvt_f32_f64_e32 v69, v[70:71]
	;; [unrolled: 1-line block ×6, first 2 shown]
	v_min3_f32 v75, v68, v69, v149
	v_min3_f32 v64, v66, v64, v222
	v_add_f64 v[66:67], v[26:27], v[62:63]
	v_add_f64 v[68:69], v[24:25], v[60:61]
	v_cvt_f32_f64_e32 v65, v[68:69]
	v_cvt_f32_f64_e32 v66, v[66:67]
	v_min3_f32 v65, v65, v66, v223
	v_add_f64 v[66:67], v[18:19], v[62:63]
	v_add_f64 v[68:69], v[16:17], v[60:61]
	v_cvt_f32_f64_e32 v68, v[68:69]
	v_cvt_f32_f64_e32 v66, v[66:67]
	;; [unrolled: 5-line block ×4, first 2 shown]
	v_min3_f32 v74, v72, v73, v150
	v_min3_f32 v68, v70, v68, v209
	v_add_f64 v[70:71], v[6:7], v[62:63]
	v_add_f64 v[72:73], v[4:5], v[60:61]
	v_add_f64 v[62:63], v[2:3], v[62:63]
	v_add_f64 v[60:61], v[0:1], v[60:61]
	v_cvt_f32_f64_e32 v100, v[100:101]
	v_cvt_f32_f64_e32 v101, v[102:103]
	v_cvt_f32_f64_e32 v60, v[60:61]
	v_cvt_f32_f64_e32 v61, v[62:63]
	v_min3_f32 v197, v100, v101, v156
	v_min3_f32 v100, v60, v61, v143
	v_add_f64 v[60:61], v[34:35], v[58:59]
	v_add_f64 v[62:63], v[32:33], v[56:57]
	v_cvt_f32_f64_e32 v62, v[62:63]
	v_cvt_f32_f64_e32 v60, v[60:61]
	v_min3_f32 v101, v62, v60, v206
	v_add_f64 v[60:61], v[30:31], v[58:59]
	v_add_f64 v[62:63], v[28:29], v[56:57]
	v_cvt_f32_f64_e32 v62, v[62:63]
	v_cvt_f32_f64_e32 v60, v[60:61]
	v_min3_f32 v102, v62, v60, v205
	v_add_f64 v[60:61], v[26:27], v[58:59]
	v_add_f64 v[62:63], v[24:25], v[56:57]
	v_cvt_f32_f64_e32 v62, v[62:63]
	v_cvt_f32_f64_e32 v60, v[60:61]
	v_min3_f32 v103, v62, v60, v204
	v_add_f64 v[60:61], v[18:19], v[58:59]
	v_add_f64 v[62:63], v[16:17], v[56:57]
	v_cvt_f32_f64_e32 v106, v[106:107]
	v_cvt_f32_f64_e32 v104, v[104:105]
	v_cvt_f32_f64_e32 v62, v[62:63]
	v_cvt_f32_f64_e32 v60, v[60:61]
	v_min3_f32 v192, v106, v104, v157
	v_min3_f32 v104, v62, v60, v203
	v_add_f64 v[60:61], v[14:15], v[58:59]
	v_add_f64 v[62:63], v[12:13], v[56:57]
	v_cvt_f32_f64_e32 v62, v[62:63]
	v_cvt_f32_f64_e32 v60, v[60:61]
	v_min3_f32 v105, v62, v60, v202
	v_add_f64 v[60:61], v[10:11], v[58:59]
	v_add_f64 v[62:63], v[8:9], v[56:57]
	v_cvt_f32_f64_e32 v62, v[62:63]
	v_cvt_f32_f64_e32 v60, v[60:61]
	v_min3_f32 v106, v62, v60, v201
	v_add_f64 v[60:61], v[6:7], v[58:59]
	v_add_f64 v[62:63], v[4:5], v[56:57]
	v_add_f64 v[58:59], v[2:3], v[58:59]
	v_add_f64 v[56:57], v[0:1], v[56:57]
	v_cvt_f32_f64_e32 v110, v[110:111]
	v_cvt_f32_f64_e32 v108, v[108:109]
	v_cvt_f32_f64_e32 v56, v[56:57]
	v_cvt_f32_f64_e32 v57, v[58:59]
	v_min3_f32 v168, v110, v108, v168
	v_min3_f32 v108, v56, v57, v125
	v_add_f64 v[56:57], v[34:35], v[54:55]
	v_add_f64 v[58:59], v[32:33], v[52:53]
	v_cvt_f32_f64_e32 v58, v[58:59]
	v_cvt_f32_f64_e32 v56, v[56:57]
	v_min3_f32 v109, v58, v56, v126
	v_add_f64 v[56:57], v[30:31], v[54:55]
	v_add_f64 v[58:59], v[28:29], v[52:53]
	v_cvt_f32_f64_e32 v58, v[58:59]
	v_cvt_f32_f64_e32 v56, v[56:57]
	v_min3_f32 v110, v58, v56, v127
	v_add_f64 v[56:57], v[26:27], v[54:55]
	v_add_f64 v[58:59], v[24:25], v[52:53]
	v_cvt_f32_f64_e32 v58, v[58:59]
	v_cvt_f32_f64_e32 v56, v[56:57]
	v_min3_f32 v111, v58, v56, v196
	v_add_f64 v[56:57], v[18:19], v[54:55]
	v_add_f64 v[58:59], v[16:17], v[52:53]
	v_cvt_f32_f64_e32 v114, v[114:115]
	v_cvt_f32_f64_e32 v112, v[112:113]
	v_cvt_f32_f64_e32 v58, v[58:59]
	v_cvt_f32_f64_e32 v56, v[56:57]
	v_min3_f32 v176, v114, v112, v176
	v_min3_f32 v112, v58, v56, v195
	v_add_f64 v[56:57], v[14:15], v[54:55]
	v_add_f64 v[58:59], v[12:13], v[52:53]
	v_cvt_f32_f64_e32 v58, v[58:59]
	v_cvt_f32_f64_e32 v56, v[56:57]
	v_min3_f32 v113, v58, v56, v194
	v_add_f64 v[56:57], v[10:11], v[54:55]
	v_add_f64 v[58:59], v[8:9], v[52:53]
	v_cvt_f32_f64_e32 v58, v[58:59]
	v_cvt_f32_f64_e32 v56, v[56:57]
	;; [unrolled: 43-line block ×3, first 2 shown]
	v_min3_f32 v122, v54, v52, v185
	v_add_f64 v[52:53], v[6:7], v[50:51]
	v_add_f64 v[54:55], v[4:5], v[48:49]
	;; [unrolled: 1-line block ×4, first 2 shown]
	v_cvt_f32_f64_e32 v62, v[62:63]
	v_cvt_f32_f64_e32 v60, v[60:61]
	;; [unrolled: 1-line block ×4, first 2 shown]
	v_min3_f32 v107, v62, v60, v124
	v_min3_f32 v124, v48, v49, v183
	v_add_f64 v[48:49], v[34:35], v[46:47]
	v_add_f64 v[50:51], v[32:33], v[44:45]
	v_cvt_f32_f64_e32 v50, v[50:51]
	v_cvt_f32_f64_e32 v48, v[48:49]
	v_min3_f32 v125, v50, v48, v182
	v_add_f64 v[48:49], v[30:31], v[46:47]
	v_add_f64 v[50:51], v[28:29], v[44:45]
	v_cvt_f32_f64_e32 v50, v[50:51]
	v_cvt_f32_f64_e32 v48, v[48:49]
	;; [unrolled: 5-line block ×3, first 2 shown]
	v_cvt_f32_f64_e32 v218, v[218:219]
	v_min3_f32 v127, v50, v48, v180
	v_add_f64 v[48:49], v[18:19], v[46:47]
	v_add_f64 v[50:51], v[16:17], v[44:45]
	v_min3_f32 v142, v218, v142, v208
	v_cvt_f32_f64_e32 v69, v[72:73]
	v_cvt_f32_f64_e32 v70, v[70:71]
	;; [unrolled: 1-line block ×4, first 2 shown]
	v_min3_f32 v69, v69, v70, v142
	v_min3_f32 v142, v50, v48, v179
	v_add_f64 v[48:49], v[14:15], v[46:47]
	v_add_f64 v[50:51], v[12:13], v[44:45]
	v_cvt_f32_f64_e32 v50, v[50:51]
	v_cvt_f32_f64_e32 v48, v[48:49]
	v_min3_f32 v143, v50, v48, v178
	v_add_f64 v[48:49], v[10:11], v[46:47]
	v_add_f64 v[50:51], v[8:9], v[44:45]
	v_cvt_f32_f64_e32 v50, v[50:51]
	v_cvt_f32_f64_e32 v48, v[48:49]
	v_min3_f32 v148, v50, v48, v177
	v_add_f64 v[48:49], v[6:7], v[46:47]
	v_add_f64 v[50:51], v[4:5], v[44:45]
	;; [unrolled: 1-line block ×4, first 2 shown]
	v_cvt_f32_f64_e32 v44, v[44:45]
	v_cvt_f32_f64_e32 v45, v[46:47]
	v_min3_f32 v150, v44, v45, v175
	v_add_f64 v[44:45], v[34:35], v[42:43]
	v_add_f64 v[46:47], v[32:33], v[40:41]
	v_cvt_f32_f64_e32 v46, v[46:47]
	v_cvt_f32_f64_e32 v44, v[44:45]
	v_add_f64 v[82:83], v[82:83], v[86:87]
	v_add_f64 v[80:81], v[80:81], v[84:85]
	v_min3_f32 v151, v46, v44, v174
	v_add_f64 v[44:45], v[30:31], v[42:43]
	v_add_f64 v[46:47], v[28:29], v[40:41]
	v_cvt_f32_f64_e32 v80, v[80:81]
	v_cvt_f32_f64_e32 v81, v[82:83]
	v_cvt_f32_f64_e32 v46, v[46:47]
	v_cvt_f32_f64_e32 v44, v[44:45]
	v_add_f64 v[90:91], v[90:91], v[86:87]
	v_add_f64 v[88:89], v[88:89], v[84:85]
	v_min3_f32 v80, v80, v81, v152
	v_min3_f32 v152, v46, v44, v173
	v_add_f64 v[44:45], v[26:27], v[42:43]
	v_add_f64 v[46:47], v[24:25], v[40:41]
	v_cvt_f32_f64_e32 v88, v[88:89]
	v_cvt_f32_f64_e32 v89, v[90:91]
	v_cvt_f32_f64_e32 v46, v[46:47]
	v_cvt_f32_f64_e32 v44, v[44:45]
	v_add_f64 v[94:95], v[94:95], v[86:87]
	v_add_f64 v[92:93], v[92:93], v[84:85]
	v_min3_f32 v88, v88, v89, v153
	;; [unrolled: 10-line block ×3, first 2 shown]
	v_min3_f32 v154, v46, v44, v171
	v_add_f64 v[44:45], v[14:15], v[42:43]
	v_add_f64 v[46:47], v[12:13], v[40:41]
	v_cvt_f32_f64_e32 v96, v[96:97]
	v_cvt_f32_f64_e32 v97, v[98:99]
	v_cvt_f32_f64_e32 v46, v[46:47]
	v_cvt_f32_f64_e32 v44, v[44:45]
	v_min3_f32 v96, v96, v97, v155
	v_min3_f32 v155, v46, v44, v170
	v_add_f64 v[44:45], v[10:11], v[42:43]
	v_add_f64 v[46:47], v[8:9], v[40:41]
	v_cvt_f32_f64_e32 v46, v[46:47]
	v_cvt_f32_f64_e32 v44, v[44:45]
	v_min3_f32 v156, v46, v44, v169
	v_add_f64 v[44:45], v[6:7], v[42:43]
	v_add_f64 v[46:47], v[4:5], v[40:41]
	;; [unrolled: 1-line block ×4, first 2 shown]
	v_cvt_f32_f64_e32 v40, v[40:41]
	v_cvt_f32_f64_e32 v41, v[42:43]
	v_min3_f32 v160, v40, v41, v167
	v_add_f64 v[40:41], v[34:35], v[38:39]
	v_add_f64 v[42:43], v[32:33], v[36:37]
	v_cvt_f32_f64_e32 v42, v[42:43]
	v_cvt_f32_f64_e32 v40, v[40:41]
	v_min3_f32 v161, v42, v40, v166
	v_add_f64 v[40:41], v[30:31], v[38:39]
	v_add_f64 v[42:43], v[28:29], v[36:37]
	;; [unrolled: 5-line block ×7, first 2 shown]
	v_add_f64 v[38:39], v[2:3], v[38:39]
	v_add_f64 v[36:37], v[0:1], v[36:37]
	;; [unrolled: 1-line block ×18, first 2 shown]
	v_cvt_f32_f64_e32 v54, v[54:55]
	v_cvt_f32_f64_e32 v52, v[52:53]
	;; [unrolled: 1-line block ×24, first 2 shown]
	v_min3_f32 v123, v54, v52, v184
	v_min3_f32 v149, v50, v48, v176
	;; [unrolled: 1-line block ×12, first 2 shown]
	ds_read_b128 v[36:39], v211 offset:256
	ds_read_b128 v[32:35], v211 offset:512
	;; [unrolled: 1-line block ×12, first 2 shown]
	ds_read_b128 v[96:99], v158
	ds_read_b128 v[48:51], v211
	ds_read_b128 v[72:75], v158 offset:6144
	ds_read_b128 v[24:27], v158 offset:7168
	;; [unrolled: 1-line block ×4, first 2 shown]
	s_waitcnt lgkmcnt(5)
	v_add_f64 v[44:45], v[38:39], v[98:99]
	v_add_f64 v[46:47], v[36:37], v[96:97]
	;; [unrolled: 1-line block ×8, first 2 shown]
	v_cvt_f32_f64_e32 v46, v[46:47]
	v_cvt_f32_f64_e32 v44, v[44:45]
	;; [unrolled: 1-line block ×10, first 2 shown]
	v_min3_f32 v179, v46, v44, v64
	v_min3_f32 v184, v54, v52, v65
	;; [unrolled: 1-line block ×4, first 2 shown]
	v_add_f64 v[64:65], v[18:19], v[98:99]
	v_add_f64 v[66:67], v[16:17], v[96:97]
	v_min3_f32 v168, v42, v40, v192
	s_waitcnt lgkmcnt(4)
	v_add_f64 v[40:41], v[50:51], v[98:99]
	v_add_f64 v[42:43], v[48:49], v[96:97]
	v_cvt_f32_f64_e32 v66, v[66:67]
	v_cvt_f32_f64_e32 v64, v[64:65]
	v_add_f64 v[70:71], v[14:15], v[98:99]
	v_add_f64 v[180:181], v[12:13], v[96:97]
	;; [unrolled: 1-line block ×4, first 2 shown]
	v_min3_f32 v187, v66, v64, v68
	v_cvt_f32_f64_e32 v68, v[180:181]
	v_cvt_f32_f64_e32 v96, v[96:97]
	;; [unrolled: 1-line block ×3, first 2 shown]
	v_add_f64 v[180:181], v[50:51], v[94:95]
	v_add_f64 v[182:183], v[48:49], v[92:93]
	v_min3_f32 v189, v96, v97, v100
	v_cvt_f32_f64_e32 v100, v[182:183]
	v_cvt_f32_f64_e32 v180, v[180:181]
	v_min3_f32 v182, v100, v180, v101
	v_add_f64 v[100:101], v[38:39], v[94:95]
	v_add_f64 v[180:181], v[36:37], v[92:93]
	v_cvt_f32_f64_e32 v180, v[180:181]
	v_cvt_f32_f64_e32 v100, v[100:101]
	v_min3_f32 v183, v180, v100, v102
	v_add_f64 v[100:101], v[34:35], v[94:95]
	v_add_f64 v[180:181], v[32:33], v[92:93]
	;; [unrolled: 5-line block ×34, first 2 shown]
	v_cvt_f32_f64_e32 v102, v[102:103]
	v_cvt_f32_f64_e32 v100, v[100:101]
	v_min3_f32 v157, v102, v100, v157
	s_waitcnt lgkmcnt(3)
	v_add_f64 v[100:101], v[50:51], v[74:75]
	v_add_f64 v[102:103], v[48:49], v[72:73]
	v_cvt_f32_f64_e32 v102, v[102:103]
	v_cvt_f32_f64_e32 v100, v[100:101]
	v_min3_f32 v161, v102, v100, v161
	v_add_f64 v[100:101], v[38:39], v[74:75]
	v_add_f64 v[102:103], v[36:37], v[72:73]
	v_cvt_f32_f64_e32 v102, v[102:103]
	v_cvt_f32_f64_e32 v100, v[100:101]
	v_min3_f32 v162, v102, v100, v162
	v_add_f64 v[100:101], v[34:35], v[74:75]
	v_add_f64 v[102:103], v[32:33], v[72:73]
	v_cvt_f32_f64_e32 v102, v[102:103]
	v_cvt_f32_f64_e32 v100, v[100:101]
	v_min3_f32 v163, v102, v100, v163
	v_add_f64 v[100:101], v[30:31], v[74:75]
	v_add_f64 v[102:103], v[28:29], v[72:73]
	v_cvt_f32_f64_e32 v102, v[102:103]
	v_cvt_f32_f64_e32 v100, v[100:101]
	v_min3_f32 v222, v102, v100, v164
	v_add_f64 v[100:101], v[22:23], v[74:75]
	v_add_f64 v[102:103], v[20:21], v[72:73]
	v_cvt_f32_f64_e32 v102, v[102:103]
	v_cvt_f32_f64_e32 v100, v[100:101]
	;; [unrolled: 1-line block ×4, first 2 shown]
	v_min3_f32 v223, v102, v100, v166
	v_add_f64 v[100:101], v[18:19], v[74:75]
	v_add_f64 v[102:103], v[16:17], v[72:73]
	v_min3_f32 v178, v42, v40, v198
	ds_read_b128 v[40:43], v211 offset:272
	v_cvt_f32_f64_e32 v102, v[102:103]
	v_cvt_f32_f64_e32 v100, v[100:101]
	v_add_f64 v[94:95], v[10:11], v[94:95]
	v_add_f64 v[92:93], v[8:9], v[92:93]
	;; [unrolled: 1-line block ×10, first 2 shown]
	v_min3_f32 v224, v102, v100, v167
	v_add_f64 v[100:101], v[14:15], v[74:75]
	v_add_f64 v[102:103], v[12:13], v[72:73]
	;; [unrolled: 1-line block ×4, first 2 shown]
	s_waitcnt lgkmcnt(3)
	v_add_f64 v[14:15], v[14:15], v[26:27]
	v_add_f64 v[12:13], v[12:13], v[24:25]
	;; [unrolled: 1-line block ×4, first 2 shown]
	ds_read_b128 v[44:47], v211 offset:528
	ds_read_b128 v[52:55], v211 offset:784
	v_cvt_f32_f64_e32 v12, v[12:13]
	v_cvt_f32_f64_e32 v13, v[14:15]
	v_cvt_f32_f64_e32 v8, v[8:9]
	v_cvt_f32_f64_e32 v9, v[10:11]
	v_min3_f32 v12, v12, v13, v176
	v_min3_f32 v13, v8, v9, v177
	s_waitcnt lgkmcnt(3)
	v_add_f64 v[8:9], v[2:3], v[6:7]
	v_add_f64 v[10:11], v[0:1], v[4:5]
	v_cvt_f32_f64_e32 v72, v[72:73]
	v_cvt_f32_f64_e32 v73, v[74:75]
	v_cvt_f32_f64_e32 v10, v[10:11]
	v_cvt_f32_f64_e32 v8, v[8:9]
	v_cvt_f32_f64_e32 v100, v[100:101]
	v_min3_f32 v101, v72, v73, v169
	ds_read_b128 v[72:75], v158 offset:7184
	v_min3_f32 v221, v10, v8, v178
	s_waitcnt lgkmcnt(3)
	v_add_f64 v[8:9], v[42:43], v[6:7]
	v_add_f64 v[10:11], v[40:41], v[4:5]
	ds_read_b128 v[56:59], v211 offset:1040
	ds_read_b128 v[60:63], v211 offset:1296
	v_cvt_f32_f64_e32 v10, v[10:11]
	v_cvt_f32_f64_e32 v8, v[8:9]
	v_min3_f32 v220, v10, v8, v179
	s_waitcnt lgkmcnt(4)
	v_add_f64 v[8:9], v[46:47], v[6:7]
	v_add_f64 v[10:11], v[44:45], v[4:5]
	v_cvt_f32_f64_e32 v10, v[10:11]
	v_cvt_f32_f64_e32 v8, v[8:9]
	;; [unrolled: 1-line block ×3, first 2 shown]
	v_min3_f32 v219, v10, v8, v184
	s_waitcnt lgkmcnt(3)
	v_add_f64 v[8:9], v[54:55], v[6:7]
	v_add_f64 v[10:11], v[52:53], v[4:5]
	ds_read_b128 v[64:67], v211 offset:1552
	v_min3_f32 v188, v68, v70, v69
	ds_read_b128 v[68:71], v211 offset:1808
	v_cvt_f32_f64_e32 v10, v[10:11]
	v_cvt_f32_f64_e32 v8, v[8:9]
	v_min3_f32 v218, v10, v8, v185
	s_waitcnt lgkmcnt(3)
	v_add_f64 v[8:9], v[58:59], v[6:7]
	v_add_f64 v[10:11], v[56:57], v[4:5]
	ds_read_b128 v[96:99], v158 offset:1040
	v_cvt_f32_f64_e32 v10, v[10:11]
	v_cvt_f32_f64_e32 v8, v[8:9]
	v_min3_f32 v216, v10, v8, v186
	s_waitcnt lgkmcnt(3)
	v_add_f64 v[8:9], v[62:63], v[6:7]
	v_add_f64 v[10:11], v[60:61], v[4:5]
	v_cvt_f32_f64_e32 v10, v[10:11]
	v_cvt_f32_f64_e32 v8, v[8:9]
	v_min3_f32 v209, v10, v8, v187
	s_waitcnt lgkmcnt(2)
	v_add_f64 v[8:9], v[66:67], v[6:7]
	v_add_f64 v[10:11], v[64:65], v[4:5]
	s_waitcnt lgkmcnt(1)
	v_add_f64 v[6:7], v[70:71], v[6:7]
	v_add_f64 v[4:5], v[68:69], v[4:5]
	v_cvt_f32_f64_e32 v92, v[92:93]
	v_cvt_f32_f64_e32 v93, v[94:95]
	;; [unrolled: 1-line block ×4, first 2 shown]
	v_min3_f32 v108, v92, v93, v108
	ds_read_b128 v[92:95], v158 offset:2064
	v_min3_f32 v207, v4, v5, v189
	s_waitcnt lgkmcnt(1)
	v_add_f64 v[4:5], v[2:3], v[98:99]
	v_add_f64 v[6:7], v[0:1], v[96:97]
	v_cvt_f32_f64_e32 v6, v[6:7]
	v_cvt_f32_f64_e32 v4, v[4:5]
	v_min3_f32 v206, v6, v4, v182
	v_add_f64 v[4:5], v[42:43], v[98:99]
	v_add_f64 v[6:7], v[40:41], v[96:97]
	v_cvt_f32_f64_e32 v6, v[6:7]
	v_cvt_f32_f64_e32 v4, v[4:5]
	v_min3_f32 v205, v6, v4, v183
	v_add_f64 v[4:5], v[46:47], v[98:99]
	v_add_f64 v[6:7], v[44:45], v[96:97]
	v_cvt_f32_f64_e32 v6, v[6:7]
	v_cvt_f32_f64_e32 v4, v[4:5]
	v_min3_f32 v204, v6, v4, v180
	v_add_f64 v[4:5], v[54:55], v[98:99]
	v_add_f64 v[6:7], v[52:53], v[96:97]
	v_cvt_f32_f64_e32 v6, v[6:7]
	v_cvt_f32_f64_e32 v4, v[4:5]
	v_min3_f32 v203, v6, v4, v104
	v_add_f64 v[4:5], v[58:59], v[98:99]
	v_add_f64 v[6:7], v[56:57], v[96:97]
	v_cvt_f32_f64_e32 v6, v[6:7]
	v_cvt_f32_f64_e32 v4, v[4:5]
	v_min3_f32 v202, v6, v4, v105
	v_add_f64 v[4:5], v[62:63], v[98:99]
	v_add_f64 v[6:7], v[60:61], v[96:97]
	v_cvt_f32_f64_e32 v6, v[6:7]
	v_cvt_f32_f64_e32 v4, v[4:5]
	v_min3_f32 v201, v6, v4, v106
	v_add_f64 v[4:5], v[66:67], v[98:99]
	v_add_f64 v[6:7], v[64:65], v[96:97]
	v_cvt_f32_f64_e32 v6, v[6:7]
	v_cvt_f32_f64_e32 v4, v[4:5]
	v_min3_f32 v200, v6, v4, v107
	v_add_f64 v[4:5], v[70:71], v[98:99]
	v_add_f64 v[6:7], v[68:69], v[96:97]
	v_cvt_f32_f64_e32 v6, v[6:7]
	v_cvt_f32_f64_e32 v4, v[4:5]
	v_min3_f32 v199, v6, v4, v108
	s_waitcnt lgkmcnt(0)
	v_add_f64 v[4:5], v[2:3], v[94:95]
	v_add_f64 v[6:7], v[0:1], v[92:93]
	v_cvt_f32_f64_e32 v6, v[6:7]
	v_cvt_f32_f64_e32 v4, v[4:5]
	v_min3_f32 v198, v6, v4, v109
	v_add_f64 v[4:5], v[42:43], v[94:95]
	v_add_f64 v[6:7], v[40:41], v[92:93]
	v_cvt_f32_f64_e32 v6, v[6:7]
	v_cvt_f32_f64_e32 v4, v[4:5]
	v_min3_f32 v197, v6, v4, v110
	;; [unrolled: 5-line block ×4, first 2 shown]
	v_add_f64 v[4:5], v[58:59], v[94:95]
	v_add_f64 v[6:7], v[56:57], v[92:93]
	v_cvt_f32_f64_e32 v6, v[6:7]
	v_cvt_f32_f64_e32 v4, v[4:5]
	;; [unrolled: 1-line block ×4, first 2 shown]
	v_min3_f32 v194, v6, v4, v113
	v_add_f64 v[4:5], v[62:63], v[94:95]
	v_add_f64 v[6:7], v[60:61], v[92:93]
	v_min3_f32 v116, v88, v89, v116
	ds_read_b128 v[88:91], v158 offset:3088
	v_cvt_f32_f64_e32 v6, v[6:7]
	v_cvt_f32_f64_e32 v4, v[4:5]
	v_min3_f32 v193, v6, v4, v114
	v_add_f64 v[4:5], v[66:67], v[94:95]
	v_add_f64 v[6:7], v[64:65], v[92:93]
	v_cvt_f32_f64_e32 v6, v[6:7]
	v_cvt_f32_f64_e32 v4, v[4:5]
	v_min3_f32 v192, v6, v4, v115
	v_add_f64 v[4:5], v[70:71], v[94:95]
	v_add_f64 v[6:7], v[68:69], v[92:93]
	v_cvt_f32_f64_e32 v84, v[84:85]
	v_cvt_f32_f64_e32 v85, v[86:87]
	;; [unrolled: 1-line block ×4, first 2 shown]
	v_min3_f32 v124, v84, v85, v124
	ds_read_b128 v[84:87], v158 offset:4112
	v_min3_f32 v191, v6, v4, v116
	s_waitcnt lgkmcnt(1)
	v_add_f64 v[4:5], v[2:3], v[90:91]
	v_add_f64 v[6:7], v[0:1], v[88:89]
	v_cvt_f32_f64_e32 v6, v[6:7]
	v_cvt_f32_f64_e32 v4, v[4:5]
	v_min3_f32 v190, v6, v4, v117
	v_add_f64 v[4:5], v[42:43], v[90:91]
	v_add_f64 v[6:7], v[40:41], v[88:89]
	v_cvt_f32_f64_e32 v6, v[6:7]
	v_cvt_f32_f64_e32 v4, v[4:5]
	v_min3_f32 v189, v6, v4, v118
	v_add_f64 v[4:5], v[46:47], v[90:91]
	v_add_f64 v[6:7], v[44:45], v[88:89]
	v_cvt_f32_f64_e32 v10, v[10:11]
	v_cvt_f32_f64_e32 v8, v[8:9]
	;; [unrolled: 1-line block ×4, first 2 shown]
	v_min3_f32 v208, v10, v8, v188
	v_min3_f32 v188, v6, v4, v119
	v_add_f64 v[4:5], v[54:55], v[90:91]
	v_add_f64 v[6:7], v[52:53], v[88:89]
	v_cvt_f32_f64_e32 v6, v[6:7]
	v_cvt_f32_f64_e32 v4, v[4:5]
	v_min3_f32 v187, v6, v4, v120
	v_add_f64 v[4:5], v[58:59], v[90:91]
	v_add_f64 v[6:7], v[56:57], v[88:89]
	v_cvt_f32_f64_e32 v6, v[6:7]
	v_cvt_f32_f64_e32 v4, v[4:5]
	;; [unrolled: 5-line block ×5, first 2 shown]
	v_min3_f32 v183, v6, v4, v124
	s_waitcnt lgkmcnt(0)
	v_add_f64 v[4:5], v[2:3], v[86:87]
	v_add_f64 v[6:7], v[0:1], v[84:85]
	v_cvt_f32_f64_e32 v6, v[6:7]
	v_cvt_f32_f64_e32 v4, v[4:5]
	v_min3_f32 v182, v6, v4, v125
	v_add_f64 v[4:5], v[42:43], v[86:87]
	v_add_f64 v[6:7], v[40:41], v[84:85]
	v_cvt_f32_f64_e32 v6, v[6:7]
	v_cvt_f32_f64_e32 v4, v[4:5]
	v_min3_f32 v181, v6, v4, v126
	;; [unrolled: 5-line block ×4, first 2 shown]
	v_add_f64 v[4:5], v[58:59], v[86:87]
	v_add_f64 v[6:7], v[56:57], v[84:85]
	v_cvt_f32_f64_e32 v6, v[6:7]
	v_cvt_f32_f64_e32 v4, v[4:5]
	v_cvt_f32_f64_e32 v80, v[80:81]
	v_cvt_f32_f64_e32 v81, v[82:83]
	v_min3_f32 v178, v6, v4, v143
	v_add_f64 v[4:5], v[62:63], v[86:87]
	v_add_f64 v[6:7], v[60:61], v[84:85]
	v_min3_f32 v150, v80, v81, v150
	ds_read_b128 v[80:83], v158 offset:5136
	v_cvt_f32_f64_e32 v6, v[6:7]
	v_cvt_f32_f64_e32 v4, v[4:5]
	v_min3_f32 v177, v6, v4, v148
	v_add_f64 v[4:5], v[66:67], v[86:87]
	v_add_f64 v[6:7], v[64:65], v[84:85]
	v_cvt_f32_f64_e32 v6, v[6:7]
	v_cvt_f32_f64_e32 v4, v[4:5]
	v_add_f64 v[18:19], v[18:19], v[26:27]
	v_add_f64 v[16:17], v[16:17], v[24:25]
	v_min3_f32 v176, v6, v4, v149
	v_add_f64 v[4:5], v[70:71], v[86:87]
	v_add_f64 v[6:7], v[68:69], v[84:85]
	v_cvt_f32_f64_e32 v76, v[76:77]
	v_cvt_f32_f64_e32 v77, v[78:79]
	;; [unrolled: 1-line block ×6, first 2 shown]
	v_min3_f32 v160, v76, v77, v160
	ds_read_b128 v[76:79], v158 offset:6160
	v_add_f64 v[22:23], v[22:23], v[26:27]
	v_add_f64 v[20:21], v[20:21], v[24:25]
	v_min3_f32 v16, v16, v17, v175
	v_min3_f32 v175, v6, v4, v150
	s_waitcnt lgkmcnt(1)
	v_add_f64 v[4:5], v[2:3], v[82:83]
	v_add_f64 v[6:7], v[0:1], v[80:81]
	v_cvt_f32_f64_e32 v20, v[20:21]
	v_cvt_f32_f64_e32 v21, v[22:23]
	v_cvt_f32_f64_e32 v6, v[6:7]
	v_cvt_f32_f64_e32 v4, v[4:5]
	v_add_f64 v[30:31], v[30:31], v[26:27]
	v_add_f64 v[28:29], v[28:29], v[24:25]
	v_min3_f32 v20, v20, v21, v174
	v_min3_f32 v174, v6, v4, v151
	v_add_f64 v[4:5], v[42:43], v[82:83]
	v_add_f64 v[6:7], v[40:41], v[80:81]
	v_cvt_f32_f64_e32 v28, v[28:29]
	v_cvt_f32_f64_e32 v29, v[30:31]
	v_cvt_f32_f64_e32 v6, v[6:7]
	v_cvt_f32_f64_e32 v4, v[4:5]
	v_add_f64 v[34:35], v[34:35], v[26:27]
	v_add_f64 v[32:33], v[32:33], v[24:25]
	v_min3_f32 v28, v28, v29, v173
	v_min3_f32 v173, v6, v4, v152
	;; [unrolled: 10-line block ×4, first 2 shown]
	v_add_f64 v[4:5], v[58:59], v[82:83]
	v_add_f64 v[6:7], v[56:57], v[80:81]
	v_cvt_f32_f64_e32 v48, v[48:49]
	v_cvt_f32_f64_e32 v49, v[50:51]
	;; [unrolled: 1-line block ×4, first 2 shown]
	v_min3_f32 v48, v48, v49, v170
	v_min3_f32 v170, v6, v4, v155
	v_add_f64 v[4:5], v[62:63], v[82:83]
	v_add_f64 v[6:7], v[60:61], v[80:81]
	v_cvt_f32_f64_e32 v6, v[6:7]
	v_cvt_f32_f64_e32 v4, v[4:5]
	v_min3_f32 v169, v6, v4, v156
	v_add_f64 v[4:5], v[66:67], v[82:83]
	v_add_f64 v[6:7], v[64:65], v[80:81]
	v_cvt_f32_f64_e32 v102, v[102:103]
	v_cvt_f32_f64_e32 v6, v[6:7]
	;; [unrolled: 1-line block ×3, first 2 shown]
	v_min3_f32 v100, v102, v100, v168
	v_min3_f32 v168, v6, v4, v157
	v_add_f64 v[4:5], v[70:71], v[82:83]
	v_add_f64 v[6:7], v[68:69], v[80:81]
	v_cvt_f32_f64_e32 v6, v[6:7]
	v_cvt_f32_f64_e32 v4, v[4:5]
	v_min3_f32 v167, v6, v4, v160
	s_waitcnt lgkmcnt(0)
	v_add_f64 v[4:5], v[2:3], v[78:79]
	v_add_f64 v[6:7], v[0:1], v[76:77]
	;; [unrolled: 1-line block ×4, first 2 shown]
	v_cvt_f32_f64_e32 v6, v[6:7]
	v_cvt_f32_f64_e32 v4, v[4:5]
	v_cvt_f32_f64_e32 v0, v[0:1]
	v_cvt_f32_f64_e32 v1, v[2:3]
	v_min3_f32 v166, v6, v4, v161
	v_add_f64 v[4:5], v[42:43], v[78:79]
	v_add_f64 v[6:7], v[40:41], v[76:77]
	v_min3_f32 v155, v0, v1, v48
	v_add_f64 v[0:1], v[42:43], v[74:75]
	v_add_f64 v[2:3], v[40:41], v[72:73]
	v_cvt_f32_f64_e32 v6, v[6:7]
	v_cvt_f32_f64_e32 v4, v[4:5]
	v_cvt_f32_f64_e32 v2, v[2:3]
	v_cvt_f32_f64_e32 v0, v[0:1]
	v_min3_f32 v164, v6, v4, v162
	v_add_f64 v[4:5], v[46:47], v[78:79]
	v_add_f64 v[6:7], v[44:45], v[76:77]
	v_min3_f32 v154, v2, v0, v36
	v_add_f64 v[0:1], v[46:47], v[74:75]
	v_add_f64 v[2:3], v[44:45], v[72:73]
	;; [unrolled: 10-line block ×7, first 2 shown]
	v_cvt_f32_f64_e32 v6, v[6:7]
	v_cvt_f32_f64_e32 v4, v[4:5]
	;; [unrolled: 1-line block ×4, first 2 shown]
	s_add_i32 s36, s36, 8
	v_min3_f32 v156, v6, v4, v101
	v_min3_f32 v148, v2, v0, v13
	s_cmp_ge_i32 s36, s39
	v_lshl_add_u64 v[130:131], v[130:131], 0, 64
	ds_write_b64 v212, v[132:133]
	ds_write2st64_b64 v213, v[134:135], v[136:137] offset1:4
	ds_write2st64_b64 v213, v[138:139], v[140:141] offset0:8 offset1:12
	s_waitcnt lgkmcnt(0)
	s_barrier
	s_cbranch_scc1 .LBB177_57
.LBB177_33:                             ; =>This Inner Loop Header: Depth=1
	v_add_u32_e32 v142, s36, v146
	v_add_u32_e32 v0, 8, v142
	v_cmp_le_i32_e64 s[10:11], s22, v0
	s_or_b64 s[10:11], s[10:11], vcc
	s_nor_b64 s[12:13], s[34:35], s[10:11]
                                        ; implicit-def: $vgpr132_vgpr133
	s_and_saveexec_b64 s[42:43], s[12:13]
	s_xor_b64 s[12:13], exec, s[42:43]
	s_cbranch_execz .LBB177_35
; %bb.34:                               ;   in Loop: Header=BB177_33 Depth=1
	global_load_dwordx2 v[0:1], v[130:131], off
	s_waitcnt vmcnt(0)
	v_mul_f64 v[132:133], s[28:29], v[0:1]
.LBB177_35:                             ;   in Loop: Header=BB177_33 Depth=1
	s_andn2_saveexec_b64 s[12:13], s[12:13]
; %bb.36:                               ;   in Loop: Header=BB177_33 Depth=1
	v_cndmask_b32_e64 v133, 0, v217, s[10:11]
	v_cndmask_b32_e64 v132, 0, -1, s[10:11]
; %bb.37:                               ;   in Loop: Header=BB177_33 Depth=1
	s_or_b64 exec, exec, s[12:13]
	v_add_u32_e32 v143, s36, v147
	v_add_u32_e32 v0, 8, v143
	v_cmp_le_i32_e64 s[10:11], s22, v0
	v_min_i32_e32 v0, s40, v0
	v_mad_i64_i32 v[0:1], s[12:13], v0, s23, 0
	v_lshl_add_u64 v[0:1], v[0:1], 3, s[30:31]
	s_or_b64 s[12:13], s[2:3], s[10:11]
	v_cndmask_b32_e64 v135, 0, v217, s[12:13]
	s_nor_b64 s[42:43], s[34:35], s[12:13]
	v_cndmask_b32_e64 v134, 0, -1, s[12:13]
	v_lshl_add_u64 v[0:1], v[128:129], 3, v[0:1]
	s_and_saveexec_b64 s[12:13], s[42:43]
	s_cbranch_execz .LBB177_39
; %bb.38:                               ;   in Loop: Header=BB177_33 Depth=1
	global_load_dwordx2 v[2:3], v[0:1], off
	s_waitcnt vmcnt(0)
	v_mul_f64 v[134:135], s[28:29], v[2:3]
.LBB177_39:                             ;   in Loop: Header=BB177_33 Depth=1
	s_or_b64 exec, exec, s[12:13]
	s_or_b64 s[12:13], s[4:5], s[10:11]
	v_cndmask_b32_e64 v137, 0, v217, s[12:13]
	s_nor_b64 s[42:43], s[34:35], s[12:13]
	v_cndmask_b32_e64 v136, 0, -1, s[12:13]
	s_and_saveexec_b64 s[12:13], s[42:43]
	s_cbranch_execz .LBB177_41
; %bb.40:                               ;   in Loop: Header=BB177_33 Depth=1
	global_load_dwordx2 v[2:3], v[0:1], off offset:512
	s_waitcnt vmcnt(0)
	v_mul_f64 v[136:137], s[28:29], v[2:3]
.LBB177_41:                             ;   in Loop: Header=BB177_33 Depth=1
	s_or_b64 exec, exec, s[12:13]
	s_or_b64 s[12:13], s[6:7], s[10:11]
	v_cndmask_b32_e64 v139, 0, v217, s[12:13]
	s_nor_b64 s[42:43], s[34:35], s[12:13]
	v_cndmask_b32_e64 v138, 0, -1, s[12:13]
	s_and_saveexec_b64 s[12:13], s[42:43]
	s_cbranch_execz .LBB177_43
; %bb.42:                               ;   in Loop: Header=BB177_33 Depth=1
	global_load_dwordx2 v[2:3], v[0:1], off offset:1024
	s_waitcnt vmcnt(0)
	v_mul_f64 v[138:139], s[28:29], v[2:3]
.LBB177_43:                             ;   in Loop: Header=BB177_33 Depth=1
	;; [unrolled: 12-line block ×3, first 2 shown]
	s_or_b64 exec, exec, s[10:11]
	ds_read_b128 v[124:127], v215
	ds_read_b128 v[60:63], v215 offset:16
	ds_read_b128 v[96:99], v214
	ds_read_b128 v[32:35], v214 offset:16
	ds_read_b128 v[92:95], v214 offset:256
	;; [unrolled: 1-line block ×29, first 2 shown]
	ds_write_b64 v210, v[132:133]
	ds_write2st64_b64 v165, v[134:135], v[136:137] offset1:4
	ds_write2st64_b64 v165, v[138:139], v[140:141] offset0:8 offset1:12
	v_add_u32_e32 v132, 12, v142
	v_cmp_le_i32_e64 s[10:11], s22, v132
	s_or_b64 s[10:11], s[10:11], vcc
	s_nor_b64 s[12:13], s[34:35], s[10:11]
	s_waitcnt lgkmcnt(0)
	s_barrier
                                        ; implicit-def: $vgpr132_vgpr133
	s_and_saveexec_b64 s[42:43], s[12:13]
	s_xor_b64 s[12:13], exec, s[42:43]
	s_cbranch_execz .LBB177_47
; %bb.46:                               ;   in Loop: Header=BB177_33 Depth=1
	global_load_dwordx2 v[132:133], v[130:131], off offset:32
	s_waitcnt vmcnt(0)
	v_mul_f64 v[132:133], s[28:29], v[132:133]
.LBB177_47:                             ;   in Loop: Header=BB177_33 Depth=1
	s_andn2_saveexec_b64 s[12:13], s[12:13]
; %bb.48:                               ;   in Loop: Header=BB177_33 Depth=1
	v_cndmask_b32_e64 v133, 0, v217, s[10:11]
	v_cndmask_b32_e64 v132, 0, -1, s[10:11]
; %bb.49:                               ;   in Loop: Header=BB177_33 Depth=1
	s_or_b64 exec, exec, s[12:13]
	v_add_u32_e32 v134, 12, v143
	v_cmp_le_i32_e64 s[10:11], s22, v134
	v_min_i32_e32 v134, s40, v134
	v_mad_i64_i32 v[134:135], s[12:13], v134, s23, 0
	v_lshl_add_u64 v[136:137], v[134:135], 3, s[30:31]
	s_or_b64 s[12:13], s[2:3], s[10:11]
	v_cndmask_b32_e64 v135, 0, v217, s[12:13]
	s_nor_b64 s[42:43], s[34:35], s[12:13]
	v_cndmask_b32_e64 v134, 0, -1, s[12:13]
	v_lshl_add_u64 v[142:143], v[128:129], 3, v[136:137]
	s_and_saveexec_b64 s[12:13], s[42:43]
	s_cbranch_execz .LBB177_51
; %bb.50:                               ;   in Loop: Header=BB177_33 Depth=1
	global_load_dwordx2 v[134:135], v[142:143], off
	s_waitcnt vmcnt(0)
	v_mul_f64 v[134:135], s[28:29], v[134:135]
.LBB177_51:                             ;   in Loop: Header=BB177_33 Depth=1
	s_or_b64 exec, exec, s[12:13]
	s_or_b64 s[12:13], s[4:5], s[10:11]
	v_cndmask_b32_e64 v137, 0, v217, s[12:13]
	s_nor_b64 s[42:43], s[34:35], s[12:13]
	v_cndmask_b32_e64 v136, 0, -1, s[12:13]
	s_and_saveexec_b64 s[12:13], s[42:43]
	s_cbranch_execz .LBB177_53
; %bb.52:                               ;   in Loop: Header=BB177_33 Depth=1
	global_load_dwordx2 v[136:137], v[142:143], off offset:512
	s_waitcnt vmcnt(0)
	v_mul_f64 v[136:137], s[28:29], v[136:137]
.LBB177_53:                             ;   in Loop: Header=BB177_33 Depth=1
	s_or_b64 exec, exec, s[12:13]
	s_or_b64 s[12:13], s[6:7], s[10:11]
	v_cndmask_b32_e64 v139, 0, v217, s[12:13]
	s_nor_b64 s[42:43], s[34:35], s[12:13]
	v_cndmask_b32_e64 v138, 0, -1, s[12:13]
	s_and_saveexec_b64 s[12:13], s[42:43]
	s_cbranch_execz .LBB177_55
; %bb.54:                               ;   in Loop: Header=BB177_33 Depth=1
	global_load_dwordx2 v[138:139], v[142:143], off offset:1024
	s_waitcnt vmcnt(0)
	v_mul_f64 v[138:139], s[28:29], v[138:139]
.LBB177_55:                             ;   in Loop: Header=BB177_33 Depth=1
	s_or_b64 exec, exec, s[12:13]
	s_or_b64 s[10:11], s[8:9], s[10:11]
	v_cndmask_b32_e64 v141, 0, v217, s[10:11]
	s_nor_b64 s[12:13], s[34:35], s[10:11]
	v_cndmask_b32_e64 v140, 0, -1, s[10:11]
	s_and_saveexec_b64 s[10:11], s[12:13]
	s_cbranch_execz .LBB177_32
; %bb.56:                               ;   in Loop: Header=BB177_33 Depth=1
	global_load_dwordx2 v[140:141], v[142:143], off offset:1536
	s_waitcnt vmcnt(0)
	v_mul_f64 v[140:141], s[28:29], v[140:141]
	s_branch .LBB177_32
.LBB177_57:
	s_load_dwordx2 s[2:3], s[0:1], 0x78
	s_load_dword s31, s[0:1], 0x58
	s_load_dword s30, s[0:1], 0x70
	ds_read_b128 v[68:71], v159 offset:18432
	ds_read_b128 v[64:67], v159 offset:18448
	;; [unrolled: 1-line block ×32, first 2 shown]
	v_add_u32_e32 v158, s33, v145
	s_waitcnt lgkmcnt(0)
	s_mul_i32 s1, s3, s18
	s_mul_hi_u32 s3, s2, s18
	s_mul_i32 s0, s2, s18
	s_add_i32 s1, s3, s1
	s_lshl_b64 s[0:1], s[0:1], 3
	s_add_u32 s22, s14, s0
	s_addc_u32 s23, s15, s1
	v_mad_i64_i32 v[130:131], s[0:1], v158, s31, 0
	v_add_u32_e32 v128, s19, v144
	v_lshl_add_u64 v[146:147], v[130:131], 3, s[26:27]
	v_mad_i64_i32 v[130:131], s[0:1], v158, s30, 0
	v_cmp_gt_i32_e64 s[2:3], s20, v128
	v_cmp_gt_i32_e64 s[18:19], s21, v158
	v_lshl_add_u64 v[144:145], v[130:131], 3, s[22:23]
	v_cndmask_b32_e64 v130, 0, 1, s[16:17]
	v_ashrrev_i32_e32 v129, 31, v128
	s_and_b64 s[6:7], s[2:3], s[18:19]
	v_cmp_ne_u32_e64 s[0:1], 1, v130
	s_and_saveexec_b64 s[4:5], s[6:7]
	s_cbranch_execz .LBB177_62
; %bb.58:
	s_and_b64 vcc, exec, s[0:1]
	s_cbranch_vccnz .LBB177_60
; %bb.59:
	v_lshl_add_u64 v[130:131], v[128:129], 3, v[146:147]
	global_load_dwordx2 v[130:131], v[130:131], off
	s_waitcnt vmcnt(0)
	v_mul_f64 v[130:131], s[24:25], v[130:131]
	v_cvt_f32_f64_e32 v130, v[130:131]
	s_branch .LBB177_61
.LBB177_60:
	v_mov_b32_e32 v130, 0
.LBB177_61:
	v_add_f64 v[132:133], v[70:71], v[126:127]
	v_add_f64 v[134:135], v[68:69], v[124:125]
	v_cvt_f32_f64_e32 v131, v[134:135]
	v_cvt_f32_f64_e32 v132, v[132:133]
	v_min3_f32 v131, v131, v132, v221
	v_add_f64 v[132:133], v[66:67], v[122:123]
	v_add_f64 v[134:135], v[64:65], v[120:121]
	v_cvt_f32_f64_e32 v134, v[134:135]
	v_cvt_f32_f64_e32 v132, v[132:133]
	v_min_f32_e32 v132, v134, v132
	v_min3_f32 v130, v130, v132, v131
	v_cvt_f64_f32_e32 v[130:131], v130
	v_lshl_add_u64 v[132:133], v[128:129], 3, v[144:145]
	global_store_dwordx2 v[132:133], v[130:131], off
.LBB177_62:
	s_or_b64 exec, exec, s[4:5]
	v_add_u32_e32 v130, 8, v128
	v_cmp_gt_i32_e64 s[4:5], s20, v130
	v_ashrrev_i32_e32 v131, 31, v130
	s_and_b64 s[8:9], s[4:5], s[18:19]
	s_and_saveexec_b64 s[6:7], s[8:9]
	s_cbranch_execz .LBB177_67
; %bb.63:
	s_and_b64 vcc, exec, s[0:1]
	s_cbranch_vccnz .LBB177_65
; %bb.64:
	v_lshl_add_u64 v[132:133], v[130:131], 3, v[146:147]
	global_load_dwordx2 v[132:133], v[132:133], off
	s_waitcnt vmcnt(0)
	v_mul_f64 v[132:133], s[24:25], v[132:133]
	v_cvt_f32_f64_e32 v132, v[132:133]
	s_branch .LBB177_66
.LBB177_65:
	v_mov_b32_e32 v132, 0
.LBB177_66:
	v_add_f64 v[134:135], v[62:63], v[126:127]
	v_add_f64 v[136:137], v[60:61], v[124:125]
	v_cvt_f32_f64_e32 v133, v[136:137]
	v_cvt_f32_f64_e32 v134, v[134:135]
	v_min3_f32 v133, v133, v134, v220
	v_add_f64 v[134:135], v[58:59], v[122:123]
	v_add_f64 v[136:137], v[56:57], v[120:121]
	v_cvt_f32_f64_e32 v136, v[136:137]
	v_cvt_f32_f64_e32 v134, v[134:135]
	v_min_f32_e32 v134, v136, v134
	v_min3_f32 v132, v132, v134, v133
	v_cvt_f64_f32_e32 v[132:133], v132
	v_lshl_add_u64 v[134:135], v[130:131], 3, v[144:145]
	global_store_dwordx2 v[134:135], v[132:133], off
.LBB177_67:
	s_or_b64 exec, exec, s[6:7]
	v_add_u32_e32 v132, 16, v128
	v_cmp_gt_i32_e64 s[6:7], s20, v132
	v_ashrrev_i32_e32 v133, 31, v132
	s_and_b64 s[10:11], s[6:7], s[18:19]
	;; [unrolled: 35-line block ×7, first 2 shown]
	s_and_saveexec_b64 s[18:19], s[28:29]
	s_cbranch_execz .LBB177_97
; %bb.93:
	s_and_b64 vcc, exec, s[0:1]
	s_cbranch_vccnz .LBB177_95
; %bb.94:
	v_lshl_add_u64 v[146:147], v[142:143], 3, v[146:147]
	global_load_dwordx2 v[146:147], v[146:147], off
	s_waitcnt vmcnt(0)
	v_mul_f64 v[146:147], s[24:25], v[146:147]
	v_cvt_f32_f64_e32 v146, v[146:147]
	s_branch .LBB177_96
.LBB177_95:
	v_mov_b32_e32 v146, 0
.LBB177_96:
	v_add_f64 v[126:127], v[6:7], v[126:127]
	v_add_f64 v[124:125], v[4:5], v[124:125]
	;; [unrolled: 1-line block ×4, first 2 shown]
	v_cvt_f32_f64_e32 v124, v[124:125]
	v_cvt_f32_f64_e32 v125, v[126:127]
	v_cvt_f32_f64_e32 v120, v[120:121]
	v_cvt_f32_f64_e32 v121, v[122:123]
	v_min3_f32 v124, v124, v125, v207
	v_min_f32_e32 v120, v120, v121
	v_min3_f32 v120, v146, v120, v124
	v_cvt_f64_f32_e32 v[120:121], v120
	v_lshl_add_u64 v[122:123], v[142:143], 3, v[144:145]
	global_store_dwordx2 v[122:123], v[120:121], off
.LBB177_97:
	s_or_b64 exec, exec, s[18:19]
	v_add_u32_e32 v124, 32, v158
	v_mad_i64_i32 v[120:121], s[28:29], v124, s31, 0
	v_cmp_gt_i32_e64 s[18:19], s21, v124
	v_lshl_add_u64 v[122:123], v[120:121], 3, s[26:27]
	v_mad_i64_i32 v[120:121], s[28:29], v124, s30, 0
	v_lshl_add_u64 v[120:121], v[120:121], 3, s[22:23]
	s_and_b64 s[34:35], s[2:3], s[18:19]
	s_and_saveexec_b64 s[28:29], s[34:35]
	s_cbranch_execnz .LBB177_105
; %bb.98:
	s_or_b64 exec, exec, s[28:29]
	s_and_b64 s[34:35], s[4:5], s[18:19]
	s_and_saveexec_b64 s[28:29], s[34:35]
	s_cbranch_execnz .LBB177_109
.LBB177_99:
	s_or_b64 exec, exec, s[28:29]
	s_and_b64 s[34:35], s[6:7], s[18:19]
	s_and_saveexec_b64 s[28:29], s[34:35]
	s_cbranch_execnz .LBB177_113
.LBB177_100:
	s_or_b64 exec, exec, s[28:29]
	s_and_b64 s[34:35], s[8:9], s[18:19]
	s_and_saveexec_b64 s[28:29], s[34:35]
	s_cbranch_execnz .LBB177_117
.LBB177_101:
	s_or_b64 exec, exec, s[28:29]
	s_and_b64 s[34:35], s[10:11], s[18:19]
	s_and_saveexec_b64 s[28:29], s[34:35]
	s_cbranch_execnz .LBB177_121
.LBB177_102:
	s_or_b64 exec, exec, s[28:29]
	s_and_b64 s[34:35], s[12:13], s[18:19]
	s_and_saveexec_b64 s[28:29], s[34:35]
	s_cbranch_execnz .LBB177_125
.LBB177_103:
	s_or_b64 exec, exec, s[28:29]
	s_and_b64 s[34:35], s[14:15], s[18:19]
	s_and_saveexec_b64 s[28:29], s[34:35]
	s_cbranch_execnz .LBB177_129
.LBB177_104:
	s_or_b64 exec, exec, s[28:29]
	s_and_b64 s[28:29], s[16:17], s[18:19]
	s_and_saveexec_b64 s[18:19], s[28:29]
	s_cbranch_execnz .LBB177_133
	s_branch .LBB177_137
.LBB177_105:
	s_and_b64 vcc, exec, s[0:1]
	s_cbranch_vccnz .LBB177_107
; %bb.106:
	v_lshl_add_u64 v[124:125], v[128:129], 3, v[122:123]
	global_load_dwordx2 v[124:125], v[124:125], off
	s_waitcnt vmcnt(0)
	v_mul_f64 v[124:125], s[24:25], v[124:125]
	v_cvt_f32_f64_e32 v124, v[124:125]
	s_branch .LBB177_108
.LBB177_107:
	v_mov_b32_e32 v124, 0
.LBB177_108:
	v_add_f64 v[126:127], v[70:71], v[118:119]
	v_add_f64 v[144:145], v[68:69], v[116:117]
	v_cvt_f32_f64_e32 v125, v[144:145]
	v_cvt_f32_f64_e32 v126, v[126:127]
	v_min3_f32 v125, v125, v126, v206
	v_add_f64 v[126:127], v[66:67], v[114:115]
	v_add_f64 v[144:145], v[64:65], v[112:113]
	v_cvt_f32_f64_e32 v144, v[144:145]
	v_cvt_f32_f64_e32 v126, v[126:127]
	v_min_f32_e32 v126, v144, v126
	v_min3_f32 v124, v124, v126, v125
	v_cvt_f64_f32_e32 v[124:125], v124
	v_lshl_add_u64 v[126:127], v[128:129], 3, v[120:121]
	global_store_dwordx2 v[126:127], v[124:125], off
	s_or_b64 exec, exec, s[28:29]
	s_and_b64 s[34:35], s[4:5], s[18:19]
	s_and_saveexec_b64 s[28:29], s[34:35]
	s_cbranch_execz .LBB177_99
.LBB177_109:
	s_and_b64 vcc, exec, s[0:1]
	s_cbranch_vccnz .LBB177_111
; %bb.110:
	v_lshl_add_u64 v[124:125], v[130:131], 3, v[122:123]
	global_load_dwordx2 v[124:125], v[124:125], off
	s_waitcnt vmcnt(0)
	v_mul_f64 v[124:125], s[24:25], v[124:125]
	v_cvt_f32_f64_e32 v124, v[124:125]
	s_branch .LBB177_112
.LBB177_111:
	v_mov_b32_e32 v124, 0
.LBB177_112:
	v_add_f64 v[126:127], v[62:63], v[118:119]
	v_add_f64 v[144:145], v[60:61], v[116:117]
	v_cvt_f32_f64_e32 v125, v[144:145]
	v_cvt_f32_f64_e32 v126, v[126:127]
	v_min3_f32 v125, v125, v126, v205
	v_add_f64 v[126:127], v[58:59], v[114:115]
	v_add_f64 v[144:145], v[56:57], v[112:113]
	v_cvt_f32_f64_e32 v144, v[144:145]
	v_cvt_f32_f64_e32 v126, v[126:127]
	v_min_f32_e32 v126, v144, v126
	v_min3_f32 v124, v124, v126, v125
	v_cvt_f64_f32_e32 v[124:125], v124
	v_lshl_add_u64 v[126:127], v[130:131], 3, v[120:121]
	global_store_dwordx2 v[126:127], v[124:125], off
	s_or_b64 exec, exec, s[28:29]
	s_and_b64 s[34:35], s[6:7], s[18:19]
	s_and_saveexec_b64 s[28:29], s[34:35]
	s_cbranch_execz .LBB177_100
.LBB177_113:
	s_and_b64 vcc, exec, s[0:1]
	s_cbranch_vccnz .LBB177_115
; %bb.114:
	v_lshl_add_u64 v[124:125], v[132:133], 3, v[122:123]
	global_load_dwordx2 v[124:125], v[124:125], off
	s_waitcnt vmcnt(0)
	v_mul_f64 v[124:125], s[24:25], v[124:125]
	v_cvt_f32_f64_e32 v124, v[124:125]
	s_branch .LBB177_116
.LBB177_115:
	v_mov_b32_e32 v124, 0
.LBB177_116:
	v_add_f64 v[126:127], v[54:55], v[118:119]
	v_add_f64 v[144:145], v[52:53], v[116:117]
	v_cvt_f32_f64_e32 v125, v[144:145]
	v_cvt_f32_f64_e32 v126, v[126:127]
	v_min3_f32 v125, v125, v126, v204
	v_add_f64 v[126:127], v[50:51], v[114:115]
	v_add_f64 v[144:145], v[48:49], v[112:113]
	v_cvt_f32_f64_e32 v144, v[144:145]
	v_cvt_f32_f64_e32 v126, v[126:127]
	v_min_f32_e32 v126, v144, v126
	v_min3_f32 v124, v124, v126, v125
	v_cvt_f64_f32_e32 v[124:125], v124
	v_lshl_add_u64 v[126:127], v[132:133], 3, v[120:121]
	global_store_dwordx2 v[126:127], v[124:125], off
	s_or_b64 exec, exec, s[28:29]
	s_and_b64 s[34:35], s[8:9], s[18:19]
	s_and_saveexec_b64 s[28:29], s[34:35]
	s_cbranch_execz .LBB177_101
.LBB177_117:
	s_and_b64 vcc, exec, s[0:1]
	s_cbranch_vccnz .LBB177_119
; %bb.118:
	v_lshl_add_u64 v[124:125], v[134:135], 3, v[122:123]
	global_load_dwordx2 v[124:125], v[124:125], off
	s_waitcnt vmcnt(0)
	v_mul_f64 v[124:125], s[24:25], v[124:125]
	v_cvt_f32_f64_e32 v124, v[124:125]
	s_branch .LBB177_120
.LBB177_119:
	v_mov_b32_e32 v124, 0
.LBB177_120:
	v_add_f64 v[126:127], v[46:47], v[118:119]
	v_add_f64 v[144:145], v[44:45], v[116:117]
	v_cvt_f32_f64_e32 v125, v[144:145]
	v_cvt_f32_f64_e32 v126, v[126:127]
	v_min3_f32 v125, v125, v126, v203
	v_add_f64 v[126:127], v[42:43], v[114:115]
	v_add_f64 v[144:145], v[40:41], v[112:113]
	v_cvt_f32_f64_e32 v144, v[144:145]
	v_cvt_f32_f64_e32 v126, v[126:127]
	v_min_f32_e32 v126, v144, v126
	v_min3_f32 v124, v124, v126, v125
	v_cvt_f64_f32_e32 v[124:125], v124
	v_lshl_add_u64 v[126:127], v[134:135], 3, v[120:121]
	global_store_dwordx2 v[126:127], v[124:125], off
	s_or_b64 exec, exec, s[28:29]
	s_and_b64 s[34:35], s[10:11], s[18:19]
	s_and_saveexec_b64 s[28:29], s[34:35]
	s_cbranch_execz .LBB177_102
.LBB177_121:
	s_and_b64 vcc, exec, s[0:1]
	s_cbranch_vccnz .LBB177_123
; %bb.122:
	v_lshl_add_u64 v[124:125], v[136:137], 3, v[122:123]
	global_load_dwordx2 v[124:125], v[124:125], off
	s_waitcnt vmcnt(0)
	v_mul_f64 v[124:125], s[24:25], v[124:125]
	v_cvt_f32_f64_e32 v124, v[124:125]
	s_branch .LBB177_124
.LBB177_123:
	v_mov_b32_e32 v124, 0
.LBB177_124:
	v_add_f64 v[126:127], v[38:39], v[118:119]
	v_add_f64 v[144:145], v[36:37], v[116:117]
	v_cvt_f32_f64_e32 v125, v[144:145]
	v_cvt_f32_f64_e32 v126, v[126:127]
	v_min3_f32 v125, v125, v126, v202
	v_add_f64 v[126:127], v[34:35], v[114:115]
	v_add_f64 v[144:145], v[32:33], v[112:113]
	v_cvt_f32_f64_e32 v144, v[144:145]
	v_cvt_f32_f64_e32 v126, v[126:127]
	v_min_f32_e32 v126, v144, v126
	v_min3_f32 v124, v124, v126, v125
	v_cvt_f64_f32_e32 v[124:125], v124
	v_lshl_add_u64 v[126:127], v[136:137], 3, v[120:121]
	global_store_dwordx2 v[126:127], v[124:125], off
	s_or_b64 exec, exec, s[28:29]
	s_and_b64 s[34:35], s[12:13], s[18:19]
	s_and_saveexec_b64 s[28:29], s[34:35]
	s_cbranch_execz .LBB177_103
.LBB177_125:
	s_and_b64 vcc, exec, s[0:1]
	s_cbranch_vccnz .LBB177_127
; %bb.126:
	v_lshl_add_u64 v[124:125], v[138:139], 3, v[122:123]
	global_load_dwordx2 v[124:125], v[124:125], off
	s_waitcnt vmcnt(0)
	v_mul_f64 v[124:125], s[24:25], v[124:125]
	v_cvt_f32_f64_e32 v124, v[124:125]
	s_branch .LBB177_128
.LBB177_127:
	v_mov_b32_e32 v124, 0
.LBB177_128:
	v_add_f64 v[126:127], v[30:31], v[118:119]
	v_add_f64 v[144:145], v[28:29], v[116:117]
	v_cvt_f32_f64_e32 v125, v[144:145]
	v_cvt_f32_f64_e32 v126, v[126:127]
	v_min3_f32 v125, v125, v126, v201
	v_add_f64 v[126:127], v[26:27], v[114:115]
	v_add_f64 v[144:145], v[24:25], v[112:113]
	v_cvt_f32_f64_e32 v144, v[144:145]
	v_cvt_f32_f64_e32 v126, v[126:127]
	v_min_f32_e32 v126, v144, v126
	v_min3_f32 v124, v124, v126, v125
	v_cvt_f64_f32_e32 v[124:125], v124
	v_lshl_add_u64 v[126:127], v[138:139], 3, v[120:121]
	global_store_dwordx2 v[126:127], v[124:125], off
	s_or_b64 exec, exec, s[28:29]
	s_and_b64 s[34:35], s[14:15], s[18:19]
	s_and_saveexec_b64 s[28:29], s[34:35]
	s_cbranch_execz .LBB177_104
.LBB177_129:
	s_and_b64 vcc, exec, s[0:1]
	s_cbranch_vccnz .LBB177_131
; %bb.130:
	v_lshl_add_u64 v[124:125], v[140:141], 3, v[122:123]
	global_load_dwordx2 v[124:125], v[124:125], off
	s_waitcnt vmcnt(0)
	v_mul_f64 v[124:125], s[24:25], v[124:125]
	v_cvt_f32_f64_e32 v124, v[124:125]
	s_branch .LBB177_132
.LBB177_131:
	v_mov_b32_e32 v124, 0
.LBB177_132:
	v_add_f64 v[126:127], v[22:23], v[118:119]
	v_add_f64 v[144:145], v[20:21], v[116:117]
	v_cvt_f32_f64_e32 v125, v[144:145]
	v_cvt_f32_f64_e32 v126, v[126:127]
	v_min3_f32 v125, v125, v126, v200
	v_add_f64 v[126:127], v[18:19], v[114:115]
	v_add_f64 v[144:145], v[16:17], v[112:113]
	v_cvt_f32_f64_e32 v144, v[144:145]
	v_cvt_f32_f64_e32 v126, v[126:127]
	v_min_f32_e32 v126, v144, v126
	v_min3_f32 v124, v124, v126, v125
	v_cvt_f64_f32_e32 v[124:125], v124
	v_lshl_add_u64 v[126:127], v[140:141], 3, v[120:121]
	global_store_dwordx2 v[126:127], v[124:125], off
	s_or_b64 exec, exec, s[28:29]
	s_and_b64 s[28:29], s[16:17], s[18:19]
	s_and_saveexec_b64 s[18:19], s[28:29]
	s_cbranch_execz .LBB177_137
.LBB177_133:
	s_and_b64 vcc, exec, s[0:1]
	s_cbranch_vccnz .LBB177_135
; %bb.134:
	v_lshl_add_u64 v[122:123], v[142:143], 3, v[122:123]
	global_load_dwordx2 v[122:123], v[122:123], off
	s_waitcnt vmcnt(0)
	v_mul_f64 v[122:123], s[24:25], v[122:123]
	v_cvt_f32_f64_e32 v122, v[122:123]
	s_branch .LBB177_136
.LBB177_135:
	v_mov_b32_e32 v122, 0
.LBB177_136:
	v_add_f64 v[118:119], v[6:7], v[118:119]
	v_add_f64 v[116:117], v[4:5], v[116:117]
	;; [unrolled: 1-line block ×4, first 2 shown]
	v_cvt_f32_f64_e32 v116, v[116:117]
	v_cvt_f32_f64_e32 v117, v[118:119]
	v_cvt_f32_f64_e32 v112, v[112:113]
	v_cvt_f32_f64_e32 v113, v[114:115]
	v_min3_f32 v116, v116, v117, v199
	v_min_f32_e32 v112, v112, v113
	v_min3_f32 v112, v122, v112, v116
	v_cvt_f64_f32_e32 v[112:113], v112
	v_lshl_add_u64 v[114:115], v[142:143], 3, v[120:121]
	global_store_dwordx2 v[114:115], v[112:113], off
.LBB177_137:
	s_or_b64 exec, exec, s[18:19]
	v_add_u32_e32 v116, 64, v158
	v_mad_i64_i32 v[112:113], s[28:29], v116, s31, 0
	v_cmp_gt_i32_e64 s[18:19], s21, v116
	v_lshl_add_u64 v[114:115], v[112:113], 3, s[26:27]
	v_mad_i64_i32 v[112:113], s[28:29], v116, s30, 0
	v_lshl_add_u64 v[112:113], v[112:113], 3, s[22:23]
	s_and_b64 s[34:35], s[2:3], s[18:19]
	s_and_saveexec_b64 s[28:29], s[34:35]
	s_cbranch_execnz .LBB177_145
; %bb.138:
	s_or_b64 exec, exec, s[28:29]
	s_and_b64 s[34:35], s[4:5], s[18:19]
	s_and_saveexec_b64 s[28:29], s[34:35]
	s_cbranch_execnz .LBB177_149
.LBB177_139:
	s_or_b64 exec, exec, s[28:29]
	s_and_b64 s[34:35], s[6:7], s[18:19]
	s_and_saveexec_b64 s[28:29], s[34:35]
	s_cbranch_execnz .LBB177_153
.LBB177_140:
	s_or_b64 exec, exec, s[28:29]
	s_and_b64 s[34:35], s[8:9], s[18:19]
	s_and_saveexec_b64 s[28:29], s[34:35]
	s_cbranch_execnz .LBB177_157
.LBB177_141:
	s_or_b64 exec, exec, s[28:29]
	s_and_b64 s[34:35], s[10:11], s[18:19]
	s_and_saveexec_b64 s[28:29], s[34:35]
	s_cbranch_execnz .LBB177_161
.LBB177_142:
	s_or_b64 exec, exec, s[28:29]
	s_and_b64 s[34:35], s[12:13], s[18:19]
	s_and_saveexec_b64 s[28:29], s[34:35]
	s_cbranch_execnz .LBB177_165
.LBB177_143:
	s_or_b64 exec, exec, s[28:29]
	s_and_b64 s[34:35], s[14:15], s[18:19]
	s_and_saveexec_b64 s[28:29], s[34:35]
	s_cbranch_execnz .LBB177_169
.LBB177_144:
	s_or_b64 exec, exec, s[28:29]
	s_and_b64 s[28:29], s[16:17], s[18:19]
	s_and_saveexec_b64 s[18:19], s[28:29]
	s_cbranch_execnz .LBB177_173
	s_branch .LBB177_177
.LBB177_145:
	s_and_b64 vcc, exec, s[0:1]
	s_cbranch_vccnz .LBB177_147
; %bb.146:
	v_lshl_add_u64 v[116:117], v[128:129], 3, v[114:115]
	global_load_dwordx2 v[116:117], v[116:117], off
	s_waitcnt vmcnt(0)
	v_mul_f64 v[116:117], s[24:25], v[116:117]
	v_cvt_f32_f64_e32 v116, v[116:117]
	s_branch .LBB177_148
.LBB177_147:
	v_mov_b32_e32 v116, 0
.LBB177_148:
	v_add_f64 v[118:119], v[70:71], v[110:111]
	v_add_f64 v[120:121], v[68:69], v[108:109]
	v_cvt_f32_f64_e32 v117, v[120:121]
	v_cvt_f32_f64_e32 v118, v[118:119]
	v_min3_f32 v117, v117, v118, v198
	v_add_f64 v[118:119], v[66:67], v[106:107]
	v_add_f64 v[120:121], v[64:65], v[104:105]
	v_cvt_f32_f64_e32 v120, v[120:121]
	v_cvt_f32_f64_e32 v118, v[118:119]
	v_min_f32_e32 v118, v120, v118
	v_min3_f32 v116, v116, v118, v117
	v_cvt_f64_f32_e32 v[116:117], v116
	v_lshl_add_u64 v[118:119], v[128:129], 3, v[112:113]
	global_store_dwordx2 v[118:119], v[116:117], off
	s_or_b64 exec, exec, s[28:29]
	s_and_b64 s[34:35], s[4:5], s[18:19]
	s_and_saveexec_b64 s[28:29], s[34:35]
	s_cbranch_execz .LBB177_139
.LBB177_149:
	s_and_b64 vcc, exec, s[0:1]
	s_cbranch_vccnz .LBB177_151
; %bb.150:
	v_lshl_add_u64 v[116:117], v[130:131], 3, v[114:115]
	global_load_dwordx2 v[116:117], v[116:117], off
	s_waitcnt vmcnt(0)
	v_mul_f64 v[116:117], s[24:25], v[116:117]
	v_cvt_f32_f64_e32 v116, v[116:117]
	s_branch .LBB177_152
.LBB177_151:
	v_mov_b32_e32 v116, 0
.LBB177_152:
	v_add_f64 v[118:119], v[62:63], v[110:111]
	v_add_f64 v[120:121], v[60:61], v[108:109]
	v_cvt_f32_f64_e32 v117, v[120:121]
	v_cvt_f32_f64_e32 v118, v[118:119]
	v_min3_f32 v117, v117, v118, v197
	v_add_f64 v[118:119], v[58:59], v[106:107]
	v_add_f64 v[120:121], v[56:57], v[104:105]
	v_cvt_f32_f64_e32 v120, v[120:121]
	v_cvt_f32_f64_e32 v118, v[118:119]
	v_min_f32_e32 v118, v120, v118
	v_min3_f32 v116, v116, v118, v117
	v_cvt_f64_f32_e32 v[116:117], v116
	v_lshl_add_u64 v[118:119], v[130:131], 3, v[112:113]
	global_store_dwordx2 v[118:119], v[116:117], off
	s_or_b64 exec, exec, s[28:29]
	s_and_b64 s[34:35], s[6:7], s[18:19]
	s_and_saveexec_b64 s[28:29], s[34:35]
	s_cbranch_execz .LBB177_140
.LBB177_153:
	s_and_b64 vcc, exec, s[0:1]
	s_cbranch_vccnz .LBB177_155
; %bb.154:
	v_lshl_add_u64 v[116:117], v[132:133], 3, v[114:115]
	global_load_dwordx2 v[116:117], v[116:117], off
	s_waitcnt vmcnt(0)
	v_mul_f64 v[116:117], s[24:25], v[116:117]
	v_cvt_f32_f64_e32 v116, v[116:117]
	s_branch .LBB177_156
.LBB177_155:
	v_mov_b32_e32 v116, 0
.LBB177_156:
	v_add_f64 v[118:119], v[54:55], v[110:111]
	v_add_f64 v[120:121], v[52:53], v[108:109]
	v_cvt_f32_f64_e32 v117, v[120:121]
	v_cvt_f32_f64_e32 v118, v[118:119]
	v_min3_f32 v117, v117, v118, v196
	v_add_f64 v[118:119], v[50:51], v[106:107]
	v_add_f64 v[120:121], v[48:49], v[104:105]
	v_cvt_f32_f64_e32 v120, v[120:121]
	v_cvt_f32_f64_e32 v118, v[118:119]
	v_min_f32_e32 v118, v120, v118
	v_min3_f32 v116, v116, v118, v117
	v_cvt_f64_f32_e32 v[116:117], v116
	v_lshl_add_u64 v[118:119], v[132:133], 3, v[112:113]
	global_store_dwordx2 v[118:119], v[116:117], off
	s_or_b64 exec, exec, s[28:29]
	s_and_b64 s[34:35], s[8:9], s[18:19]
	s_and_saveexec_b64 s[28:29], s[34:35]
	s_cbranch_execz .LBB177_141
.LBB177_157:
	s_and_b64 vcc, exec, s[0:1]
	s_cbranch_vccnz .LBB177_159
; %bb.158:
	v_lshl_add_u64 v[116:117], v[134:135], 3, v[114:115]
	global_load_dwordx2 v[116:117], v[116:117], off
	s_waitcnt vmcnt(0)
	v_mul_f64 v[116:117], s[24:25], v[116:117]
	v_cvt_f32_f64_e32 v116, v[116:117]
	s_branch .LBB177_160
.LBB177_159:
	v_mov_b32_e32 v116, 0
.LBB177_160:
	v_add_f64 v[118:119], v[46:47], v[110:111]
	v_add_f64 v[120:121], v[44:45], v[108:109]
	v_cvt_f32_f64_e32 v117, v[120:121]
	v_cvt_f32_f64_e32 v118, v[118:119]
	v_min3_f32 v117, v117, v118, v195
	v_add_f64 v[118:119], v[42:43], v[106:107]
	v_add_f64 v[120:121], v[40:41], v[104:105]
	v_cvt_f32_f64_e32 v120, v[120:121]
	v_cvt_f32_f64_e32 v118, v[118:119]
	v_min_f32_e32 v118, v120, v118
	v_min3_f32 v116, v116, v118, v117
	v_cvt_f64_f32_e32 v[116:117], v116
	v_lshl_add_u64 v[118:119], v[134:135], 3, v[112:113]
	global_store_dwordx2 v[118:119], v[116:117], off
	s_or_b64 exec, exec, s[28:29]
	s_and_b64 s[34:35], s[10:11], s[18:19]
	s_and_saveexec_b64 s[28:29], s[34:35]
	s_cbranch_execz .LBB177_142
.LBB177_161:
	s_and_b64 vcc, exec, s[0:1]
	s_cbranch_vccnz .LBB177_163
; %bb.162:
	v_lshl_add_u64 v[116:117], v[136:137], 3, v[114:115]
	global_load_dwordx2 v[116:117], v[116:117], off
	s_waitcnt vmcnt(0)
	v_mul_f64 v[116:117], s[24:25], v[116:117]
	v_cvt_f32_f64_e32 v116, v[116:117]
	s_branch .LBB177_164
.LBB177_163:
	v_mov_b32_e32 v116, 0
.LBB177_164:
	v_add_f64 v[118:119], v[38:39], v[110:111]
	v_add_f64 v[120:121], v[36:37], v[108:109]
	v_cvt_f32_f64_e32 v117, v[120:121]
	v_cvt_f32_f64_e32 v118, v[118:119]
	v_min3_f32 v117, v117, v118, v194
	v_add_f64 v[118:119], v[34:35], v[106:107]
	v_add_f64 v[120:121], v[32:33], v[104:105]
	v_cvt_f32_f64_e32 v120, v[120:121]
	v_cvt_f32_f64_e32 v118, v[118:119]
	v_min_f32_e32 v118, v120, v118
	v_min3_f32 v116, v116, v118, v117
	v_cvt_f64_f32_e32 v[116:117], v116
	v_lshl_add_u64 v[118:119], v[136:137], 3, v[112:113]
	global_store_dwordx2 v[118:119], v[116:117], off
	s_or_b64 exec, exec, s[28:29]
	s_and_b64 s[34:35], s[12:13], s[18:19]
	s_and_saveexec_b64 s[28:29], s[34:35]
	s_cbranch_execz .LBB177_143
.LBB177_165:
	s_and_b64 vcc, exec, s[0:1]
	s_cbranch_vccnz .LBB177_167
; %bb.166:
	v_lshl_add_u64 v[116:117], v[138:139], 3, v[114:115]
	global_load_dwordx2 v[116:117], v[116:117], off
	s_waitcnt vmcnt(0)
	v_mul_f64 v[116:117], s[24:25], v[116:117]
	v_cvt_f32_f64_e32 v116, v[116:117]
	s_branch .LBB177_168
.LBB177_167:
	v_mov_b32_e32 v116, 0
.LBB177_168:
	v_add_f64 v[118:119], v[30:31], v[110:111]
	v_add_f64 v[120:121], v[28:29], v[108:109]
	v_cvt_f32_f64_e32 v117, v[120:121]
	v_cvt_f32_f64_e32 v118, v[118:119]
	v_min3_f32 v117, v117, v118, v193
	v_add_f64 v[118:119], v[26:27], v[106:107]
	v_add_f64 v[120:121], v[24:25], v[104:105]
	v_cvt_f32_f64_e32 v120, v[120:121]
	v_cvt_f32_f64_e32 v118, v[118:119]
	v_min_f32_e32 v118, v120, v118
	v_min3_f32 v116, v116, v118, v117
	v_cvt_f64_f32_e32 v[116:117], v116
	v_lshl_add_u64 v[118:119], v[138:139], 3, v[112:113]
	global_store_dwordx2 v[118:119], v[116:117], off
	s_or_b64 exec, exec, s[28:29]
	s_and_b64 s[34:35], s[14:15], s[18:19]
	s_and_saveexec_b64 s[28:29], s[34:35]
	s_cbranch_execz .LBB177_144
.LBB177_169:
	s_and_b64 vcc, exec, s[0:1]
	s_cbranch_vccnz .LBB177_171
; %bb.170:
	v_lshl_add_u64 v[116:117], v[140:141], 3, v[114:115]
	global_load_dwordx2 v[116:117], v[116:117], off
	s_waitcnt vmcnt(0)
	v_mul_f64 v[116:117], s[24:25], v[116:117]
	v_cvt_f32_f64_e32 v116, v[116:117]
	s_branch .LBB177_172
.LBB177_171:
	v_mov_b32_e32 v116, 0
.LBB177_172:
	v_add_f64 v[118:119], v[22:23], v[110:111]
	v_add_f64 v[120:121], v[20:21], v[108:109]
	v_cvt_f32_f64_e32 v117, v[120:121]
	v_cvt_f32_f64_e32 v118, v[118:119]
	v_min3_f32 v117, v117, v118, v192
	v_add_f64 v[118:119], v[18:19], v[106:107]
	v_add_f64 v[120:121], v[16:17], v[104:105]
	v_cvt_f32_f64_e32 v120, v[120:121]
	v_cvt_f32_f64_e32 v118, v[118:119]
	v_min_f32_e32 v118, v120, v118
	v_min3_f32 v116, v116, v118, v117
	v_cvt_f64_f32_e32 v[116:117], v116
	v_lshl_add_u64 v[118:119], v[140:141], 3, v[112:113]
	global_store_dwordx2 v[118:119], v[116:117], off
	s_or_b64 exec, exec, s[28:29]
	s_and_b64 s[28:29], s[16:17], s[18:19]
	s_and_saveexec_b64 s[18:19], s[28:29]
	s_cbranch_execz .LBB177_177
.LBB177_173:
	s_and_b64 vcc, exec, s[0:1]
	s_cbranch_vccnz .LBB177_175
; %bb.174:
	v_lshl_add_u64 v[114:115], v[142:143], 3, v[114:115]
	global_load_dwordx2 v[114:115], v[114:115], off
	s_waitcnt vmcnt(0)
	v_mul_f64 v[114:115], s[24:25], v[114:115]
	v_cvt_f32_f64_e32 v114, v[114:115]
	s_branch .LBB177_176
.LBB177_175:
	v_mov_b32_e32 v114, 0
.LBB177_176:
	v_add_f64 v[110:111], v[6:7], v[110:111]
	v_add_f64 v[108:109], v[4:5], v[108:109]
	;; [unrolled: 1-line block ×4, first 2 shown]
	v_cvt_f32_f64_e32 v108, v[108:109]
	v_cvt_f32_f64_e32 v109, v[110:111]
	;; [unrolled: 1-line block ×4, first 2 shown]
	v_min3_f32 v108, v108, v109, v191
	v_min_f32_e32 v104, v104, v105
	v_min3_f32 v104, v114, v104, v108
	v_cvt_f64_f32_e32 v[104:105], v104
	v_lshl_add_u64 v[106:107], v[142:143], 3, v[112:113]
	global_store_dwordx2 v[106:107], v[104:105], off
.LBB177_177:
	s_or_b64 exec, exec, s[18:19]
	v_add_u32_e32 v108, 0x60, v158
	v_mad_i64_i32 v[104:105], s[28:29], v108, s31, 0
	v_cmp_gt_i32_e64 s[18:19], s21, v108
	v_lshl_add_u64 v[106:107], v[104:105], 3, s[26:27]
	v_mad_i64_i32 v[104:105], s[28:29], v108, s30, 0
	v_lshl_add_u64 v[104:105], v[104:105], 3, s[22:23]
	s_and_b64 s[34:35], s[2:3], s[18:19]
	s_and_saveexec_b64 s[28:29], s[34:35]
	s_cbranch_execnz .LBB177_185
; %bb.178:
	s_or_b64 exec, exec, s[28:29]
	s_and_b64 s[34:35], s[4:5], s[18:19]
	s_and_saveexec_b64 s[28:29], s[34:35]
	s_cbranch_execnz .LBB177_189
.LBB177_179:
	s_or_b64 exec, exec, s[28:29]
	s_and_b64 s[34:35], s[6:7], s[18:19]
	s_and_saveexec_b64 s[28:29], s[34:35]
	s_cbranch_execnz .LBB177_193
.LBB177_180:
	s_or_b64 exec, exec, s[28:29]
	s_and_b64 s[34:35], s[8:9], s[18:19]
	s_and_saveexec_b64 s[28:29], s[34:35]
	s_cbranch_execnz .LBB177_197
.LBB177_181:
	s_or_b64 exec, exec, s[28:29]
	s_and_b64 s[34:35], s[10:11], s[18:19]
	s_and_saveexec_b64 s[28:29], s[34:35]
	s_cbranch_execnz .LBB177_201
.LBB177_182:
	s_or_b64 exec, exec, s[28:29]
	s_and_b64 s[34:35], s[12:13], s[18:19]
	s_and_saveexec_b64 s[28:29], s[34:35]
	s_cbranch_execnz .LBB177_205
.LBB177_183:
	s_or_b64 exec, exec, s[28:29]
	s_and_b64 s[34:35], s[14:15], s[18:19]
	s_and_saveexec_b64 s[28:29], s[34:35]
	s_cbranch_execnz .LBB177_209
.LBB177_184:
	s_or_b64 exec, exec, s[28:29]
	s_and_b64 s[28:29], s[16:17], s[18:19]
	s_and_saveexec_b64 s[18:19], s[28:29]
	s_cbranch_execnz .LBB177_213
	s_branch .LBB177_217
.LBB177_185:
	s_and_b64 vcc, exec, s[0:1]
	s_cbranch_vccnz .LBB177_187
; %bb.186:
	v_lshl_add_u64 v[108:109], v[128:129], 3, v[106:107]
	global_load_dwordx2 v[108:109], v[108:109], off
	s_waitcnt vmcnt(0)
	v_mul_f64 v[108:109], s[24:25], v[108:109]
	v_cvt_f32_f64_e32 v108, v[108:109]
	s_branch .LBB177_188
.LBB177_187:
	v_mov_b32_e32 v108, 0
.LBB177_188:
	v_add_f64 v[110:111], v[70:71], v[102:103]
	v_add_f64 v[112:113], v[68:69], v[100:101]
	v_cvt_f32_f64_e32 v109, v[112:113]
	v_cvt_f32_f64_e32 v110, v[110:111]
	v_min3_f32 v109, v109, v110, v190
	v_add_f64 v[110:111], v[66:67], v[98:99]
	v_add_f64 v[112:113], v[64:65], v[96:97]
	v_cvt_f32_f64_e32 v112, v[112:113]
	v_cvt_f32_f64_e32 v110, v[110:111]
	v_min_f32_e32 v110, v112, v110
	v_min3_f32 v108, v108, v110, v109
	v_cvt_f64_f32_e32 v[108:109], v108
	v_lshl_add_u64 v[110:111], v[128:129], 3, v[104:105]
	global_store_dwordx2 v[110:111], v[108:109], off
	s_or_b64 exec, exec, s[28:29]
	s_and_b64 s[34:35], s[4:5], s[18:19]
	s_and_saveexec_b64 s[28:29], s[34:35]
	s_cbranch_execz .LBB177_179
.LBB177_189:
	s_and_b64 vcc, exec, s[0:1]
	s_cbranch_vccnz .LBB177_191
; %bb.190:
	v_lshl_add_u64 v[108:109], v[130:131], 3, v[106:107]
	global_load_dwordx2 v[108:109], v[108:109], off
	s_waitcnt vmcnt(0)
	v_mul_f64 v[108:109], s[24:25], v[108:109]
	v_cvt_f32_f64_e32 v108, v[108:109]
	s_branch .LBB177_192
.LBB177_191:
	v_mov_b32_e32 v108, 0
.LBB177_192:
	v_add_f64 v[110:111], v[62:63], v[102:103]
	v_add_f64 v[112:113], v[60:61], v[100:101]
	v_cvt_f32_f64_e32 v109, v[112:113]
	v_cvt_f32_f64_e32 v110, v[110:111]
	v_min3_f32 v109, v109, v110, v189
	v_add_f64 v[110:111], v[58:59], v[98:99]
	v_add_f64 v[112:113], v[56:57], v[96:97]
	v_cvt_f32_f64_e32 v112, v[112:113]
	v_cvt_f32_f64_e32 v110, v[110:111]
	v_min_f32_e32 v110, v112, v110
	v_min3_f32 v108, v108, v110, v109
	v_cvt_f64_f32_e32 v[108:109], v108
	v_lshl_add_u64 v[110:111], v[130:131], 3, v[104:105]
	global_store_dwordx2 v[110:111], v[108:109], off
	s_or_b64 exec, exec, s[28:29]
	s_and_b64 s[34:35], s[6:7], s[18:19]
	s_and_saveexec_b64 s[28:29], s[34:35]
	s_cbranch_execz .LBB177_180
.LBB177_193:
	s_and_b64 vcc, exec, s[0:1]
	s_cbranch_vccnz .LBB177_195
; %bb.194:
	v_lshl_add_u64 v[108:109], v[132:133], 3, v[106:107]
	global_load_dwordx2 v[108:109], v[108:109], off
	s_waitcnt vmcnt(0)
	v_mul_f64 v[108:109], s[24:25], v[108:109]
	v_cvt_f32_f64_e32 v108, v[108:109]
	s_branch .LBB177_196
.LBB177_195:
	v_mov_b32_e32 v108, 0
.LBB177_196:
	v_add_f64 v[110:111], v[54:55], v[102:103]
	v_add_f64 v[112:113], v[52:53], v[100:101]
	v_cvt_f32_f64_e32 v109, v[112:113]
	v_cvt_f32_f64_e32 v110, v[110:111]
	v_min3_f32 v109, v109, v110, v188
	v_add_f64 v[110:111], v[50:51], v[98:99]
	v_add_f64 v[112:113], v[48:49], v[96:97]
	v_cvt_f32_f64_e32 v112, v[112:113]
	v_cvt_f32_f64_e32 v110, v[110:111]
	v_min_f32_e32 v110, v112, v110
	v_min3_f32 v108, v108, v110, v109
	v_cvt_f64_f32_e32 v[108:109], v108
	v_lshl_add_u64 v[110:111], v[132:133], 3, v[104:105]
	global_store_dwordx2 v[110:111], v[108:109], off
	s_or_b64 exec, exec, s[28:29]
	s_and_b64 s[34:35], s[8:9], s[18:19]
	s_and_saveexec_b64 s[28:29], s[34:35]
	s_cbranch_execz .LBB177_181
.LBB177_197:
	s_and_b64 vcc, exec, s[0:1]
	s_cbranch_vccnz .LBB177_199
; %bb.198:
	v_lshl_add_u64 v[108:109], v[134:135], 3, v[106:107]
	global_load_dwordx2 v[108:109], v[108:109], off
	s_waitcnt vmcnt(0)
	v_mul_f64 v[108:109], s[24:25], v[108:109]
	v_cvt_f32_f64_e32 v108, v[108:109]
	s_branch .LBB177_200
.LBB177_199:
	v_mov_b32_e32 v108, 0
.LBB177_200:
	v_add_f64 v[110:111], v[46:47], v[102:103]
	v_add_f64 v[112:113], v[44:45], v[100:101]
	v_cvt_f32_f64_e32 v109, v[112:113]
	v_cvt_f32_f64_e32 v110, v[110:111]
	v_min3_f32 v109, v109, v110, v187
	v_add_f64 v[110:111], v[42:43], v[98:99]
	v_add_f64 v[112:113], v[40:41], v[96:97]
	v_cvt_f32_f64_e32 v112, v[112:113]
	v_cvt_f32_f64_e32 v110, v[110:111]
	v_min_f32_e32 v110, v112, v110
	v_min3_f32 v108, v108, v110, v109
	v_cvt_f64_f32_e32 v[108:109], v108
	v_lshl_add_u64 v[110:111], v[134:135], 3, v[104:105]
	global_store_dwordx2 v[110:111], v[108:109], off
	s_or_b64 exec, exec, s[28:29]
	s_and_b64 s[34:35], s[10:11], s[18:19]
	s_and_saveexec_b64 s[28:29], s[34:35]
	s_cbranch_execz .LBB177_182
.LBB177_201:
	s_and_b64 vcc, exec, s[0:1]
	s_cbranch_vccnz .LBB177_203
; %bb.202:
	v_lshl_add_u64 v[108:109], v[136:137], 3, v[106:107]
	global_load_dwordx2 v[108:109], v[108:109], off
	s_waitcnt vmcnt(0)
	v_mul_f64 v[108:109], s[24:25], v[108:109]
	v_cvt_f32_f64_e32 v108, v[108:109]
	s_branch .LBB177_204
.LBB177_203:
	v_mov_b32_e32 v108, 0
.LBB177_204:
	v_add_f64 v[110:111], v[38:39], v[102:103]
	v_add_f64 v[112:113], v[36:37], v[100:101]
	v_cvt_f32_f64_e32 v109, v[112:113]
	v_cvt_f32_f64_e32 v110, v[110:111]
	v_min3_f32 v109, v109, v110, v186
	v_add_f64 v[110:111], v[34:35], v[98:99]
	v_add_f64 v[112:113], v[32:33], v[96:97]
	v_cvt_f32_f64_e32 v112, v[112:113]
	v_cvt_f32_f64_e32 v110, v[110:111]
	v_min_f32_e32 v110, v112, v110
	v_min3_f32 v108, v108, v110, v109
	v_cvt_f64_f32_e32 v[108:109], v108
	v_lshl_add_u64 v[110:111], v[136:137], 3, v[104:105]
	global_store_dwordx2 v[110:111], v[108:109], off
	s_or_b64 exec, exec, s[28:29]
	s_and_b64 s[34:35], s[12:13], s[18:19]
	s_and_saveexec_b64 s[28:29], s[34:35]
	s_cbranch_execz .LBB177_183
.LBB177_205:
	s_and_b64 vcc, exec, s[0:1]
	s_cbranch_vccnz .LBB177_207
; %bb.206:
	v_lshl_add_u64 v[108:109], v[138:139], 3, v[106:107]
	global_load_dwordx2 v[108:109], v[108:109], off
	s_waitcnt vmcnt(0)
	v_mul_f64 v[108:109], s[24:25], v[108:109]
	v_cvt_f32_f64_e32 v108, v[108:109]
	s_branch .LBB177_208
.LBB177_207:
	v_mov_b32_e32 v108, 0
.LBB177_208:
	v_add_f64 v[110:111], v[30:31], v[102:103]
	v_add_f64 v[112:113], v[28:29], v[100:101]
	v_cvt_f32_f64_e32 v109, v[112:113]
	v_cvt_f32_f64_e32 v110, v[110:111]
	v_min3_f32 v109, v109, v110, v185
	v_add_f64 v[110:111], v[26:27], v[98:99]
	v_add_f64 v[112:113], v[24:25], v[96:97]
	v_cvt_f32_f64_e32 v112, v[112:113]
	v_cvt_f32_f64_e32 v110, v[110:111]
	v_min_f32_e32 v110, v112, v110
	v_min3_f32 v108, v108, v110, v109
	v_cvt_f64_f32_e32 v[108:109], v108
	v_lshl_add_u64 v[110:111], v[138:139], 3, v[104:105]
	global_store_dwordx2 v[110:111], v[108:109], off
	s_or_b64 exec, exec, s[28:29]
	s_and_b64 s[34:35], s[14:15], s[18:19]
	s_and_saveexec_b64 s[28:29], s[34:35]
	s_cbranch_execz .LBB177_184
.LBB177_209:
	s_and_b64 vcc, exec, s[0:1]
	s_cbranch_vccnz .LBB177_211
; %bb.210:
	v_lshl_add_u64 v[108:109], v[140:141], 3, v[106:107]
	global_load_dwordx2 v[108:109], v[108:109], off
	s_waitcnt vmcnt(0)
	v_mul_f64 v[108:109], s[24:25], v[108:109]
	v_cvt_f32_f64_e32 v108, v[108:109]
	s_branch .LBB177_212
.LBB177_211:
	v_mov_b32_e32 v108, 0
.LBB177_212:
	v_add_f64 v[110:111], v[22:23], v[102:103]
	v_add_f64 v[112:113], v[20:21], v[100:101]
	v_cvt_f32_f64_e32 v109, v[112:113]
	v_cvt_f32_f64_e32 v110, v[110:111]
	v_min3_f32 v109, v109, v110, v184
	v_add_f64 v[110:111], v[18:19], v[98:99]
	v_add_f64 v[112:113], v[16:17], v[96:97]
	v_cvt_f32_f64_e32 v112, v[112:113]
	v_cvt_f32_f64_e32 v110, v[110:111]
	v_min_f32_e32 v110, v112, v110
	v_min3_f32 v108, v108, v110, v109
	v_cvt_f64_f32_e32 v[108:109], v108
	v_lshl_add_u64 v[110:111], v[140:141], 3, v[104:105]
	global_store_dwordx2 v[110:111], v[108:109], off
	s_or_b64 exec, exec, s[28:29]
	s_and_b64 s[28:29], s[16:17], s[18:19]
	s_and_saveexec_b64 s[18:19], s[28:29]
	s_cbranch_execz .LBB177_217
.LBB177_213:
	s_and_b64 vcc, exec, s[0:1]
	s_cbranch_vccnz .LBB177_215
; %bb.214:
	v_lshl_add_u64 v[106:107], v[142:143], 3, v[106:107]
	global_load_dwordx2 v[106:107], v[106:107], off
	s_waitcnt vmcnt(0)
	v_mul_f64 v[106:107], s[24:25], v[106:107]
	v_cvt_f32_f64_e32 v106, v[106:107]
	s_branch .LBB177_216
.LBB177_215:
	v_mov_b32_e32 v106, 0
.LBB177_216:
	v_add_f64 v[102:103], v[6:7], v[102:103]
	v_add_f64 v[100:101], v[4:5], v[100:101]
	;; [unrolled: 1-line block ×4, first 2 shown]
	v_cvt_f32_f64_e32 v100, v[100:101]
	v_cvt_f32_f64_e32 v101, v[102:103]
	;; [unrolled: 1-line block ×4, first 2 shown]
	v_min3_f32 v100, v100, v101, v183
	v_min_f32_e32 v96, v96, v97
	v_min3_f32 v96, v106, v96, v100
	v_cvt_f64_f32_e32 v[96:97], v96
	v_lshl_add_u64 v[98:99], v[142:143], 3, v[104:105]
	global_store_dwordx2 v[98:99], v[96:97], off
.LBB177_217:
	s_or_b64 exec, exec, s[18:19]
	v_add_u32_e32 v100, 0x80, v158
	v_mad_i64_i32 v[96:97], s[28:29], v100, s31, 0
	v_cmp_gt_i32_e64 s[18:19], s21, v100
	v_lshl_add_u64 v[98:99], v[96:97], 3, s[26:27]
	v_mad_i64_i32 v[96:97], s[28:29], v100, s30, 0
	v_lshl_add_u64 v[96:97], v[96:97], 3, s[22:23]
	s_and_b64 s[34:35], s[2:3], s[18:19]
	s_and_saveexec_b64 s[28:29], s[34:35]
	s_cbranch_execnz .LBB177_225
; %bb.218:
	s_or_b64 exec, exec, s[28:29]
	s_and_b64 s[34:35], s[4:5], s[18:19]
	s_and_saveexec_b64 s[28:29], s[34:35]
	s_cbranch_execnz .LBB177_229
.LBB177_219:
	s_or_b64 exec, exec, s[28:29]
	s_and_b64 s[34:35], s[6:7], s[18:19]
	s_and_saveexec_b64 s[28:29], s[34:35]
	s_cbranch_execnz .LBB177_233
.LBB177_220:
	s_or_b64 exec, exec, s[28:29]
	s_and_b64 s[34:35], s[8:9], s[18:19]
	s_and_saveexec_b64 s[28:29], s[34:35]
	s_cbranch_execnz .LBB177_237
.LBB177_221:
	s_or_b64 exec, exec, s[28:29]
	s_and_b64 s[34:35], s[10:11], s[18:19]
	s_and_saveexec_b64 s[28:29], s[34:35]
	s_cbranch_execnz .LBB177_241
.LBB177_222:
	s_or_b64 exec, exec, s[28:29]
	s_and_b64 s[34:35], s[12:13], s[18:19]
	s_and_saveexec_b64 s[28:29], s[34:35]
	s_cbranch_execnz .LBB177_245
.LBB177_223:
	s_or_b64 exec, exec, s[28:29]
	s_and_b64 s[34:35], s[14:15], s[18:19]
	s_and_saveexec_b64 s[28:29], s[34:35]
	s_cbranch_execnz .LBB177_249
.LBB177_224:
	s_or_b64 exec, exec, s[28:29]
	s_and_b64 s[28:29], s[16:17], s[18:19]
	s_and_saveexec_b64 s[18:19], s[28:29]
	s_cbranch_execnz .LBB177_253
	s_branch .LBB177_257
.LBB177_225:
	s_and_b64 vcc, exec, s[0:1]
	s_cbranch_vccnz .LBB177_227
; %bb.226:
	v_lshl_add_u64 v[100:101], v[128:129], 3, v[98:99]
	global_load_dwordx2 v[100:101], v[100:101], off
	s_waitcnt vmcnt(0)
	v_mul_f64 v[100:101], s[24:25], v[100:101]
	v_cvt_f32_f64_e32 v100, v[100:101]
	s_branch .LBB177_228
.LBB177_227:
	v_mov_b32_e32 v100, 0
.LBB177_228:
	v_add_f64 v[102:103], v[70:71], v[94:95]
	v_add_f64 v[104:105], v[68:69], v[92:93]
	v_cvt_f32_f64_e32 v101, v[104:105]
	v_cvt_f32_f64_e32 v102, v[102:103]
	v_min3_f32 v101, v101, v102, v182
	v_add_f64 v[102:103], v[66:67], v[90:91]
	v_add_f64 v[104:105], v[64:65], v[88:89]
	v_cvt_f32_f64_e32 v104, v[104:105]
	v_cvt_f32_f64_e32 v102, v[102:103]
	v_min_f32_e32 v102, v104, v102
	v_min3_f32 v100, v100, v102, v101
	v_cvt_f64_f32_e32 v[100:101], v100
	v_lshl_add_u64 v[102:103], v[128:129], 3, v[96:97]
	global_store_dwordx2 v[102:103], v[100:101], off
	s_or_b64 exec, exec, s[28:29]
	s_and_b64 s[34:35], s[4:5], s[18:19]
	s_and_saveexec_b64 s[28:29], s[34:35]
	s_cbranch_execz .LBB177_219
.LBB177_229:
	s_and_b64 vcc, exec, s[0:1]
	s_cbranch_vccnz .LBB177_231
; %bb.230:
	v_lshl_add_u64 v[100:101], v[130:131], 3, v[98:99]
	global_load_dwordx2 v[100:101], v[100:101], off
	s_waitcnt vmcnt(0)
	v_mul_f64 v[100:101], s[24:25], v[100:101]
	v_cvt_f32_f64_e32 v100, v[100:101]
	s_branch .LBB177_232
.LBB177_231:
	v_mov_b32_e32 v100, 0
.LBB177_232:
	v_add_f64 v[102:103], v[62:63], v[94:95]
	v_add_f64 v[104:105], v[60:61], v[92:93]
	v_cvt_f32_f64_e32 v101, v[104:105]
	v_cvt_f32_f64_e32 v102, v[102:103]
	v_min3_f32 v101, v101, v102, v181
	v_add_f64 v[102:103], v[58:59], v[90:91]
	v_add_f64 v[104:105], v[56:57], v[88:89]
	v_cvt_f32_f64_e32 v104, v[104:105]
	v_cvt_f32_f64_e32 v102, v[102:103]
	v_min_f32_e32 v102, v104, v102
	v_min3_f32 v100, v100, v102, v101
	v_cvt_f64_f32_e32 v[100:101], v100
	v_lshl_add_u64 v[102:103], v[130:131], 3, v[96:97]
	global_store_dwordx2 v[102:103], v[100:101], off
	s_or_b64 exec, exec, s[28:29]
	s_and_b64 s[34:35], s[6:7], s[18:19]
	s_and_saveexec_b64 s[28:29], s[34:35]
	s_cbranch_execz .LBB177_220
.LBB177_233:
	s_and_b64 vcc, exec, s[0:1]
	s_cbranch_vccnz .LBB177_235
; %bb.234:
	v_lshl_add_u64 v[100:101], v[132:133], 3, v[98:99]
	global_load_dwordx2 v[100:101], v[100:101], off
	s_waitcnt vmcnt(0)
	v_mul_f64 v[100:101], s[24:25], v[100:101]
	v_cvt_f32_f64_e32 v100, v[100:101]
	s_branch .LBB177_236
.LBB177_235:
	v_mov_b32_e32 v100, 0
.LBB177_236:
	v_add_f64 v[102:103], v[54:55], v[94:95]
	v_add_f64 v[104:105], v[52:53], v[92:93]
	v_cvt_f32_f64_e32 v101, v[104:105]
	v_cvt_f32_f64_e32 v102, v[102:103]
	v_min3_f32 v101, v101, v102, v180
	v_add_f64 v[102:103], v[50:51], v[90:91]
	v_add_f64 v[104:105], v[48:49], v[88:89]
	v_cvt_f32_f64_e32 v104, v[104:105]
	v_cvt_f32_f64_e32 v102, v[102:103]
	v_min_f32_e32 v102, v104, v102
	v_min3_f32 v100, v100, v102, v101
	v_cvt_f64_f32_e32 v[100:101], v100
	v_lshl_add_u64 v[102:103], v[132:133], 3, v[96:97]
	global_store_dwordx2 v[102:103], v[100:101], off
	s_or_b64 exec, exec, s[28:29]
	s_and_b64 s[34:35], s[8:9], s[18:19]
	s_and_saveexec_b64 s[28:29], s[34:35]
	s_cbranch_execz .LBB177_221
.LBB177_237:
	s_and_b64 vcc, exec, s[0:1]
	s_cbranch_vccnz .LBB177_239
; %bb.238:
	v_lshl_add_u64 v[100:101], v[134:135], 3, v[98:99]
	global_load_dwordx2 v[100:101], v[100:101], off
	s_waitcnt vmcnt(0)
	v_mul_f64 v[100:101], s[24:25], v[100:101]
	v_cvt_f32_f64_e32 v100, v[100:101]
	s_branch .LBB177_240
.LBB177_239:
	v_mov_b32_e32 v100, 0
.LBB177_240:
	v_add_f64 v[102:103], v[46:47], v[94:95]
	v_add_f64 v[104:105], v[44:45], v[92:93]
	v_cvt_f32_f64_e32 v101, v[104:105]
	v_cvt_f32_f64_e32 v102, v[102:103]
	v_min3_f32 v101, v101, v102, v179
	v_add_f64 v[102:103], v[42:43], v[90:91]
	v_add_f64 v[104:105], v[40:41], v[88:89]
	v_cvt_f32_f64_e32 v104, v[104:105]
	v_cvt_f32_f64_e32 v102, v[102:103]
	v_min_f32_e32 v102, v104, v102
	v_min3_f32 v100, v100, v102, v101
	v_cvt_f64_f32_e32 v[100:101], v100
	v_lshl_add_u64 v[102:103], v[134:135], 3, v[96:97]
	global_store_dwordx2 v[102:103], v[100:101], off
	s_or_b64 exec, exec, s[28:29]
	s_and_b64 s[34:35], s[10:11], s[18:19]
	s_and_saveexec_b64 s[28:29], s[34:35]
	s_cbranch_execz .LBB177_222
.LBB177_241:
	s_and_b64 vcc, exec, s[0:1]
	s_cbranch_vccnz .LBB177_243
; %bb.242:
	v_lshl_add_u64 v[100:101], v[136:137], 3, v[98:99]
	global_load_dwordx2 v[100:101], v[100:101], off
	s_waitcnt vmcnt(0)
	v_mul_f64 v[100:101], s[24:25], v[100:101]
	v_cvt_f32_f64_e32 v100, v[100:101]
	s_branch .LBB177_244
.LBB177_243:
	v_mov_b32_e32 v100, 0
.LBB177_244:
	v_add_f64 v[102:103], v[38:39], v[94:95]
	v_add_f64 v[104:105], v[36:37], v[92:93]
	v_cvt_f32_f64_e32 v101, v[104:105]
	v_cvt_f32_f64_e32 v102, v[102:103]
	v_min3_f32 v101, v101, v102, v178
	v_add_f64 v[102:103], v[34:35], v[90:91]
	v_add_f64 v[104:105], v[32:33], v[88:89]
	v_cvt_f32_f64_e32 v104, v[104:105]
	v_cvt_f32_f64_e32 v102, v[102:103]
	v_min_f32_e32 v102, v104, v102
	v_min3_f32 v100, v100, v102, v101
	v_cvt_f64_f32_e32 v[100:101], v100
	v_lshl_add_u64 v[102:103], v[136:137], 3, v[96:97]
	global_store_dwordx2 v[102:103], v[100:101], off
	s_or_b64 exec, exec, s[28:29]
	s_and_b64 s[34:35], s[12:13], s[18:19]
	s_and_saveexec_b64 s[28:29], s[34:35]
	s_cbranch_execz .LBB177_223
.LBB177_245:
	s_and_b64 vcc, exec, s[0:1]
	s_cbranch_vccnz .LBB177_247
; %bb.246:
	v_lshl_add_u64 v[100:101], v[138:139], 3, v[98:99]
	global_load_dwordx2 v[100:101], v[100:101], off
	s_waitcnt vmcnt(0)
	v_mul_f64 v[100:101], s[24:25], v[100:101]
	v_cvt_f32_f64_e32 v100, v[100:101]
	s_branch .LBB177_248
.LBB177_247:
	v_mov_b32_e32 v100, 0
.LBB177_248:
	v_add_f64 v[102:103], v[30:31], v[94:95]
	v_add_f64 v[104:105], v[28:29], v[92:93]
	v_cvt_f32_f64_e32 v101, v[104:105]
	v_cvt_f32_f64_e32 v102, v[102:103]
	v_min3_f32 v101, v101, v102, v177
	v_add_f64 v[102:103], v[26:27], v[90:91]
	v_add_f64 v[104:105], v[24:25], v[88:89]
	v_cvt_f32_f64_e32 v104, v[104:105]
	v_cvt_f32_f64_e32 v102, v[102:103]
	v_min_f32_e32 v102, v104, v102
	v_min3_f32 v100, v100, v102, v101
	v_cvt_f64_f32_e32 v[100:101], v100
	v_lshl_add_u64 v[102:103], v[138:139], 3, v[96:97]
	global_store_dwordx2 v[102:103], v[100:101], off
	s_or_b64 exec, exec, s[28:29]
	s_and_b64 s[34:35], s[14:15], s[18:19]
	s_and_saveexec_b64 s[28:29], s[34:35]
	s_cbranch_execz .LBB177_224
.LBB177_249:
	s_and_b64 vcc, exec, s[0:1]
	s_cbranch_vccnz .LBB177_251
; %bb.250:
	v_lshl_add_u64 v[100:101], v[140:141], 3, v[98:99]
	global_load_dwordx2 v[100:101], v[100:101], off
	s_waitcnt vmcnt(0)
	v_mul_f64 v[100:101], s[24:25], v[100:101]
	v_cvt_f32_f64_e32 v100, v[100:101]
	s_branch .LBB177_252
.LBB177_251:
	v_mov_b32_e32 v100, 0
.LBB177_252:
	v_add_f64 v[102:103], v[22:23], v[94:95]
	v_add_f64 v[104:105], v[20:21], v[92:93]
	v_cvt_f32_f64_e32 v101, v[104:105]
	v_cvt_f32_f64_e32 v102, v[102:103]
	v_min3_f32 v101, v101, v102, v176
	v_add_f64 v[102:103], v[18:19], v[90:91]
	v_add_f64 v[104:105], v[16:17], v[88:89]
	v_cvt_f32_f64_e32 v104, v[104:105]
	v_cvt_f32_f64_e32 v102, v[102:103]
	v_min_f32_e32 v102, v104, v102
	v_min3_f32 v100, v100, v102, v101
	v_cvt_f64_f32_e32 v[100:101], v100
	v_lshl_add_u64 v[102:103], v[140:141], 3, v[96:97]
	global_store_dwordx2 v[102:103], v[100:101], off
	s_or_b64 exec, exec, s[28:29]
	s_and_b64 s[28:29], s[16:17], s[18:19]
	s_and_saveexec_b64 s[18:19], s[28:29]
	s_cbranch_execz .LBB177_257
.LBB177_253:
	s_and_b64 vcc, exec, s[0:1]
	s_cbranch_vccnz .LBB177_255
; %bb.254:
	v_lshl_add_u64 v[98:99], v[142:143], 3, v[98:99]
	global_load_dwordx2 v[98:99], v[98:99], off
	s_waitcnt vmcnt(0)
	v_mul_f64 v[98:99], s[24:25], v[98:99]
	v_cvt_f32_f64_e32 v98, v[98:99]
	s_branch .LBB177_256
.LBB177_255:
	v_mov_b32_e32 v98, 0
.LBB177_256:
	v_add_f64 v[94:95], v[6:7], v[94:95]
	v_add_f64 v[92:93], v[4:5], v[92:93]
	;; [unrolled: 1-line block ×4, first 2 shown]
	v_cvt_f32_f64_e32 v92, v[92:93]
	v_cvt_f32_f64_e32 v93, v[94:95]
	;; [unrolled: 1-line block ×4, first 2 shown]
	v_min3_f32 v92, v92, v93, v175
	v_min_f32_e32 v88, v88, v89
	v_min3_f32 v88, v98, v88, v92
	v_cvt_f64_f32_e32 v[88:89], v88
	v_lshl_add_u64 v[90:91], v[142:143], 3, v[96:97]
	global_store_dwordx2 v[90:91], v[88:89], off
.LBB177_257:
	s_or_b64 exec, exec, s[18:19]
	v_add_u32_e32 v92, 0xa0, v158
	v_mad_i64_i32 v[88:89], s[28:29], v92, s31, 0
	v_cmp_gt_i32_e64 s[18:19], s21, v92
	v_lshl_add_u64 v[90:91], v[88:89], 3, s[26:27]
	v_mad_i64_i32 v[88:89], s[28:29], v92, s30, 0
	v_lshl_add_u64 v[88:89], v[88:89], 3, s[22:23]
	s_and_b64 s[34:35], s[2:3], s[18:19]
	s_and_saveexec_b64 s[28:29], s[34:35]
	s_cbranch_execnz .LBB177_265
; %bb.258:
	s_or_b64 exec, exec, s[28:29]
	s_and_b64 s[34:35], s[4:5], s[18:19]
	s_and_saveexec_b64 s[28:29], s[34:35]
	s_cbranch_execnz .LBB177_269
.LBB177_259:
	s_or_b64 exec, exec, s[28:29]
	s_and_b64 s[34:35], s[6:7], s[18:19]
	s_and_saveexec_b64 s[28:29], s[34:35]
	s_cbranch_execnz .LBB177_273
.LBB177_260:
	s_or_b64 exec, exec, s[28:29]
	s_and_b64 s[34:35], s[8:9], s[18:19]
	s_and_saveexec_b64 s[28:29], s[34:35]
	s_cbranch_execnz .LBB177_277
.LBB177_261:
	s_or_b64 exec, exec, s[28:29]
	s_and_b64 s[34:35], s[10:11], s[18:19]
	s_and_saveexec_b64 s[28:29], s[34:35]
	s_cbranch_execnz .LBB177_281
.LBB177_262:
	s_or_b64 exec, exec, s[28:29]
	s_and_b64 s[34:35], s[12:13], s[18:19]
	s_and_saveexec_b64 s[28:29], s[34:35]
	s_cbranch_execnz .LBB177_285
.LBB177_263:
	s_or_b64 exec, exec, s[28:29]
	s_and_b64 s[34:35], s[14:15], s[18:19]
	s_and_saveexec_b64 s[28:29], s[34:35]
	s_cbranch_execnz .LBB177_289
.LBB177_264:
	s_or_b64 exec, exec, s[28:29]
	s_and_b64 s[28:29], s[16:17], s[18:19]
	s_and_saveexec_b64 s[18:19], s[28:29]
	s_cbranch_execnz .LBB177_293
	s_branch .LBB177_297
.LBB177_265:
	s_and_b64 vcc, exec, s[0:1]
	s_cbranch_vccnz .LBB177_267
; %bb.266:
	v_lshl_add_u64 v[92:93], v[128:129], 3, v[90:91]
	global_load_dwordx2 v[92:93], v[92:93], off
	s_waitcnt vmcnt(0)
	v_mul_f64 v[92:93], s[24:25], v[92:93]
	v_cvt_f32_f64_e32 v92, v[92:93]
	s_branch .LBB177_268
.LBB177_267:
	v_mov_b32_e32 v92, 0
.LBB177_268:
	v_add_f64 v[94:95], v[70:71], v[86:87]
	v_add_f64 v[96:97], v[68:69], v[84:85]
	v_cvt_f32_f64_e32 v93, v[96:97]
	v_cvt_f32_f64_e32 v94, v[94:95]
	v_min3_f32 v93, v93, v94, v174
	v_add_f64 v[94:95], v[66:67], v[82:83]
	v_add_f64 v[96:97], v[64:65], v[80:81]
	v_cvt_f32_f64_e32 v96, v[96:97]
	v_cvt_f32_f64_e32 v94, v[94:95]
	v_min_f32_e32 v94, v96, v94
	v_min3_f32 v92, v92, v94, v93
	v_cvt_f64_f32_e32 v[92:93], v92
	v_lshl_add_u64 v[94:95], v[128:129], 3, v[88:89]
	global_store_dwordx2 v[94:95], v[92:93], off
	s_or_b64 exec, exec, s[28:29]
	s_and_b64 s[34:35], s[4:5], s[18:19]
	s_and_saveexec_b64 s[28:29], s[34:35]
	s_cbranch_execz .LBB177_259
.LBB177_269:
	s_and_b64 vcc, exec, s[0:1]
	s_cbranch_vccnz .LBB177_271
; %bb.270:
	v_lshl_add_u64 v[92:93], v[130:131], 3, v[90:91]
	global_load_dwordx2 v[92:93], v[92:93], off
	s_waitcnt vmcnt(0)
	v_mul_f64 v[92:93], s[24:25], v[92:93]
	v_cvt_f32_f64_e32 v92, v[92:93]
	s_branch .LBB177_272
.LBB177_271:
	v_mov_b32_e32 v92, 0
.LBB177_272:
	v_add_f64 v[94:95], v[62:63], v[86:87]
	v_add_f64 v[96:97], v[60:61], v[84:85]
	v_cvt_f32_f64_e32 v93, v[96:97]
	v_cvt_f32_f64_e32 v94, v[94:95]
	v_min3_f32 v93, v93, v94, v173
	v_add_f64 v[94:95], v[58:59], v[82:83]
	v_add_f64 v[96:97], v[56:57], v[80:81]
	v_cvt_f32_f64_e32 v96, v[96:97]
	v_cvt_f32_f64_e32 v94, v[94:95]
	v_min_f32_e32 v94, v96, v94
	v_min3_f32 v92, v92, v94, v93
	v_cvt_f64_f32_e32 v[92:93], v92
	v_lshl_add_u64 v[94:95], v[130:131], 3, v[88:89]
	global_store_dwordx2 v[94:95], v[92:93], off
	s_or_b64 exec, exec, s[28:29]
	s_and_b64 s[34:35], s[6:7], s[18:19]
	s_and_saveexec_b64 s[28:29], s[34:35]
	s_cbranch_execz .LBB177_260
.LBB177_273:
	s_and_b64 vcc, exec, s[0:1]
	s_cbranch_vccnz .LBB177_275
; %bb.274:
	v_lshl_add_u64 v[92:93], v[132:133], 3, v[90:91]
	global_load_dwordx2 v[92:93], v[92:93], off
	s_waitcnt vmcnt(0)
	v_mul_f64 v[92:93], s[24:25], v[92:93]
	v_cvt_f32_f64_e32 v92, v[92:93]
	s_branch .LBB177_276
.LBB177_275:
	v_mov_b32_e32 v92, 0
.LBB177_276:
	v_add_f64 v[94:95], v[54:55], v[86:87]
	v_add_f64 v[96:97], v[52:53], v[84:85]
	v_cvt_f32_f64_e32 v93, v[96:97]
	v_cvt_f32_f64_e32 v94, v[94:95]
	v_min3_f32 v93, v93, v94, v172
	v_add_f64 v[94:95], v[50:51], v[82:83]
	v_add_f64 v[96:97], v[48:49], v[80:81]
	v_cvt_f32_f64_e32 v96, v[96:97]
	v_cvt_f32_f64_e32 v94, v[94:95]
	v_min_f32_e32 v94, v96, v94
	v_min3_f32 v92, v92, v94, v93
	v_cvt_f64_f32_e32 v[92:93], v92
	v_lshl_add_u64 v[94:95], v[132:133], 3, v[88:89]
	global_store_dwordx2 v[94:95], v[92:93], off
	s_or_b64 exec, exec, s[28:29]
	s_and_b64 s[34:35], s[8:9], s[18:19]
	s_and_saveexec_b64 s[28:29], s[34:35]
	s_cbranch_execz .LBB177_261
.LBB177_277:
	s_and_b64 vcc, exec, s[0:1]
	s_cbranch_vccnz .LBB177_279
; %bb.278:
	v_lshl_add_u64 v[92:93], v[134:135], 3, v[90:91]
	global_load_dwordx2 v[92:93], v[92:93], off
	s_waitcnt vmcnt(0)
	v_mul_f64 v[92:93], s[24:25], v[92:93]
	v_cvt_f32_f64_e32 v92, v[92:93]
	s_branch .LBB177_280
.LBB177_279:
	v_mov_b32_e32 v92, 0
.LBB177_280:
	v_add_f64 v[94:95], v[46:47], v[86:87]
	v_add_f64 v[96:97], v[44:45], v[84:85]
	v_cvt_f32_f64_e32 v93, v[96:97]
	v_cvt_f32_f64_e32 v94, v[94:95]
	v_min3_f32 v93, v93, v94, v171
	v_add_f64 v[94:95], v[42:43], v[82:83]
	v_add_f64 v[96:97], v[40:41], v[80:81]
	v_cvt_f32_f64_e32 v96, v[96:97]
	v_cvt_f32_f64_e32 v94, v[94:95]
	v_min_f32_e32 v94, v96, v94
	v_min3_f32 v92, v92, v94, v93
	v_cvt_f64_f32_e32 v[92:93], v92
	v_lshl_add_u64 v[94:95], v[134:135], 3, v[88:89]
	global_store_dwordx2 v[94:95], v[92:93], off
	s_or_b64 exec, exec, s[28:29]
	s_and_b64 s[34:35], s[10:11], s[18:19]
	s_and_saveexec_b64 s[28:29], s[34:35]
	s_cbranch_execz .LBB177_262
.LBB177_281:
	s_and_b64 vcc, exec, s[0:1]
	s_cbranch_vccnz .LBB177_283
; %bb.282:
	v_lshl_add_u64 v[92:93], v[136:137], 3, v[90:91]
	global_load_dwordx2 v[92:93], v[92:93], off
	s_waitcnt vmcnt(0)
	v_mul_f64 v[92:93], s[24:25], v[92:93]
	v_cvt_f32_f64_e32 v92, v[92:93]
	s_branch .LBB177_284
.LBB177_283:
	v_mov_b32_e32 v92, 0
.LBB177_284:
	v_add_f64 v[94:95], v[38:39], v[86:87]
	v_add_f64 v[96:97], v[36:37], v[84:85]
	v_cvt_f32_f64_e32 v93, v[96:97]
	v_cvt_f32_f64_e32 v94, v[94:95]
	v_min3_f32 v93, v93, v94, v170
	v_add_f64 v[94:95], v[34:35], v[82:83]
	v_add_f64 v[96:97], v[32:33], v[80:81]
	v_cvt_f32_f64_e32 v96, v[96:97]
	v_cvt_f32_f64_e32 v94, v[94:95]
	v_min_f32_e32 v94, v96, v94
	v_min3_f32 v92, v92, v94, v93
	v_cvt_f64_f32_e32 v[92:93], v92
	v_lshl_add_u64 v[94:95], v[136:137], 3, v[88:89]
	global_store_dwordx2 v[94:95], v[92:93], off
	s_or_b64 exec, exec, s[28:29]
	s_and_b64 s[34:35], s[12:13], s[18:19]
	s_and_saveexec_b64 s[28:29], s[34:35]
	s_cbranch_execz .LBB177_263
.LBB177_285:
	s_and_b64 vcc, exec, s[0:1]
	s_cbranch_vccnz .LBB177_287
; %bb.286:
	v_lshl_add_u64 v[92:93], v[138:139], 3, v[90:91]
	global_load_dwordx2 v[92:93], v[92:93], off
	s_waitcnt vmcnt(0)
	v_mul_f64 v[92:93], s[24:25], v[92:93]
	v_cvt_f32_f64_e32 v92, v[92:93]
	s_branch .LBB177_288
.LBB177_287:
	v_mov_b32_e32 v92, 0
.LBB177_288:
	v_add_f64 v[94:95], v[30:31], v[86:87]
	v_add_f64 v[96:97], v[28:29], v[84:85]
	v_cvt_f32_f64_e32 v93, v[96:97]
	v_cvt_f32_f64_e32 v94, v[94:95]
	v_min3_f32 v93, v93, v94, v169
	v_add_f64 v[94:95], v[26:27], v[82:83]
	v_add_f64 v[96:97], v[24:25], v[80:81]
	v_cvt_f32_f64_e32 v96, v[96:97]
	v_cvt_f32_f64_e32 v94, v[94:95]
	v_min_f32_e32 v94, v96, v94
	v_min3_f32 v92, v92, v94, v93
	v_cvt_f64_f32_e32 v[92:93], v92
	v_lshl_add_u64 v[94:95], v[138:139], 3, v[88:89]
	global_store_dwordx2 v[94:95], v[92:93], off
	s_or_b64 exec, exec, s[28:29]
	s_and_b64 s[34:35], s[14:15], s[18:19]
	s_and_saveexec_b64 s[28:29], s[34:35]
	s_cbranch_execz .LBB177_264
.LBB177_289:
	s_and_b64 vcc, exec, s[0:1]
	s_cbranch_vccnz .LBB177_291
; %bb.290:
	v_lshl_add_u64 v[92:93], v[140:141], 3, v[90:91]
	global_load_dwordx2 v[92:93], v[92:93], off
	s_waitcnt vmcnt(0)
	v_mul_f64 v[92:93], s[24:25], v[92:93]
	v_cvt_f32_f64_e32 v92, v[92:93]
	s_branch .LBB177_292
.LBB177_291:
	v_mov_b32_e32 v92, 0
.LBB177_292:
	v_add_f64 v[94:95], v[22:23], v[86:87]
	v_add_f64 v[96:97], v[20:21], v[84:85]
	v_cvt_f32_f64_e32 v93, v[96:97]
	v_cvt_f32_f64_e32 v94, v[94:95]
	v_min3_f32 v93, v93, v94, v168
	v_add_f64 v[94:95], v[18:19], v[82:83]
	v_add_f64 v[96:97], v[16:17], v[80:81]
	v_cvt_f32_f64_e32 v96, v[96:97]
	v_cvt_f32_f64_e32 v94, v[94:95]
	v_min_f32_e32 v94, v96, v94
	v_min3_f32 v92, v92, v94, v93
	v_cvt_f64_f32_e32 v[92:93], v92
	v_lshl_add_u64 v[94:95], v[140:141], 3, v[88:89]
	global_store_dwordx2 v[94:95], v[92:93], off
	s_or_b64 exec, exec, s[28:29]
	s_and_b64 s[28:29], s[16:17], s[18:19]
	s_and_saveexec_b64 s[18:19], s[28:29]
	s_cbranch_execz .LBB177_297
.LBB177_293:
	s_and_b64 vcc, exec, s[0:1]
	s_cbranch_vccnz .LBB177_295
; %bb.294:
	v_lshl_add_u64 v[90:91], v[142:143], 3, v[90:91]
	global_load_dwordx2 v[90:91], v[90:91], off
	s_waitcnt vmcnt(0)
	v_mul_f64 v[90:91], s[24:25], v[90:91]
	v_cvt_f32_f64_e32 v90, v[90:91]
	s_branch .LBB177_296
.LBB177_295:
	v_mov_b32_e32 v90, 0
.LBB177_296:
	v_add_f64 v[86:87], v[6:7], v[86:87]
	v_add_f64 v[84:85], v[4:5], v[84:85]
	;; [unrolled: 1-line block ×4, first 2 shown]
	v_cvt_f32_f64_e32 v84, v[84:85]
	v_cvt_f32_f64_e32 v85, v[86:87]
	v_cvt_f32_f64_e32 v80, v[80:81]
	v_cvt_f32_f64_e32 v81, v[82:83]
	v_min3_f32 v84, v84, v85, v167
	v_min_f32_e32 v80, v80, v81
	v_min3_f32 v80, v90, v80, v84
	v_cvt_f64_f32_e32 v[80:81], v80
	v_lshl_add_u64 v[82:83], v[142:143], 3, v[88:89]
	global_store_dwordx2 v[82:83], v[80:81], off
.LBB177_297:
	s_or_b64 exec, exec, s[18:19]
	v_add_u32_e32 v84, 0xc0, v158
	v_mad_i64_i32 v[80:81], s[28:29], v84, s31, 0
	v_cmp_gt_i32_e64 s[18:19], s21, v84
	v_lshl_add_u64 v[82:83], v[80:81], 3, s[26:27]
	v_mad_i64_i32 v[80:81], s[28:29], v84, s30, 0
	v_lshl_add_u64 v[80:81], v[80:81], 3, s[22:23]
	s_and_b64 s[34:35], s[2:3], s[18:19]
	s_and_saveexec_b64 s[28:29], s[34:35]
	s_cbranch_execnz .LBB177_305
; %bb.298:
	s_or_b64 exec, exec, s[28:29]
	s_and_b64 s[34:35], s[4:5], s[18:19]
	s_and_saveexec_b64 s[28:29], s[34:35]
	s_cbranch_execnz .LBB177_309
.LBB177_299:
	s_or_b64 exec, exec, s[28:29]
	s_and_b64 s[34:35], s[6:7], s[18:19]
	s_and_saveexec_b64 s[28:29], s[34:35]
	s_cbranch_execnz .LBB177_313
.LBB177_300:
	s_or_b64 exec, exec, s[28:29]
	s_and_b64 s[34:35], s[8:9], s[18:19]
	s_and_saveexec_b64 s[28:29], s[34:35]
	s_cbranch_execnz .LBB177_317
.LBB177_301:
	s_or_b64 exec, exec, s[28:29]
	s_and_b64 s[34:35], s[10:11], s[18:19]
	s_and_saveexec_b64 s[28:29], s[34:35]
	s_cbranch_execnz .LBB177_321
.LBB177_302:
	s_or_b64 exec, exec, s[28:29]
	s_and_b64 s[34:35], s[12:13], s[18:19]
	s_and_saveexec_b64 s[28:29], s[34:35]
	s_cbranch_execnz .LBB177_325
.LBB177_303:
	s_or_b64 exec, exec, s[28:29]
	s_and_b64 s[34:35], s[14:15], s[18:19]
	s_and_saveexec_b64 s[28:29], s[34:35]
	s_cbranch_execnz .LBB177_329
.LBB177_304:
	s_or_b64 exec, exec, s[28:29]
	s_and_b64 s[28:29], s[16:17], s[18:19]
	s_and_saveexec_b64 s[18:19], s[28:29]
	s_cbranch_execnz .LBB177_333
	s_branch .LBB177_337
.LBB177_305:
	s_and_b64 vcc, exec, s[0:1]
	s_cbranch_vccnz .LBB177_307
; %bb.306:
	v_lshl_add_u64 v[84:85], v[128:129], 3, v[82:83]
	global_load_dwordx2 v[84:85], v[84:85], off
	s_waitcnt vmcnt(0)
	v_mul_f64 v[84:85], s[24:25], v[84:85]
	v_cvt_f32_f64_e32 v84, v[84:85]
	s_branch .LBB177_308
.LBB177_307:
	v_mov_b32_e32 v84, 0
.LBB177_308:
	v_add_f64 v[86:87], v[70:71], v[78:79]
	v_add_f64 v[88:89], v[68:69], v[76:77]
	v_cvt_f32_f64_e32 v85, v[88:89]
	v_cvt_f32_f64_e32 v86, v[86:87]
	v_min3_f32 v85, v85, v86, v166
	v_add_f64 v[86:87], v[66:67], v[74:75]
	v_add_f64 v[88:89], v[64:65], v[72:73]
	v_cvt_f32_f64_e32 v88, v[88:89]
	v_cvt_f32_f64_e32 v86, v[86:87]
	v_min_f32_e32 v86, v88, v86
	v_min3_f32 v84, v84, v86, v85
	v_cvt_f64_f32_e32 v[84:85], v84
	v_lshl_add_u64 v[86:87], v[128:129], 3, v[80:81]
	global_store_dwordx2 v[86:87], v[84:85], off
	s_or_b64 exec, exec, s[28:29]
	s_and_b64 s[34:35], s[4:5], s[18:19]
	s_and_saveexec_b64 s[28:29], s[34:35]
	s_cbranch_execz .LBB177_299
.LBB177_309:
	s_and_b64 vcc, exec, s[0:1]
	s_cbranch_vccnz .LBB177_311
; %bb.310:
	v_lshl_add_u64 v[84:85], v[130:131], 3, v[82:83]
	global_load_dwordx2 v[84:85], v[84:85], off
	s_waitcnt vmcnt(0)
	v_mul_f64 v[84:85], s[24:25], v[84:85]
	v_cvt_f32_f64_e32 v84, v[84:85]
	s_branch .LBB177_312
.LBB177_311:
	v_mov_b32_e32 v84, 0
.LBB177_312:
	v_add_f64 v[86:87], v[62:63], v[78:79]
	v_add_f64 v[88:89], v[60:61], v[76:77]
	v_cvt_f32_f64_e32 v85, v[88:89]
	v_cvt_f32_f64_e32 v86, v[86:87]
	v_min3_f32 v85, v85, v86, v164
	v_add_f64 v[86:87], v[58:59], v[74:75]
	v_add_f64 v[88:89], v[56:57], v[72:73]
	v_cvt_f32_f64_e32 v88, v[88:89]
	v_cvt_f32_f64_e32 v86, v[86:87]
	v_min_f32_e32 v86, v88, v86
	v_min3_f32 v84, v84, v86, v85
	v_cvt_f64_f32_e32 v[84:85], v84
	v_lshl_add_u64 v[86:87], v[130:131], 3, v[80:81]
	global_store_dwordx2 v[86:87], v[84:85], off
	s_or_b64 exec, exec, s[28:29]
	s_and_b64 s[34:35], s[6:7], s[18:19]
	s_and_saveexec_b64 s[28:29], s[34:35]
	s_cbranch_execz .LBB177_300
.LBB177_313:
	s_and_b64 vcc, exec, s[0:1]
	s_cbranch_vccnz .LBB177_315
; %bb.314:
	v_lshl_add_u64 v[84:85], v[132:133], 3, v[82:83]
	global_load_dwordx2 v[84:85], v[84:85], off
	s_waitcnt vmcnt(0)
	v_mul_f64 v[84:85], s[24:25], v[84:85]
	v_cvt_f32_f64_e32 v84, v[84:85]
	s_branch .LBB177_316
.LBB177_315:
	v_mov_b32_e32 v84, 0
.LBB177_316:
	v_add_f64 v[86:87], v[54:55], v[78:79]
	v_add_f64 v[88:89], v[52:53], v[76:77]
	v_cvt_f32_f64_e32 v85, v[88:89]
	v_cvt_f32_f64_e32 v86, v[86:87]
	v_min3_f32 v85, v85, v86, v163
	v_add_f64 v[86:87], v[50:51], v[74:75]
	v_add_f64 v[88:89], v[48:49], v[72:73]
	v_cvt_f32_f64_e32 v88, v[88:89]
	v_cvt_f32_f64_e32 v86, v[86:87]
	v_min_f32_e32 v86, v88, v86
	v_min3_f32 v84, v84, v86, v85
	v_cvt_f64_f32_e32 v[84:85], v84
	v_lshl_add_u64 v[86:87], v[132:133], 3, v[80:81]
	global_store_dwordx2 v[86:87], v[84:85], off
	s_or_b64 exec, exec, s[28:29]
	s_and_b64 s[34:35], s[8:9], s[18:19]
	s_and_saveexec_b64 s[28:29], s[34:35]
	s_cbranch_execz .LBB177_301
.LBB177_317:
	s_and_b64 vcc, exec, s[0:1]
	s_cbranch_vccnz .LBB177_319
; %bb.318:
	v_lshl_add_u64 v[84:85], v[134:135], 3, v[82:83]
	global_load_dwordx2 v[84:85], v[84:85], off
	s_waitcnt vmcnt(0)
	v_mul_f64 v[84:85], s[24:25], v[84:85]
	v_cvt_f32_f64_e32 v84, v[84:85]
	s_branch .LBB177_320
.LBB177_319:
	v_mov_b32_e32 v84, 0
.LBB177_320:
	v_add_f64 v[86:87], v[46:47], v[78:79]
	v_add_f64 v[88:89], v[44:45], v[76:77]
	v_cvt_f32_f64_e32 v85, v[88:89]
	v_cvt_f32_f64_e32 v86, v[86:87]
	v_min3_f32 v85, v85, v86, v162
	v_add_f64 v[86:87], v[42:43], v[74:75]
	v_add_f64 v[88:89], v[40:41], v[72:73]
	v_cvt_f32_f64_e32 v88, v[88:89]
	v_cvt_f32_f64_e32 v86, v[86:87]
	v_min_f32_e32 v86, v88, v86
	v_min3_f32 v84, v84, v86, v85
	v_cvt_f64_f32_e32 v[84:85], v84
	v_lshl_add_u64 v[86:87], v[134:135], 3, v[80:81]
	global_store_dwordx2 v[86:87], v[84:85], off
	s_or_b64 exec, exec, s[28:29]
	s_and_b64 s[34:35], s[10:11], s[18:19]
	s_and_saveexec_b64 s[28:29], s[34:35]
	s_cbranch_execz .LBB177_302
.LBB177_321:
	s_and_b64 vcc, exec, s[0:1]
	s_cbranch_vccnz .LBB177_323
; %bb.322:
	v_lshl_add_u64 v[84:85], v[136:137], 3, v[82:83]
	global_load_dwordx2 v[84:85], v[84:85], off
	s_waitcnt vmcnt(0)
	v_mul_f64 v[84:85], s[24:25], v[84:85]
	v_cvt_f32_f64_e32 v84, v[84:85]
	s_branch .LBB177_324
.LBB177_323:
	v_mov_b32_e32 v84, 0
.LBB177_324:
	v_add_f64 v[86:87], v[38:39], v[78:79]
	v_add_f64 v[88:89], v[36:37], v[76:77]
	v_cvt_f32_f64_e32 v85, v[88:89]
	v_cvt_f32_f64_e32 v86, v[86:87]
	v_min3_f32 v85, v85, v86, v161
	v_add_f64 v[86:87], v[34:35], v[74:75]
	v_add_f64 v[88:89], v[32:33], v[72:73]
	v_cvt_f32_f64_e32 v88, v[88:89]
	v_cvt_f32_f64_e32 v86, v[86:87]
	v_min_f32_e32 v86, v88, v86
	v_min3_f32 v84, v84, v86, v85
	v_cvt_f64_f32_e32 v[84:85], v84
	v_lshl_add_u64 v[86:87], v[136:137], 3, v[80:81]
	global_store_dwordx2 v[86:87], v[84:85], off
	s_or_b64 exec, exec, s[28:29]
	s_and_b64 s[34:35], s[12:13], s[18:19]
	s_and_saveexec_b64 s[28:29], s[34:35]
	s_cbranch_execz .LBB177_303
.LBB177_325:
	s_and_b64 vcc, exec, s[0:1]
	s_cbranch_vccnz .LBB177_327
; %bb.326:
	v_lshl_add_u64 v[84:85], v[138:139], 3, v[82:83]
	global_load_dwordx2 v[84:85], v[84:85], off
	s_waitcnt vmcnt(0)
	v_mul_f64 v[84:85], s[24:25], v[84:85]
	v_cvt_f32_f64_e32 v84, v[84:85]
	s_branch .LBB177_328
.LBB177_327:
	v_mov_b32_e32 v84, 0
.LBB177_328:
	v_add_f64 v[86:87], v[30:31], v[78:79]
	v_add_f64 v[88:89], v[28:29], v[76:77]
	v_cvt_f32_f64_e32 v85, v[88:89]
	v_cvt_f32_f64_e32 v86, v[86:87]
	v_min3_f32 v85, v85, v86, v160
	v_add_f64 v[86:87], v[26:27], v[74:75]
	v_add_f64 v[88:89], v[24:25], v[72:73]
	v_cvt_f32_f64_e32 v88, v[88:89]
	v_cvt_f32_f64_e32 v86, v[86:87]
	v_min_f32_e32 v86, v88, v86
	v_min3_f32 v84, v84, v86, v85
	v_cvt_f64_f32_e32 v[84:85], v84
	v_lshl_add_u64 v[86:87], v[138:139], 3, v[80:81]
	global_store_dwordx2 v[86:87], v[84:85], off
	s_or_b64 exec, exec, s[28:29]
	s_and_b64 s[34:35], s[14:15], s[18:19]
	s_and_saveexec_b64 s[28:29], s[34:35]
	s_cbranch_execz .LBB177_304
.LBB177_329:
	s_and_b64 vcc, exec, s[0:1]
	s_cbranch_vccnz .LBB177_331
; %bb.330:
	v_lshl_add_u64 v[84:85], v[140:141], 3, v[82:83]
	global_load_dwordx2 v[84:85], v[84:85], off
	s_waitcnt vmcnt(0)
	v_mul_f64 v[84:85], s[24:25], v[84:85]
	v_cvt_f32_f64_e32 v84, v[84:85]
	s_branch .LBB177_332
.LBB177_331:
	v_mov_b32_e32 v84, 0
.LBB177_332:
	v_add_f64 v[86:87], v[22:23], v[78:79]
	v_add_f64 v[88:89], v[20:21], v[76:77]
	v_cvt_f32_f64_e32 v85, v[88:89]
	v_cvt_f32_f64_e32 v86, v[86:87]
	v_min3_f32 v85, v85, v86, v157
	v_add_f64 v[86:87], v[18:19], v[74:75]
	v_add_f64 v[88:89], v[16:17], v[72:73]
	v_cvt_f32_f64_e32 v88, v[88:89]
	v_cvt_f32_f64_e32 v86, v[86:87]
	v_min_f32_e32 v86, v88, v86
	v_min3_f32 v84, v84, v86, v85
	v_cvt_f64_f32_e32 v[84:85], v84
	v_lshl_add_u64 v[86:87], v[140:141], 3, v[80:81]
	global_store_dwordx2 v[86:87], v[84:85], off
	s_or_b64 exec, exec, s[28:29]
	s_and_b64 s[28:29], s[16:17], s[18:19]
	s_and_saveexec_b64 s[18:19], s[28:29]
	s_cbranch_execz .LBB177_337
.LBB177_333:
	s_and_b64 vcc, exec, s[0:1]
	s_cbranch_vccnz .LBB177_335
; %bb.334:
	v_lshl_add_u64 v[82:83], v[142:143], 3, v[82:83]
	global_load_dwordx2 v[82:83], v[82:83], off
	s_waitcnt vmcnt(0)
	v_mul_f64 v[82:83], s[24:25], v[82:83]
	v_cvt_f32_f64_e32 v82, v[82:83]
	s_branch .LBB177_336
.LBB177_335:
	v_mov_b32_e32 v82, 0
.LBB177_336:
	v_add_f64 v[78:79], v[6:7], v[78:79]
	v_add_f64 v[76:77], v[4:5], v[76:77]
	;; [unrolled: 1-line block ×4, first 2 shown]
	v_cvt_f32_f64_e32 v76, v[76:77]
	v_cvt_f32_f64_e32 v77, v[78:79]
	;; [unrolled: 1-line block ×4, first 2 shown]
	v_min3_f32 v76, v76, v77, v156
	v_min_f32_e32 v72, v72, v73
	v_min3_f32 v72, v82, v72, v76
	v_cvt_f64_f32_e32 v[72:73], v72
	v_lshl_add_u64 v[74:75], v[142:143], 3, v[80:81]
	global_store_dwordx2 v[74:75], v[72:73], off
.LBB177_337:
	s_or_b64 exec, exec, s[18:19]
	v_add_u32_e32 v76, 0xe0, v158
	v_cmp_gt_i32_e64 s[18:19], s21, v76
	v_mad_i64_i32 v[72:73], s[20:21], v76, s31, 0
	v_lshl_add_u64 v[74:75], v[72:73], 3, s[26:27]
	v_mad_i64_i32 v[72:73], s[20:21], v76, s30, 0
	v_lshl_add_u64 v[72:73], v[72:73], 3, s[22:23]
	s_and_b64 s[20:21], s[2:3], s[18:19]
	s_and_saveexec_b64 s[2:3], s[20:21]
	s_cbranch_execnz .LBB177_346
; %bb.338:
	s_or_b64 exec, exec, s[2:3]
	s_and_b64 s[4:5], s[4:5], s[18:19]
	s_and_saveexec_b64 s[2:3], s[4:5]
	s_cbranch_execnz .LBB177_350
.LBB177_339:
	s_or_b64 exec, exec, s[2:3]
	s_and_b64 s[4:5], s[6:7], s[18:19]
	s_and_saveexec_b64 s[2:3], s[4:5]
	s_cbranch_execnz .LBB177_354
.LBB177_340:
	s_or_b64 exec, exec, s[2:3]
	s_and_b64 s[4:5], s[8:9], s[18:19]
	s_and_saveexec_b64 s[2:3], s[4:5]
	s_cbranch_execnz .LBB177_358
.LBB177_341:
	s_or_b64 exec, exec, s[2:3]
	s_and_b64 s[4:5], s[10:11], s[18:19]
	s_and_saveexec_b64 s[2:3], s[4:5]
	s_cbranch_execnz .LBB177_362
.LBB177_342:
	s_or_b64 exec, exec, s[2:3]
	s_and_b64 s[4:5], s[12:13], s[18:19]
	s_and_saveexec_b64 s[2:3], s[4:5]
	s_cbranch_execnz .LBB177_366
.LBB177_343:
	s_or_b64 exec, exec, s[2:3]
	s_and_b64 s[4:5], s[14:15], s[18:19]
	s_and_saveexec_b64 s[2:3], s[4:5]
	s_cbranch_execnz .LBB177_370
.LBB177_344:
	s_or_b64 exec, exec, s[2:3]
	s_and_b64 s[2:3], s[16:17], s[18:19]
	s_and_saveexec_b64 s[4:5], s[2:3]
	s_cbranch_execnz .LBB177_374
.LBB177_345:
	s_endpgm
.LBB177_346:
	s_and_b64 vcc, exec, s[0:1]
	s_cbranch_vccnz .LBB177_348
; %bb.347:
	v_lshl_add_u64 v[76:77], v[128:129], 3, v[74:75]
	global_load_dwordx2 v[76:77], v[76:77], off
	s_waitcnt vmcnt(0)
	v_mul_f64 v[76:77], s[24:25], v[76:77]
	v_cvt_f32_f64_e32 v76, v[76:77]
	s_branch .LBB177_349
.LBB177_348:
	v_mov_b32_e32 v76, 0
.LBB177_349:
	v_add_f64 v[70:71], v[70:71], v[14:15]
	v_add_f64 v[68:69], v[68:69], v[12:13]
	;; [unrolled: 1-line block ×4, first 2 shown]
	v_cvt_f32_f64_e32 v68, v[68:69]
	v_cvt_f32_f64_e32 v69, v[70:71]
	;; [unrolled: 1-line block ×4, first 2 shown]
	v_min3_f32 v68, v68, v69, v155
	v_min_f32_e32 v64, v64, v65
	v_min3_f32 v64, v76, v64, v68
	v_cvt_f64_f32_e32 v[64:65], v64
	v_lshl_add_u64 v[66:67], v[128:129], 3, v[72:73]
	global_store_dwordx2 v[66:67], v[64:65], off
	s_or_b64 exec, exec, s[2:3]
	s_and_b64 s[4:5], s[4:5], s[18:19]
	s_and_saveexec_b64 s[2:3], s[4:5]
	s_cbranch_execz .LBB177_339
.LBB177_350:
	s_and_b64 vcc, exec, s[0:1]
	s_cbranch_vccnz .LBB177_352
; %bb.351:
	v_lshl_add_u64 v[64:65], v[130:131], 3, v[74:75]
	global_load_dwordx2 v[64:65], v[64:65], off
	s_waitcnt vmcnt(0)
	v_mul_f64 v[64:65], s[24:25], v[64:65]
	v_cvt_f32_f64_e32 v64, v[64:65]
	s_branch .LBB177_353
.LBB177_352:
	v_mov_b32_e32 v64, 0
.LBB177_353:
	v_add_f64 v[62:63], v[62:63], v[14:15]
	v_add_f64 v[60:61], v[60:61], v[12:13]
	;; [unrolled: 1-line block ×4, first 2 shown]
	v_cvt_f32_f64_e32 v60, v[60:61]
	v_cvt_f32_f64_e32 v61, v[62:63]
	;; [unrolled: 1-line block ×4, first 2 shown]
	v_min3_f32 v60, v60, v61, v154
	v_min_f32_e32 v56, v56, v57
	v_min3_f32 v56, v64, v56, v60
	v_cvt_f64_f32_e32 v[56:57], v56
	v_lshl_add_u64 v[58:59], v[130:131], 3, v[72:73]
	global_store_dwordx2 v[58:59], v[56:57], off
	s_or_b64 exec, exec, s[2:3]
	s_and_b64 s[4:5], s[6:7], s[18:19]
	s_and_saveexec_b64 s[2:3], s[4:5]
	s_cbranch_execz .LBB177_340
.LBB177_354:
	s_and_b64 vcc, exec, s[0:1]
	s_cbranch_vccnz .LBB177_356
; %bb.355:
	v_lshl_add_u64 v[56:57], v[132:133], 3, v[74:75]
	global_load_dwordx2 v[56:57], v[56:57], off
	s_waitcnt vmcnt(0)
	v_mul_f64 v[56:57], s[24:25], v[56:57]
	v_cvt_f32_f64_e32 v56, v[56:57]
	s_branch .LBB177_357
.LBB177_356:
	v_mov_b32_e32 v56, 0
.LBB177_357:
	v_add_f64 v[54:55], v[54:55], v[14:15]
	v_add_f64 v[52:53], v[52:53], v[12:13]
	;; [unrolled: 1-line block ×4, first 2 shown]
	v_cvt_f32_f64_e32 v52, v[52:53]
	v_cvt_f32_f64_e32 v53, v[54:55]
	;; [unrolled: 1-line block ×4, first 2 shown]
	v_min3_f32 v52, v52, v53, v153
	v_min_f32_e32 v48, v48, v49
	v_min3_f32 v48, v56, v48, v52
	v_cvt_f64_f32_e32 v[48:49], v48
	v_lshl_add_u64 v[50:51], v[132:133], 3, v[72:73]
	global_store_dwordx2 v[50:51], v[48:49], off
	s_or_b64 exec, exec, s[2:3]
	s_and_b64 s[4:5], s[8:9], s[18:19]
	s_and_saveexec_b64 s[2:3], s[4:5]
	s_cbranch_execz .LBB177_341
.LBB177_358:
	s_and_b64 vcc, exec, s[0:1]
	s_cbranch_vccnz .LBB177_360
; %bb.359:
	v_lshl_add_u64 v[48:49], v[134:135], 3, v[74:75]
	global_load_dwordx2 v[48:49], v[48:49], off
	s_waitcnt vmcnt(0)
	v_mul_f64 v[48:49], s[24:25], v[48:49]
	v_cvt_f32_f64_e32 v48, v[48:49]
	s_branch .LBB177_361
.LBB177_360:
	v_mov_b32_e32 v48, 0
.LBB177_361:
	v_add_f64 v[46:47], v[46:47], v[14:15]
	v_add_f64 v[44:45], v[44:45], v[12:13]
	v_add_f64 v[42:43], v[42:43], v[10:11]
	v_add_f64 v[40:41], v[40:41], v[8:9]
	v_cvt_f32_f64_e32 v44, v[44:45]
	v_cvt_f32_f64_e32 v45, v[46:47]
	;; [unrolled: 1-line block ×4, first 2 shown]
	v_min3_f32 v44, v44, v45, v152
	v_min_f32_e32 v40, v40, v41
	v_min3_f32 v40, v48, v40, v44
	v_cvt_f64_f32_e32 v[40:41], v40
	v_lshl_add_u64 v[42:43], v[134:135], 3, v[72:73]
	global_store_dwordx2 v[42:43], v[40:41], off
	s_or_b64 exec, exec, s[2:3]
	s_and_b64 s[4:5], s[10:11], s[18:19]
	s_and_saveexec_b64 s[2:3], s[4:5]
	s_cbranch_execz .LBB177_342
.LBB177_362:
	s_and_b64 vcc, exec, s[0:1]
	s_cbranch_vccnz .LBB177_364
; %bb.363:
	v_lshl_add_u64 v[40:41], v[136:137], 3, v[74:75]
	global_load_dwordx2 v[40:41], v[40:41], off
	s_waitcnt vmcnt(0)
	v_mul_f64 v[40:41], s[24:25], v[40:41]
	v_cvt_f32_f64_e32 v40, v[40:41]
	s_branch .LBB177_365
.LBB177_364:
	v_mov_b32_e32 v40, 0
.LBB177_365:
	v_add_f64 v[38:39], v[38:39], v[14:15]
	v_add_f64 v[36:37], v[36:37], v[12:13]
	;; [unrolled: 1-line block ×4, first 2 shown]
	v_cvt_f32_f64_e32 v36, v[36:37]
	v_cvt_f32_f64_e32 v37, v[38:39]
	;; [unrolled: 1-line block ×4, first 2 shown]
	v_min3_f32 v36, v36, v37, v151
	v_min_f32_e32 v32, v32, v33
	v_min3_f32 v32, v40, v32, v36
	v_cvt_f64_f32_e32 v[32:33], v32
	v_lshl_add_u64 v[34:35], v[136:137], 3, v[72:73]
	global_store_dwordx2 v[34:35], v[32:33], off
	s_or_b64 exec, exec, s[2:3]
	s_and_b64 s[4:5], s[12:13], s[18:19]
	s_and_saveexec_b64 s[2:3], s[4:5]
	s_cbranch_execz .LBB177_343
.LBB177_366:
	s_and_b64 vcc, exec, s[0:1]
	s_cbranch_vccnz .LBB177_368
; %bb.367:
	v_lshl_add_u64 v[32:33], v[138:139], 3, v[74:75]
	global_load_dwordx2 v[32:33], v[32:33], off
	s_waitcnt vmcnt(0)
	v_mul_f64 v[32:33], s[24:25], v[32:33]
	v_cvt_f32_f64_e32 v32, v[32:33]
	s_branch .LBB177_369
.LBB177_368:
	v_mov_b32_e32 v32, 0
.LBB177_369:
	v_add_f64 v[30:31], v[30:31], v[14:15]
	v_add_f64 v[28:29], v[28:29], v[12:13]
	;; [unrolled: 1-line block ×4, first 2 shown]
	v_cvt_f32_f64_e32 v28, v[28:29]
	v_cvt_f32_f64_e32 v29, v[30:31]
	;; [unrolled: 1-line block ×4, first 2 shown]
	v_min3_f32 v28, v28, v29, v150
	v_min_f32_e32 v24, v24, v25
	v_min3_f32 v24, v32, v24, v28
	v_cvt_f64_f32_e32 v[24:25], v24
	v_lshl_add_u64 v[26:27], v[138:139], 3, v[72:73]
	global_store_dwordx2 v[26:27], v[24:25], off
	s_or_b64 exec, exec, s[2:3]
	s_and_b64 s[4:5], s[14:15], s[18:19]
	s_and_saveexec_b64 s[2:3], s[4:5]
	s_cbranch_execz .LBB177_344
.LBB177_370:
	s_and_b64 vcc, exec, s[0:1]
	s_cbranch_vccnz .LBB177_372
; %bb.371:
	v_lshl_add_u64 v[24:25], v[140:141], 3, v[74:75]
	global_load_dwordx2 v[24:25], v[24:25], off
	s_waitcnt vmcnt(0)
	v_mul_f64 v[24:25], s[24:25], v[24:25]
	v_cvt_f32_f64_e32 v24, v[24:25]
	s_branch .LBB177_373
.LBB177_372:
	v_mov_b32_e32 v24, 0
.LBB177_373:
	v_add_f64 v[22:23], v[22:23], v[14:15]
	v_add_f64 v[20:21], v[20:21], v[12:13]
	;; [unrolled: 1-line block ×4, first 2 shown]
	v_cvt_f32_f64_e32 v20, v[20:21]
	v_cvt_f32_f64_e32 v21, v[22:23]
	;; [unrolled: 1-line block ×4, first 2 shown]
	v_min3_f32 v20, v20, v21, v149
	v_min_f32_e32 v16, v16, v17
	v_min3_f32 v16, v24, v16, v20
	v_cvt_f64_f32_e32 v[16:17], v16
	v_lshl_add_u64 v[18:19], v[140:141], 3, v[72:73]
	global_store_dwordx2 v[18:19], v[16:17], off
	s_or_b64 exec, exec, s[2:3]
	s_and_b64 s[2:3], s[16:17], s[18:19]
	s_and_saveexec_b64 s[4:5], s[2:3]
	s_cbranch_execz .LBB177_345
.LBB177_374:
	s_and_b64 vcc, exec, s[0:1]
	s_cbranch_vccnz .LBB177_376
; %bb.375:
	v_lshl_add_u64 v[16:17], v[142:143], 3, v[74:75]
	global_load_dwordx2 v[16:17], v[16:17], off
	s_waitcnt vmcnt(0)
	v_mul_f64 v[16:17], s[24:25], v[16:17]
	v_cvt_f32_f64_e32 v16, v[16:17]
	s_branch .LBB177_377
.LBB177_376:
	v_mov_b32_e32 v16, 0
.LBB177_377:
	v_add_f64 v[6:7], v[6:7], v[14:15]
	v_add_f64 v[4:5], v[4:5], v[12:13]
	;; [unrolled: 1-line block ×4, first 2 shown]
	v_cvt_f32_f64_e32 v4, v[4:5]
	v_cvt_f32_f64_e32 v5, v[6:7]
	;; [unrolled: 1-line block ×4, first 2 shown]
	v_min3_f32 v4, v4, v5, v148
	v_min_f32_e32 v0, v0, v1
	v_min3_f32 v0, v16, v0, v4
	v_cvt_f64_f32_e32 v[0:1], v0
	v_lshl_add_u64 v[2:3], v[142:143], 3, v[72:73]
	global_store_dwordx2 v[2:3], v[0:1], off
	s_endpgm
	.section	.rodata,"a",@progbits
	.p2align	6, 0x0
	.amdhsa_kernel _ZN12_GLOBAL__N_120geam_min_plus_kernelId15HIP_vector_typeIdLj2EEdLi8ELi32ELi64ELi256ELi4ELi4ELi64ELi64ELi4ELc84ELc84ELb0ELb1ELb1EPKdS3_dEEviiiT16_PT17_ilS7_ilS5_S7_ilPT18_ili26rocblas_geam_ex_operation_
		.amdhsa_group_segment_fixed_size 20480
		.amdhsa_private_segment_fixed_size 0
		.amdhsa_kernarg_size 136
		.amdhsa_user_sgpr_count 2
		.amdhsa_user_sgpr_dispatch_ptr 0
		.amdhsa_user_sgpr_queue_ptr 0
		.amdhsa_user_sgpr_kernarg_segment_ptr 1
		.amdhsa_user_sgpr_dispatch_id 0
		.amdhsa_user_sgpr_kernarg_preload_length 0
		.amdhsa_user_sgpr_kernarg_preload_offset 0
		.amdhsa_user_sgpr_private_segment_size 0
		.amdhsa_uses_dynamic_stack 0
		.amdhsa_enable_private_segment 0
		.amdhsa_system_sgpr_workgroup_id_x 1
		.amdhsa_system_sgpr_workgroup_id_y 0
		.amdhsa_system_sgpr_workgroup_id_z 1
		.amdhsa_system_sgpr_workgroup_info 0
		.amdhsa_system_vgpr_workitem_id 1
		.amdhsa_next_free_vgpr 225
		.amdhsa_next_free_sgpr 44
		.amdhsa_accum_offset 228
		.amdhsa_reserve_vcc 1
		.amdhsa_float_round_mode_32 0
		.amdhsa_float_round_mode_16_64 0
		.amdhsa_float_denorm_mode_32 3
		.amdhsa_float_denorm_mode_16_64 3
		.amdhsa_dx10_clamp 1
		.amdhsa_ieee_mode 1
		.amdhsa_fp16_overflow 0
		.amdhsa_tg_split 0
		.amdhsa_exception_fp_ieee_invalid_op 0
		.amdhsa_exception_fp_denorm_src 0
		.amdhsa_exception_fp_ieee_div_zero 0
		.amdhsa_exception_fp_ieee_overflow 0
		.amdhsa_exception_fp_ieee_underflow 0
		.amdhsa_exception_fp_ieee_inexact 0
		.amdhsa_exception_int_div_zero 0
	.end_amdhsa_kernel
	.section	.text._ZN12_GLOBAL__N_120geam_min_plus_kernelId15HIP_vector_typeIdLj2EEdLi8ELi32ELi64ELi256ELi4ELi4ELi64ELi64ELi4ELc84ELc84ELb0ELb1ELb1EPKdS3_dEEviiiT16_PT17_ilS7_ilS5_S7_ilPT18_ili26rocblas_geam_ex_operation_,"axG",@progbits,_ZN12_GLOBAL__N_120geam_min_plus_kernelId15HIP_vector_typeIdLj2EEdLi8ELi32ELi64ELi256ELi4ELi4ELi64ELi64ELi4ELc84ELc84ELb0ELb1ELb1EPKdS3_dEEviiiT16_PT17_ilS7_ilS5_S7_ilPT18_ili26rocblas_geam_ex_operation_,comdat
.Lfunc_end177:
	.size	_ZN12_GLOBAL__N_120geam_min_plus_kernelId15HIP_vector_typeIdLj2EEdLi8ELi32ELi64ELi256ELi4ELi4ELi64ELi64ELi4ELc84ELc84ELb0ELb1ELb1EPKdS3_dEEviiiT16_PT17_ilS7_ilS5_S7_ilPT18_ili26rocblas_geam_ex_operation_, .Lfunc_end177-_ZN12_GLOBAL__N_120geam_min_plus_kernelId15HIP_vector_typeIdLj2EEdLi8ELi32ELi64ELi256ELi4ELi4ELi64ELi64ELi4ELc84ELc84ELb0ELb1ELb1EPKdS3_dEEviiiT16_PT17_ilS7_ilS5_S7_ilPT18_ili26rocblas_geam_ex_operation_
                                        ; -- End function
	.set _ZN12_GLOBAL__N_120geam_min_plus_kernelId15HIP_vector_typeIdLj2EEdLi8ELi32ELi64ELi256ELi4ELi4ELi64ELi64ELi4ELc84ELc84ELb0ELb1ELb1EPKdS3_dEEviiiT16_PT17_ilS7_ilS5_S7_ilPT18_ili26rocblas_geam_ex_operation_.num_vgpr, 225
	.set _ZN12_GLOBAL__N_120geam_min_plus_kernelId15HIP_vector_typeIdLj2EEdLi8ELi32ELi64ELi256ELi4ELi4ELi64ELi64ELi4ELc84ELc84ELb0ELb1ELb1EPKdS3_dEEviiiT16_PT17_ilS7_ilS5_S7_ilPT18_ili26rocblas_geam_ex_operation_.num_agpr, 0
	.set _ZN12_GLOBAL__N_120geam_min_plus_kernelId15HIP_vector_typeIdLj2EEdLi8ELi32ELi64ELi256ELi4ELi4ELi64ELi64ELi4ELc84ELc84ELb0ELb1ELb1EPKdS3_dEEviiiT16_PT17_ilS7_ilS5_S7_ilPT18_ili26rocblas_geam_ex_operation_.numbered_sgpr, 44
	.set _ZN12_GLOBAL__N_120geam_min_plus_kernelId15HIP_vector_typeIdLj2EEdLi8ELi32ELi64ELi256ELi4ELi4ELi64ELi64ELi4ELc84ELc84ELb0ELb1ELb1EPKdS3_dEEviiiT16_PT17_ilS7_ilS5_S7_ilPT18_ili26rocblas_geam_ex_operation_.num_named_barrier, 0
	.set _ZN12_GLOBAL__N_120geam_min_plus_kernelId15HIP_vector_typeIdLj2EEdLi8ELi32ELi64ELi256ELi4ELi4ELi64ELi64ELi4ELc84ELc84ELb0ELb1ELb1EPKdS3_dEEviiiT16_PT17_ilS7_ilS5_S7_ilPT18_ili26rocblas_geam_ex_operation_.private_seg_size, 0
	.set _ZN12_GLOBAL__N_120geam_min_plus_kernelId15HIP_vector_typeIdLj2EEdLi8ELi32ELi64ELi256ELi4ELi4ELi64ELi64ELi4ELc84ELc84ELb0ELb1ELb1EPKdS3_dEEviiiT16_PT17_ilS7_ilS5_S7_ilPT18_ili26rocblas_geam_ex_operation_.uses_vcc, 1
	.set _ZN12_GLOBAL__N_120geam_min_plus_kernelId15HIP_vector_typeIdLj2EEdLi8ELi32ELi64ELi256ELi4ELi4ELi64ELi64ELi4ELc84ELc84ELb0ELb1ELb1EPKdS3_dEEviiiT16_PT17_ilS7_ilS5_S7_ilPT18_ili26rocblas_geam_ex_operation_.uses_flat_scratch, 0
	.set _ZN12_GLOBAL__N_120geam_min_plus_kernelId15HIP_vector_typeIdLj2EEdLi8ELi32ELi64ELi256ELi4ELi4ELi64ELi64ELi4ELc84ELc84ELb0ELb1ELb1EPKdS3_dEEviiiT16_PT17_ilS7_ilS5_S7_ilPT18_ili26rocblas_geam_ex_operation_.has_dyn_sized_stack, 0
	.set _ZN12_GLOBAL__N_120geam_min_plus_kernelId15HIP_vector_typeIdLj2EEdLi8ELi32ELi64ELi256ELi4ELi4ELi64ELi64ELi4ELc84ELc84ELb0ELb1ELb1EPKdS3_dEEviiiT16_PT17_ilS7_ilS5_S7_ilPT18_ili26rocblas_geam_ex_operation_.has_recursion, 0
	.set _ZN12_GLOBAL__N_120geam_min_plus_kernelId15HIP_vector_typeIdLj2EEdLi8ELi32ELi64ELi256ELi4ELi4ELi64ELi64ELi4ELc84ELc84ELb0ELb1ELb1EPKdS3_dEEviiiT16_PT17_ilS7_ilS5_S7_ilPT18_ili26rocblas_geam_ex_operation_.has_indirect_call, 0
	.section	.AMDGPU.csdata,"",@progbits
; Kernel info:
; codeLenInByte = 26988
; TotalNumSgprs: 50
; NumVgprs: 225
; NumAgprs: 0
; TotalNumVgprs: 225
; ScratchSize: 0
; MemoryBound: 1
; FloatMode: 240
; IeeeMode: 1
; LDSByteSize: 20480 bytes/workgroup (compile time only)
; SGPRBlocks: 6
; VGPRBlocks: 28
; NumSGPRsForWavesPerEU: 50
; NumVGPRsForWavesPerEU: 225
; AccumOffset: 228
; Occupancy: 2
; WaveLimiterHint : 0
; COMPUTE_PGM_RSRC2:SCRATCH_EN: 0
; COMPUTE_PGM_RSRC2:USER_SGPR: 2
; COMPUTE_PGM_RSRC2:TRAP_HANDLER: 0
; COMPUTE_PGM_RSRC2:TGID_X_EN: 1
; COMPUTE_PGM_RSRC2:TGID_Y_EN: 0
; COMPUTE_PGM_RSRC2:TGID_Z_EN: 1
; COMPUTE_PGM_RSRC2:TIDIG_COMP_CNT: 1
; COMPUTE_PGM_RSRC3_GFX90A:ACCUM_OFFSET: 56
; COMPUTE_PGM_RSRC3_GFX90A:TG_SPLIT: 0
	.section	.text._ZN12_GLOBAL__N_120geam_min_plus_kernelId15HIP_vector_typeIdLj2EEdLi8ELi32ELi64ELi256ELi4ELi4ELi64ELi64ELi4ELc84ELc84ELb1ELb1ELb1EdKddEEviiiT16_PT17_ilS6_ilS4_S6_ilPT18_ili26rocblas_geam_ex_operation_,"axG",@progbits,_ZN12_GLOBAL__N_120geam_min_plus_kernelId15HIP_vector_typeIdLj2EEdLi8ELi32ELi64ELi256ELi4ELi4ELi64ELi64ELi4ELc84ELc84ELb1ELb1ELb1EdKddEEviiiT16_PT17_ilS6_ilS4_S6_ilPT18_ili26rocblas_geam_ex_operation_,comdat
	.globl	_ZN12_GLOBAL__N_120geam_min_plus_kernelId15HIP_vector_typeIdLj2EEdLi8ELi32ELi64ELi256ELi4ELi4ELi64ELi64ELi4ELc84ELc84ELb1ELb1ELb1EdKddEEviiiT16_PT17_ilS6_ilS4_S6_ilPT18_ili26rocblas_geam_ex_operation_ ; -- Begin function _ZN12_GLOBAL__N_120geam_min_plus_kernelId15HIP_vector_typeIdLj2EEdLi8ELi32ELi64ELi256ELi4ELi4ELi64ELi64ELi4ELc84ELc84ELb1ELb1ELb1EdKddEEviiiT16_PT17_ilS6_ilS4_S6_ilPT18_ili26rocblas_geam_ex_operation_
	.p2align	8
	.type	_ZN12_GLOBAL__N_120geam_min_plus_kernelId15HIP_vector_typeIdLj2EEdLi8ELi32ELi64ELi256ELi4ELi4ELi64ELi64ELi4ELc84ELc84ELb1ELb1ELb1EdKddEEviiiT16_PT17_ilS6_ilS4_S6_ilPT18_ili26rocblas_geam_ex_operation_,@function
_ZN12_GLOBAL__N_120geam_min_plus_kernelId15HIP_vector_typeIdLj2EEdLi8ELi32ELi64ELi256ELi4ELi4ELi64ELi64ELi4ELc84ELc84ELb1ELb1ELb1EdKddEEviiiT16_PT17_ilS6_ilS4_S6_ilPT18_ili26rocblas_geam_ex_operation_: ; @_ZN12_GLOBAL__N_120geam_min_plus_kernelId15HIP_vector_typeIdLj2EEdLi8ELi32ELi64ELi256ELi4ELi4ELi64ELi64ELi4ELc84ELc84ELb1ELb1ELb1EdKddEEviiiT16_PT17_ilS6_ilS4_S6_ilPT18_ili26rocblas_geam_ex_operation_
; %bb.0:
	s_load_dwordx4 s[8:11], s[0:1], 0x10
	s_load_dwordx4 s[4:7], s[0:1], 0x28
	s_mov_b64 s[30:31], 0
	s_waitcnt lgkmcnt(0)
	v_cmp_eq_f64_e64 s[8:9], s[8:9], 0
	s_and_b64 vcc, exec, s[8:9]
	s_cbranch_vccnz .LBB178_2
; %bb.1:
	s_mul_i32 s5, s5, s3
	s_mul_hi_u32 s12, s4, s3
	s_add_i32 s5, s12, s5
	s_mul_i32 s4, s4, s3
	s_lshl_b64 s[4:5], s[4:5], 3
	s_add_u32 s30, s10, s4
	s_addc_u32 s31, s11, s5
.LBB178_2:
	s_load_dwordx4 s[20:23], s[0:1], 0x40
	s_load_dwordx2 s[4:5], s[0:1], 0x50
	s_andn2_b64 vcc, exec, s[8:9]
	s_mov_b64 s[8:9], -1
	s_cbranch_vccnz .LBB178_4
; %bb.3:
	s_mov_b64 s[8:9], 0
.LBB178_4:
	s_mov_b64 s[28:29], 0
	s_andn2_b64 vcc, exec, s[8:9]
	s_mov_b64 s[34:35], 0
	s_cbranch_vccnz .LBB178_6
; %bb.5:
	s_waitcnt lgkmcnt(0)
	s_mul_i32 s8, s21, s3
	s_mul_hi_u32 s9, s20, s3
	s_add_i32 s9, s9, s8
	s_mul_i32 s8, s20, s3
	s_lshl_b64 s[8:9], s[8:9], 3
	s_add_u32 s34, s6, s8
	s_addc_u32 s35, s7, s9
.LBB178_6:
	s_load_dwordx4 s[12:15], s[0:1], 0x60
	s_waitcnt lgkmcnt(0)
	v_cmp_eq_f64_e64 s[6:7], s[22:23], 0
	v_cmp_neq_f64_e64 s[16:17], s[22:23], 0
	s_and_b64 vcc, exec, s[6:7]
	s_cbranch_vccnz .LBB178_8
; %bb.7:
	s_mul_i32 s6, s13, s3
	s_mul_hi_u32 s7, s12, s3
	s_add_i32 s7, s7, s6
	s_mul_i32 s6, s12, s3
	s_lshl_b64 s[6:7], s[6:7], 3
	s_add_u32 s28, s4, s6
	s_addc_u32 s29, s5, s7
.LBB178_8:
	s_load_dwordx4 s[24:27], s[0:1], 0x0
	s_load_dword s36, s[0:1], 0x20
	v_and_b32_e32 v152, 0x3ff, v0
	v_bfe_u32 v153, v0, 10, 10
	v_lshl_add_u32 v4, v153, 3, v152
	s_waitcnt lgkmcnt(0)
	s_add_i32 s4, s24, -1
	s_ashr_i32 s5, s4, 31
	s_lshr_b32 s5, s5, 26
	s_add_i32 s4, s4, s5
	s_ashr_i32 s4, s4, 6
	s_add_i32 s5, s4, 1
	v_cvt_f32_u32_e32 v1, s5
	s_not_b32 s4, s4
	v_lshrrev_b32_e32 v112, 2, v4
	v_and_b32_e32 v160, 3, v0
	v_rcp_iflag_f32_e32 v2, v1
	v_mov_b32_e32 v0, -1
	v_mov_b32_e32 v1, 0x7fefffff
	v_cmp_gt_i32_e32 vcc, s26, v160
	v_mul_f32_e32 v2, 0x4f7ffffe, v2
	v_cvt_u32_f32_e32 v2, v2
	v_mov_b64_e32 v[14:15], v[0:1]
	v_readfirstlane_b32 s6, v2
	s_mul_i32 s4, s4, s6
	s_mul_hi_u32 s4, s6, s4
	s_add_i32 s6, s6, s4
	s_mul_hi_u32 s4, s2, s6
	s_mul_i32 s6, s4, s5
	s_sub_i32 s6, s2, s6
	s_add_i32 s7, s4, 1
	s_sub_i32 s8, s6, s5
	s_cmp_ge_u32 s6, s5
	s_cselect_b32 s4, s7, s4
	s_cselect_b32 s6, s8, s6
	s_add_i32 s7, s4, 1
	s_cmp_ge_u32 s6, s5
	s_cselect_b32 s6, s7, s4
	s_mul_i32 s37, s6, s5
	s_sub_i32 s4, s2, s37
	s_lshl_b32 s27, s4, 6
	v_add_u32_e32 v13, s27, v112
	v_cmp_gt_i32_e64 s[4:5], s24, v13
	v_cmp_le_i32_e64 s[8:9], s24, v13
	s_and_b64 s[10:11], vcc, s[4:5]
	v_lshlrev_b32_e32 v2, 3, v160
	s_and_saveexec_b64 s[4:5], s[10:11]
	s_cbranch_execz .LBB178_10
; %bb.9:
	v_mad_i64_i32 v[6:7], s[10:11], v13, s36, 0
	v_lshl_add_u64 v[6:7], v[6:7], 3, s[30:31]
	v_mov_b32_e32 v3, 0
	v_lshl_add_u64 v[6:7], v[6:7], 0, v[2:3]
	global_load_dwordx2 v[14:15], v[6:7], off
.LBB178_10:
	s_or_b64 exec, exec, s[4:5]
	s_load_dword s20, s[0:1], 0x38
	v_and_b32_e32 v12, 63, v4
	s_lshl_b32 s33, s6, 8
	v_lshrrev_b32_e32 v164, 6, v4
	v_or_b32_e32 v100, s33, v12
	v_cmp_le_i32_e64 s[10:11], s26, v164
	s_waitcnt lgkmcnt(0)
	v_mad_i64_i32 v[4:5], s[4:5], s20, v164, 0
	v_cmp_le_i32_e32 vcc, s25, v100
	v_lshl_add_u64 v[10:11], v[4:5], 3, s[34:35]
	s_nor_b64 s[6:7], vcc, s[10:11]
	v_ashrrev_i32_e32 v101, 31, v100
	s_and_saveexec_b64 s[4:5], s[6:7]
	s_cbranch_execz .LBB178_12
; %bb.11:
	v_lshl_add_u64 v[0:1], v[100:101], 3, v[10:11]
	global_load_dwordx2 v[0:1], v[0:1], off
.LBB178_12:
	s_or_b64 exec, exec, s[4:5]
	v_or_b32_e32 v3, 64, v100
	v_cmp_le_i32_e64 s[12:13], s25, v3
	v_mov_b32_e32 v4, -1
	v_mov_b32_e32 v5, 0x7fefffff
	s_nor_b64 s[6:7], s[12:13], s[10:11]
	v_mov_b64_e32 v[6:7], v[4:5]
	s_and_saveexec_b64 s[4:5], s[6:7]
	s_cbranch_execz .LBB178_14
; %bb.13:
	v_lshl_add_u64 v[6:7], v[100:101], 3, v[10:11]
	global_load_dwordx2 v[6:7], v[6:7], off offset:512
.LBB178_14:
	s_or_b64 exec, exec, s[4:5]
	v_or_b32_e32 v3, 0x80, v100
	v_cmp_le_i32_e64 s[4:5], s25, v3
	s_ashr_i32 s21, s20, 31
	s_nor_b64 s[18:19], s[4:5], s[10:11]
	s_and_saveexec_b64 s[6:7], s[18:19]
	s_cbranch_execz .LBB178_16
; %bb.15:
	v_lshl_add_u64 v[4:5], v[100:101], 3, v[10:11]
	global_load_dwordx2 v[4:5], v[4:5], off offset:1024
.LBB178_16:
	s_or_b64 exec, exec, s[6:7]
	v_or_b32_e32 v3, 0xc0, v100
	v_cmp_le_i32_e64 s[6:7], s25, v3
	v_mov_b32_e32 v102, -1
	v_mov_b32_e32 v103, 0x7fefffff
	s_nor_b64 s[18:19], s[6:7], s[10:11]
	v_mov_b64_e32 v[8:9], v[102:103]
	s_and_saveexec_b64 s[10:11], s[18:19]
	s_cbranch_execz .LBB178_18
; %bb.17:
	v_lshl_add_u64 v[8:9], v[100:101], 3, v[10:11]
	global_load_dwordx2 v[8:9], v[8:9], off offset:1536
.LBB178_18:
	s_or_b64 exec, exec, s[10:11]
	v_or_b32_e32 v3, 4, v160
	v_cmp_gt_i32_e64 s[10:11], s26, v3
	s_xor_b64 s[18:19], s[8:9], -1
	s_and_b64 s[10:11], s[10:11], s[18:19]
	s_and_saveexec_b64 s[8:9], s[10:11]
	s_cbranch_execz .LBB178_20
; %bb.19:
	v_mad_i64_i32 v[10:11], s[10:11], v13, s36, 0
	v_lshl_add_u64 v[10:11], v[10:11], 3, s[30:31]
	v_mov_b32_e32 v3, 0
	v_lshl_add_u64 v[10:11], v[10:11], 0, v[2:3]
	global_load_dwordx2 v[102:103], v[10:11], off offset:32
.LBB178_20:
	s_or_b64 exec, exec, s[8:9]
	v_add_u32_e32 v3, 4, v164
	v_mad_u64_u32 v[10:11], s[10:11], s20, v3, 0
	v_mov_b32_e32 v16, v11
	v_mad_u64_u32 v[16:17], s[10:11], s21, v3, v[16:17]
	v_cmp_le_i32_e64 s[8:9], s26, v3
	v_mov_b32_e32 v11, v16
	v_mov_b32_e32 v104, -1
	v_mov_b32_e32 v105, 0x7fefffff
	v_lshl_add_u64 v[10:11], v[10:11], 3, s[34:35]
	s_nor_b64 s[38:39], vcc, s[8:9]
	v_mov_b64_e32 v[106:107], v[104:105]
	s_and_saveexec_b64 s[10:11], s[38:39]
	s_cbranch_execz .LBB178_22
; %bb.21:
	v_lshl_add_u64 v[16:17], v[100:101], 3, v[10:11]
	global_load_dwordx2 v[106:107], v[16:17], off
.LBB178_22:
	s_or_b64 exec, exec, s[10:11]
	s_nor_b64 s[38:39], s[12:13], s[8:9]
	s_and_saveexec_b64 s[10:11], s[38:39]
	s_cbranch_execz .LBB178_24
; %bb.23:
	v_lshl_add_u64 v[16:17], v[100:101], 3, v[10:11]
	global_load_dwordx2 v[104:105], v[16:17], off offset:512
.LBB178_24:
	s_or_b64 exec, exec, s[10:11]
	v_mov_b32_e32 v108, -1
	v_mov_b32_e32 v109, 0x7fefffff
	s_nor_b64 s[38:39], s[4:5], s[8:9]
	v_mov_b64_e32 v[110:111], v[108:109]
	s_and_saveexec_b64 s[10:11], s[38:39]
	s_cbranch_execz .LBB178_26
; %bb.25:
	v_lshl_add_u64 v[16:17], v[100:101], 3, v[10:11]
	global_load_dwordx2 v[110:111], v[16:17], off offset:1024
.LBB178_26:
	s_or_b64 exec, exec, s[10:11]
	s_nor_b64 s[10:11], s[6:7], s[8:9]
	s_and_saveexec_b64 s[8:9], s[10:11]
	s_cbranch_execz .LBB178_28
; %bb.27:
	v_lshl_add_u64 v[10:11], v[100:101], 3, v[10:11]
	global_load_dwordx2 v[108:109], v[10:11], off offset:1536
.LBB178_28:
	s_or_b64 exec, exec, s[8:9]
	v_lshl_or_b32 v113, v112, 5, v2
	v_lshlrev_b32_e32 v2, 5, v12
	v_lshl_add_u32 v169, v164, 3, v2
	v_lshlrev_b32_e32 v162, 5, v152
	s_waitcnt vmcnt(0)
	ds_write_b64 v113, v[14:15] offset:16384
	ds_write2st64_b64 v169, v[0:1], v[6:7] offset1:4
	ds_write2st64_b64 v169, v[4:5], v[8:9] offset0:8 offset1:12
	s_waitcnt lgkmcnt(0)
	s_barrier
	v_lshlrev_b32_e32 v161, 5, v153
	ds_read_b128 v[32:35], v162 offset:16640
	ds_read_b128 v[28:31], v162 offset:16896
	;; [unrolled: 1-line block ×13, first 2 shown]
	ds_read_b128 v[96:99], v161
	ds_read_b128 v[44:47], v161 offset:6144
	ds_read_b128 v[36:39], v161 offset:7168
	ds_read_b128 v[0:3], v162 offset:16400
	ds_read_b128 v[4:7], v161 offset:16
	s_waitcnt lgkmcnt(5)
	v_add_f64 v[116:117], v[42:43], v[94:95]
	v_add_f64 v[118:119], v[40:41], v[92:93]
	s_mov_b32 s8, 0x7f800000
	v_cvt_f32_f64_e32 v115, v[118:119]
	v_cvt_f32_f64_e32 v116, v[116:117]
	v_min3_f32 v179, v115, v116, s8
	v_add_f64 v[116:117], v[34:35], v[94:95]
	v_add_f64 v[118:119], v[32:33], v[92:93]
	v_cvt_f32_f64_e32 v115, v[118:119]
	v_cvt_f32_f64_e32 v116, v[116:117]
	v_min3_f32 v180, v115, v116, s8
	v_add_f64 v[116:117], v[30:31], v[94:95]
	v_add_f64 v[118:119], v[28:29], v[92:93]
	;; [unrolled: 5-line block ×34, first 2 shown]
	v_cvt_f32_f64_e32 v115, v[118:119]
	v_cvt_f32_f64_e32 v116, v[116:117]
	v_min3_f32 v121, v115, v116, s8
	s_waitcnt lgkmcnt(3)
	v_add_f64 v[116:117], v[42:43], v[46:47]
	v_add_f64 v[170:171], v[40:41], v[44:45]
	v_cvt_f32_f64_e32 v115, v[170:171]
	v_cvt_f32_f64_e32 v116, v[116:117]
	v_min3_f32 v127, v115, v116, s8
	v_add_f64 v[116:117], v[34:35], v[46:47]
	v_add_f64 v[170:171], v[32:33], v[44:45]
	v_cvt_f32_f64_e32 v115, v[170:171]
	v_cvt_f32_f64_e32 v116, v[116:117]
	v_min3_f32 v124, v115, v116, s8
	v_add_f64 v[116:117], v[30:31], v[46:47]
	v_add_f64 v[170:171], v[28:29], v[44:45]
	v_cvt_f32_f64_e32 v115, v[170:171]
	v_cvt_f32_f64_e32 v116, v[116:117]
	v_add_f64 v[56:57], v[42:43], v[98:99]
	v_add_f64 v[58:59], v[40:41], v[96:97]
	v_min3_f32 v122, v115, v116, s8
	v_add_f64 v[116:117], v[26:27], v[46:47]
	v_add_f64 v[170:171], v[24:25], v[44:45]
	v_cvt_f32_f64_e32 v58, v[58:59]
	v_cvt_f32_f64_e32 v56, v[56:57]
	;; [unrolled: 1-line block ×4, first 2 shown]
	v_min3_f32 v114, v58, v56, s8
	ds_read_b128 v[56:59], v162 offset:16656
	v_add_f64 v[60:61], v[34:35], v[98:99]
	v_add_f64 v[62:63], v[32:33], v[96:97]
	v_min3_f32 v120, v115, v116, s8
	v_add_f64 v[116:117], v[22:23], v[46:47]
	v_add_f64 v[170:171], v[20:21], v[44:45]
	v_cvt_f32_f64_e32 v62, v[62:63]
	v_cvt_f32_f64_e32 v60, v[60:61]
	;; [unrolled: 1-line block ×4, first 2 shown]
	v_add_f64 v[170:171], v[16:17], v[44:45]
	v_min3_f32 v167, v62, v60, s8
	ds_read_b128 v[60:63], v162 offset:16912
	v_add_f64 v[64:65], v[30:31], v[98:99]
	v_add_f64 v[66:67], v[28:29], v[96:97]
	;; [unrolled: 1-line block ×22, first 2 shown]
	v_min3_f32 v118, v115, v116, s8
	v_add_f64 v[116:117], v[18:19], v[46:47]
	v_cvt_f32_f64_e32 v115, v[170:171]
	v_add_f64 v[170:171], v[14:15], v[46:47]
	v_add_f64 v[172:173], v[12:13], v[44:45]
	;; [unrolled: 1-line block ×4, first 2 shown]
	s_waitcnt lgkmcnt(4)
	v_add_f64 v[14:15], v[14:15], v[38:39]
	v_add_f64 v[12:13], v[12:13], v[36:37]
	v_add_f64 v[10:11], v[10:11], v[38:39]
	v_add_f64 v[8:9], v[8:9], v[36:37]
	v_cvt_f32_f64_e32 v66, v[66:67]
	v_cvt_f32_f64_e32 v64, v[64:65]
	v_cvt_f32_f64_e32 v116, v[116:117]
	v_cvt_f32_f64_e32 v12, v[12:13]
	v_cvt_f32_f64_e32 v13, v[14:15]
	v_cvt_f32_f64_e32 v8, v[8:9]
	v_cvt_f32_f64_e32 v9, v[10:11]
	s_waitcnt lgkmcnt(2)
	v_add_f64 v[10:11], v[2:3], v[6:7]
	v_add_f64 v[14:15], v[0:1], v[4:5]
	v_min3_f32 v168, v66, v64, s8
	ds_read_b128 v[64:67], v162 offset:17168
	v_min3_f32 v117, v115, v116, s8
	v_cvt_f32_f64_e32 v115, v[172:173]
	v_cvt_f32_f64_e32 v116, v[170:171]
	v_cvt_f32_f64_e32 v44, v[44:45]
	v_cvt_f32_f64_e32 v45, v[46:47]
	v_min3_f32 v8, v8, v9, s8
	v_cvt_f32_f64_e32 v9, v[14:15]
	v_cvt_f32_f64_e32 v10, v[10:11]
	;; [unrolled: 1-line block ×4, first 2 shown]
	v_min3_f32 v116, v115, v116, s8
	v_min3_f32 v115, v44, v45, s8
	ds_read_b128 v[44:47], v161 offset:7184
	v_min3_f32 v224, v9, v10, v114
	s_waitcnt lgkmcnt(3)
	v_add_f64 v[10:11], v[58:59], v[6:7]
	v_add_f64 v[14:15], v[56:57], v[4:5]
	v_min3_f32 v174, v70, v68, s8
	ds_read_b128 v[68:71], v162 offset:17424
	v_cvt_f32_f64_e32 v9, v[14:15]
	v_cvt_f32_f64_e32 v10, v[10:11]
	;; [unrolled: 1-line block ×4, first 2 shown]
	v_min3_f32 v223, v9, v10, v167
	s_waitcnt lgkmcnt(3)
	v_add_f64 v[10:11], v[62:63], v[6:7]
	v_add_f64 v[14:15], v[60:61], v[4:5]
	v_min3_f32 v175, v74, v72, s8
	ds_read_b128 v[72:75], v162 offset:17680
	v_cvt_f32_f64_e32 v9, v[14:15]
	v_cvt_f32_f64_e32 v10, v[10:11]
	;; [unrolled: 1-line block ×6, first 2 shown]
	v_min3_f32 v222, v9, v10, v168
	s_waitcnt lgkmcnt(3)
	v_add_f64 v[10:11], v[66:67], v[6:7]
	v_add_f64 v[14:15], v[64:65], v[4:5]
	v_min3_f32 v176, v78, v76, s8
	ds_read_b128 v[76:79], v162 offset:17936
	v_min3_f32 v177, v82, v80, s8
	ds_read_b128 v[80:83], v162 offset:18192
	v_cvt_f32_f64_e32 v9, v[14:15]
	v_cvt_f32_f64_e32 v10, v[10:11]
	;; [unrolled: 1-line block ×4, first 2 shown]
	v_min3_f32 v221, v9, v10, v174
	s_waitcnt lgkmcnt(3)
	v_add_f64 v[10:11], v[70:71], v[6:7]
	v_add_f64 v[14:15], v[68:69], v[4:5]
	v_min3_f32 v178, v96, v97, s8
	ds_read_b128 v[96:99], v161 offset:1040
	v_cvt_f32_f64_e32 v9, v[14:15]
	v_cvt_f32_f64_e32 v10, v[10:11]
	v_min3_f32 v220, v9, v10, v175
	s_waitcnt lgkmcnt(3)
	v_add_f64 v[10:11], v[74:75], v[6:7]
	v_add_f64 v[14:15], v[72:73], v[4:5]
	v_cvt_f32_f64_e32 v9, v[14:15]
	v_cvt_f32_f64_e32 v10, v[10:11]
	v_min3_f32 v213, v9, v10, v176
	s_waitcnt lgkmcnt(2)
	v_add_f64 v[10:11], v[78:79], v[6:7]
	v_add_f64 v[14:15], v[76:77], v[4:5]
	s_waitcnt lgkmcnt(1)
	v_add_f64 v[6:7], v[82:83], v[6:7]
	v_add_f64 v[4:5], v[80:81], v[4:5]
	v_cvt_f32_f64_e32 v92, v[92:93]
	v_cvt_f32_f64_e32 v93, v[94:95]
	;; [unrolled: 1-line block ×4, first 2 shown]
	v_min3_f32 v150, v92, v93, s8
	ds_read_b128 v[92:95], v161 offset:2064
	v_min3_f32 v211, v4, v5, v178
	s_waitcnt lgkmcnt(1)
	v_add_f64 v[4:5], v[2:3], v[98:99]
	v_add_f64 v[6:7], v[0:1], v[96:97]
	v_cvt_f32_f64_e32 v6, v[6:7]
	v_cvt_f32_f64_e32 v4, v[4:5]
	v_min3_f32 v210, v6, v4, v179
	v_add_f64 v[4:5], v[58:59], v[98:99]
	v_add_f64 v[6:7], v[56:57], v[96:97]
	v_cvt_f32_f64_e32 v6, v[6:7]
	v_cvt_f32_f64_e32 v4, v[4:5]
	v_min3_f32 v209, v6, v4, v180
	;; [unrolled: 5-line block ×8, first 2 shown]
	s_waitcnt lgkmcnt(0)
	v_add_f64 v[4:5], v[2:3], v[94:95]
	v_add_f64 v[6:7], v[0:1], v[92:93]
	v_cvt_f32_f64_e32 v6, v[6:7]
	v_cvt_f32_f64_e32 v4, v[4:5]
	v_min3_f32 v202, v6, v4, v163
	v_add_f64 v[4:5], v[58:59], v[94:95]
	v_add_f64 v[6:7], v[56:57], v[92:93]
	v_cvt_f32_f64_e32 v6, v[6:7]
	v_cvt_f32_f64_e32 v4, v[4:5]
	v_min3_f32 v201, v6, v4, v158
	;; [unrolled: 5-line block ×4, first 2 shown]
	v_add_f64 v[4:5], v[70:71], v[94:95]
	v_add_f64 v[6:7], v[68:69], v[92:93]
	v_cvt_f32_f64_e32 v6, v[6:7]
	v_cvt_f32_f64_e32 v4, v[4:5]
	;; [unrolled: 1-line block ×4, first 2 shown]
	v_min3_f32 v198, v6, v4, v149
	v_add_f64 v[4:5], v[74:75], v[94:95]
	v_add_f64 v[6:7], v[72:73], v[92:93]
	v_min3_f32 v142, v88, v89, s8
	ds_read_b128 v[88:91], v161 offset:3088
	v_cvt_f32_f64_e32 v6, v[6:7]
	v_cvt_f32_f64_e32 v4, v[4:5]
	v_min3_f32 v197, v6, v4, v147
	v_add_f64 v[4:5], v[78:79], v[94:95]
	v_add_f64 v[6:7], v[76:77], v[92:93]
	v_cvt_f32_f64_e32 v6, v[6:7]
	v_cvt_f32_f64_e32 v4, v[4:5]
	v_min3_f32 v196, v6, v4, v145
	v_add_f64 v[4:5], v[82:83], v[94:95]
	v_add_f64 v[6:7], v[80:81], v[92:93]
	v_cvt_f32_f64_e32 v84, v[84:85]
	v_cvt_f32_f64_e32 v85, v[86:87]
	;; [unrolled: 1-line block ×4, first 2 shown]
	v_min3_f32 v134, v84, v85, s8
	ds_read_b128 v[84:87], v161 offset:4112
	v_min3_f32 v195, v6, v4, v142
	s_waitcnt lgkmcnt(1)
	v_add_f64 v[4:5], v[2:3], v[90:91]
	v_add_f64 v[6:7], v[0:1], v[88:89]
	v_cvt_f32_f64_e32 v6, v[6:7]
	v_cvt_f32_f64_e32 v4, v[4:5]
	v_min3_f32 v194, v6, v4, v151
	v_add_f64 v[4:5], v[58:59], v[90:91]
	v_add_f64 v[6:7], v[56:57], v[88:89]
	v_cvt_f32_f64_e32 v6, v[6:7]
	v_cvt_f32_f64_e32 v4, v[4:5]
	v_min3_f32 v193, v6, v4, v148
	;; [unrolled: 5-line block ×8, first 2 shown]
	s_waitcnt lgkmcnt(0)
	v_add_f64 v[4:5], v[2:3], v[86:87]
	v_add_f64 v[6:7], v[0:1], v[84:85]
	v_cvt_f32_f64_e32 v6, v[6:7]
	v_cvt_f32_f64_e32 v4, v[4:5]
	v_min3_f32 v186, v6, v4, v143
	v_add_f64 v[4:5], v[58:59], v[86:87]
	v_add_f64 v[6:7], v[56:57], v[84:85]
	v_cvt_f32_f64_e32 v6, v[6:7]
	v_cvt_f32_f64_e32 v4, v[4:5]
	v_min3_f32 v185, v6, v4, v140
	;; [unrolled: 5-line block ×4, first 2 shown]
	v_add_f64 v[4:5], v[70:71], v[86:87]
	v_add_f64 v[6:7], v[68:69], v[84:85]
	v_cvt_f32_f64_e32 v6, v[6:7]
	v_cvt_f32_f64_e32 v4, v[4:5]
	;; [unrolled: 1-line block ×4, first 2 shown]
	v_min3_f32 v182, v6, v4, v133
	v_add_f64 v[4:5], v[74:75], v[86:87]
	v_add_f64 v[6:7], v[72:73], v[84:85]
	v_min3_f32 v126, v52, v53, s8
	ds_read_b128 v[52:55], v161 offset:5136
	v_cvt_f32_f64_e32 v6, v[6:7]
	v_cvt_f32_f64_e32 v4, v[4:5]
	v_min3_f32 v181, v6, v4, v131
	v_add_f64 v[4:5], v[78:79], v[86:87]
	v_add_f64 v[6:7], v[76:77], v[84:85]
	v_cvt_f32_f64_e32 v6, v[6:7]
	v_cvt_f32_f64_e32 v4, v[4:5]
	v_min3_f32 v180, v6, v4, v129
	v_add_f64 v[4:5], v[82:83], v[86:87]
	v_add_f64 v[6:7], v[80:81], v[84:85]
	v_cvt_f32_f64_e32 v48, v[48:49]
	v_cvt_f32_f64_e32 v49, v[50:51]
	;; [unrolled: 1-line block ×4, first 2 shown]
	v_min3_f32 v119, v48, v49, s8
	ds_read_b128 v[48:51], v161 offset:6160
	v_min3_f32 v179, v6, v4, v126
	s_waitcnt lgkmcnt(1)
	v_add_f64 v[4:5], v[2:3], v[54:55]
	v_add_f64 v[6:7], v[0:1], v[52:53]
	v_cvt_f32_f64_e32 v6, v[6:7]
	v_cvt_f32_f64_e32 v4, v[4:5]
	v_min3_f32 v178, v6, v4, v135
	v_add_f64 v[4:5], v[58:59], v[54:55]
	v_add_f64 v[6:7], v[56:57], v[52:53]
	v_cvt_f32_f64_e32 v9, v[14:15]
	v_cvt_f32_f64_e32 v10, v[10:11]
	;; [unrolled: 1-line block ×4, first 2 shown]
	v_min3_f32 v212, v9, v10, v177
	v_min3_f32 v177, v6, v4, v132
	v_add_f64 v[4:5], v[62:63], v[54:55]
	v_add_f64 v[6:7], v[60:61], v[52:53]
	v_cvt_f32_f64_e32 v6, v[6:7]
	v_cvt_f32_f64_e32 v4, v[4:5]
	v_min3_f32 v176, v6, v4, v130
	v_add_f64 v[4:5], v[66:67], v[54:55]
	v_add_f64 v[6:7], v[64:65], v[52:53]
	v_cvt_f32_f64_e32 v6, v[6:7]
	v_cvt_f32_f64_e32 v4, v[4:5]
	v_min3_f32 v175, v6, v4, v128
	v_add_f64 v[4:5], v[70:71], v[54:55]
	v_add_f64 v[6:7], v[68:69], v[52:53]
	v_cvt_f32_f64_e32 v6, v[6:7]
	v_cvt_f32_f64_e32 v4, v[4:5]
	v_min3_f32 v174, v6, v4, v125
	v_add_f64 v[4:5], v[74:75], v[54:55]
	v_add_f64 v[6:7], v[72:73], v[52:53]
	v_cvt_f32_f64_e32 v6, v[6:7]
	v_cvt_f32_f64_e32 v4, v[4:5]
	v_min3_f32 v173, v6, v4, v123
	v_add_f64 v[4:5], v[78:79], v[54:55]
	v_add_f64 v[6:7], v[76:77], v[52:53]
	v_cvt_f32_f64_e32 v6, v[6:7]
	v_cvt_f32_f64_e32 v4, v[4:5]
	v_min3_f32 v172, v6, v4, v121
	v_add_f64 v[4:5], v[82:83], v[54:55]
	v_add_f64 v[6:7], v[80:81], v[52:53]
	;; [unrolled: 1-line block ×4, first 2 shown]
	v_cvt_f32_f64_e32 v6, v[6:7]
	v_cvt_f32_f64_e32 v4, v[4:5]
	;; [unrolled: 1-line block ×4, first 2 shown]
	v_min3_f32 v171, v6, v4, v119
	s_waitcnt lgkmcnt(0)
	v_add_f64 v[4:5], v[2:3], v[50:51]
	v_add_f64 v[6:7], v[0:1], v[48:49]
	;; [unrolled: 1-line block ×4, first 2 shown]
	v_min3_f32 v40, v40, v41, s8
	v_add_f64 v[34:35], v[34:35], v[38:39]
	v_add_f64 v[32:33], v[32:33], v[36:37]
	v_cvt_f32_f64_e32 v6, v[6:7]
	v_cvt_f32_f64_e32 v4, v[4:5]
	v_cvt_f32_f64_e32 v0, v[0:1]
	v_cvt_f32_f64_e32 v1, v[2:3]
	v_cvt_f32_f64_e32 v32, v[32:33]
	v_cvt_f32_f64_e32 v33, v[34:35]
	v_min3_f32 v170, v6, v4, v127
	v_add_f64 v[4:5], v[58:59], v[50:51]
	v_add_f64 v[6:7], v[56:57], v[48:49]
	v_min3_f32 v157, v0, v1, v40
	v_add_f64 v[0:1], v[58:59], v[46:47]
	v_add_f64 v[2:3], v[56:57], v[44:45]
	v_min3_f32 v32, v32, v33, s8
	v_add_f64 v[30:31], v[30:31], v[38:39]
	v_add_f64 v[28:29], v[28:29], v[36:37]
	v_cvt_f32_f64_e32 v6, v[6:7]
	v_cvt_f32_f64_e32 v4, v[4:5]
	v_cvt_f32_f64_e32 v2, v[2:3]
	v_cvt_f32_f64_e32 v0, v[0:1]
	v_cvt_f32_f64_e32 v28, v[28:29]
	v_cvt_f32_f64_e32 v29, v[30:31]
	v_min3_f32 v168, v6, v4, v124
	v_add_f64 v[4:5], v[62:63], v[50:51]
	v_add_f64 v[6:7], v[60:61], v[48:49]
	v_min3_f32 v156, v2, v0, v32
	v_add_f64 v[0:1], v[62:63], v[46:47]
	v_add_f64 v[2:3], v[60:61], v[44:45]
	;; [unrolled: 15-line block ×5, first 2 shown]
	v_min3_f32 v16, v16, v17, s8
	v_cvt_f32_f64_e32 v6, v[6:7]
	v_cvt_f32_f64_e32 v4, v[4:5]
	v_cvt_f32_f64_e32 v2, v[2:3]
	v_cvt_f32_f64_e32 v0, v[0:1]
	v_min3_f32 v163, v6, v4, v117
	v_add_f64 v[4:5], v[78:79], v[50:51]
	v_add_f64 v[6:7], v[76:77], v[48:49]
	v_min3_f32 v150, v2, v0, v16
	v_add_f64 v[0:1], v[78:79], v[46:47]
	v_add_f64 v[2:3], v[76:77], v[44:45]
	v_min3_f32 v12, v12, v13, s8
	v_cvt_f32_f64_e32 v6, v[6:7]
	v_cvt_f32_f64_e32 v4, v[4:5]
	;; [unrolled: 1-line block ×4, first 2 shown]
	v_min3_f32 v159, v6, v4, v116
	v_add_f64 v[4:5], v[82:83], v[50:51]
	v_add_f64 v[6:7], v[80:81], v[48:49]
	v_min3_f32 v149, v2, v0, v12
	v_add_f64 v[0:1], v[82:83], v[46:47]
	v_add_f64 v[2:3], v[80:81], v[44:45]
	v_cvt_f32_f64_e32 v6, v[6:7]
	v_cvt_f32_f64_e32 v4, v[4:5]
	v_cvt_f32_f64_e32 v2, v[2:3]
	v_cvt_f32_f64_e32 v0, v[0:1]
	v_min3_f32 v158, v6, v4, v115
	v_min3_f32 v148, v2, v0, v8
	s_cmp_lt_i32 s26, 9
	ds_write_b64 v113, v[102:103] offset:18432
	ds_write2st64_b64 v169, v[106:107], v[104:105] offset0:16 offset1:20
	ds_write2st64_b64 v169, v[110:111], v[108:109] offset0:24 offset1:28
	s_waitcnt lgkmcnt(0)
	s_barrier
	s_cbranch_scc1 .LBB178_51
; %bb.29:
	v_mov_b32_e32 v0, 0x4800
	v_lshl_add_u32 v218, v152, 5, v0
	v_mov_b32_e32 v0, 0x2000
	v_lshl_add_u32 v219, v153, 5, v0
	v_lshl_add_u32 v0, s2, 6, v112
	s_lshl_b32 s2, s37, 6
	v_subrev_u32_e32 v0, s2, v0
	v_and_b32_e32 v2, 3, v152
	v_mad_i64_i32 v[0:1], s[8:9], s36, v0, 0
	v_lshlrev_b32_e32 v2, 3, v2
	v_mov_b32_e32 v3, 0
	v_lshl_add_u64 v[0:1], v[0:1], 3, v[2:3]
	v_lshl_add_u64 v[0:1], s[30:31], 0, v[0:1]
	;; [unrolled: 1-line block ×3, first 2 shown]
	v_add_u32_e32 v0, 8, v164
	v_mad_i64_i32 v[0:1], s[8:9], v0, s20, 0
	v_lshlrev_b64 v[130:131], 3, v[0:1]
	v_add_u32_e32 v0, 12, v164
	v_mad_i64_i32 v[0:1], s[8:9], v0, s20, 0
	v_add_u32_e32 v214, 0x4000, v113
	v_add_u32_e32 v215, 0x4000, v162
	v_add_u32_e32 v216, 0x4800, v113
	v_add_u32_e32 v217, 0x2000, v169
	s_add_i32 s38, s26, -8
	v_lshl_add_u64 v[132:133], v[100:101], 3, s[34:35]
	s_lshl_b64 s[10:11], s[20:21], 6
	v_lshlrev_b64 v[134:135], 3, v[0:1]
	s_mov_b32 s2, 0
	v_mov_b32_e32 v136, -1
	v_mov_b32_e32 v137, 0x7fefffff
	s_branch .LBB178_31
.LBB178_30:                             ;   in Loop: Header=BB178_31 Depth=1
	s_or_b64 exec, exec, s[8:9]
	v_add_f64 v[146:147], v[98:99], v[126:127]
	v_add_f64 v[228:229], v[96:97], v[124:125]
	v_cvt_f32_f64_e32 v225, v[228:229]
	v_cvt_f32_f64_e32 v146, v[146:147]
	v_min3_f32 v228, v225, v146, v224
	v_add_f64 v[146:147], v[94:95], v[126:127]
	v_add_f64 v[224:225], v[92:93], v[124:125]
	v_cvt_f32_f64_e32 v224, v[224:225]
	v_cvt_f32_f64_e32 v146, v[146:147]
	v_min3_f32 v229, v224, v146, v223
	;; [unrolled: 5-line block ×6, first 2 shown]
	v_add_f64 v[146:147], v[70:71], v[126:127]
	v_add_f64 v[220:221], v[68:69], v[124:125]
	;; [unrolled: 1-line block ×4, first 2 shown]
	v_cvt_f32_f64_e32 v124, v[124:125]
	v_cvt_f32_f64_e32 v125, v[126:127]
	;; [unrolled: 1-line block ×3, first 2 shown]
	v_min3_f32 v147, v124, v125, v211
	v_add_f64 v[124:125], v[98:99], v[122:123]
	v_add_f64 v[126:127], v[96:97], v[120:121]
	v_cvt_f32_f64_e32 v126, v[126:127]
	v_cvt_f32_f64_e32 v124, v[124:125]
	v_min3_f32 v210, v126, v124, v210
	v_add_f64 v[124:125], v[94:95], v[122:123]
	v_add_f64 v[126:127], v[92:93], v[120:121]
	v_cvt_f32_f64_e32 v126, v[126:127]
	v_cvt_f32_f64_e32 v124, v[124:125]
	;; [unrolled: 5-line block ×6, first 2 shown]
	v_min3_f32 v205, v126, v124, v205
	v_add_f64 v[124:125], v[70:71], v[122:123]
	v_add_f64 v[126:127], v[68:69], v[120:121]
	;; [unrolled: 1-line block ×4, first 2 shown]
	v_cvt_f32_f64_e32 v120, v[120:121]
	v_cvt_f32_f64_e32 v121, v[122:123]
	;; [unrolled: 1-line block ×3, first 2 shown]
	v_min3_f32 v125, v120, v121, v203
	v_add_f64 v[120:121], v[98:99], v[118:119]
	v_add_f64 v[122:123], v[96:97], v[116:117]
	v_cvt_f32_f64_e32 v126, v[126:127]
	v_cvt_f32_f64_e32 v122, v[122:123]
	;; [unrolled: 1-line block ×3, first 2 shown]
	v_min3_f32 v124, v126, v124, v204
	v_min3_f32 v126, v122, v120, v202
	v_add_f64 v[120:121], v[94:95], v[118:119]
	v_add_f64 v[122:123], v[92:93], v[116:117]
	v_cvt_f32_f64_e32 v122, v[122:123]
	v_cvt_f32_f64_e32 v120, v[120:121]
	v_min3_f32 v127, v122, v120, v201
	v_add_f64 v[120:121], v[90:91], v[118:119]
	v_add_f64 v[122:123], v[88:89], v[116:117]
	v_cvt_f32_f64_e32 v122, v[122:123]
	v_cvt_f32_f64_e32 v120, v[120:121]
	;; [unrolled: 5-line block ×5, first 2 shown]
	v_min3_f32 v197, v122, v120, v197
	v_add_f64 v[120:121], v[70:71], v[118:119]
	v_add_f64 v[122:123], v[68:69], v[116:117]
	;; [unrolled: 1-line block ×4, first 2 shown]
	v_cvt_f32_f64_e32 v116, v[116:117]
	v_cvt_f32_f64_e32 v117, v[118:119]
	;; [unrolled: 1-line block ×3, first 2 shown]
	v_min3_f32 v121, v116, v117, v195
	v_add_f64 v[116:117], v[98:99], v[114:115]
	v_add_f64 v[118:119], v[96:97], v[112:113]
	v_cvt_f32_f64_e32 v122, v[122:123]
	v_cvt_f32_f64_e32 v118, v[118:119]
	;; [unrolled: 1-line block ×3, first 2 shown]
	v_min3_f32 v120, v122, v120, v196
	v_min3_f32 v122, v118, v116, v194
	v_add_f64 v[116:117], v[94:95], v[114:115]
	v_add_f64 v[118:119], v[92:93], v[112:113]
	v_cvt_f32_f64_e32 v118, v[118:119]
	v_cvt_f32_f64_e32 v116, v[116:117]
	v_min3_f32 v123, v118, v116, v193
	v_add_f64 v[116:117], v[90:91], v[114:115]
	v_add_f64 v[118:119], v[88:89], v[112:113]
	v_cvt_f32_f64_e32 v118, v[118:119]
	v_cvt_f32_f64_e32 v116, v[116:117]
	v_min3_f32 v192, v118, v116, v192
	v_add_f64 v[116:117], v[82:83], v[114:115]
	v_add_f64 v[118:119], v[80:81], v[112:113]
	v_cvt_f32_f64_e32 v118, v[118:119]
	v_cvt_f32_f64_e32 v116, v[116:117]
	v_min3_f32 v191, v118, v116, v191
	v_add_f64 v[116:117], v[78:79], v[114:115]
	v_add_f64 v[118:119], v[76:77], v[112:113]
	v_cvt_f32_f64_e32 v118, v[118:119]
	v_cvt_f32_f64_e32 v116, v[116:117]
	v_min3_f32 v190, v118, v116, v190
	v_add_f64 v[116:117], v[74:75], v[114:115]
	v_add_f64 v[118:119], v[72:73], v[112:113]
	v_cvt_f32_f64_e32 v118, v[118:119]
	v_cvt_f32_f64_e32 v116, v[116:117]
	v_min3_f32 v189, v118, v116, v189
	v_add_f64 v[116:117], v[70:71], v[114:115]
	v_add_f64 v[118:119], v[68:69], v[112:113]
	v_add_f64 v[114:115], v[66:67], v[114:115]
	v_add_f64 v[112:113], v[64:65], v[112:113]
	v_cvt_f32_f64_e32 v112, v[112:113]
	v_cvt_f32_f64_e32 v113, v[114:115]
	v_min3_f32 v187, v112, v113, v187
	v_add_f64 v[112:113], v[98:99], v[110:111]
	v_add_f64 v[114:115], v[96:97], v[108:109]
	v_cvt_f32_f64_e32 v114, v[114:115]
	v_cvt_f32_f64_e32 v112, v[112:113]
	v_min3_f32 v186, v114, v112, v186
	v_add_f64 v[112:113], v[94:95], v[110:111]
	v_add_f64 v[114:115], v[92:93], v[108:109]
	v_cvt_f32_f64_e32 v114, v[114:115]
	v_cvt_f32_f64_e32 v112, v[112:113]
	v_min3_f32 v185, v114, v112, v185
	v_add_f64 v[112:113], v[90:91], v[110:111]
	v_add_f64 v[114:115], v[88:89], v[108:109]
	v_cvt_f32_f64_e32 v114, v[114:115]
	v_cvt_f32_f64_e32 v112, v[112:113]
	v_min3_f32 v184, v114, v112, v184
	v_add_f64 v[112:113], v[82:83], v[110:111]
	v_add_f64 v[114:115], v[80:81], v[108:109]
	v_cvt_f32_f64_e32 v114, v[114:115]
	v_cvt_f32_f64_e32 v112, v[112:113]
	v_min3_f32 v183, v114, v112, v183
	v_add_f64 v[112:113], v[78:79], v[110:111]
	v_add_f64 v[114:115], v[76:77], v[108:109]
	v_cvt_f32_f64_e32 v114, v[114:115]
	v_cvt_f32_f64_e32 v112, v[112:113]
	v_min3_f32 v182, v114, v112, v182
	v_add_f64 v[112:113], v[74:75], v[110:111]
	v_add_f64 v[114:115], v[72:73], v[108:109]
	v_cvt_f32_f64_e32 v114, v[114:115]
	v_cvt_f32_f64_e32 v112, v[112:113]
	v_min3_f32 v181, v114, v112, v181
	v_add_f64 v[112:113], v[70:71], v[110:111]
	v_add_f64 v[114:115], v[68:69], v[108:109]
	v_add_f64 v[110:111], v[66:67], v[110:111]
	v_add_f64 v[108:109], v[64:65], v[108:109]
	v_cvt_f32_f64_e32 v108, v[108:109]
	v_cvt_f32_f64_e32 v109, v[110:111]
	v_min3_f32 v179, v108, v109, v179
	v_add_f64 v[108:109], v[98:99], v[106:107]
	v_add_f64 v[110:111], v[96:97], v[104:105]
	v_cvt_f32_f64_e32 v110, v[110:111]
	v_cvt_f32_f64_e32 v108, v[108:109]
	;; [unrolled: 37-line block ×3, first 2 shown]
	v_min3_f32 v170, v106, v104, v170
	v_add_f64 v[104:105], v[94:95], v[102:103]
	v_add_f64 v[106:107], v[92:93], v[100:101]
	v_cvt_f32_f64_e32 v106, v[106:107]
	v_cvt_f32_f64_e32 v104, v[104:105]
	v_min3_f32 v168, v106, v104, v168
	v_add_f64 v[104:105], v[90:91], v[102:103]
	v_add_f64 v[106:107], v[88:89], v[100:101]
	v_cvt_f32_f64_e32 v106, v[106:107]
	v_cvt_f32_f64_e32 v104, v[104:105]
	;; [unrolled: 5-line block ×5, first 2 shown]
	v_min3_f32 v195, v106, v104, v163
	v_add_f64 v[104:105], v[70:71], v[102:103]
	v_add_f64 v[106:107], v[68:69], v[100:101]
	;; [unrolled: 1-line block ×8, first 2 shown]
	v_cvt_f32_f64_e32 v76, v[76:77]
	v_cvt_f32_f64_e32 v77, v[78:79]
	;; [unrolled: 1-line block ×4, first 2 shown]
	v_min3_f32 v76, v76, v77, v151
	v_min3_f32 v77, v64, v65, v148
	v_add_f64 v[64:65], v[34:35], v[62:63]
	v_add_f64 v[66:67], v[32:33], v[60:61]
	v_cvt_f32_f64_e32 v66, v[66:67]
	v_cvt_f32_f64_e32 v64, v[64:65]
	v_add_f64 v[70:71], v[70:71], v[86:87]
	v_add_f64 v[68:69], v[68:69], v[84:85]
	v_min3_f32 v202, v66, v64, v228
	v_add_f64 v[64:65], v[30:31], v[62:63]
	v_add_f64 v[66:67], v[28:29], v[60:61]
	;; [unrolled: 1-line block ×4, first 2 shown]
	v_cvt_f32_f64_e32 v68, v[68:69]
	v_cvt_f32_f64_e32 v69, v[70:71]
	;; [unrolled: 1-line block ×6, first 2 shown]
	v_min3_f32 v75, v68, v69, v149
	v_min3_f32 v64, v66, v64, v229
	v_add_f64 v[66:67], v[26:27], v[62:63]
	v_add_f64 v[68:69], v[24:25], v[60:61]
	v_cvt_f32_f64_e32 v65, v[68:69]
	v_cvt_f32_f64_e32 v66, v[66:67]
	v_min3_f32 v65, v65, v66, v224
	v_add_f64 v[66:67], v[18:19], v[62:63]
	v_add_f64 v[68:69], v[16:17], v[60:61]
	v_cvt_f32_f64_e32 v68, v[68:69]
	v_cvt_f32_f64_e32 v66, v[66:67]
	;; [unrolled: 5-line block ×4, first 2 shown]
	v_min3_f32 v74, v72, v73, v150
	v_min3_f32 v68, v70, v68, v213
	v_add_f64 v[70:71], v[6:7], v[62:63]
	v_add_f64 v[72:73], v[4:5], v[60:61]
	v_add_f64 v[62:63], v[2:3], v[62:63]
	v_add_f64 v[60:61], v[0:1], v[60:61]
	v_cvt_f32_f64_e32 v100, v[100:101]
	v_cvt_f32_f64_e32 v101, v[102:103]
	v_cvt_f32_f64_e32 v60, v[60:61]
	v_cvt_f32_f64_e32 v61, v[62:63]
	v_min3_f32 v201, v100, v101, v158
	v_min3_f32 v100, v60, v61, v147
	v_add_f64 v[60:61], v[34:35], v[58:59]
	v_add_f64 v[62:63], v[32:33], v[56:57]
	v_cvt_f32_f64_e32 v62, v[62:63]
	v_cvt_f32_f64_e32 v60, v[60:61]
	v_min3_f32 v101, v62, v60, v210
	v_add_f64 v[60:61], v[30:31], v[58:59]
	v_add_f64 v[62:63], v[28:29], v[56:57]
	v_cvt_f32_f64_e32 v62, v[62:63]
	v_cvt_f32_f64_e32 v60, v[60:61]
	v_min3_f32 v102, v62, v60, v209
	v_add_f64 v[60:61], v[26:27], v[58:59]
	v_add_f64 v[62:63], v[24:25], v[56:57]
	v_cvt_f32_f64_e32 v62, v[62:63]
	v_cvt_f32_f64_e32 v60, v[60:61]
	v_min3_f32 v103, v62, v60, v208
	v_add_f64 v[60:61], v[18:19], v[58:59]
	v_add_f64 v[62:63], v[16:17], v[56:57]
	v_cvt_f32_f64_e32 v106, v[106:107]
	v_cvt_f32_f64_e32 v104, v[104:105]
	v_cvt_f32_f64_e32 v62, v[62:63]
	v_cvt_f32_f64_e32 v60, v[60:61]
	v_min3_f32 v196, v106, v104, v159
	v_min3_f32 v104, v62, v60, v207
	v_add_f64 v[60:61], v[14:15], v[58:59]
	v_add_f64 v[62:63], v[12:13], v[56:57]
	v_cvt_f32_f64_e32 v62, v[62:63]
	v_cvt_f32_f64_e32 v60, v[60:61]
	v_min3_f32 v105, v62, v60, v206
	v_add_f64 v[60:61], v[10:11], v[58:59]
	v_add_f64 v[62:63], v[8:9], v[56:57]
	v_cvt_f32_f64_e32 v62, v[62:63]
	v_cvt_f32_f64_e32 v60, v[60:61]
	v_min3_f32 v106, v62, v60, v205
	v_add_f64 v[60:61], v[6:7], v[58:59]
	v_add_f64 v[62:63], v[4:5], v[56:57]
	v_add_f64 v[58:59], v[2:3], v[58:59]
	v_add_f64 v[56:57], v[0:1], v[56:57]
	v_cvt_f32_f64_e32 v110, v[110:111]
	v_cvt_f32_f64_e32 v108, v[108:109]
	v_cvt_f32_f64_e32 v56, v[56:57]
	v_cvt_f32_f64_e32 v57, v[58:59]
	v_min3_f32 v172, v110, v108, v172
	v_min3_f32 v108, v56, v57, v125
	v_add_f64 v[56:57], v[34:35], v[54:55]
	v_add_f64 v[58:59], v[32:33], v[52:53]
	v_cvt_f32_f64_e32 v58, v[58:59]
	v_cvt_f32_f64_e32 v56, v[56:57]
	v_min3_f32 v109, v58, v56, v126
	v_add_f64 v[56:57], v[30:31], v[54:55]
	v_add_f64 v[58:59], v[28:29], v[52:53]
	v_cvt_f32_f64_e32 v58, v[58:59]
	v_cvt_f32_f64_e32 v56, v[56:57]
	v_min3_f32 v110, v58, v56, v127
	v_add_f64 v[56:57], v[26:27], v[54:55]
	v_add_f64 v[58:59], v[24:25], v[52:53]
	v_cvt_f32_f64_e32 v58, v[58:59]
	v_cvt_f32_f64_e32 v56, v[56:57]
	v_min3_f32 v111, v58, v56, v200
	v_add_f64 v[56:57], v[18:19], v[54:55]
	v_add_f64 v[58:59], v[16:17], v[52:53]
	v_cvt_f32_f64_e32 v114, v[114:115]
	v_cvt_f32_f64_e32 v112, v[112:113]
	v_cvt_f32_f64_e32 v58, v[58:59]
	v_cvt_f32_f64_e32 v56, v[56:57]
	v_min3_f32 v180, v114, v112, v180
	v_min3_f32 v112, v58, v56, v199
	v_add_f64 v[56:57], v[14:15], v[54:55]
	v_add_f64 v[58:59], v[12:13], v[52:53]
	v_cvt_f32_f64_e32 v58, v[58:59]
	v_cvt_f32_f64_e32 v56, v[56:57]
	v_min3_f32 v113, v58, v56, v198
	v_add_f64 v[56:57], v[10:11], v[54:55]
	v_add_f64 v[58:59], v[8:9], v[52:53]
	v_cvt_f32_f64_e32 v58, v[58:59]
	v_cvt_f32_f64_e32 v56, v[56:57]
	;; [unrolled: 43-line block ×3, first 2 shown]
	v_min3_f32 v122, v54, v52, v189
	v_add_f64 v[52:53], v[6:7], v[50:51]
	v_add_f64 v[54:55], v[4:5], v[48:49]
	;; [unrolled: 1-line block ×4, first 2 shown]
	v_cvt_f32_f64_e32 v62, v[62:63]
	v_cvt_f32_f64_e32 v60, v[60:61]
	;; [unrolled: 1-line block ×4, first 2 shown]
	v_min3_f32 v107, v62, v60, v124
	v_min3_f32 v124, v48, v49, v187
	v_add_f64 v[48:49], v[34:35], v[46:47]
	v_add_f64 v[50:51], v[32:33], v[44:45]
	v_cvt_f32_f64_e32 v50, v[50:51]
	v_cvt_f32_f64_e32 v48, v[48:49]
	v_min3_f32 v125, v50, v48, v186
	v_add_f64 v[48:49], v[30:31], v[46:47]
	v_add_f64 v[50:51], v[28:29], v[44:45]
	v_cvt_f32_f64_e32 v50, v[50:51]
	v_cvt_f32_f64_e32 v48, v[48:49]
	;; [unrolled: 5-line block ×3, first 2 shown]
	v_cvt_f32_f64_e32 v220, v[220:221]
	v_min3_f32 v127, v50, v48, v184
	v_add_f64 v[48:49], v[18:19], v[46:47]
	v_add_f64 v[50:51], v[16:17], v[44:45]
	v_min3_f32 v146, v220, v146, v212
	v_cvt_f32_f64_e32 v69, v[72:73]
	v_cvt_f32_f64_e32 v70, v[70:71]
	v_cvt_f32_f64_e32 v50, v[50:51]
	v_cvt_f32_f64_e32 v48, v[48:49]
	v_min3_f32 v69, v69, v70, v146
	v_min3_f32 v146, v50, v48, v183
	v_add_f64 v[48:49], v[14:15], v[46:47]
	v_add_f64 v[50:51], v[12:13], v[44:45]
	v_cvt_f32_f64_e32 v50, v[50:51]
	v_cvt_f32_f64_e32 v48, v[48:49]
	v_min3_f32 v147, v50, v48, v182
	v_add_f64 v[48:49], v[10:11], v[46:47]
	v_add_f64 v[50:51], v[8:9], v[44:45]
	v_cvt_f32_f64_e32 v50, v[50:51]
	v_cvt_f32_f64_e32 v48, v[48:49]
	v_min3_f32 v148, v50, v48, v181
	v_add_f64 v[48:49], v[6:7], v[46:47]
	v_add_f64 v[50:51], v[4:5], v[44:45]
	;; [unrolled: 1-line block ×4, first 2 shown]
	v_cvt_f32_f64_e32 v44, v[44:45]
	v_cvt_f32_f64_e32 v45, v[46:47]
	v_min3_f32 v150, v44, v45, v179
	v_add_f64 v[44:45], v[34:35], v[42:43]
	v_add_f64 v[46:47], v[32:33], v[40:41]
	v_cvt_f32_f64_e32 v46, v[46:47]
	v_cvt_f32_f64_e32 v44, v[44:45]
	v_add_f64 v[82:83], v[82:83], v[86:87]
	v_add_f64 v[80:81], v[80:81], v[84:85]
	v_min3_f32 v151, v46, v44, v178
	v_add_f64 v[44:45], v[30:31], v[42:43]
	v_add_f64 v[46:47], v[28:29], v[40:41]
	v_cvt_f32_f64_e32 v80, v[80:81]
	v_cvt_f32_f64_e32 v81, v[82:83]
	v_cvt_f32_f64_e32 v46, v[46:47]
	v_cvt_f32_f64_e32 v44, v[44:45]
	v_add_f64 v[90:91], v[90:91], v[86:87]
	v_add_f64 v[88:89], v[88:89], v[84:85]
	v_min3_f32 v80, v80, v81, v154
	v_min3_f32 v154, v46, v44, v177
	v_add_f64 v[44:45], v[26:27], v[42:43]
	v_add_f64 v[46:47], v[24:25], v[40:41]
	v_cvt_f32_f64_e32 v88, v[88:89]
	v_cvt_f32_f64_e32 v89, v[90:91]
	v_cvt_f32_f64_e32 v46, v[46:47]
	v_cvt_f32_f64_e32 v44, v[44:45]
	v_add_f64 v[94:95], v[94:95], v[86:87]
	v_add_f64 v[92:93], v[92:93], v[84:85]
	v_min3_f32 v88, v88, v89, v155
	;; [unrolled: 10-line block ×3, first 2 shown]
	v_min3_f32 v156, v46, v44, v175
	v_add_f64 v[44:45], v[14:15], v[42:43]
	v_add_f64 v[46:47], v[12:13], v[40:41]
	v_cvt_f32_f64_e32 v96, v[96:97]
	v_cvt_f32_f64_e32 v97, v[98:99]
	;; [unrolled: 1-line block ×4, first 2 shown]
	v_min3_f32 v96, v96, v97, v157
	v_min3_f32 v157, v46, v44, v174
	v_add_f64 v[44:45], v[10:11], v[42:43]
	v_add_f64 v[46:47], v[8:9], v[40:41]
	v_cvt_f32_f64_e32 v46, v[46:47]
	v_cvt_f32_f64_e32 v44, v[44:45]
	v_min3_f32 v158, v46, v44, v173
	v_add_f64 v[44:45], v[6:7], v[42:43]
	v_add_f64 v[46:47], v[4:5], v[40:41]
	;; [unrolled: 1-line block ×4, first 2 shown]
	v_cvt_f32_f64_e32 v40, v[40:41]
	v_cvt_f32_f64_e32 v41, v[42:43]
	v_min3_f32 v163, v40, v41, v171
	v_add_f64 v[40:41], v[34:35], v[38:39]
	v_add_f64 v[42:43], v[32:33], v[36:37]
	v_cvt_f32_f64_e32 v42, v[42:43]
	v_cvt_f32_f64_e32 v40, v[40:41]
	v_min3_f32 v165, v42, v40, v170
	v_add_f64 v[40:41], v[30:31], v[38:39]
	v_add_f64 v[42:43], v[28:29], v[36:37]
	;; [unrolled: 5-line block ×7, first 2 shown]
	v_add_f64 v[38:39], v[2:3], v[38:39]
	v_add_f64 v[36:37], v[0:1], v[36:37]
	;; [unrolled: 1-line block ×18, first 2 shown]
	v_cvt_f32_f64_e32 v54, v[54:55]
	v_cvt_f32_f64_e32 v52, v[52:53]
	;; [unrolled: 1-line block ×24, first 2 shown]
	v_min3_f32 v123, v54, v52, v188
	v_min3_f32 v149, v50, v48, v180
	;; [unrolled: 1-line block ×12, first 2 shown]
	ds_read_b128 v[36:39], v215 offset:256
	ds_read_b128 v[32:35], v215 offset:512
	;; [unrolled: 1-line block ×12, first 2 shown]
	ds_read_b128 v[96:99], v161
	ds_read_b128 v[48:51], v215
	ds_read_b128 v[72:75], v161 offset:6144
	ds_read_b128 v[24:27], v161 offset:7168
	ds_read_b128 v[4:7], v161 offset:16
	ds_read_b128 v[0:3], v215 offset:16
	s_waitcnt lgkmcnt(5)
	v_add_f64 v[44:45], v[38:39], v[98:99]
	v_add_f64 v[46:47], v[36:37], v[96:97]
	;; [unrolled: 1-line block ×8, first 2 shown]
	v_cvt_f32_f64_e32 v46, v[46:47]
	v_cvt_f32_f64_e32 v44, v[44:45]
	v_cvt_f32_f64_e32 v54, v[54:55]
	v_cvt_f32_f64_e32 v52, v[52:53]
	v_cvt_f32_f64_e32 v58, v[58:59]
	v_cvt_f32_f64_e32 v56, v[56:57]
	v_cvt_f32_f64_e32 v62, v[62:63]
	v_cvt_f32_f64_e32 v60, v[60:61]
	v_cvt_f32_f64_e32 v42, v[42:43]
	v_cvt_f32_f64_e32 v40, v[40:41]
	v_min3_f32 v183, v46, v44, v64
	v_min3_f32 v188, v54, v52, v65
	v_min3_f32 v189, v58, v56, v66
	v_min3_f32 v190, v62, v60, v67
	v_add_f64 v[64:65], v[18:19], v[98:99]
	v_add_f64 v[66:67], v[16:17], v[96:97]
	v_min3_f32 v172, v42, v40, v196
	s_waitcnt lgkmcnt(4)
	v_add_f64 v[40:41], v[50:51], v[98:99]
	v_add_f64 v[42:43], v[48:49], v[96:97]
	v_cvt_f32_f64_e32 v66, v[66:67]
	v_cvt_f32_f64_e32 v64, v[64:65]
	v_add_f64 v[70:71], v[14:15], v[98:99]
	v_add_f64 v[184:185], v[12:13], v[96:97]
	;; [unrolled: 1-line block ×4, first 2 shown]
	v_min3_f32 v191, v66, v64, v68
	v_cvt_f32_f64_e32 v68, v[184:185]
	v_cvt_f32_f64_e32 v96, v[96:97]
	;; [unrolled: 1-line block ×3, first 2 shown]
	v_add_f64 v[184:185], v[50:51], v[94:95]
	v_add_f64 v[186:187], v[48:49], v[92:93]
	v_min3_f32 v193, v96, v97, v100
	v_cvt_f32_f64_e32 v100, v[186:187]
	v_cvt_f32_f64_e32 v184, v[184:185]
	v_min3_f32 v186, v100, v184, v101
	v_add_f64 v[100:101], v[38:39], v[94:95]
	v_add_f64 v[184:185], v[36:37], v[92:93]
	v_cvt_f32_f64_e32 v184, v[184:185]
	v_cvt_f32_f64_e32 v100, v[100:101]
	v_min3_f32 v187, v184, v100, v102
	v_add_f64 v[100:101], v[34:35], v[94:95]
	v_add_f64 v[184:185], v[32:33], v[92:93]
	;; [unrolled: 5-line block ×34, first 2 shown]
	v_cvt_f32_f64_e32 v102, v[102:103]
	v_cvt_f32_f64_e32 v100, v[100:101]
	v_min3_f32 v159, v102, v100, v159
	s_waitcnt lgkmcnt(3)
	v_add_f64 v[100:101], v[50:51], v[74:75]
	v_add_f64 v[102:103], v[48:49], v[72:73]
	v_cvt_f32_f64_e32 v102, v[102:103]
	v_cvt_f32_f64_e32 v100, v[100:101]
	v_min3_f32 v165, v102, v100, v165
	v_add_f64 v[100:101], v[38:39], v[74:75]
	v_add_f64 v[102:103], v[36:37], v[72:73]
	v_cvt_f32_f64_e32 v102, v[102:103]
	v_cvt_f32_f64_e32 v100, v[100:101]
	v_min3_f32 v166, v102, v100, v166
	;; [unrolled: 5-line block ×4, first 2 shown]
	v_add_f64 v[100:101], v[22:23], v[74:75]
	v_add_f64 v[102:103], v[20:21], v[72:73]
	v_cvt_f32_f64_e32 v102, v[102:103]
	v_cvt_f32_f64_e32 v100, v[100:101]
	;; [unrolled: 1-line block ×4, first 2 shown]
	v_min3_f32 v228, v102, v100, v170
	v_add_f64 v[100:101], v[18:19], v[74:75]
	v_add_f64 v[102:103], v[16:17], v[72:73]
	v_min3_f32 v182, v42, v40, v202
	ds_read_b128 v[40:43], v215 offset:272
	v_cvt_f32_f64_e32 v102, v[102:103]
	v_cvt_f32_f64_e32 v100, v[100:101]
	v_add_f64 v[94:95], v[10:11], v[94:95]
	v_add_f64 v[92:93], v[8:9], v[92:93]
	;; [unrolled: 1-line block ×10, first 2 shown]
	v_min3_f32 v229, v102, v100, v171
	v_add_f64 v[100:101], v[14:15], v[74:75]
	v_add_f64 v[102:103], v[12:13], v[72:73]
	;; [unrolled: 1-line block ×4, first 2 shown]
	s_waitcnt lgkmcnt(3)
	v_add_f64 v[14:15], v[14:15], v[26:27]
	v_add_f64 v[12:13], v[12:13], v[24:25]
	;; [unrolled: 1-line block ×4, first 2 shown]
	ds_read_b128 v[44:47], v215 offset:528
	ds_read_b128 v[52:55], v215 offset:784
	v_cvt_f32_f64_e32 v12, v[12:13]
	v_cvt_f32_f64_e32 v13, v[14:15]
	;; [unrolled: 1-line block ×4, first 2 shown]
	v_min3_f32 v12, v12, v13, v180
	v_min3_f32 v13, v8, v9, v181
	s_waitcnt lgkmcnt(3)
	v_add_f64 v[8:9], v[2:3], v[6:7]
	v_add_f64 v[10:11], v[0:1], v[4:5]
	v_cvt_f32_f64_e32 v72, v[72:73]
	v_cvt_f32_f64_e32 v73, v[74:75]
	;; [unrolled: 1-line block ×5, first 2 shown]
	v_min3_f32 v101, v72, v73, v173
	ds_read_b128 v[72:75], v161 offset:7184
	v_min3_f32 v224, v10, v8, v182
	s_waitcnt lgkmcnt(3)
	v_add_f64 v[8:9], v[42:43], v[6:7]
	v_add_f64 v[10:11], v[40:41], v[4:5]
	ds_read_b128 v[56:59], v215 offset:1040
	ds_read_b128 v[60:63], v215 offset:1296
	v_cvt_f32_f64_e32 v10, v[10:11]
	v_cvt_f32_f64_e32 v8, v[8:9]
	v_min3_f32 v223, v10, v8, v183
	s_waitcnt lgkmcnt(4)
	v_add_f64 v[8:9], v[46:47], v[6:7]
	v_add_f64 v[10:11], v[44:45], v[4:5]
	v_cvt_f32_f64_e32 v10, v[10:11]
	v_cvt_f32_f64_e32 v8, v[8:9]
	v_cvt_f32_f64_e32 v70, v[70:71]
	v_min3_f32 v222, v10, v8, v188
	s_waitcnt lgkmcnt(3)
	v_add_f64 v[8:9], v[54:55], v[6:7]
	v_add_f64 v[10:11], v[52:53], v[4:5]
	ds_read_b128 v[64:67], v215 offset:1552
	v_min3_f32 v192, v68, v70, v69
	ds_read_b128 v[68:71], v215 offset:1808
	v_cvt_f32_f64_e32 v10, v[10:11]
	v_cvt_f32_f64_e32 v8, v[8:9]
	v_min3_f32 v221, v10, v8, v189
	s_waitcnt lgkmcnt(3)
	v_add_f64 v[8:9], v[58:59], v[6:7]
	v_add_f64 v[10:11], v[56:57], v[4:5]
	ds_read_b128 v[96:99], v161 offset:1040
	v_cvt_f32_f64_e32 v10, v[10:11]
	v_cvt_f32_f64_e32 v8, v[8:9]
	v_min3_f32 v220, v10, v8, v190
	s_waitcnt lgkmcnt(3)
	v_add_f64 v[8:9], v[62:63], v[6:7]
	v_add_f64 v[10:11], v[60:61], v[4:5]
	v_cvt_f32_f64_e32 v10, v[10:11]
	v_cvt_f32_f64_e32 v8, v[8:9]
	v_min3_f32 v213, v10, v8, v191
	s_waitcnt lgkmcnt(2)
	v_add_f64 v[8:9], v[66:67], v[6:7]
	v_add_f64 v[10:11], v[64:65], v[4:5]
	s_waitcnt lgkmcnt(1)
	v_add_f64 v[6:7], v[70:71], v[6:7]
	v_add_f64 v[4:5], v[68:69], v[4:5]
	v_cvt_f32_f64_e32 v92, v[92:93]
	v_cvt_f32_f64_e32 v93, v[94:95]
	;; [unrolled: 1-line block ×4, first 2 shown]
	v_min3_f32 v108, v92, v93, v108
	ds_read_b128 v[92:95], v161 offset:2064
	v_min3_f32 v211, v4, v5, v193
	s_waitcnt lgkmcnt(1)
	v_add_f64 v[4:5], v[2:3], v[98:99]
	v_add_f64 v[6:7], v[0:1], v[96:97]
	v_cvt_f32_f64_e32 v6, v[6:7]
	v_cvt_f32_f64_e32 v4, v[4:5]
	v_min3_f32 v210, v6, v4, v186
	v_add_f64 v[4:5], v[42:43], v[98:99]
	v_add_f64 v[6:7], v[40:41], v[96:97]
	v_cvt_f32_f64_e32 v6, v[6:7]
	v_cvt_f32_f64_e32 v4, v[4:5]
	v_min3_f32 v209, v6, v4, v187
	;; [unrolled: 5-line block ×8, first 2 shown]
	s_waitcnt lgkmcnt(0)
	v_add_f64 v[4:5], v[2:3], v[94:95]
	v_add_f64 v[6:7], v[0:1], v[92:93]
	v_cvt_f32_f64_e32 v6, v[6:7]
	v_cvt_f32_f64_e32 v4, v[4:5]
	v_min3_f32 v202, v6, v4, v109
	v_add_f64 v[4:5], v[42:43], v[94:95]
	v_add_f64 v[6:7], v[40:41], v[92:93]
	v_cvt_f32_f64_e32 v6, v[6:7]
	v_cvt_f32_f64_e32 v4, v[4:5]
	v_min3_f32 v201, v6, v4, v110
	;; [unrolled: 5-line block ×4, first 2 shown]
	v_add_f64 v[4:5], v[58:59], v[94:95]
	v_add_f64 v[6:7], v[56:57], v[92:93]
	v_cvt_f32_f64_e32 v6, v[6:7]
	v_cvt_f32_f64_e32 v4, v[4:5]
	;; [unrolled: 1-line block ×4, first 2 shown]
	v_min3_f32 v198, v6, v4, v113
	v_add_f64 v[4:5], v[62:63], v[94:95]
	v_add_f64 v[6:7], v[60:61], v[92:93]
	v_min3_f32 v116, v88, v89, v116
	ds_read_b128 v[88:91], v161 offset:3088
	v_cvt_f32_f64_e32 v6, v[6:7]
	v_cvt_f32_f64_e32 v4, v[4:5]
	v_min3_f32 v197, v6, v4, v114
	v_add_f64 v[4:5], v[66:67], v[94:95]
	v_add_f64 v[6:7], v[64:65], v[92:93]
	v_cvt_f32_f64_e32 v6, v[6:7]
	v_cvt_f32_f64_e32 v4, v[4:5]
	v_min3_f32 v196, v6, v4, v115
	v_add_f64 v[4:5], v[70:71], v[94:95]
	v_add_f64 v[6:7], v[68:69], v[92:93]
	v_cvt_f32_f64_e32 v84, v[84:85]
	v_cvt_f32_f64_e32 v85, v[86:87]
	v_cvt_f32_f64_e32 v6, v[6:7]
	v_cvt_f32_f64_e32 v4, v[4:5]
	v_min3_f32 v124, v84, v85, v124
	ds_read_b128 v[84:87], v161 offset:4112
	v_min3_f32 v195, v6, v4, v116
	s_waitcnt lgkmcnt(1)
	v_add_f64 v[4:5], v[2:3], v[90:91]
	v_add_f64 v[6:7], v[0:1], v[88:89]
	v_cvt_f32_f64_e32 v6, v[6:7]
	v_cvt_f32_f64_e32 v4, v[4:5]
	v_min3_f32 v194, v6, v4, v117
	v_add_f64 v[4:5], v[42:43], v[90:91]
	v_add_f64 v[6:7], v[40:41], v[88:89]
	v_cvt_f32_f64_e32 v6, v[6:7]
	v_cvt_f32_f64_e32 v4, v[4:5]
	v_min3_f32 v193, v6, v4, v118
	v_add_f64 v[4:5], v[46:47], v[90:91]
	v_add_f64 v[6:7], v[44:45], v[88:89]
	v_cvt_f32_f64_e32 v10, v[10:11]
	v_cvt_f32_f64_e32 v8, v[8:9]
	;; [unrolled: 1-line block ×4, first 2 shown]
	v_min3_f32 v212, v10, v8, v192
	v_min3_f32 v192, v6, v4, v119
	v_add_f64 v[4:5], v[54:55], v[90:91]
	v_add_f64 v[6:7], v[52:53], v[88:89]
	v_cvt_f32_f64_e32 v6, v[6:7]
	v_cvt_f32_f64_e32 v4, v[4:5]
	v_min3_f32 v191, v6, v4, v120
	v_add_f64 v[4:5], v[58:59], v[90:91]
	v_add_f64 v[6:7], v[56:57], v[88:89]
	v_cvt_f32_f64_e32 v6, v[6:7]
	v_cvt_f32_f64_e32 v4, v[4:5]
	v_min3_f32 v190, v6, v4, v121
	v_add_f64 v[4:5], v[62:63], v[90:91]
	v_add_f64 v[6:7], v[60:61], v[88:89]
	v_cvt_f32_f64_e32 v6, v[6:7]
	v_cvt_f32_f64_e32 v4, v[4:5]
	v_min3_f32 v189, v6, v4, v122
	v_add_f64 v[4:5], v[66:67], v[90:91]
	v_add_f64 v[6:7], v[64:65], v[88:89]
	v_cvt_f32_f64_e32 v6, v[6:7]
	v_cvt_f32_f64_e32 v4, v[4:5]
	v_min3_f32 v188, v6, v4, v123
	v_add_f64 v[4:5], v[70:71], v[90:91]
	v_add_f64 v[6:7], v[68:69], v[88:89]
	v_cvt_f32_f64_e32 v6, v[6:7]
	v_cvt_f32_f64_e32 v4, v[4:5]
	v_min3_f32 v187, v6, v4, v124
	s_waitcnt lgkmcnt(0)
	v_add_f64 v[4:5], v[2:3], v[86:87]
	v_add_f64 v[6:7], v[0:1], v[84:85]
	v_cvt_f32_f64_e32 v6, v[6:7]
	v_cvt_f32_f64_e32 v4, v[4:5]
	v_min3_f32 v186, v6, v4, v125
	v_add_f64 v[4:5], v[42:43], v[86:87]
	v_add_f64 v[6:7], v[40:41], v[84:85]
	v_cvt_f32_f64_e32 v6, v[6:7]
	v_cvt_f32_f64_e32 v4, v[4:5]
	v_min3_f32 v185, v6, v4, v126
	;; [unrolled: 5-line block ×4, first 2 shown]
	v_add_f64 v[4:5], v[58:59], v[86:87]
	v_add_f64 v[6:7], v[56:57], v[84:85]
	v_cvt_f32_f64_e32 v6, v[6:7]
	v_cvt_f32_f64_e32 v4, v[4:5]
	v_cvt_f32_f64_e32 v80, v[80:81]
	v_cvt_f32_f64_e32 v81, v[82:83]
	v_min3_f32 v182, v6, v4, v147
	v_add_f64 v[4:5], v[62:63], v[86:87]
	v_add_f64 v[6:7], v[60:61], v[84:85]
	v_min3_f32 v150, v80, v81, v150
	ds_read_b128 v[80:83], v161 offset:5136
	v_cvt_f32_f64_e32 v6, v[6:7]
	v_cvt_f32_f64_e32 v4, v[4:5]
	v_min3_f32 v181, v6, v4, v148
	v_add_f64 v[4:5], v[66:67], v[86:87]
	v_add_f64 v[6:7], v[64:65], v[84:85]
	v_cvt_f32_f64_e32 v6, v[6:7]
	v_cvt_f32_f64_e32 v4, v[4:5]
	v_add_f64 v[18:19], v[18:19], v[26:27]
	v_add_f64 v[16:17], v[16:17], v[24:25]
	v_min3_f32 v180, v6, v4, v149
	v_add_f64 v[4:5], v[70:71], v[86:87]
	v_add_f64 v[6:7], v[68:69], v[84:85]
	v_cvt_f32_f64_e32 v76, v[76:77]
	v_cvt_f32_f64_e32 v77, v[78:79]
	;; [unrolled: 1-line block ×6, first 2 shown]
	v_min3_f32 v163, v76, v77, v163
	ds_read_b128 v[76:79], v161 offset:6160
	v_add_f64 v[22:23], v[22:23], v[26:27]
	v_add_f64 v[20:21], v[20:21], v[24:25]
	v_min3_f32 v16, v16, v17, v179
	v_min3_f32 v179, v6, v4, v150
	s_waitcnt lgkmcnt(1)
	v_add_f64 v[4:5], v[2:3], v[82:83]
	v_add_f64 v[6:7], v[0:1], v[80:81]
	v_cvt_f32_f64_e32 v20, v[20:21]
	v_cvt_f32_f64_e32 v21, v[22:23]
	v_cvt_f32_f64_e32 v6, v[6:7]
	v_cvt_f32_f64_e32 v4, v[4:5]
	v_add_f64 v[30:31], v[30:31], v[26:27]
	v_add_f64 v[28:29], v[28:29], v[24:25]
	v_min3_f32 v20, v20, v21, v178
	v_min3_f32 v178, v6, v4, v151
	v_add_f64 v[4:5], v[42:43], v[82:83]
	v_add_f64 v[6:7], v[40:41], v[80:81]
	v_cvt_f32_f64_e32 v28, v[28:29]
	v_cvt_f32_f64_e32 v29, v[30:31]
	v_cvt_f32_f64_e32 v6, v[6:7]
	v_cvt_f32_f64_e32 v4, v[4:5]
	v_add_f64 v[34:35], v[34:35], v[26:27]
	v_add_f64 v[32:33], v[32:33], v[24:25]
	v_min3_f32 v28, v28, v29, v177
	v_min3_f32 v177, v6, v4, v154
	;; [unrolled: 10-line block ×4, first 2 shown]
	v_add_f64 v[4:5], v[58:59], v[82:83]
	v_add_f64 v[6:7], v[56:57], v[80:81]
	v_cvt_f32_f64_e32 v48, v[48:49]
	v_cvt_f32_f64_e32 v49, v[50:51]
	;; [unrolled: 1-line block ×4, first 2 shown]
	v_min3_f32 v48, v48, v49, v174
	v_min3_f32 v174, v6, v4, v157
	v_add_f64 v[4:5], v[62:63], v[82:83]
	v_add_f64 v[6:7], v[60:61], v[80:81]
	v_cvt_f32_f64_e32 v6, v[6:7]
	v_cvt_f32_f64_e32 v4, v[4:5]
	v_min3_f32 v173, v6, v4, v158
	v_add_f64 v[4:5], v[66:67], v[82:83]
	v_add_f64 v[6:7], v[64:65], v[80:81]
	v_cvt_f32_f64_e32 v102, v[102:103]
	v_cvt_f32_f64_e32 v6, v[6:7]
	;; [unrolled: 1-line block ×3, first 2 shown]
	v_min3_f32 v100, v102, v100, v172
	v_min3_f32 v172, v6, v4, v159
	v_add_f64 v[4:5], v[70:71], v[82:83]
	v_add_f64 v[6:7], v[68:69], v[80:81]
	v_cvt_f32_f64_e32 v6, v[6:7]
	v_cvt_f32_f64_e32 v4, v[4:5]
	v_min3_f32 v171, v6, v4, v163
	s_waitcnt lgkmcnt(0)
	v_add_f64 v[4:5], v[2:3], v[78:79]
	v_add_f64 v[6:7], v[0:1], v[76:77]
	;; [unrolled: 1-line block ×4, first 2 shown]
	v_cvt_f32_f64_e32 v6, v[6:7]
	v_cvt_f32_f64_e32 v4, v[4:5]
	v_cvt_f32_f64_e32 v0, v[0:1]
	v_cvt_f32_f64_e32 v1, v[2:3]
	v_min3_f32 v170, v6, v4, v165
	v_add_f64 v[4:5], v[42:43], v[78:79]
	v_add_f64 v[6:7], v[40:41], v[76:77]
	v_min3_f32 v157, v0, v1, v48
	v_add_f64 v[0:1], v[42:43], v[74:75]
	v_add_f64 v[2:3], v[40:41], v[72:73]
	v_cvt_f32_f64_e32 v6, v[6:7]
	v_cvt_f32_f64_e32 v4, v[4:5]
	v_cvt_f32_f64_e32 v2, v[2:3]
	v_cvt_f32_f64_e32 v0, v[0:1]
	v_min3_f32 v168, v6, v4, v166
	v_add_f64 v[4:5], v[46:47], v[78:79]
	v_add_f64 v[6:7], v[44:45], v[76:77]
	v_min3_f32 v156, v2, v0, v36
	v_add_f64 v[0:1], v[46:47], v[74:75]
	v_add_f64 v[2:3], v[44:45], v[72:73]
	;; [unrolled: 10-line block ×7, first 2 shown]
	v_cvt_f32_f64_e32 v6, v[6:7]
	v_cvt_f32_f64_e32 v4, v[4:5]
	v_cvt_f32_f64_e32 v2, v[2:3]
	v_cvt_f32_f64_e32 v0, v[0:1]
	s_add_i32 s2, s2, 8
	v_min3_f32 v158, v6, v4, v101
	v_min3_f32 v148, v2, v0, v13
	v_lshl_add_u64 v[128:129], v[128:129], 0, 64
	s_cmp_ge_i32 s2, s38
	v_lshl_add_u64 v[132:133], v[132:133], 0, s[10:11]
	s_waitcnt vmcnt(0)
	ds_write_b64 v216, v[226:227]
	ds_write2st64_b64 v217, v[138:139], v[140:141] offset1:4
	ds_write2st64_b64 v217, v[142:143], v[144:145] offset0:8 offset1:12
	s_waitcnt lgkmcnt(0)
	s_barrier
	s_cbranch_scc1 .LBB178_51
.LBB178_31:                             ; =>This Inner Loop Header: Depth=1
	v_add_u32_e32 v146, s2, v160
	v_add_u32_e32 v0, 8, v146
	v_cmp_gt_i32_e64 s[8:9], s26, v0
	s_and_b64 s[20:21], s[8:9], s[18:19]
	v_mov_b64_e32 v[226:227], v[136:137]
	s_and_saveexec_b64 s[8:9], s[20:21]
	s_cbranch_execz .LBB178_33
; %bb.32:                               ;   in Loop: Header=BB178_31 Depth=1
	global_load_dwordx2 v[226:227], v[128:129], off
.LBB178_33:                             ;   in Loop: Header=BB178_31 Depth=1
	s_or_b64 exec, exec, s[8:9]
	v_add_u32_e32 v147, s2, v164
	v_add_u32_e32 v0, 8, v147
	v_cmp_le_i32_e64 s[8:9], s26, v0
	s_nor_b64 s[30:31], vcc, s[8:9]
	v_lshl_add_u64 v[0:1], v[132:133], 0, v[130:131]
	v_mov_b64_e32 v[138:139], v[136:137]
	s_and_saveexec_b64 s[20:21], s[30:31]
	s_cbranch_execz .LBB178_35
; %bb.34:                               ;   in Loop: Header=BB178_31 Depth=1
	global_load_dwordx2 v[138:139], v[0:1], off
.LBB178_35:                             ;   in Loop: Header=BB178_31 Depth=1
	s_or_b64 exec, exec, s[20:21]
	s_nor_b64 s[30:31], s[12:13], s[8:9]
	v_mov_b64_e32 v[140:141], v[136:137]
	s_and_saveexec_b64 s[20:21], s[30:31]
	s_cbranch_execz .LBB178_37
; %bb.36:                               ;   in Loop: Header=BB178_31 Depth=1
	global_load_dwordx2 v[140:141], v[0:1], off offset:512
.LBB178_37:                             ;   in Loop: Header=BB178_31 Depth=1
	s_or_b64 exec, exec, s[20:21]
	s_nor_b64 s[30:31], s[4:5], s[8:9]
	v_mov_b64_e32 v[142:143], v[136:137]
	s_and_saveexec_b64 s[20:21], s[30:31]
	s_cbranch_execz .LBB178_39
; %bb.38:                               ;   in Loop: Header=BB178_31 Depth=1
	global_load_dwordx2 v[142:143], v[0:1], off offset:1024
.LBB178_39:                             ;   in Loop: Header=BB178_31 Depth=1
	;; [unrolled: 8-line block ×3, first 2 shown]
	s_or_b64 exec, exec, s[8:9]
	ds_read_b128 v[124:127], v219
	ds_read_b128 v[60:63], v219 offset:16
	ds_read_b128 v[96:99], v218
	ds_read_b128 v[32:35], v218 offset:16
	ds_read_b128 v[92:95], v218 offset:256
	;; [unrolled: 1-line block ×29, first 2 shown]
	s_waitcnt vmcnt(0)
	ds_write_b64 v214, v[226:227]
	ds_write2st64_b64 v169, v[138:139], v[140:141] offset1:4
	ds_write2st64_b64 v169, v[142:143], v[144:145] offset0:8 offset1:12
	v_add_u32_e32 v138, 12, v146
	v_cmp_gt_i32_e64 s[8:9], s26, v138
	s_and_b64 s[20:21], s[8:9], s[18:19]
	v_mov_b64_e32 v[226:227], v[136:137]
	s_waitcnt lgkmcnt(0)
	s_barrier
	s_and_saveexec_b64 s[8:9], s[20:21]
	s_cbranch_execz .LBB178_43
; %bb.42:                               ;   in Loop: Header=BB178_31 Depth=1
	global_load_dwordx2 v[226:227], v[128:129], off offset:32
.LBB178_43:                             ;   in Loop: Header=BB178_31 Depth=1
	s_or_b64 exec, exec, s[8:9]
	v_add_u32_e32 v138, 12, v147
	v_cmp_le_i32_e64 s[8:9], s26, v138
	s_nor_b64 s[30:31], vcc, s[8:9]
	v_lshl_add_u64 v[146:147], v[132:133], 0, v[134:135]
	v_mov_b64_e32 v[138:139], v[136:137]
	s_and_saveexec_b64 s[20:21], s[30:31]
	s_cbranch_execz .LBB178_45
; %bb.44:                               ;   in Loop: Header=BB178_31 Depth=1
	global_load_dwordx2 v[138:139], v[146:147], off
.LBB178_45:                             ;   in Loop: Header=BB178_31 Depth=1
	s_or_b64 exec, exec, s[20:21]
	s_nor_b64 s[30:31], s[12:13], s[8:9]
	v_mov_b64_e32 v[140:141], v[136:137]
	s_and_saveexec_b64 s[20:21], s[30:31]
	s_cbranch_execz .LBB178_47
; %bb.46:                               ;   in Loop: Header=BB178_31 Depth=1
	global_load_dwordx2 v[140:141], v[146:147], off offset:512
.LBB178_47:                             ;   in Loop: Header=BB178_31 Depth=1
	s_or_b64 exec, exec, s[20:21]
	s_nor_b64 s[30:31], s[4:5], s[8:9]
	v_mov_b64_e32 v[142:143], v[136:137]
	s_and_saveexec_b64 s[20:21], s[30:31]
	s_cbranch_execz .LBB178_49
; %bb.48:                               ;   in Loop: Header=BB178_31 Depth=1
	global_load_dwordx2 v[142:143], v[146:147], off offset:1024
.LBB178_49:                             ;   in Loop: Header=BB178_31 Depth=1
	s_or_b64 exec, exec, s[20:21]
	s_nor_b64 s[20:21], s[6:7], s[8:9]
	v_mov_b64_e32 v[144:145], v[136:137]
	s_and_saveexec_b64 s[8:9], s[20:21]
	s_cbranch_execz .LBB178_30
; %bb.50:                               ;   in Loop: Header=BB178_31 Depth=1
	global_load_dwordx2 v[144:145], v[146:147], off offset:1536
	s_branch .LBB178_30
.LBB178_51:
	s_load_dwordx2 s[4:5], s[0:1], 0x78
	s_load_dword s31, s[0:1], 0x58
	s_load_dword s30, s[0:1], 0x70
	ds_read_b128 v[68:71], v162 offset:18432
	ds_read_b128 v[64:67], v162 offset:18448
	ds_read_b128 v[124:127], v161 offset:8192
	ds_read_b128 v[120:123], v161 offset:8208
	ds_read_b128 v[60:63], v162 offset:18688
	ds_read_b128 v[56:59], v162 offset:18704
	ds_read_b128 v[52:55], v162 offset:18944
	ds_read_b128 v[48:51], v162 offset:18960
	ds_read_b128 v[44:47], v162 offset:19200
	ds_read_b128 v[40:43], v162 offset:19216
	ds_read_b128 v[36:39], v162 offset:19456
	ds_read_b128 v[32:35], v162 offset:19472
	ds_read_b128 v[28:31], v162 offset:19712
	ds_read_b128 v[24:27], v162 offset:19728
	ds_read_b128 v[20:23], v162 offset:19968
	ds_read_b128 v[16:19], v162 offset:19984
	ds_read_b128 v[4:7], v162 offset:20224
	ds_read_b128 v[0:3], v162 offset:20240
	ds_read_b128 v[116:119], v161 offset:9216
	ds_read_b128 v[112:115], v161 offset:9232
	ds_read_b128 v[108:111], v161 offset:10240
	ds_read_b128 v[104:107], v161 offset:10256
	ds_read_b128 v[100:103], v161 offset:11264
	ds_read_b128 v[96:99], v161 offset:11280
	ds_read_b128 v[92:95], v161 offset:12288
	ds_read_b128 v[88:91], v161 offset:12304
	ds_read_b128 v[84:87], v161 offset:13312
	ds_read_b128 v[80:83], v161 offset:13328
	ds_read_b128 v[76:79], v161 offset:14336
	ds_read_b128 v[72:75], v161 offset:14352
	ds_read_b128 v[12:15], v161 offset:15360
	ds_read_b128 v[8:11], v161 offset:15376
	v_add_u32_e32 v128, s27, v152
	s_waitcnt lgkmcnt(0)
	s_mul_i32 s1, s5, s3
	s_mul_hi_u32 s2, s4, s3
	s_mul_i32 s0, s4, s3
	s_add_i32 s1, s2, s1
	s_lshl_b64 s[0:1], s[0:1], 3
	s_add_u32 s20, s14, s0
	v_add_u32_e32 v152, s33, v153
	s_addc_u32 s21, s15, s1
	v_mad_i64_i32 v[130:131], s[0:1], v152, s31, 0
	v_lshl_add_u64 v[146:147], v[130:131], 3, s[28:29]
	v_mad_i64_i32 v[130:131], s[0:1], v152, s30, 0
	v_cmp_gt_i32_e64 s[2:3], s24, v128
	v_cmp_gt_i32_e64 s[18:19], s25, v152
	v_lshl_add_u64 v[144:145], v[130:131], 3, s[20:21]
	v_cndmask_b32_e64 v130, 0, 1, s[16:17]
	v_ashrrev_i32_e32 v129, 31, v128
	s_and_b64 s[6:7], s[2:3], s[18:19]
	v_cmp_ne_u32_e64 s[0:1], 1, v130
	s_and_saveexec_b64 s[4:5], s[6:7]
	s_cbranch_execz .LBB178_56
; %bb.52:
	s_and_b64 vcc, exec, s[0:1]
	s_cbranch_vccnz .LBB178_54
; %bb.53:
	v_lshl_add_u64 v[130:131], v[128:129], 3, v[146:147]
	global_load_dwordx2 v[130:131], v[130:131], off
	s_waitcnt vmcnt(0)
	v_mul_f64 v[130:131], s[22:23], v[130:131]
	v_cvt_f32_f64_e32 v130, v[130:131]
	s_branch .LBB178_55
.LBB178_54:
	v_mov_b32_e32 v130, 0
.LBB178_55:
	v_add_f64 v[132:133], v[70:71], v[126:127]
	v_add_f64 v[134:135], v[68:69], v[124:125]
	v_cvt_f32_f64_e32 v131, v[134:135]
	v_cvt_f32_f64_e32 v132, v[132:133]
	v_min3_f32 v131, v131, v132, v224
	v_add_f64 v[132:133], v[66:67], v[122:123]
	v_add_f64 v[134:135], v[64:65], v[120:121]
	v_cvt_f32_f64_e32 v134, v[134:135]
	v_cvt_f32_f64_e32 v132, v[132:133]
	v_min_f32_e32 v132, v134, v132
	v_min3_f32 v130, v130, v132, v131
	v_cvt_f64_f32_e32 v[130:131], v130
	v_lshl_add_u64 v[132:133], v[128:129], 3, v[144:145]
	global_store_dwordx2 v[132:133], v[130:131], off
.LBB178_56:
	s_or_b64 exec, exec, s[4:5]
	v_add_u32_e32 v130, 8, v128
	v_cmp_gt_i32_e64 s[4:5], s24, v130
	v_ashrrev_i32_e32 v131, 31, v130
	s_and_b64 s[8:9], s[4:5], s[18:19]
	s_and_saveexec_b64 s[6:7], s[8:9]
	s_cbranch_execz .LBB178_61
; %bb.57:
	s_and_b64 vcc, exec, s[0:1]
	s_cbranch_vccnz .LBB178_59
; %bb.58:
	v_lshl_add_u64 v[132:133], v[130:131], 3, v[146:147]
	global_load_dwordx2 v[132:133], v[132:133], off
	s_waitcnt vmcnt(0)
	v_mul_f64 v[132:133], s[22:23], v[132:133]
	v_cvt_f32_f64_e32 v132, v[132:133]
	s_branch .LBB178_60
.LBB178_59:
	v_mov_b32_e32 v132, 0
.LBB178_60:
	v_add_f64 v[134:135], v[62:63], v[126:127]
	v_add_f64 v[136:137], v[60:61], v[124:125]
	v_cvt_f32_f64_e32 v133, v[136:137]
	v_cvt_f32_f64_e32 v134, v[134:135]
	v_min3_f32 v133, v133, v134, v223
	v_add_f64 v[134:135], v[58:59], v[122:123]
	v_add_f64 v[136:137], v[56:57], v[120:121]
	v_cvt_f32_f64_e32 v136, v[136:137]
	v_cvt_f32_f64_e32 v134, v[134:135]
	v_min_f32_e32 v134, v136, v134
	v_min3_f32 v132, v132, v134, v133
	v_cvt_f64_f32_e32 v[132:133], v132
	v_lshl_add_u64 v[134:135], v[130:131], 3, v[144:145]
	global_store_dwordx2 v[134:135], v[132:133], off
.LBB178_61:
	s_or_b64 exec, exec, s[6:7]
	v_add_u32_e32 v132, 16, v128
	v_cmp_gt_i32_e64 s[6:7], s24, v132
	v_ashrrev_i32_e32 v133, 31, v132
	s_and_b64 s[10:11], s[6:7], s[18:19]
	;; [unrolled: 35-line block ×7, first 2 shown]
	s_and_saveexec_b64 s[18:19], s[26:27]
	s_cbranch_execz .LBB178_91
; %bb.87:
	s_and_b64 vcc, exec, s[0:1]
	s_cbranch_vccnz .LBB178_89
; %bb.88:
	v_lshl_add_u64 v[146:147], v[142:143], 3, v[146:147]
	global_load_dwordx2 v[146:147], v[146:147], off
	s_waitcnt vmcnt(0)
	v_mul_f64 v[146:147], s[22:23], v[146:147]
	v_cvt_f32_f64_e32 v146, v[146:147]
	s_branch .LBB178_90
.LBB178_89:
	v_mov_b32_e32 v146, 0
.LBB178_90:
	v_add_f64 v[126:127], v[6:7], v[126:127]
	v_add_f64 v[124:125], v[4:5], v[124:125]
	;; [unrolled: 1-line block ×4, first 2 shown]
	v_cvt_f32_f64_e32 v124, v[124:125]
	v_cvt_f32_f64_e32 v125, v[126:127]
	v_cvt_f32_f64_e32 v120, v[120:121]
	v_cvt_f32_f64_e32 v121, v[122:123]
	v_min3_f32 v124, v124, v125, v211
	v_min_f32_e32 v120, v120, v121
	v_min3_f32 v120, v146, v120, v124
	v_cvt_f64_f32_e32 v[120:121], v120
	v_lshl_add_u64 v[122:123], v[142:143], 3, v[144:145]
	global_store_dwordx2 v[122:123], v[120:121], off
.LBB178_91:
	s_or_b64 exec, exec, s[18:19]
	v_add_u32_e32 v124, 32, v152
	v_mad_i64_i32 v[120:121], s[26:27], v124, s31, 0
	v_cmp_gt_i32_e64 s[18:19], s25, v124
	v_lshl_add_u64 v[122:123], v[120:121], 3, s[28:29]
	v_mad_i64_i32 v[120:121], s[26:27], v124, s30, 0
	v_lshl_add_u64 v[120:121], v[120:121], 3, s[20:21]
	s_and_b64 s[34:35], s[2:3], s[18:19]
	s_and_saveexec_b64 s[26:27], s[34:35]
	s_cbranch_execnz .LBB178_99
; %bb.92:
	s_or_b64 exec, exec, s[26:27]
	s_and_b64 s[34:35], s[4:5], s[18:19]
	s_and_saveexec_b64 s[26:27], s[34:35]
	s_cbranch_execnz .LBB178_103
.LBB178_93:
	s_or_b64 exec, exec, s[26:27]
	s_and_b64 s[34:35], s[6:7], s[18:19]
	s_and_saveexec_b64 s[26:27], s[34:35]
	s_cbranch_execnz .LBB178_107
.LBB178_94:
	s_or_b64 exec, exec, s[26:27]
	s_and_b64 s[34:35], s[8:9], s[18:19]
	s_and_saveexec_b64 s[26:27], s[34:35]
	s_cbranch_execnz .LBB178_111
.LBB178_95:
	s_or_b64 exec, exec, s[26:27]
	s_and_b64 s[34:35], s[10:11], s[18:19]
	s_and_saveexec_b64 s[26:27], s[34:35]
	s_cbranch_execnz .LBB178_115
.LBB178_96:
	s_or_b64 exec, exec, s[26:27]
	s_and_b64 s[34:35], s[12:13], s[18:19]
	s_and_saveexec_b64 s[26:27], s[34:35]
	s_cbranch_execnz .LBB178_119
.LBB178_97:
	s_or_b64 exec, exec, s[26:27]
	s_and_b64 s[34:35], s[14:15], s[18:19]
	s_and_saveexec_b64 s[26:27], s[34:35]
	s_cbranch_execnz .LBB178_123
.LBB178_98:
	s_or_b64 exec, exec, s[26:27]
	s_and_b64 s[26:27], s[16:17], s[18:19]
	s_and_saveexec_b64 s[18:19], s[26:27]
	s_cbranch_execnz .LBB178_127
	s_branch .LBB178_131
.LBB178_99:
	s_and_b64 vcc, exec, s[0:1]
	s_cbranch_vccnz .LBB178_101
; %bb.100:
	v_lshl_add_u64 v[124:125], v[128:129], 3, v[122:123]
	global_load_dwordx2 v[124:125], v[124:125], off
	s_waitcnt vmcnt(0)
	v_mul_f64 v[124:125], s[22:23], v[124:125]
	v_cvt_f32_f64_e32 v124, v[124:125]
	s_branch .LBB178_102
.LBB178_101:
	v_mov_b32_e32 v124, 0
.LBB178_102:
	v_add_f64 v[126:127], v[70:71], v[118:119]
	v_add_f64 v[144:145], v[68:69], v[116:117]
	v_cvt_f32_f64_e32 v125, v[144:145]
	v_cvt_f32_f64_e32 v126, v[126:127]
	v_min3_f32 v125, v125, v126, v210
	v_add_f64 v[126:127], v[66:67], v[114:115]
	v_add_f64 v[144:145], v[64:65], v[112:113]
	v_cvt_f32_f64_e32 v144, v[144:145]
	v_cvt_f32_f64_e32 v126, v[126:127]
	v_min_f32_e32 v126, v144, v126
	v_min3_f32 v124, v124, v126, v125
	v_cvt_f64_f32_e32 v[124:125], v124
	v_lshl_add_u64 v[126:127], v[128:129], 3, v[120:121]
	global_store_dwordx2 v[126:127], v[124:125], off
	s_or_b64 exec, exec, s[26:27]
	s_and_b64 s[34:35], s[4:5], s[18:19]
	s_and_saveexec_b64 s[26:27], s[34:35]
	s_cbranch_execz .LBB178_93
.LBB178_103:
	s_and_b64 vcc, exec, s[0:1]
	s_cbranch_vccnz .LBB178_105
; %bb.104:
	v_lshl_add_u64 v[124:125], v[130:131], 3, v[122:123]
	global_load_dwordx2 v[124:125], v[124:125], off
	s_waitcnt vmcnt(0)
	v_mul_f64 v[124:125], s[22:23], v[124:125]
	v_cvt_f32_f64_e32 v124, v[124:125]
	s_branch .LBB178_106
.LBB178_105:
	v_mov_b32_e32 v124, 0
.LBB178_106:
	v_add_f64 v[126:127], v[62:63], v[118:119]
	v_add_f64 v[144:145], v[60:61], v[116:117]
	v_cvt_f32_f64_e32 v125, v[144:145]
	v_cvt_f32_f64_e32 v126, v[126:127]
	v_min3_f32 v125, v125, v126, v209
	v_add_f64 v[126:127], v[58:59], v[114:115]
	v_add_f64 v[144:145], v[56:57], v[112:113]
	v_cvt_f32_f64_e32 v144, v[144:145]
	v_cvt_f32_f64_e32 v126, v[126:127]
	v_min_f32_e32 v126, v144, v126
	v_min3_f32 v124, v124, v126, v125
	v_cvt_f64_f32_e32 v[124:125], v124
	v_lshl_add_u64 v[126:127], v[130:131], 3, v[120:121]
	global_store_dwordx2 v[126:127], v[124:125], off
	s_or_b64 exec, exec, s[26:27]
	s_and_b64 s[34:35], s[6:7], s[18:19]
	s_and_saveexec_b64 s[26:27], s[34:35]
	s_cbranch_execz .LBB178_94
.LBB178_107:
	s_and_b64 vcc, exec, s[0:1]
	s_cbranch_vccnz .LBB178_109
; %bb.108:
	v_lshl_add_u64 v[124:125], v[132:133], 3, v[122:123]
	global_load_dwordx2 v[124:125], v[124:125], off
	s_waitcnt vmcnt(0)
	v_mul_f64 v[124:125], s[22:23], v[124:125]
	v_cvt_f32_f64_e32 v124, v[124:125]
	s_branch .LBB178_110
.LBB178_109:
	v_mov_b32_e32 v124, 0
.LBB178_110:
	v_add_f64 v[126:127], v[54:55], v[118:119]
	v_add_f64 v[144:145], v[52:53], v[116:117]
	v_cvt_f32_f64_e32 v125, v[144:145]
	v_cvt_f32_f64_e32 v126, v[126:127]
	v_min3_f32 v125, v125, v126, v208
	v_add_f64 v[126:127], v[50:51], v[114:115]
	v_add_f64 v[144:145], v[48:49], v[112:113]
	v_cvt_f32_f64_e32 v144, v[144:145]
	v_cvt_f32_f64_e32 v126, v[126:127]
	v_min_f32_e32 v126, v144, v126
	v_min3_f32 v124, v124, v126, v125
	v_cvt_f64_f32_e32 v[124:125], v124
	v_lshl_add_u64 v[126:127], v[132:133], 3, v[120:121]
	global_store_dwordx2 v[126:127], v[124:125], off
	s_or_b64 exec, exec, s[26:27]
	s_and_b64 s[34:35], s[8:9], s[18:19]
	s_and_saveexec_b64 s[26:27], s[34:35]
	s_cbranch_execz .LBB178_95
.LBB178_111:
	s_and_b64 vcc, exec, s[0:1]
	s_cbranch_vccnz .LBB178_113
; %bb.112:
	v_lshl_add_u64 v[124:125], v[134:135], 3, v[122:123]
	global_load_dwordx2 v[124:125], v[124:125], off
	s_waitcnt vmcnt(0)
	v_mul_f64 v[124:125], s[22:23], v[124:125]
	v_cvt_f32_f64_e32 v124, v[124:125]
	s_branch .LBB178_114
.LBB178_113:
	v_mov_b32_e32 v124, 0
.LBB178_114:
	v_add_f64 v[126:127], v[46:47], v[118:119]
	v_add_f64 v[144:145], v[44:45], v[116:117]
	v_cvt_f32_f64_e32 v125, v[144:145]
	v_cvt_f32_f64_e32 v126, v[126:127]
	v_min3_f32 v125, v125, v126, v207
	v_add_f64 v[126:127], v[42:43], v[114:115]
	v_add_f64 v[144:145], v[40:41], v[112:113]
	v_cvt_f32_f64_e32 v144, v[144:145]
	v_cvt_f32_f64_e32 v126, v[126:127]
	v_min_f32_e32 v126, v144, v126
	v_min3_f32 v124, v124, v126, v125
	v_cvt_f64_f32_e32 v[124:125], v124
	v_lshl_add_u64 v[126:127], v[134:135], 3, v[120:121]
	global_store_dwordx2 v[126:127], v[124:125], off
	s_or_b64 exec, exec, s[26:27]
	s_and_b64 s[34:35], s[10:11], s[18:19]
	s_and_saveexec_b64 s[26:27], s[34:35]
	s_cbranch_execz .LBB178_96
.LBB178_115:
	s_and_b64 vcc, exec, s[0:1]
	s_cbranch_vccnz .LBB178_117
; %bb.116:
	v_lshl_add_u64 v[124:125], v[136:137], 3, v[122:123]
	global_load_dwordx2 v[124:125], v[124:125], off
	s_waitcnt vmcnt(0)
	v_mul_f64 v[124:125], s[22:23], v[124:125]
	v_cvt_f32_f64_e32 v124, v[124:125]
	s_branch .LBB178_118
.LBB178_117:
	v_mov_b32_e32 v124, 0
.LBB178_118:
	v_add_f64 v[126:127], v[38:39], v[118:119]
	v_add_f64 v[144:145], v[36:37], v[116:117]
	v_cvt_f32_f64_e32 v125, v[144:145]
	v_cvt_f32_f64_e32 v126, v[126:127]
	v_min3_f32 v125, v125, v126, v206
	v_add_f64 v[126:127], v[34:35], v[114:115]
	v_add_f64 v[144:145], v[32:33], v[112:113]
	v_cvt_f32_f64_e32 v144, v[144:145]
	v_cvt_f32_f64_e32 v126, v[126:127]
	v_min_f32_e32 v126, v144, v126
	v_min3_f32 v124, v124, v126, v125
	v_cvt_f64_f32_e32 v[124:125], v124
	v_lshl_add_u64 v[126:127], v[136:137], 3, v[120:121]
	global_store_dwordx2 v[126:127], v[124:125], off
	s_or_b64 exec, exec, s[26:27]
	s_and_b64 s[34:35], s[12:13], s[18:19]
	s_and_saveexec_b64 s[26:27], s[34:35]
	s_cbranch_execz .LBB178_97
.LBB178_119:
	s_and_b64 vcc, exec, s[0:1]
	s_cbranch_vccnz .LBB178_121
; %bb.120:
	v_lshl_add_u64 v[124:125], v[138:139], 3, v[122:123]
	global_load_dwordx2 v[124:125], v[124:125], off
	s_waitcnt vmcnt(0)
	v_mul_f64 v[124:125], s[22:23], v[124:125]
	v_cvt_f32_f64_e32 v124, v[124:125]
	s_branch .LBB178_122
.LBB178_121:
	v_mov_b32_e32 v124, 0
.LBB178_122:
	v_add_f64 v[126:127], v[30:31], v[118:119]
	v_add_f64 v[144:145], v[28:29], v[116:117]
	v_cvt_f32_f64_e32 v125, v[144:145]
	v_cvt_f32_f64_e32 v126, v[126:127]
	v_min3_f32 v125, v125, v126, v205
	v_add_f64 v[126:127], v[26:27], v[114:115]
	v_add_f64 v[144:145], v[24:25], v[112:113]
	v_cvt_f32_f64_e32 v144, v[144:145]
	v_cvt_f32_f64_e32 v126, v[126:127]
	v_min_f32_e32 v126, v144, v126
	v_min3_f32 v124, v124, v126, v125
	v_cvt_f64_f32_e32 v[124:125], v124
	v_lshl_add_u64 v[126:127], v[138:139], 3, v[120:121]
	global_store_dwordx2 v[126:127], v[124:125], off
	s_or_b64 exec, exec, s[26:27]
	s_and_b64 s[34:35], s[14:15], s[18:19]
	s_and_saveexec_b64 s[26:27], s[34:35]
	s_cbranch_execz .LBB178_98
.LBB178_123:
	s_and_b64 vcc, exec, s[0:1]
	s_cbranch_vccnz .LBB178_125
; %bb.124:
	v_lshl_add_u64 v[124:125], v[140:141], 3, v[122:123]
	global_load_dwordx2 v[124:125], v[124:125], off
	s_waitcnt vmcnt(0)
	v_mul_f64 v[124:125], s[22:23], v[124:125]
	v_cvt_f32_f64_e32 v124, v[124:125]
	s_branch .LBB178_126
.LBB178_125:
	v_mov_b32_e32 v124, 0
.LBB178_126:
	v_add_f64 v[126:127], v[22:23], v[118:119]
	v_add_f64 v[144:145], v[20:21], v[116:117]
	v_cvt_f32_f64_e32 v125, v[144:145]
	v_cvt_f32_f64_e32 v126, v[126:127]
	v_min3_f32 v125, v125, v126, v204
	v_add_f64 v[126:127], v[18:19], v[114:115]
	v_add_f64 v[144:145], v[16:17], v[112:113]
	v_cvt_f32_f64_e32 v144, v[144:145]
	v_cvt_f32_f64_e32 v126, v[126:127]
	v_min_f32_e32 v126, v144, v126
	v_min3_f32 v124, v124, v126, v125
	v_cvt_f64_f32_e32 v[124:125], v124
	v_lshl_add_u64 v[126:127], v[140:141], 3, v[120:121]
	global_store_dwordx2 v[126:127], v[124:125], off
	s_or_b64 exec, exec, s[26:27]
	s_and_b64 s[26:27], s[16:17], s[18:19]
	s_and_saveexec_b64 s[18:19], s[26:27]
	s_cbranch_execz .LBB178_131
.LBB178_127:
	s_and_b64 vcc, exec, s[0:1]
	s_cbranch_vccnz .LBB178_129
; %bb.128:
	v_lshl_add_u64 v[122:123], v[142:143], 3, v[122:123]
	global_load_dwordx2 v[122:123], v[122:123], off
	s_waitcnt vmcnt(0)
	v_mul_f64 v[122:123], s[22:23], v[122:123]
	v_cvt_f32_f64_e32 v122, v[122:123]
	s_branch .LBB178_130
.LBB178_129:
	v_mov_b32_e32 v122, 0
.LBB178_130:
	v_add_f64 v[118:119], v[6:7], v[118:119]
	v_add_f64 v[116:117], v[4:5], v[116:117]
	;; [unrolled: 1-line block ×4, first 2 shown]
	v_cvt_f32_f64_e32 v116, v[116:117]
	v_cvt_f32_f64_e32 v117, v[118:119]
	;; [unrolled: 1-line block ×4, first 2 shown]
	v_min3_f32 v116, v116, v117, v203
	v_min_f32_e32 v112, v112, v113
	v_min3_f32 v112, v122, v112, v116
	v_cvt_f64_f32_e32 v[112:113], v112
	v_lshl_add_u64 v[114:115], v[142:143], 3, v[120:121]
	global_store_dwordx2 v[114:115], v[112:113], off
.LBB178_131:
	s_or_b64 exec, exec, s[18:19]
	v_add_u32_e32 v116, 64, v152
	v_mad_i64_i32 v[112:113], s[26:27], v116, s31, 0
	v_cmp_gt_i32_e64 s[18:19], s25, v116
	v_lshl_add_u64 v[114:115], v[112:113], 3, s[28:29]
	v_mad_i64_i32 v[112:113], s[26:27], v116, s30, 0
	v_lshl_add_u64 v[112:113], v[112:113], 3, s[20:21]
	s_and_b64 s[34:35], s[2:3], s[18:19]
	s_and_saveexec_b64 s[26:27], s[34:35]
	s_cbranch_execnz .LBB178_139
; %bb.132:
	s_or_b64 exec, exec, s[26:27]
	s_and_b64 s[34:35], s[4:5], s[18:19]
	s_and_saveexec_b64 s[26:27], s[34:35]
	s_cbranch_execnz .LBB178_143
.LBB178_133:
	s_or_b64 exec, exec, s[26:27]
	s_and_b64 s[34:35], s[6:7], s[18:19]
	s_and_saveexec_b64 s[26:27], s[34:35]
	s_cbranch_execnz .LBB178_147
.LBB178_134:
	s_or_b64 exec, exec, s[26:27]
	s_and_b64 s[34:35], s[8:9], s[18:19]
	s_and_saveexec_b64 s[26:27], s[34:35]
	s_cbranch_execnz .LBB178_151
.LBB178_135:
	s_or_b64 exec, exec, s[26:27]
	s_and_b64 s[34:35], s[10:11], s[18:19]
	s_and_saveexec_b64 s[26:27], s[34:35]
	s_cbranch_execnz .LBB178_155
.LBB178_136:
	s_or_b64 exec, exec, s[26:27]
	s_and_b64 s[34:35], s[12:13], s[18:19]
	s_and_saveexec_b64 s[26:27], s[34:35]
	s_cbranch_execnz .LBB178_159
.LBB178_137:
	s_or_b64 exec, exec, s[26:27]
	s_and_b64 s[34:35], s[14:15], s[18:19]
	s_and_saveexec_b64 s[26:27], s[34:35]
	s_cbranch_execnz .LBB178_163
.LBB178_138:
	s_or_b64 exec, exec, s[26:27]
	s_and_b64 s[26:27], s[16:17], s[18:19]
	s_and_saveexec_b64 s[18:19], s[26:27]
	s_cbranch_execnz .LBB178_167
	s_branch .LBB178_171
.LBB178_139:
	s_and_b64 vcc, exec, s[0:1]
	s_cbranch_vccnz .LBB178_141
; %bb.140:
	v_lshl_add_u64 v[116:117], v[128:129], 3, v[114:115]
	global_load_dwordx2 v[116:117], v[116:117], off
	s_waitcnt vmcnt(0)
	v_mul_f64 v[116:117], s[22:23], v[116:117]
	v_cvt_f32_f64_e32 v116, v[116:117]
	s_branch .LBB178_142
.LBB178_141:
	v_mov_b32_e32 v116, 0
.LBB178_142:
	v_add_f64 v[118:119], v[70:71], v[110:111]
	v_add_f64 v[120:121], v[68:69], v[108:109]
	v_cvt_f32_f64_e32 v117, v[120:121]
	v_cvt_f32_f64_e32 v118, v[118:119]
	v_min3_f32 v117, v117, v118, v202
	v_add_f64 v[118:119], v[66:67], v[106:107]
	v_add_f64 v[120:121], v[64:65], v[104:105]
	v_cvt_f32_f64_e32 v120, v[120:121]
	v_cvt_f32_f64_e32 v118, v[118:119]
	v_min_f32_e32 v118, v120, v118
	v_min3_f32 v116, v116, v118, v117
	v_cvt_f64_f32_e32 v[116:117], v116
	v_lshl_add_u64 v[118:119], v[128:129], 3, v[112:113]
	global_store_dwordx2 v[118:119], v[116:117], off
	s_or_b64 exec, exec, s[26:27]
	s_and_b64 s[34:35], s[4:5], s[18:19]
	s_and_saveexec_b64 s[26:27], s[34:35]
	s_cbranch_execz .LBB178_133
.LBB178_143:
	s_and_b64 vcc, exec, s[0:1]
	s_cbranch_vccnz .LBB178_145
; %bb.144:
	v_lshl_add_u64 v[116:117], v[130:131], 3, v[114:115]
	global_load_dwordx2 v[116:117], v[116:117], off
	s_waitcnt vmcnt(0)
	v_mul_f64 v[116:117], s[22:23], v[116:117]
	v_cvt_f32_f64_e32 v116, v[116:117]
	s_branch .LBB178_146
.LBB178_145:
	v_mov_b32_e32 v116, 0
.LBB178_146:
	v_add_f64 v[118:119], v[62:63], v[110:111]
	v_add_f64 v[120:121], v[60:61], v[108:109]
	v_cvt_f32_f64_e32 v117, v[120:121]
	v_cvt_f32_f64_e32 v118, v[118:119]
	v_min3_f32 v117, v117, v118, v201
	v_add_f64 v[118:119], v[58:59], v[106:107]
	v_add_f64 v[120:121], v[56:57], v[104:105]
	v_cvt_f32_f64_e32 v120, v[120:121]
	v_cvt_f32_f64_e32 v118, v[118:119]
	v_min_f32_e32 v118, v120, v118
	v_min3_f32 v116, v116, v118, v117
	v_cvt_f64_f32_e32 v[116:117], v116
	v_lshl_add_u64 v[118:119], v[130:131], 3, v[112:113]
	global_store_dwordx2 v[118:119], v[116:117], off
	s_or_b64 exec, exec, s[26:27]
	s_and_b64 s[34:35], s[6:7], s[18:19]
	s_and_saveexec_b64 s[26:27], s[34:35]
	s_cbranch_execz .LBB178_134
.LBB178_147:
	s_and_b64 vcc, exec, s[0:1]
	s_cbranch_vccnz .LBB178_149
; %bb.148:
	v_lshl_add_u64 v[116:117], v[132:133], 3, v[114:115]
	global_load_dwordx2 v[116:117], v[116:117], off
	s_waitcnt vmcnt(0)
	v_mul_f64 v[116:117], s[22:23], v[116:117]
	v_cvt_f32_f64_e32 v116, v[116:117]
	s_branch .LBB178_150
.LBB178_149:
	v_mov_b32_e32 v116, 0
.LBB178_150:
	v_add_f64 v[118:119], v[54:55], v[110:111]
	v_add_f64 v[120:121], v[52:53], v[108:109]
	v_cvt_f32_f64_e32 v117, v[120:121]
	v_cvt_f32_f64_e32 v118, v[118:119]
	v_min3_f32 v117, v117, v118, v200
	v_add_f64 v[118:119], v[50:51], v[106:107]
	v_add_f64 v[120:121], v[48:49], v[104:105]
	v_cvt_f32_f64_e32 v120, v[120:121]
	v_cvt_f32_f64_e32 v118, v[118:119]
	v_min_f32_e32 v118, v120, v118
	v_min3_f32 v116, v116, v118, v117
	v_cvt_f64_f32_e32 v[116:117], v116
	v_lshl_add_u64 v[118:119], v[132:133], 3, v[112:113]
	global_store_dwordx2 v[118:119], v[116:117], off
	s_or_b64 exec, exec, s[26:27]
	s_and_b64 s[34:35], s[8:9], s[18:19]
	s_and_saveexec_b64 s[26:27], s[34:35]
	s_cbranch_execz .LBB178_135
.LBB178_151:
	s_and_b64 vcc, exec, s[0:1]
	s_cbranch_vccnz .LBB178_153
; %bb.152:
	v_lshl_add_u64 v[116:117], v[134:135], 3, v[114:115]
	global_load_dwordx2 v[116:117], v[116:117], off
	s_waitcnt vmcnt(0)
	v_mul_f64 v[116:117], s[22:23], v[116:117]
	v_cvt_f32_f64_e32 v116, v[116:117]
	s_branch .LBB178_154
.LBB178_153:
	v_mov_b32_e32 v116, 0
.LBB178_154:
	v_add_f64 v[118:119], v[46:47], v[110:111]
	v_add_f64 v[120:121], v[44:45], v[108:109]
	v_cvt_f32_f64_e32 v117, v[120:121]
	v_cvt_f32_f64_e32 v118, v[118:119]
	v_min3_f32 v117, v117, v118, v199
	v_add_f64 v[118:119], v[42:43], v[106:107]
	v_add_f64 v[120:121], v[40:41], v[104:105]
	v_cvt_f32_f64_e32 v120, v[120:121]
	v_cvt_f32_f64_e32 v118, v[118:119]
	v_min_f32_e32 v118, v120, v118
	v_min3_f32 v116, v116, v118, v117
	v_cvt_f64_f32_e32 v[116:117], v116
	v_lshl_add_u64 v[118:119], v[134:135], 3, v[112:113]
	global_store_dwordx2 v[118:119], v[116:117], off
	s_or_b64 exec, exec, s[26:27]
	s_and_b64 s[34:35], s[10:11], s[18:19]
	s_and_saveexec_b64 s[26:27], s[34:35]
	s_cbranch_execz .LBB178_136
.LBB178_155:
	s_and_b64 vcc, exec, s[0:1]
	s_cbranch_vccnz .LBB178_157
; %bb.156:
	v_lshl_add_u64 v[116:117], v[136:137], 3, v[114:115]
	global_load_dwordx2 v[116:117], v[116:117], off
	s_waitcnt vmcnt(0)
	v_mul_f64 v[116:117], s[22:23], v[116:117]
	v_cvt_f32_f64_e32 v116, v[116:117]
	s_branch .LBB178_158
.LBB178_157:
	v_mov_b32_e32 v116, 0
.LBB178_158:
	v_add_f64 v[118:119], v[38:39], v[110:111]
	v_add_f64 v[120:121], v[36:37], v[108:109]
	v_cvt_f32_f64_e32 v117, v[120:121]
	v_cvt_f32_f64_e32 v118, v[118:119]
	v_min3_f32 v117, v117, v118, v198
	v_add_f64 v[118:119], v[34:35], v[106:107]
	v_add_f64 v[120:121], v[32:33], v[104:105]
	v_cvt_f32_f64_e32 v120, v[120:121]
	v_cvt_f32_f64_e32 v118, v[118:119]
	v_min_f32_e32 v118, v120, v118
	v_min3_f32 v116, v116, v118, v117
	v_cvt_f64_f32_e32 v[116:117], v116
	v_lshl_add_u64 v[118:119], v[136:137], 3, v[112:113]
	global_store_dwordx2 v[118:119], v[116:117], off
	s_or_b64 exec, exec, s[26:27]
	s_and_b64 s[34:35], s[12:13], s[18:19]
	s_and_saveexec_b64 s[26:27], s[34:35]
	s_cbranch_execz .LBB178_137
.LBB178_159:
	s_and_b64 vcc, exec, s[0:1]
	s_cbranch_vccnz .LBB178_161
; %bb.160:
	v_lshl_add_u64 v[116:117], v[138:139], 3, v[114:115]
	global_load_dwordx2 v[116:117], v[116:117], off
	s_waitcnt vmcnt(0)
	v_mul_f64 v[116:117], s[22:23], v[116:117]
	v_cvt_f32_f64_e32 v116, v[116:117]
	s_branch .LBB178_162
.LBB178_161:
	v_mov_b32_e32 v116, 0
.LBB178_162:
	v_add_f64 v[118:119], v[30:31], v[110:111]
	v_add_f64 v[120:121], v[28:29], v[108:109]
	v_cvt_f32_f64_e32 v117, v[120:121]
	v_cvt_f32_f64_e32 v118, v[118:119]
	v_min3_f32 v117, v117, v118, v197
	v_add_f64 v[118:119], v[26:27], v[106:107]
	v_add_f64 v[120:121], v[24:25], v[104:105]
	v_cvt_f32_f64_e32 v120, v[120:121]
	v_cvt_f32_f64_e32 v118, v[118:119]
	v_min_f32_e32 v118, v120, v118
	v_min3_f32 v116, v116, v118, v117
	v_cvt_f64_f32_e32 v[116:117], v116
	v_lshl_add_u64 v[118:119], v[138:139], 3, v[112:113]
	global_store_dwordx2 v[118:119], v[116:117], off
	s_or_b64 exec, exec, s[26:27]
	s_and_b64 s[34:35], s[14:15], s[18:19]
	s_and_saveexec_b64 s[26:27], s[34:35]
	s_cbranch_execz .LBB178_138
.LBB178_163:
	s_and_b64 vcc, exec, s[0:1]
	s_cbranch_vccnz .LBB178_165
; %bb.164:
	v_lshl_add_u64 v[116:117], v[140:141], 3, v[114:115]
	global_load_dwordx2 v[116:117], v[116:117], off
	s_waitcnt vmcnt(0)
	v_mul_f64 v[116:117], s[22:23], v[116:117]
	v_cvt_f32_f64_e32 v116, v[116:117]
	s_branch .LBB178_166
.LBB178_165:
	v_mov_b32_e32 v116, 0
.LBB178_166:
	v_add_f64 v[118:119], v[22:23], v[110:111]
	v_add_f64 v[120:121], v[20:21], v[108:109]
	v_cvt_f32_f64_e32 v117, v[120:121]
	v_cvt_f32_f64_e32 v118, v[118:119]
	v_min3_f32 v117, v117, v118, v196
	v_add_f64 v[118:119], v[18:19], v[106:107]
	v_add_f64 v[120:121], v[16:17], v[104:105]
	v_cvt_f32_f64_e32 v120, v[120:121]
	v_cvt_f32_f64_e32 v118, v[118:119]
	v_min_f32_e32 v118, v120, v118
	v_min3_f32 v116, v116, v118, v117
	v_cvt_f64_f32_e32 v[116:117], v116
	v_lshl_add_u64 v[118:119], v[140:141], 3, v[112:113]
	global_store_dwordx2 v[118:119], v[116:117], off
	s_or_b64 exec, exec, s[26:27]
	s_and_b64 s[26:27], s[16:17], s[18:19]
	s_and_saveexec_b64 s[18:19], s[26:27]
	s_cbranch_execz .LBB178_171
.LBB178_167:
	s_and_b64 vcc, exec, s[0:1]
	s_cbranch_vccnz .LBB178_169
; %bb.168:
	v_lshl_add_u64 v[114:115], v[142:143], 3, v[114:115]
	global_load_dwordx2 v[114:115], v[114:115], off
	s_waitcnt vmcnt(0)
	v_mul_f64 v[114:115], s[22:23], v[114:115]
	v_cvt_f32_f64_e32 v114, v[114:115]
	s_branch .LBB178_170
.LBB178_169:
	v_mov_b32_e32 v114, 0
.LBB178_170:
	v_add_f64 v[110:111], v[6:7], v[110:111]
	v_add_f64 v[108:109], v[4:5], v[108:109]
	;; [unrolled: 1-line block ×4, first 2 shown]
	v_cvt_f32_f64_e32 v108, v[108:109]
	v_cvt_f32_f64_e32 v109, v[110:111]
	v_cvt_f32_f64_e32 v104, v[104:105]
	v_cvt_f32_f64_e32 v105, v[106:107]
	v_min3_f32 v108, v108, v109, v195
	v_min_f32_e32 v104, v104, v105
	v_min3_f32 v104, v114, v104, v108
	v_cvt_f64_f32_e32 v[104:105], v104
	v_lshl_add_u64 v[106:107], v[142:143], 3, v[112:113]
	global_store_dwordx2 v[106:107], v[104:105], off
.LBB178_171:
	s_or_b64 exec, exec, s[18:19]
	v_add_u32_e32 v108, 0x60, v152
	v_mad_i64_i32 v[104:105], s[26:27], v108, s31, 0
	v_cmp_gt_i32_e64 s[18:19], s25, v108
	v_lshl_add_u64 v[106:107], v[104:105], 3, s[28:29]
	v_mad_i64_i32 v[104:105], s[26:27], v108, s30, 0
	v_lshl_add_u64 v[104:105], v[104:105], 3, s[20:21]
	s_and_b64 s[34:35], s[2:3], s[18:19]
	s_and_saveexec_b64 s[26:27], s[34:35]
	s_cbranch_execnz .LBB178_179
; %bb.172:
	s_or_b64 exec, exec, s[26:27]
	s_and_b64 s[34:35], s[4:5], s[18:19]
	s_and_saveexec_b64 s[26:27], s[34:35]
	s_cbranch_execnz .LBB178_183
.LBB178_173:
	s_or_b64 exec, exec, s[26:27]
	s_and_b64 s[34:35], s[6:7], s[18:19]
	s_and_saveexec_b64 s[26:27], s[34:35]
	s_cbranch_execnz .LBB178_187
.LBB178_174:
	s_or_b64 exec, exec, s[26:27]
	s_and_b64 s[34:35], s[8:9], s[18:19]
	s_and_saveexec_b64 s[26:27], s[34:35]
	s_cbranch_execnz .LBB178_191
.LBB178_175:
	s_or_b64 exec, exec, s[26:27]
	s_and_b64 s[34:35], s[10:11], s[18:19]
	s_and_saveexec_b64 s[26:27], s[34:35]
	s_cbranch_execnz .LBB178_195
.LBB178_176:
	s_or_b64 exec, exec, s[26:27]
	s_and_b64 s[34:35], s[12:13], s[18:19]
	s_and_saveexec_b64 s[26:27], s[34:35]
	s_cbranch_execnz .LBB178_199
.LBB178_177:
	s_or_b64 exec, exec, s[26:27]
	s_and_b64 s[34:35], s[14:15], s[18:19]
	s_and_saveexec_b64 s[26:27], s[34:35]
	s_cbranch_execnz .LBB178_203
.LBB178_178:
	s_or_b64 exec, exec, s[26:27]
	s_and_b64 s[26:27], s[16:17], s[18:19]
	s_and_saveexec_b64 s[18:19], s[26:27]
	s_cbranch_execnz .LBB178_207
	s_branch .LBB178_211
.LBB178_179:
	s_and_b64 vcc, exec, s[0:1]
	s_cbranch_vccnz .LBB178_181
; %bb.180:
	v_lshl_add_u64 v[108:109], v[128:129], 3, v[106:107]
	global_load_dwordx2 v[108:109], v[108:109], off
	s_waitcnt vmcnt(0)
	v_mul_f64 v[108:109], s[22:23], v[108:109]
	v_cvt_f32_f64_e32 v108, v[108:109]
	s_branch .LBB178_182
.LBB178_181:
	v_mov_b32_e32 v108, 0
.LBB178_182:
	v_add_f64 v[110:111], v[70:71], v[102:103]
	v_add_f64 v[112:113], v[68:69], v[100:101]
	v_cvt_f32_f64_e32 v109, v[112:113]
	v_cvt_f32_f64_e32 v110, v[110:111]
	v_min3_f32 v109, v109, v110, v194
	v_add_f64 v[110:111], v[66:67], v[98:99]
	v_add_f64 v[112:113], v[64:65], v[96:97]
	v_cvt_f32_f64_e32 v112, v[112:113]
	v_cvt_f32_f64_e32 v110, v[110:111]
	v_min_f32_e32 v110, v112, v110
	v_min3_f32 v108, v108, v110, v109
	v_cvt_f64_f32_e32 v[108:109], v108
	v_lshl_add_u64 v[110:111], v[128:129], 3, v[104:105]
	global_store_dwordx2 v[110:111], v[108:109], off
	s_or_b64 exec, exec, s[26:27]
	s_and_b64 s[34:35], s[4:5], s[18:19]
	s_and_saveexec_b64 s[26:27], s[34:35]
	s_cbranch_execz .LBB178_173
.LBB178_183:
	s_and_b64 vcc, exec, s[0:1]
	s_cbranch_vccnz .LBB178_185
; %bb.184:
	v_lshl_add_u64 v[108:109], v[130:131], 3, v[106:107]
	global_load_dwordx2 v[108:109], v[108:109], off
	s_waitcnt vmcnt(0)
	v_mul_f64 v[108:109], s[22:23], v[108:109]
	v_cvt_f32_f64_e32 v108, v[108:109]
	s_branch .LBB178_186
.LBB178_185:
	v_mov_b32_e32 v108, 0
.LBB178_186:
	v_add_f64 v[110:111], v[62:63], v[102:103]
	v_add_f64 v[112:113], v[60:61], v[100:101]
	v_cvt_f32_f64_e32 v109, v[112:113]
	v_cvt_f32_f64_e32 v110, v[110:111]
	v_min3_f32 v109, v109, v110, v193
	v_add_f64 v[110:111], v[58:59], v[98:99]
	v_add_f64 v[112:113], v[56:57], v[96:97]
	v_cvt_f32_f64_e32 v112, v[112:113]
	v_cvt_f32_f64_e32 v110, v[110:111]
	v_min_f32_e32 v110, v112, v110
	v_min3_f32 v108, v108, v110, v109
	v_cvt_f64_f32_e32 v[108:109], v108
	v_lshl_add_u64 v[110:111], v[130:131], 3, v[104:105]
	global_store_dwordx2 v[110:111], v[108:109], off
	s_or_b64 exec, exec, s[26:27]
	s_and_b64 s[34:35], s[6:7], s[18:19]
	s_and_saveexec_b64 s[26:27], s[34:35]
	s_cbranch_execz .LBB178_174
.LBB178_187:
	s_and_b64 vcc, exec, s[0:1]
	s_cbranch_vccnz .LBB178_189
; %bb.188:
	v_lshl_add_u64 v[108:109], v[132:133], 3, v[106:107]
	global_load_dwordx2 v[108:109], v[108:109], off
	s_waitcnt vmcnt(0)
	v_mul_f64 v[108:109], s[22:23], v[108:109]
	v_cvt_f32_f64_e32 v108, v[108:109]
	s_branch .LBB178_190
.LBB178_189:
	v_mov_b32_e32 v108, 0
.LBB178_190:
	v_add_f64 v[110:111], v[54:55], v[102:103]
	v_add_f64 v[112:113], v[52:53], v[100:101]
	v_cvt_f32_f64_e32 v109, v[112:113]
	v_cvt_f32_f64_e32 v110, v[110:111]
	v_min3_f32 v109, v109, v110, v192
	v_add_f64 v[110:111], v[50:51], v[98:99]
	v_add_f64 v[112:113], v[48:49], v[96:97]
	v_cvt_f32_f64_e32 v112, v[112:113]
	v_cvt_f32_f64_e32 v110, v[110:111]
	v_min_f32_e32 v110, v112, v110
	v_min3_f32 v108, v108, v110, v109
	v_cvt_f64_f32_e32 v[108:109], v108
	v_lshl_add_u64 v[110:111], v[132:133], 3, v[104:105]
	global_store_dwordx2 v[110:111], v[108:109], off
	s_or_b64 exec, exec, s[26:27]
	s_and_b64 s[34:35], s[8:9], s[18:19]
	s_and_saveexec_b64 s[26:27], s[34:35]
	s_cbranch_execz .LBB178_175
.LBB178_191:
	s_and_b64 vcc, exec, s[0:1]
	s_cbranch_vccnz .LBB178_193
; %bb.192:
	v_lshl_add_u64 v[108:109], v[134:135], 3, v[106:107]
	global_load_dwordx2 v[108:109], v[108:109], off
	s_waitcnt vmcnt(0)
	v_mul_f64 v[108:109], s[22:23], v[108:109]
	v_cvt_f32_f64_e32 v108, v[108:109]
	s_branch .LBB178_194
.LBB178_193:
	v_mov_b32_e32 v108, 0
.LBB178_194:
	v_add_f64 v[110:111], v[46:47], v[102:103]
	v_add_f64 v[112:113], v[44:45], v[100:101]
	v_cvt_f32_f64_e32 v109, v[112:113]
	v_cvt_f32_f64_e32 v110, v[110:111]
	v_min3_f32 v109, v109, v110, v191
	v_add_f64 v[110:111], v[42:43], v[98:99]
	v_add_f64 v[112:113], v[40:41], v[96:97]
	v_cvt_f32_f64_e32 v112, v[112:113]
	v_cvt_f32_f64_e32 v110, v[110:111]
	v_min_f32_e32 v110, v112, v110
	v_min3_f32 v108, v108, v110, v109
	v_cvt_f64_f32_e32 v[108:109], v108
	v_lshl_add_u64 v[110:111], v[134:135], 3, v[104:105]
	global_store_dwordx2 v[110:111], v[108:109], off
	s_or_b64 exec, exec, s[26:27]
	s_and_b64 s[34:35], s[10:11], s[18:19]
	s_and_saveexec_b64 s[26:27], s[34:35]
	s_cbranch_execz .LBB178_176
.LBB178_195:
	s_and_b64 vcc, exec, s[0:1]
	s_cbranch_vccnz .LBB178_197
; %bb.196:
	v_lshl_add_u64 v[108:109], v[136:137], 3, v[106:107]
	global_load_dwordx2 v[108:109], v[108:109], off
	s_waitcnt vmcnt(0)
	v_mul_f64 v[108:109], s[22:23], v[108:109]
	v_cvt_f32_f64_e32 v108, v[108:109]
	s_branch .LBB178_198
.LBB178_197:
	v_mov_b32_e32 v108, 0
.LBB178_198:
	v_add_f64 v[110:111], v[38:39], v[102:103]
	v_add_f64 v[112:113], v[36:37], v[100:101]
	v_cvt_f32_f64_e32 v109, v[112:113]
	v_cvt_f32_f64_e32 v110, v[110:111]
	v_min3_f32 v109, v109, v110, v190
	v_add_f64 v[110:111], v[34:35], v[98:99]
	v_add_f64 v[112:113], v[32:33], v[96:97]
	v_cvt_f32_f64_e32 v112, v[112:113]
	v_cvt_f32_f64_e32 v110, v[110:111]
	v_min_f32_e32 v110, v112, v110
	v_min3_f32 v108, v108, v110, v109
	v_cvt_f64_f32_e32 v[108:109], v108
	v_lshl_add_u64 v[110:111], v[136:137], 3, v[104:105]
	global_store_dwordx2 v[110:111], v[108:109], off
	s_or_b64 exec, exec, s[26:27]
	s_and_b64 s[34:35], s[12:13], s[18:19]
	s_and_saveexec_b64 s[26:27], s[34:35]
	s_cbranch_execz .LBB178_177
.LBB178_199:
	s_and_b64 vcc, exec, s[0:1]
	s_cbranch_vccnz .LBB178_201
; %bb.200:
	v_lshl_add_u64 v[108:109], v[138:139], 3, v[106:107]
	global_load_dwordx2 v[108:109], v[108:109], off
	s_waitcnt vmcnt(0)
	v_mul_f64 v[108:109], s[22:23], v[108:109]
	v_cvt_f32_f64_e32 v108, v[108:109]
	s_branch .LBB178_202
.LBB178_201:
	v_mov_b32_e32 v108, 0
.LBB178_202:
	v_add_f64 v[110:111], v[30:31], v[102:103]
	v_add_f64 v[112:113], v[28:29], v[100:101]
	v_cvt_f32_f64_e32 v109, v[112:113]
	v_cvt_f32_f64_e32 v110, v[110:111]
	v_min3_f32 v109, v109, v110, v189
	v_add_f64 v[110:111], v[26:27], v[98:99]
	v_add_f64 v[112:113], v[24:25], v[96:97]
	v_cvt_f32_f64_e32 v112, v[112:113]
	v_cvt_f32_f64_e32 v110, v[110:111]
	v_min_f32_e32 v110, v112, v110
	v_min3_f32 v108, v108, v110, v109
	v_cvt_f64_f32_e32 v[108:109], v108
	v_lshl_add_u64 v[110:111], v[138:139], 3, v[104:105]
	global_store_dwordx2 v[110:111], v[108:109], off
	s_or_b64 exec, exec, s[26:27]
	s_and_b64 s[34:35], s[14:15], s[18:19]
	s_and_saveexec_b64 s[26:27], s[34:35]
	s_cbranch_execz .LBB178_178
.LBB178_203:
	s_and_b64 vcc, exec, s[0:1]
	s_cbranch_vccnz .LBB178_205
; %bb.204:
	v_lshl_add_u64 v[108:109], v[140:141], 3, v[106:107]
	global_load_dwordx2 v[108:109], v[108:109], off
	s_waitcnt vmcnt(0)
	v_mul_f64 v[108:109], s[22:23], v[108:109]
	v_cvt_f32_f64_e32 v108, v[108:109]
	s_branch .LBB178_206
.LBB178_205:
	v_mov_b32_e32 v108, 0
.LBB178_206:
	v_add_f64 v[110:111], v[22:23], v[102:103]
	v_add_f64 v[112:113], v[20:21], v[100:101]
	v_cvt_f32_f64_e32 v109, v[112:113]
	v_cvt_f32_f64_e32 v110, v[110:111]
	v_min3_f32 v109, v109, v110, v188
	v_add_f64 v[110:111], v[18:19], v[98:99]
	v_add_f64 v[112:113], v[16:17], v[96:97]
	v_cvt_f32_f64_e32 v112, v[112:113]
	v_cvt_f32_f64_e32 v110, v[110:111]
	v_min_f32_e32 v110, v112, v110
	v_min3_f32 v108, v108, v110, v109
	v_cvt_f64_f32_e32 v[108:109], v108
	v_lshl_add_u64 v[110:111], v[140:141], 3, v[104:105]
	global_store_dwordx2 v[110:111], v[108:109], off
	s_or_b64 exec, exec, s[26:27]
	s_and_b64 s[26:27], s[16:17], s[18:19]
	s_and_saveexec_b64 s[18:19], s[26:27]
	s_cbranch_execz .LBB178_211
.LBB178_207:
	s_and_b64 vcc, exec, s[0:1]
	s_cbranch_vccnz .LBB178_209
; %bb.208:
	v_lshl_add_u64 v[106:107], v[142:143], 3, v[106:107]
	global_load_dwordx2 v[106:107], v[106:107], off
	s_waitcnt vmcnt(0)
	v_mul_f64 v[106:107], s[22:23], v[106:107]
	v_cvt_f32_f64_e32 v106, v[106:107]
	s_branch .LBB178_210
.LBB178_209:
	v_mov_b32_e32 v106, 0
.LBB178_210:
	v_add_f64 v[102:103], v[6:7], v[102:103]
	v_add_f64 v[100:101], v[4:5], v[100:101]
	;; [unrolled: 1-line block ×4, first 2 shown]
	v_cvt_f32_f64_e32 v100, v[100:101]
	v_cvt_f32_f64_e32 v101, v[102:103]
	;; [unrolled: 1-line block ×4, first 2 shown]
	v_min3_f32 v100, v100, v101, v187
	v_min_f32_e32 v96, v96, v97
	v_min3_f32 v96, v106, v96, v100
	v_cvt_f64_f32_e32 v[96:97], v96
	v_lshl_add_u64 v[98:99], v[142:143], 3, v[104:105]
	global_store_dwordx2 v[98:99], v[96:97], off
.LBB178_211:
	s_or_b64 exec, exec, s[18:19]
	v_add_u32_e32 v100, 0x80, v152
	v_mad_i64_i32 v[96:97], s[26:27], v100, s31, 0
	v_cmp_gt_i32_e64 s[18:19], s25, v100
	v_lshl_add_u64 v[98:99], v[96:97], 3, s[28:29]
	v_mad_i64_i32 v[96:97], s[26:27], v100, s30, 0
	v_lshl_add_u64 v[96:97], v[96:97], 3, s[20:21]
	s_and_b64 s[34:35], s[2:3], s[18:19]
	s_and_saveexec_b64 s[26:27], s[34:35]
	s_cbranch_execnz .LBB178_219
; %bb.212:
	s_or_b64 exec, exec, s[26:27]
	s_and_b64 s[34:35], s[4:5], s[18:19]
	s_and_saveexec_b64 s[26:27], s[34:35]
	s_cbranch_execnz .LBB178_223
.LBB178_213:
	s_or_b64 exec, exec, s[26:27]
	s_and_b64 s[34:35], s[6:7], s[18:19]
	s_and_saveexec_b64 s[26:27], s[34:35]
	s_cbranch_execnz .LBB178_227
.LBB178_214:
	s_or_b64 exec, exec, s[26:27]
	s_and_b64 s[34:35], s[8:9], s[18:19]
	s_and_saveexec_b64 s[26:27], s[34:35]
	s_cbranch_execnz .LBB178_231
.LBB178_215:
	s_or_b64 exec, exec, s[26:27]
	s_and_b64 s[34:35], s[10:11], s[18:19]
	s_and_saveexec_b64 s[26:27], s[34:35]
	s_cbranch_execnz .LBB178_235
.LBB178_216:
	s_or_b64 exec, exec, s[26:27]
	s_and_b64 s[34:35], s[12:13], s[18:19]
	s_and_saveexec_b64 s[26:27], s[34:35]
	s_cbranch_execnz .LBB178_239
.LBB178_217:
	s_or_b64 exec, exec, s[26:27]
	s_and_b64 s[34:35], s[14:15], s[18:19]
	s_and_saveexec_b64 s[26:27], s[34:35]
	s_cbranch_execnz .LBB178_243
.LBB178_218:
	s_or_b64 exec, exec, s[26:27]
	s_and_b64 s[26:27], s[16:17], s[18:19]
	s_and_saveexec_b64 s[18:19], s[26:27]
	s_cbranch_execnz .LBB178_247
	s_branch .LBB178_251
.LBB178_219:
	s_and_b64 vcc, exec, s[0:1]
	s_cbranch_vccnz .LBB178_221
; %bb.220:
	v_lshl_add_u64 v[100:101], v[128:129], 3, v[98:99]
	global_load_dwordx2 v[100:101], v[100:101], off
	s_waitcnt vmcnt(0)
	v_mul_f64 v[100:101], s[22:23], v[100:101]
	v_cvt_f32_f64_e32 v100, v[100:101]
	s_branch .LBB178_222
.LBB178_221:
	v_mov_b32_e32 v100, 0
.LBB178_222:
	v_add_f64 v[102:103], v[70:71], v[94:95]
	v_add_f64 v[104:105], v[68:69], v[92:93]
	v_cvt_f32_f64_e32 v101, v[104:105]
	v_cvt_f32_f64_e32 v102, v[102:103]
	v_min3_f32 v101, v101, v102, v186
	v_add_f64 v[102:103], v[66:67], v[90:91]
	v_add_f64 v[104:105], v[64:65], v[88:89]
	v_cvt_f32_f64_e32 v104, v[104:105]
	v_cvt_f32_f64_e32 v102, v[102:103]
	v_min_f32_e32 v102, v104, v102
	v_min3_f32 v100, v100, v102, v101
	v_cvt_f64_f32_e32 v[100:101], v100
	v_lshl_add_u64 v[102:103], v[128:129], 3, v[96:97]
	global_store_dwordx2 v[102:103], v[100:101], off
	s_or_b64 exec, exec, s[26:27]
	s_and_b64 s[34:35], s[4:5], s[18:19]
	s_and_saveexec_b64 s[26:27], s[34:35]
	s_cbranch_execz .LBB178_213
.LBB178_223:
	s_and_b64 vcc, exec, s[0:1]
	s_cbranch_vccnz .LBB178_225
; %bb.224:
	v_lshl_add_u64 v[100:101], v[130:131], 3, v[98:99]
	global_load_dwordx2 v[100:101], v[100:101], off
	s_waitcnt vmcnt(0)
	v_mul_f64 v[100:101], s[22:23], v[100:101]
	v_cvt_f32_f64_e32 v100, v[100:101]
	s_branch .LBB178_226
.LBB178_225:
	v_mov_b32_e32 v100, 0
.LBB178_226:
	v_add_f64 v[102:103], v[62:63], v[94:95]
	v_add_f64 v[104:105], v[60:61], v[92:93]
	v_cvt_f32_f64_e32 v101, v[104:105]
	v_cvt_f32_f64_e32 v102, v[102:103]
	v_min3_f32 v101, v101, v102, v185
	v_add_f64 v[102:103], v[58:59], v[90:91]
	v_add_f64 v[104:105], v[56:57], v[88:89]
	v_cvt_f32_f64_e32 v104, v[104:105]
	v_cvt_f32_f64_e32 v102, v[102:103]
	v_min_f32_e32 v102, v104, v102
	v_min3_f32 v100, v100, v102, v101
	v_cvt_f64_f32_e32 v[100:101], v100
	v_lshl_add_u64 v[102:103], v[130:131], 3, v[96:97]
	global_store_dwordx2 v[102:103], v[100:101], off
	s_or_b64 exec, exec, s[26:27]
	s_and_b64 s[34:35], s[6:7], s[18:19]
	s_and_saveexec_b64 s[26:27], s[34:35]
	s_cbranch_execz .LBB178_214
.LBB178_227:
	s_and_b64 vcc, exec, s[0:1]
	s_cbranch_vccnz .LBB178_229
; %bb.228:
	v_lshl_add_u64 v[100:101], v[132:133], 3, v[98:99]
	global_load_dwordx2 v[100:101], v[100:101], off
	s_waitcnt vmcnt(0)
	v_mul_f64 v[100:101], s[22:23], v[100:101]
	v_cvt_f32_f64_e32 v100, v[100:101]
	s_branch .LBB178_230
.LBB178_229:
	v_mov_b32_e32 v100, 0
.LBB178_230:
	v_add_f64 v[102:103], v[54:55], v[94:95]
	v_add_f64 v[104:105], v[52:53], v[92:93]
	v_cvt_f32_f64_e32 v101, v[104:105]
	v_cvt_f32_f64_e32 v102, v[102:103]
	v_min3_f32 v101, v101, v102, v184
	v_add_f64 v[102:103], v[50:51], v[90:91]
	v_add_f64 v[104:105], v[48:49], v[88:89]
	v_cvt_f32_f64_e32 v104, v[104:105]
	v_cvt_f32_f64_e32 v102, v[102:103]
	v_min_f32_e32 v102, v104, v102
	v_min3_f32 v100, v100, v102, v101
	v_cvt_f64_f32_e32 v[100:101], v100
	v_lshl_add_u64 v[102:103], v[132:133], 3, v[96:97]
	global_store_dwordx2 v[102:103], v[100:101], off
	s_or_b64 exec, exec, s[26:27]
	s_and_b64 s[34:35], s[8:9], s[18:19]
	s_and_saveexec_b64 s[26:27], s[34:35]
	s_cbranch_execz .LBB178_215
.LBB178_231:
	s_and_b64 vcc, exec, s[0:1]
	s_cbranch_vccnz .LBB178_233
; %bb.232:
	v_lshl_add_u64 v[100:101], v[134:135], 3, v[98:99]
	global_load_dwordx2 v[100:101], v[100:101], off
	s_waitcnt vmcnt(0)
	v_mul_f64 v[100:101], s[22:23], v[100:101]
	v_cvt_f32_f64_e32 v100, v[100:101]
	s_branch .LBB178_234
.LBB178_233:
	v_mov_b32_e32 v100, 0
.LBB178_234:
	v_add_f64 v[102:103], v[46:47], v[94:95]
	v_add_f64 v[104:105], v[44:45], v[92:93]
	v_cvt_f32_f64_e32 v101, v[104:105]
	v_cvt_f32_f64_e32 v102, v[102:103]
	v_min3_f32 v101, v101, v102, v183
	v_add_f64 v[102:103], v[42:43], v[90:91]
	v_add_f64 v[104:105], v[40:41], v[88:89]
	v_cvt_f32_f64_e32 v104, v[104:105]
	v_cvt_f32_f64_e32 v102, v[102:103]
	v_min_f32_e32 v102, v104, v102
	v_min3_f32 v100, v100, v102, v101
	v_cvt_f64_f32_e32 v[100:101], v100
	v_lshl_add_u64 v[102:103], v[134:135], 3, v[96:97]
	global_store_dwordx2 v[102:103], v[100:101], off
	s_or_b64 exec, exec, s[26:27]
	s_and_b64 s[34:35], s[10:11], s[18:19]
	s_and_saveexec_b64 s[26:27], s[34:35]
	s_cbranch_execz .LBB178_216
.LBB178_235:
	s_and_b64 vcc, exec, s[0:1]
	s_cbranch_vccnz .LBB178_237
; %bb.236:
	v_lshl_add_u64 v[100:101], v[136:137], 3, v[98:99]
	global_load_dwordx2 v[100:101], v[100:101], off
	s_waitcnt vmcnt(0)
	v_mul_f64 v[100:101], s[22:23], v[100:101]
	v_cvt_f32_f64_e32 v100, v[100:101]
	s_branch .LBB178_238
.LBB178_237:
	v_mov_b32_e32 v100, 0
.LBB178_238:
	v_add_f64 v[102:103], v[38:39], v[94:95]
	v_add_f64 v[104:105], v[36:37], v[92:93]
	v_cvt_f32_f64_e32 v101, v[104:105]
	v_cvt_f32_f64_e32 v102, v[102:103]
	v_min3_f32 v101, v101, v102, v182
	v_add_f64 v[102:103], v[34:35], v[90:91]
	v_add_f64 v[104:105], v[32:33], v[88:89]
	v_cvt_f32_f64_e32 v104, v[104:105]
	v_cvt_f32_f64_e32 v102, v[102:103]
	v_min_f32_e32 v102, v104, v102
	v_min3_f32 v100, v100, v102, v101
	v_cvt_f64_f32_e32 v[100:101], v100
	v_lshl_add_u64 v[102:103], v[136:137], 3, v[96:97]
	global_store_dwordx2 v[102:103], v[100:101], off
	s_or_b64 exec, exec, s[26:27]
	s_and_b64 s[34:35], s[12:13], s[18:19]
	s_and_saveexec_b64 s[26:27], s[34:35]
	s_cbranch_execz .LBB178_217
.LBB178_239:
	s_and_b64 vcc, exec, s[0:1]
	s_cbranch_vccnz .LBB178_241
; %bb.240:
	v_lshl_add_u64 v[100:101], v[138:139], 3, v[98:99]
	global_load_dwordx2 v[100:101], v[100:101], off
	s_waitcnt vmcnt(0)
	v_mul_f64 v[100:101], s[22:23], v[100:101]
	v_cvt_f32_f64_e32 v100, v[100:101]
	s_branch .LBB178_242
.LBB178_241:
	v_mov_b32_e32 v100, 0
.LBB178_242:
	v_add_f64 v[102:103], v[30:31], v[94:95]
	v_add_f64 v[104:105], v[28:29], v[92:93]
	v_cvt_f32_f64_e32 v101, v[104:105]
	v_cvt_f32_f64_e32 v102, v[102:103]
	v_min3_f32 v101, v101, v102, v181
	v_add_f64 v[102:103], v[26:27], v[90:91]
	v_add_f64 v[104:105], v[24:25], v[88:89]
	v_cvt_f32_f64_e32 v104, v[104:105]
	v_cvt_f32_f64_e32 v102, v[102:103]
	v_min_f32_e32 v102, v104, v102
	v_min3_f32 v100, v100, v102, v101
	v_cvt_f64_f32_e32 v[100:101], v100
	v_lshl_add_u64 v[102:103], v[138:139], 3, v[96:97]
	global_store_dwordx2 v[102:103], v[100:101], off
	s_or_b64 exec, exec, s[26:27]
	s_and_b64 s[34:35], s[14:15], s[18:19]
	s_and_saveexec_b64 s[26:27], s[34:35]
	s_cbranch_execz .LBB178_218
.LBB178_243:
	s_and_b64 vcc, exec, s[0:1]
	s_cbranch_vccnz .LBB178_245
; %bb.244:
	v_lshl_add_u64 v[100:101], v[140:141], 3, v[98:99]
	global_load_dwordx2 v[100:101], v[100:101], off
	s_waitcnt vmcnt(0)
	v_mul_f64 v[100:101], s[22:23], v[100:101]
	v_cvt_f32_f64_e32 v100, v[100:101]
	s_branch .LBB178_246
.LBB178_245:
	v_mov_b32_e32 v100, 0
.LBB178_246:
	v_add_f64 v[102:103], v[22:23], v[94:95]
	v_add_f64 v[104:105], v[20:21], v[92:93]
	v_cvt_f32_f64_e32 v101, v[104:105]
	v_cvt_f32_f64_e32 v102, v[102:103]
	v_min3_f32 v101, v101, v102, v180
	v_add_f64 v[102:103], v[18:19], v[90:91]
	v_add_f64 v[104:105], v[16:17], v[88:89]
	v_cvt_f32_f64_e32 v104, v[104:105]
	v_cvt_f32_f64_e32 v102, v[102:103]
	v_min_f32_e32 v102, v104, v102
	v_min3_f32 v100, v100, v102, v101
	v_cvt_f64_f32_e32 v[100:101], v100
	v_lshl_add_u64 v[102:103], v[140:141], 3, v[96:97]
	global_store_dwordx2 v[102:103], v[100:101], off
	s_or_b64 exec, exec, s[26:27]
	s_and_b64 s[26:27], s[16:17], s[18:19]
	s_and_saveexec_b64 s[18:19], s[26:27]
	s_cbranch_execz .LBB178_251
.LBB178_247:
	s_and_b64 vcc, exec, s[0:1]
	s_cbranch_vccnz .LBB178_249
; %bb.248:
	v_lshl_add_u64 v[98:99], v[142:143], 3, v[98:99]
	global_load_dwordx2 v[98:99], v[98:99], off
	s_waitcnt vmcnt(0)
	v_mul_f64 v[98:99], s[22:23], v[98:99]
	v_cvt_f32_f64_e32 v98, v[98:99]
	s_branch .LBB178_250
.LBB178_249:
	v_mov_b32_e32 v98, 0
.LBB178_250:
	v_add_f64 v[94:95], v[6:7], v[94:95]
	v_add_f64 v[92:93], v[4:5], v[92:93]
	;; [unrolled: 1-line block ×4, first 2 shown]
	v_cvt_f32_f64_e32 v92, v[92:93]
	v_cvt_f32_f64_e32 v93, v[94:95]
	;; [unrolled: 1-line block ×4, first 2 shown]
	v_min3_f32 v92, v92, v93, v179
	v_min_f32_e32 v88, v88, v89
	v_min3_f32 v88, v98, v88, v92
	v_cvt_f64_f32_e32 v[88:89], v88
	v_lshl_add_u64 v[90:91], v[142:143], 3, v[96:97]
	global_store_dwordx2 v[90:91], v[88:89], off
.LBB178_251:
	s_or_b64 exec, exec, s[18:19]
	v_add_u32_e32 v92, 0xa0, v152
	v_mad_i64_i32 v[88:89], s[26:27], v92, s31, 0
	v_cmp_gt_i32_e64 s[18:19], s25, v92
	v_lshl_add_u64 v[90:91], v[88:89], 3, s[28:29]
	v_mad_i64_i32 v[88:89], s[26:27], v92, s30, 0
	v_lshl_add_u64 v[88:89], v[88:89], 3, s[20:21]
	s_and_b64 s[34:35], s[2:3], s[18:19]
	s_and_saveexec_b64 s[26:27], s[34:35]
	s_cbranch_execnz .LBB178_259
; %bb.252:
	s_or_b64 exec, exec, s[26:27]
	s_and_b64 s[34:35], s[4:5], s[18:19]
	s_and_saveexec_b64 s[26:27], s[34:35]
	s_cbranch_execnz .LBB178_263
.LBB178_253:
	s_or_b64 exec, exec, s[26:27]
	s_and_b64 s[34:35], s[6:7], s[18:19]
	s_and_saveexec_b64 s[26:27], s[34:35]
	s_cbranch_execnz .LBB178_267
.LBB178_254:
	s_or_b64 exec, exec, s[26:27]
	s_and_b64 s[34:35], s[8:9], s[18:19]
	s_and_saveexec_b64 s[26:27], s[34:35]
	s_cbranch_execnz .LBB178_271
.LBB178_255:
	s_or_b64 exec, exec, s[26:27]
	s_and_b64 s[34:35], s[10:11], s[18:19]
	s_and_saveexec_b64 s[26:27], s[34:35]
	s_cbranch_execnz .LBB178_275
.LBB178_256:
	s_or_b64 exec, exec, s[26:27]
	s_and_b64 s[34:35], s[12:13], s[18:19]
	s_and_saveexec_b64 s[26:27], s[34:35]
	s_cbranch_execnz .LBB178_279
.LBB178_257:
	s_or_b64 exec, exec, s[26:27]
	s_and_b64 s[34:35], s[14:15], s[18:19]
	s_and_saveexec_b64 s[26:27], s[34:35]
	s_cbranch_execnz .LBB178_283
.LBB178_258:
	s_or_b64 exec, exec, s[26:27]
	s_and_b64 s[26:27], s[16:17], s[18:19]
	s_and_saveexec_b64 s[18:19], s[26:27]
	s_cbranch_execnz .LBB178_287
	s_branch .LBB178_291
.LBB178_259:
	s_and_b64 vcc, exec, s[0:1]
	s_cbranch_vccnz .LBB178_261
; %bb.260:
	v_lshl_add_u64 v[92:93], v[128:129], 3, v[90:91]
	global_load_dwordx2 v[92:93], v[92:93], off
	s_waitcnt vmcnt(0)
	v_mul_f64 v[92:93], s[22:23], v[92:93]
	v_cvt_f32_f64_e32 v92, v[92:93]
	s_branch .LBB178_262
.LBB178_261:
	v_mov_b32_e32 v92, 0
.LBB178_262:
	v_add_f64 v[94:95], v[70:71], v[86:87]
	v_add_f64 v[96:97], v[68:69], v[84:85]
	v_cvt_f32_f64_e32 v93, v[96:97]
	v_cvt_f32_f64_e32 v94, v[94:95]
	v_min3_f32 v93, v93, v94, v178
	v_add_f64 v[94:95], v[66:67], v[82:83]
	v_add_f64 v[96:97], v[64:65], v[80:81]
	v_cvt_f32_f64_e32 v96, v[96:97]
	v_cvt_f32_f64_e32 v94, v[94:95]
	v_min_f32_e32 v94, v96, v94
	v_min3_f32 v92, v92, v94, v93
	v_cvt_f64_f32_e32 v[92:93], v92
	v_lshl_add_u64 v[94:95], v[128:129], 3, v[88:89]
	global_store_dwordx2 v[94:95], v[92:93], off
	s_or_b64 exec, exec, s[26:27]
	s_and_b64 s[34:35], s[4:5], s[18:19]
	s_and_saveexec_b64 s[26:27], s[34:35]
	s_cbranch_execz .LBB178_253
.LBB178_263:
	s_and_b64 vcc, exec, s[0:1]
	s_cbranch_vccnz .LBB178_265
; %bb.264:
	v_lshl_add_u64 v[92:93], v[130:131], 3, v[90:91]
	global_load_dwordx2 v[92:93], v[92:93], off
	s_waitcnt vmcnt(0)
	v_mul_f64 v[92:93], s[22:23], v[92:93]
	v_cvt_f32_f64_e32 v92, v[92:93]
	s_branch .LBB178_266
.LBB178_265:
	v_mov_b32_e32 v92, 0
.LBB178_266:
	v_add_f64 v[94:95], v[62:63], v[86:87]
	v_add_f64 v[96:97], v[60:61], v[84:85]
	v_cvt_f32_f64_e32 v93, v[96:97]
	v_cvt_f32_f64_e32 v94, v[94:95]
	v_min3_f32 v93, v93, v94, v177
	v_add_f64 v[94:95], v[58:59], v[82:83]
	v_add_f64 v[96:97], v[56:57], v[80:81]
	v_cvt_f32_f64_e32 v96, v[96:97]
	v_cvt_f32_f64_e32 v94, v[94:95]
	v_min_f32_e32 v94, v96, v94
	v_min3_f32 v92, v92, v94, v93
	v_cvt_f64_f32_e32 v[92:93], v92
	v_lshl_add_u64 v[94:95], v[130:131], 3, v[88:89]
	global_store_dwordx2 v[94:95], v[92:93], off
	s_or_b64 exec, exec, s[26:27]
	s_and_b64 s[34:35], s[6:7], s[18:19]
	s_and_saveexec_b64 s[26:27], s[34:35]
	s_cbranch_execz .LBB178_254
.LBB178_267:
	s_and_b64 vcc, exec, s[0:1]
	s_cbranch_vccnz .LBB178_269
; %bb.268:
	v_lshl_add_u64 v[92:93], v[132:133], 3, v[90:91]
	global_load_dwordx2 v[92:93], v[92:93], off
	s_waitcnt vmcnt(0)
	v_mul_f64 v[92:93], s[22:23], v[92:93]
	v_cvt_f32_f64_e32 v92, v[92:93]
	s_branch .LBB178_270
.LBB178_269:
	v_mov_b32_e32 v92, 0
.LBB178_270:
	v_add_f64 v[94:95], v[54:55], v[86:87]
	v_add_f64 v[96:97], v[52:53], v[84:85]
	v_cvt_f32_f64_e32 v93, v[96:97]
	v_cvt_f32_f64_e32 v94, v[94:95]
	v_min3_f32 v93, v93, v94, v176
	v_add_f64 v[94:95], v[50:51], v[82:83]
	v_add_f64 v[96:97], v[48:49], v[80:81]
	v_cvt_f32_f64_e32 v96, v[96:97]
	v_cvt_f32_f64_e32 v94, v[94:95]
	v_min_f32_e32 v94, v96, v94
	v_min3_f32 v92, v92, v94, v93
	v_cvt_f64_f32_e32 v[92:93], v92
	v_lshl_add_u64 v[94:95], v[132:133], 3, v[88:89]
	global_store_dwordx2 v[94:95], v[92:93], off
	s_or_b64 exec, exec, s[26:27]
	s_and_b64 s[34:35], s[8:9], s[18:19]
	s_and_saveexec_b64 s[26:27], s[34:35]
	s_cbranch_execz .LBB178_255
.LBB178_271:
	s_and_b64 vcc, exec, s[0:1]
	s_cbranch_vccnz .LBB178_273
; %bb.272:
	v_lshl_add_u64 v[92:93], v[134:135], 3, v[90:91]
	global_load_dwordx2 v[92:93], v[92:93], off
	s_waitcnt vmcnt(0)
	v_mul_f64 v[92:93], s[22:23], v[92:93]
	v_cvt_f32_f64_e32 v92, v[92:93]
	s_branch .LBB178_274
.LBB178_273:
	v_mov_b32_e32 v92, 0
.LBB178_274:
	v_add_f64 v[94:95], v[46:47], v[86:87]
	v_add_f64 v[96:97], v[44:45], v[84:85]
	v_cvt_f32_f64_e32 v93, v[96:97]
	v_cvt_f32_f64_e32 v94, v[94:95]
	v_min3_f32 v93, v93, v94, v175
	v_add_f64 v[94:95], v[42:43], v[82:83]
	v_add_f64 v[96:97], v[40:41], v[80:81]
	v_cvt_f32_f64_e32 v96, v[96:97]
	v_cvt_f32_f64_e32 v94, v[94:95]
	v_min_f32_e32 v94, v96, v94
	v_min3_f32 v92, v92, v94, v93
	v_cvt_f64_f32_e32 v[92:93], v92
	v_lshl_add_u64 v[94:95], v[134:135], 3, v[88:89]
	global_store_dwordx2 v[94:95], v[92:93], off
	s_or_b64 exec, exec, s[26:27]
	s_and_b64 s[34:35], s[10:11], s[18:19]
	s_and_saveexec_b64 s[26:27], s[34:35]
	s_cbranch_execz .LBB178_256
.LBB178_275:
	s_and_b64 vcc, exec, s[0:1]
	s_cbranch_vccnz .LBB178_277
; %bb.276:
	v_lshl_add_u64 v[92:93], v[136:137], 3, v[90:91]
	global_load_dwordx2 v[92:93], v[92:93], off
	s_waitcnt vmcnt(0)
	v_mul_f64 v[92:93], s[22:23], v[92:93]
	v_cvt_f32_f64_e32 v92, v[92:93]
	s_branch .LBB178_278
.LBB178_277:
	v_mov_b32_e32 v92, 0
.LBB178_278:
	v_add_f64 v[94:95], v[38:39], v[86:87]
	v_add_f64 v[96:97], v[36:37], v[84:85]
	v_cvt_f32_f64_e32 v93, v[96:97]
	v_cvt_f32_f64_e32 v94, v[94:95]
	v_min3_f32 v93, v93, v94, v174
	v_add_f64 v[94:95], v[34:35], v[82:83]
	v_add_f64 v[96:97], v[32:33], v[80:81]
	v_cvt_f32_f64_e32 v96, v[96:97]
	v_cvt_f32_f64_e32 v94, v[94:95]
	v_min_f32_e32 v94, v96, v94
	v_min3_f32 v92, v92, v94, v93
	v_cvt_f64_f32_e32 v[92:93], v92
	v_lshl_add_u64 v[94:95], v[136:137], 3, v[88:89]
	global_store_dwordx2 v[94:95], v[92:93], off
	s_or_b64 exec, exec, s[26:27]
	s_and_b64 s[34:35], s[12:13], s[18:19]
	s_and_saveexec_b64 s[26:27], s[34:35]
	s_cbranch_execz .LBB178_257
.LBB178_279:
	s_and_b64 vcc, exec, s[0:1]
	s_cbranch_vccnz .LBB178_281
; %bb.280:
	v_lshl_add_u64 v[92:93], v[138:139], 3, v[90:91]
	global_load_dwordx2 v[92:93], v[92:93], off
	s_waitcnt vmcnt(0)
	v_mul_f64 v[92:93], s[22:23], v[92:93]
	v_cvt_f32_f64_e32 v92, v[92:93]
	s_branch .LBB178_282
.LBB178_281:
	v_mov_b32_e32 v92, 0
.LBB178_282:
	v_add_f64 v[94:95], v[30:31], v[86:87]
	v_add_f64 v[96:97], v[28:29], v[84:85]
	v_cvt_f32_f64_e32 v93, v[96:97]
	v_cvt_f32_f64_e32 v94, v[94:95]
	v_min3_f32 v93, v93, v94, v173
	v_add_f64 v[94:95], v[26:27], v[82:83]
	v_add_f64 v[96:97], v[24:25], v[80:81]
	v_cvt_f32_f64_e32 v96, v[96:97]
	v_cvt_f32_f64_e32 v94, v[94:95]
	v_min_f32_e32 v94, v96, v94
	v_min3_f32 v92, v92, v94, v93
	v_cvt_f64_f32_e32 v[92:93], v92
	v_lshl_add_u64 v[94:95], v[138:139], 3, v[88:89]
	global_store_dwordx2 v[94:95], v[92:93], off
	s_or_b64 exec, exec, s[26:27]
	s_and_b64 s[34:35], s[14:15], s[18:19]
	s_and_saveexec_b64 s[26:27], s[34:35]
	s_cbranch_execz .LBB178_258
.LBB178_283:
	s_and_b64 vcc, exec, s[0:1]
	s_cbranch_vccnz .LBB178_285
; %bb.284:
	v_lshl_add_u64 v[92:93], v[140:141], 3, v[90:91]
	global_load_dwordx2 v[92:93], v[92:93], off
	s_waitcnt vmcnt(0)
	v_mul_f64 v[92:93], s[22:23], v[92:93]
	v_cvt_f32_f64_e32 v92, v[92:93]
	s_branch .LBB178_286
.LBB178_285:
	v_mov_b32_e32 v92, 0
.LBB178_286:
	v_add_f64 v[94:95], v[22:23], v[86:87]
	v_add_f64 v[96:97], v[20:21], v[84:85]
	v_cvt_f32_f64_e32 v93, v[96:97]
	v_cvt_f32_f64_e32 v94, v[94:95]
	v_min3_f32 v93, v93, v94, v172
	v_add_f64 v[94:95], v[18:19], v[82:83]
	v_add_f64 v[96:97], v[16:17], v[80:81]
	v_cvt_f32_f64_e32 v96, v[96:97]
	v_cvt_f32_f64_e32 v94, v[94:95]
	v_min_f32_e32 v94, v96, v94
	v_min3_f32 v92, v92, v94, v93
	v_cvt_f64_f32_e32 v[92:93], v92
	v_lshl_add_u64 v[94:95], v[140:141], 3, v[88:89]
	global_store_dwordx2 v[94:95], v[92:93], off
	s_or_b64 exec, exec, s[26:27]
	s_and_b64 s[26:27], s[16:17], s[18:19]
	s_and_saveexec_b64 s[18:19], s[26:27]
	s_cbranch_execz .LBB178_291
.LBB178_287:
	s_and_b64 vcc, exec, s[0:1]
	s_cbranch_vccnz .LBB178_289
; %bb.288:
	v_lshl_add_u64 v[90:91], v[142:143], 3, v[90:91]
	global_load_dwordx2 v[90:91], v[90:91], off
	s_waitcnt vmcnt(0)
	v_mul_f64 v[90:91], s[22:23], v[90:91]
	v_cvt_f32_f64_e32 v90, v[90:91]
	s_branch .LBB178_290
.LBB178_289:
	v_mov_b32_e32 v90, 0
.LBB178_290:
	v_add_f64 v[86:87], v[6:7], v[86:87]
	v_add_f64 v[84:85], v[4:5], v[84:85]
	;; [unrolled: 1-line block ×4, first 2 shown]
	v_cvt_f32_f64_e32 v84, v[84:85]
	v_cvt_f32_f64_e32 v85, v[86:87]
	;; [unrolled: 1-line block ×4, first 2 shown]
	v_min3_f32 v84, v84, v85, v171
	v_min_f32_e32 v80, v80, v81
	v_min3_f32 v80, v90, v80, v84
	v_cvt_f64_f32_e32 v[80:81], v80
	v_lshl_add_u64 v[82:83], v[142:143], 3, v[88:89]
	global_store_dwordx2 v[82:83], v[80:81], off
.LBB178_291:
	s_or_b64 exec, exec, s[18:19]
	v_add_u32_e32 v84, 0xc0, v152
	v_mad_i64_i32 v[80:81], s[26:27], v84, s31, 0
	v_cmp_gt_i32_e64 s[18:19], s25, v84
	v_lshl_add_u64 v[82:83], v[80:81], 3, s[28:29]
	v_mad_i64_i32 v[80:81], s[26:27], v84, s30, 0
	v_lshl_add_u64 v[80:81], v[80:81], 3, s[20:21]
	s_and_b64 s[34:35], s[2:3], s[18:19]
	s_and_saveexec_b64 s[26:27], s[34:35]
	s_cbranch_execnz .LBB178_299
; %bb.292:
	s_or_b64 exec, exec, s[26:27]
	s_and_b64 s[34:35], s[4:5], s[18:19]
	s_and_saveexec_b64 s[26:27], s[34:35]
	s_cbranch_execnz .LBB178_303
.LBB178_293:
	s_or_b64 exec, exec, s[26:27]
	s_and_b64 s[34:35], s[6:7], s[18:19]
	s_and_saveexec_b64 s[26:27], s[34:35]
	s_cbranch_execnz .LBB178_307
.LBB178_294:
	s_or_b64 exec, exec, s[26:27]
	s_and_b64 s[34:35], s[8:9], s[18:19]
	s_and_saveexec_b64 s[26:27], s[34:35]
	s_cbranch_execnz .LBB178_311
.LBB178_295:
	s_or_b64 exec, exec, s[26:27]
	s_and_b64 s[34:35], s[10:11], s[18:19]
	s_and_saveexec_b64 s[26:27], s[34:35]
	s_cbranch_execnz .LBB178_315
.LBB178_296:
	s_or_b64 exec, exec, s[26:27]
	s_and_b64 s[34:35], s[12:13], s[18:19]
	s_and_saveexec_b64 s[26:27], s[34:35]
	s_cbranch_execnz .LBB178_319
.LBB178_297:
	s_or_b64 exec, exec, s[26:27]
	s_and_b64 s[34:35], s[14:15], s[18:19]
	s_and_saveexec_b64 s[26:27], s[34:35]
	s_cbranch_execnz .LBB178_323
.LBB178_298:
	s_or_b64 exec, exec, s[26:27]
	s_and_b64 s[26:27], s[16:17], s[18:19]
	s_and_saveexec_b64 s[18:19], s[26:27]
	s_cbranch_execnz .LBB178_327
	s_branch .LBB178_331
.LBB178_299:
	s_and_b64 vcc, exec, s[0:1]
	s_cbranch_vccnz .LBB178_301
; %bb.300:
	v_lshl_add_u64 v[84:85], v[128:129], 3, v[82:83]
	global_load_dwordx2 v[84:85], v[84:85], off
	s_waitcnt vmcnt(0)
	v_mul_f64 v[84:85], s[22:23], v[84:85]
	v_cvt_f32_f64_e32 v84, v[84:85]
	s_branch .LBB178_302
.LBB178_301:
	v_mov_b32_e32 v84, 0
.LBB178_302:
	v_add_f64 v[86:87], v[70:71], v[78:79]
	v_add_f64 v[88:89], v[68:69], v[76:77]
	v_cvt_f32_f64_e32 v85, v[88:89]
	v_cvt_f32_f64_e32 v86, v[86:87]
	v_min3_f32 v85, v85, v86, v170
	v_add_f64 v[86:87], v[66:67], v[74:75]
	v_add_f64 v[88:89], v[64:65], v[72:73]
	v_cvt_f32_f64_e32 v88, v[88:89]
	v_cvt_f32_f64_e32 v86, v[86:87]
	v_min_f32_e32 v86, v88, v86
	v_min3_f32 v84, v84, v86, v85
	v_cvt_f64_f32_e32 v[84:85], v84
	v_lshl_add_u64 v[86:87], v[128:129], 3, v[80:81]
	global_store_dwordx2 v[86:87], v[84:85], off
	s_or_b64 exec, exec, s[26:27]
	s_and_b64 s[34:35], s[4:5], s[18:19]
	s_and_saveexec_b64 s[26:27], s[34:35]
	s_cbranch_execz .LBB178_293
.LBB178_303:
	s_and_b64 vcc, exec, s[0:1]
	s_cbranch_vccnz .LBB178_305
; %bb.304:
	v_lshl_add_u64 v[84:85], v[130:131], 3, v[82:83]
	global_load_dwordx2 v[84:85], v[84:85], off
	s_waitcnt vmcnt(0)
	v_mul_f64 v[84:85], s[22:23], v[84:85]
	v_cvt_f32_f64_e32 v84, v[84:85]
	s_branch .LBB178_306
.LBB178_305:
	v_mov_b32_e32 v84, 0
.LBB178_306:
	v_add_f64 v[86:87], v[62:63], v[78:79]
	v_add_f64 v[88:89], v[60:61], v[76:77]
	v_cvt_f32_f64_e32 v85, v[88:89]
	v_cvt_f32_f64_e32 v86, v[86:87]
	v_min3_f32 v85, v85, v86, v168
	v_add_f64 v[86:87], v[58:59], v[74:75]
	v_add_f64 v[88:89], v[56:57], v[72:73]
	v_cvt_f32_f64_e32 v88, v[88:89]
	v_cvt_f32_f64_e32 v86, v[86:87]
	v_min_f32_e32 v86, v88, v86
	v_min3_f32 v84, v84, v86, v85
	v_cvt_f64_f32_e32 v[84:85], v84
	v_lshl_add_u64 v[86:87], v[130:131], 3, v[80:81]
	global_store_dwordx2 v[86:87], v[84:85], off
	s_or_b64 exec, exec, s[26:27]
	s_and_b64 s[34:35], s[6:7], s[18:19]
	s_and_saveexec_b64 s[26:27], s[34:35]
	s_cbranch_execz .LBB178_294
.LBB178_307:
	s_and_b64 vcc, exec, s[0:1]
	s_cbranch_vccnz .LBB178_309
; %bb.308:
	v_lshl_add_u64 v[84:85], v[132:133], 3, v[82:83]
	global_load_dwordx2 v[84:85], v[84:85], off
	s_waitcnt vmcnt(0)
	v_mul_f64 v[84:85], s[22:23], v[84:85]
	v_cvt_f32_f64_e32 v84, v[84:85]
	s_branch .LBB178_310
.LBB178_309:
	v_mov_b32_e32 v84, 0
.LBB178_310:
	v_add_f64 v[86:87], v[54:55], v[78:79]
	v_add_f64 v[88:89], v[52:53], v[76:77]
	v_cvt_f32_f64_e32 v85, v[88:89]
	v_cvt_f32_f64_e32 v86, v[86:87]
	v_min3_f32 v85, v85, v86, v167
	v_add_f64 v[86:87], v[50:51], v[74:75]
	v_add_f64 v[88:89], v[48:49], v[72:73]
	v_cvt_f32_f64_e32 v88, v[88:89]
	v_cvt_f32_f64_e32 v86, v[86:87]
	v_min_f32_e32 v86, v88, v86
	v_min3_f32 v84, v84, v86, v85
	v_cvt_f64_f32_e32 v[84:85], v84
	v_lshl_add_u64 v[86:87], v[132:133], 3, v[80:81]
	global_store_dwordx2 v[86:87], v[84:85], off
	s_or_b64 exec, exec, s[26:27]
	s_and_b64 s[34:35], s[8:9], s[18:19]
	s_and_saveexec_b64 s[26:27], s[34:35]
	s_cbranch_execz .LBB178_295
.LBB178_311:
	s_and_b64 vcc, exec, s[0:1]
	s_cbranch_vccnz .LBB178_313
; %bb.312:
	v_lshl_add_u64 v[84:85], v[134:135], 3, v[82:83]
	global_load_dwordx2 v[84:85], v[84:85], off
	s_waitcnt vmcnt(0)
	v_mul_f64 v[84:85], s[22:23], v[84:85]
	v_cvt_f32_f64_e32 v84, v[84:85]
	s_branch .LBB178_314
.LBB178_313:
	v_mov_b32_e32 v84, 0
.LBB178_314:
	v_add_f64 v[86:87], v[46:47], v[78:79]
	v_add_f64 v[88:89], v[44:45], v[76:77]
	v_cvt_f32_f64_e32 v85, v[88:89]
	v_cvt_f32_f64_e32 v86, v[86:87]
	v_min3_f32 v85, v85, v86, v166
	v_add_f64 v[86:87], v[42:43], v[74:75]
	v_add_f64 v[88:89], v[40:41], v[72:73]
	v_cvt_f32_f64_e32 v88, v[88:89]
	v_cvt_f32_f64_e32 v86, v[86:87]
	v_min_f32_e32 v86, v88, v86
	v_min3_f32 v84, v84, v86, v85
	v_cvt_f64_f32_e32 v[84:85], v84
	v_lshl_add_u64 v[86:87], v[134:135], 3, v[80:81]
	global_store_dwordx2 v[86:87], v[84:85], off
	s_or_b64 exec, exec, s[26:27]
	s_and_b64 s[34:35], s[10:11], s[18:19]
	s_and_saveexec_b64 s[26:27], s[34:35]
	s_cbranch_execz .LBB178_296
.LBB178_315:
	s_and_b64 vcc, exec, s[0:1]
	s_cbranch_vccnz .LBB178_317
; %bb.316:
	v_lshl_add_u64 v[84:85], v[136:137], 3, v[82:83]
	global_load_dwordx2 v[84:85], v[84:85], off
	s_waitcnt vmcnt(0)
	v_mul_f64 v[84:85], s[22:23], v[84:85]
	v_cvt_f32_f64_e32 v84, v[84:85]
	s_branch .LBB178_318
.LBB178_317:
	v_mov_b32_e32 v84, 0
.LBB178_318:
	v_add_f64 v[86:87], v[38:39], v[78:79]
	v_add_f64 v[88:89], v[36:37], v[76:77]
	v_cvt_f32_f64_e32 v85, v[88:89]
	v_cvt_f32_f64_e32 v86, v[86:87]
	v_min3_f32 v85, v85, v86, v165
	v_add_f64 v[86:87], v[34:35], v[74:75]
	v_add_f64 v[88:89], v[32:33], v[72:73]
	v_cvt_f32_f64_e32 v88, v[88:89]
	v_cvt_f32_f64_e32 v86, v[86:87]
	v_min_f32_e32 v86, v88, v86
	v_min3_f32 v84, v84, v86, v85
	v_cvt_f64_f32_e32 v[84:85], v84
	v_lshl_add_u64 v[86:87], v[136:137], 3, v[80:81]
	global_store_dwordx2 v[86:87], v[84:85], off
	s_or_b64 exec, exec, s[26:27]
	s_and_b64 s[34:35], s[12:13], s[18:19]
	s_and_saveexec_b64 s[26:27], s[34:35]
	s_cbranch_execz .LBB178_297
.LBB178_319:
	s_and_b64 vcc, exec, s[0:1]
	s_cbranch_vccnz .LBB178_321
; %bb.320:
	v_lshl_add_u64 v[84:85], v[138:139], 3, v[82:83]
	global_load_dwordx2 v[84:85], v[84:85], off
	s_waitcnt vmcnt(0)
	v_mul_f64 v[84:85], s[22:23], v[84:85]
	v_cvt_f32_f64_e32 v84, v[84:85]
	s_branch .LBB178_322
.LBB178_321:
	v_mov_b32_e32 v84, 0
.LBB178_322:
	v_add_f64 v[86:87], v[30:31], v[78:79]
	v_add_f64 v[88:89], v[28:29], v[76:77]
	v_cvt_f32_f64_e32 v85, v[88:89]
	v_cvt_f32_f64_e32 v86, v[86:87]
	v_min3_f32 v85, v85, v86, v163
	v_add_f64 v[86:87], v[26:27], v[74:75]
	v_add_f64 v[88:89], v[24:25], v[72:73]
	v_cvt_f32_f64_e32 v88, v[88:89]
	v_cvt_f32_f64_e32 v86, v[86:87]
	v_min_f32_e32 v86, v88, v86
	v_min3_f32 v84, v84, v86, v85
	v_cvt_f64_f32_e32 v[84:85], v84
	v_lshl_add_u64 v[86:87], v[138:139], 3, v[80:81]
	global_store_dwordx2 v[86:87], v[84:85], off
	s_or_b64 exec, exec, s[26:27]
	s_and_b64 s[34:35], s[14:15], s[18:19]
	s_and_saveexec_b64 s[26:27], s[34:35]
	s_cbranch_execz .LBB178_298
.LBB178_323:
	s_and_b64 vcc, exec, s[0:1]
	s_cbranch_vccnz .LBB178_325
; %bb.324:
	v_lshl_add_u64 v[84:85], v[140:141], 3, v[82:83]
	global_load_dwordx2 v[84:85], v[84:85], off
	s_waitcnt vmcnt(0)
	v_mul_f64 v[84:85], s[22:23], v[84:85]
	v_cvt_f32_f64_e32 v84, v[84:85]
	s_branch .LBB178_326
.LBB178_325:
	v_mov_b32_e32 v84, 0
.LBB178_326:
	v_add_f64 v[86:87], v[22:23], v[78:79]
	v_add_f64 v[88:89], v[20:21], v[76:77]
	v_cvt_f32_f64_e32 v85, v[88:89]
	v_cvt_f32_f64_e32 v86, v[86:87]
	v_min3_f32 v85, v85, v86, v159
	v_add_f64 v[86:87], v[18:19], v[74:75]
	v_add_f64 v[88:89], v[16:17], v[72:73]
	v_cvt_f32_f64_e32 v88, v[88:89]
	v_cvt_f32_f64_e32 v86, v[86:87]
	v_min_f32_e32 v86, v88, v86
	v_min3_f32 v84, v84, v86, v85
	v_cvt_f64_f32_e32 v[84:85], v84
	v_lshl_add_u64 v[86:87], v[140:141], 3, v[80:81]
	global_store_dwordx2 v[86:87], v[84:85], off
	s_or_b64 exec, exec, s[26:27]
	s_and_b64 s[26:27], s[16:17], s[18:19]
	s_and_saveexec_b64 s[18:19], s[26:27]
	s_cbranch_execz .LBB178_331
.LBB178_327:
	s_and_b64 vcc, exec, s[0:1]
	s_cbranch_vccnz .LBB178_329
; %bb.328:
	v_lshl_add_u64 v[82:83], v[142:143], 3, v[82:83]
	global_load_dwordx2 v[82:83], v[82:83], off
	s_waitcnt vmcnt(0)
	v_mul_f64 v[82:83], s[22:23], v[82:83]
	v_cvt_f32_f64_e32 v82, v[82:83]
	s_branch .LBB178_330
.LBB178_329:
	v_mov_b32_e32 v82, 0
.LBB178_330:
	v_add_f64 v[78:79], v[6:7], v[78:79]
	v_add_f64 v[76:77], v[4:5], v[76:77]
	;; [unrolled: 1-line block ×4, first 2 shown]
	v_cvt_f32_f64_e32 v76, v[76:77]
	v_cvt_f32_f64_e32 v77, v[78:79]
	;; [unrolled: 1-line block ×4, first 2 shown]
	v_min3_f32 v76, v76, v77, v158
	v_min_f32_e32 v72, v72, v73
	v_min3_f32 v72, v82, v72, v76
	v_cvt_f64_f32_e32 v[72:73], v72
	v_lshl_add_u64 v[74:75], v[142:143], 3, v[80:81]
	global_store_dwordx2 v[74:75], v[72:73], off
.LBB178_331:
	s_or_b64 exec, exec, s[18:19]
	v_add_u32_e32 v76, 0xe0, v152
	v_cmp_gt_i32_e64 s[18:19], s25, v76
	v_mad_i64_i32 v[72:73], s[24:25], v76, s31, 0
	v_lshl_add_u64 v[74:75], v[72:73], 3, s[28:29]
	v_mad_i64_i32 v[72:73], s[24:25], v76, s30, 0
	v_lshl_add_u64 v[72:73], v[72:73], 3, s[20:21]
	s_and_b64 s[20:21], s[2:3], s[18:19]
	s_and_saveexec_b64 s[2:3], s[20:21]
	s_cbranch_execnz .LBB178_340
; %bb.332:
	s_or_b64 exec, exec, s[2:3]
	s_and_b64 s[4:5], s[4:5], s[18:19]
	s_and_saveexec_b64 s[2:3], s[4:5]
	s_cbranch_execnz .LBB178_344
.LBB178_333:
	s_or_b64 exec, exec, s[2:3]
	s_and_b64 s[4:5], s[6:7], s[18:19]
	s_and_saveexec_b64 s[2:3], s[4:5]
	s_cbranch_execnz .LBB178_348
.LBB178_334:
	s_or_b64 exec, exec, s[2:3]
	s_and_b64 s[4:5], s[8:9], s[18:19]
	s_and_saveexec_b64 s[2:3], s[4:5]
	s_cbranch_execnz .LBB178_352
.LBB178_335:
	s_or_b64 exec, exec, s[2:3]
	s_and_b64 s[4:5], s[10:11], s[18:19]
	s_and_saveexec_b64 s[2:3], s[4:5]
	s_cbranch_execnz .LBB178_356
.LBB178_336:
	s_or_b64 exec, exec, s[2:3]
	s_and_b64 s[4:5], s[12:13], s[18:19]
	s_and_saveexec_b64 s[2:3], s[4:5]
	s_cbranch_execnz .LBB178_360
.LBB178_337:
	s_or_b64 exec, exec, s[2:3]
	s_and_b64 s[4:5], s[14:15], s[18:19]
	s_and_saveexec_b64 s[2:3], s[4:5]
	s_cbranch_execnz .LBB178_364
.LBB178_338:
	s_or_b64 exec, exec, s[2:3]
	s_and_b64 s[2:3], s[16:17], s[18:19]
	s_and_saveexec_b64 s[4:5], s[2:3]
	s_cbranch_execnz .LBB178_368
.LBB178_339:
	s_endpgm
.LBB178_340:
	s_and_b64 vcc, exec, s[0:1]
	s_cbranch_vccnz .LBB178_342
; %bb.341:
	v_lshl_add_u64 v[76:77], v[128:129], 3, v[74:75]
	global_load_dwordx2 v[76:77], v[76:77], off
	s_waitcnt vmcnt(0)
	v_mul_f64 v[76:77], s[22:23], v[76:77]
	v_cvt_f32_f64_e32 v76, v[76:77]
	s_branch .LBB178_343
.LBB178_342:
	v_mov_b32_e32 v76, 0
.LBB178_343:
	v_add_f64 v[70:71], v[70:71], v[14:15]
	v_add_f64 v[68:69], v[68:69], v[12:13]
	;; [unrolled: 1-line block ×4, first 2 shown]
	v_cvt_f32_f64_e32 v68, v[68:69]
	v_cvt_f32_f64_e32 v69, v[70:71]
	v_cvt_f32_f64_e32 v64, v[64:65]
	v_cvt_f32_f64_e32 v65, v[66:67]
	v_min3_f32 v68, v68, v69, v157
	v_min_f32_e32 v64, v64, v65
	v_min3_f32 v64, v76, v64, v68
	v_cvt_f64_f32_e32 v[64:65], v64
	v_lshl_add_u64 v[66:67], v[128:129], 3, v[72:73]
	global_store_dwordx2 v[66:67], v[64:65], off
	s_or_b64 exec, exec, s[2:3]
	s_and_b64 s[4:5], s[4:5], s[18:19]
	s_and_saveexec_b64 s[2:3], s[4:5]
	s_cbranch_execz .LBB178_333
.LBB178_344:
	s_and_b64 vcc, exec, s[0:1]
	s_cbranch_vccnz .LBB178_346
; %bb.345:
	v_lshl_add_u64 v[64:65], v[130:131], 3, v[74:75]
	global_load_dwordx2 v[64:65], v[64:65], off
	s_waitcnt vmcnt(0)
	v_mul_f64 v[64:65], s[22:23], v[64:65]
	v_cvt_f32_f64_e32 v64, v[64:65]
	s_branch .LBB178_347
.LBB178_346:
	v_mov_b32_e32 v64, 0
.LBB178_347:
	v_add_f64 v[62:63], v[62:63], v[14:15]
	v_add_f64 v[60:61], v[60:61], v[12:13]
	;; [unrolled: 1-line block ×4, first 2 shown]
	v_cvt_f32_f64_e32 v60, v[60:61]
	v_cvt_f32_f64_e32 v61, v[62:63]
	;; [unrolled: 1-line block ×4, first 2 shown]
	v_min3_f32 v60, v60, v61, v156
	v_min_f32_e32 v56, v56, v57
	v_min3_f32 v56, v64, v56, v60
	v_cvt_f64_f32_e32 v[56:57], v56
	v_lshl_add_u64 v[58:59], v[130:131], 3, v[72:73]
	global_store_dwordx2 v[58:59], v[56:57], off
	s_or_b64 exec, exec, s[2:3]
	s_and_b64 s[4:5], s[6:7], s[18:19]
	s_and_saveexec_b64 s[2:3], s[4:5]
	s_cbranch_execz .LBB178_334
.LBB178_348:
	s_and_b64 vcc, exec, s[0:1]
	s_cbranch_vccnz .LBB178_350
; %bb.349:
	v_lshl_add_u64 v[56:57], v[132:133], 3, v[74:75]
	global_load_dwordx2 v[56:57], v[56:57], off
	s_waitcnt vmcnt(0)
	v_mul_f64 v[56:57], s[22:23], v[56:57]
	v_cvt_f32_f64_e32 v56, v[56:57]
	s_branch .LBB178_351
.LBB178_350:
	v_mov_b32_e32 v56, 0
.LBB178_351:
	v_add_f64 v[54:55], v[54:55], v[14:15]
	v_add_f64 v[52:53], v[52:53], v[12:13]
	;; [unrolled: 1-line block ×4, first 2 shown]
	v_cvt_f32_f64_e32 v52, v[52:53]
	v_cvt_f32_f64_e32 v53, v[54:55]
	v_cvt_f32_f64_e32 v48, v[48:49]
	v_cvt_f32_f64_e32 v49, v[50:51]
	v_min3_f32 v52, v52, v53, v155
	v_min_f32_e32 v48, v48, v49
	v_min3_f32 v48, v56, v48, v52
	v_cvt_f64_f32_e32 v[48:49], v48
	v_lshl_add_u64 v[50:51], v[132:133], 3, v[72:73]
	global_store_dwordx2 v[50:51], v[48:49], off
	s_or_b64 exec, exec, s[2:3]
	s_and_b64 s[4:5], s[8:9], s[18:19]
	s_and_saveexec_b64 s[2:3], s[4:5]
	s_cbranch_execz .LBB178_335
.LBB178_352:
	s_and_b64 vcc, exec, s[0:1]
	s_cbranch_vccnz .LBB178_354
; %bb.353:
	v_lshl_add_u64 v[48:49], v[134:135], 3, v[74:75]
	global_load_dwordx2 v[48:49], v[48:49], off
	s_waitcnt vmcnt(0)
	v_mul_f64 v[48:49], s[22:23], v[48:49]
	v_cvt_f32_f64_e32 v48, v[48:49]
	s_branch .LBB178_355
.LBB178_354:
	v_mov_b32_e32 v48, 0
.LBB178_355:
	v_add_f64 v[46:47], v[46:47], v[14:15]
	v_add_f64 v[44:45], v[44:45], v[12:13]
	;; [unrolled: 1-line block ×4, first 2 shown]
	v_cvt_f32_f64_e32 v44, v[44:45]
	v_cvt_f32_f64_e32 v45, v[46:47]
	v_cvt_f32_f64_e32 v40, v[40:41]
	v_cvt_f32_f64_e32 v41, v[42:43]
	v_min3_f32 v44, v44, v45, v154
	v_min_f32_e32 v40, v40, v41
	v_min3_f32 v40, v48, v40, v44
	v_cvt_f64_f32_e32 v[40:41], v40
	v_lshl_add_u64 v[42:43], v[134:135], 3, v[72:73]
	global_store_dwordx2 v[42:43], v[40:41], off
	s_or_b64 exec, exec, s[2:3]
	s_and_b64 s[4:5], s[10:11], s[18:19]
	s_and_saveexec_b64 s[2:3], s[4:5]
	s_cbranch_execz .LBB178_336
.LBB178_356:
	s_and_b64 vcc, exec, s[0:1]
	s_cbranch_vccnz .LBB178_358
; %bb.357:
	v_lshl_add_u64 v[40:41], v[136:137], 3, v[74:75]
	global_load_dwordx2 v[40:41], v[40:41], off
	s_waitcnt vmcnt(0)
	v_mul_f64 v[40:41], s[22:23], v[40:41]
	v_cvt_f32_f64_e32 v40, v[40:41]
	s_branch .LBB178_359
.LBB178_358:
	v_mov_b32_e32 v40, 0
.LBB178_359:
	v_add_f64 v[38:39], v[38:39], v[14:15]
	v_add_f64 v[36:37], v[36:37], v[12:13]
	;; [unrolled: 1-line block ×4, first 2 shown]
	v_cvt_f32_f64_e32 v36, v[36:37]
	v_cvt_f32_f64_e32 v37, v[38:39]
	;; [unrolled: 1-line block ×4, first 2 shown]
	v_min3_f32 v36, v36, v37, v151
	v_min_f32_e32 v32, v32, v33
	v_min3_f32 v32, v40, v32, v36
	v_cvt_f64_f32_e32 v[32:33], v32
	v_lshl_add_u64 v[34:35], v[136:137], 3, v[72:73]
	global_store_dwordx2 v[34:35], v[32:33], off
	s_or_b64 exec, exec, s[2:3]
	s_and_b64 s[4:5], s[12:13], s[18:19]
	s_and_saveexec_b64 s[2:3], s[4:5]
	s_cbranch_execz .LBB178_337
.LBB178_360:
	s_and_b64 vcc, exec, s[0:1]
	s_cbranch_vccnz .LBB178_362
; %bb.361:
	v_lshl_add_u64 v[32:33], v[138:139], 3, v[74:75]
	global_load_dwordx2 v[32:33], v[32:33], off
	s_waitcnt vmcnt(0)
	v_mul_f64 v[32:33], s[22:23], v[32:33]
	v_cvt_f32_f64_e32 v32, v[32:33]
	s_branch .LBB178_363
.LBB178_362:
	v_mov_b32_e32 v32, 0
.LBB178_363:
	v_add_f64 v[30:31], v[30:31], v[14:15]
	v_add_f64 v[28:29], v[28:29], v[12:13]
	;; [unrolled: 1-line block ×4, first 2 shown]
	v_cvt_f32_f64_e32 v28, v[28:29]
	v_cvt_f32_f64_e32 v29, v[30:31]
	v_cvt_f32_f64_e32 v24, v[24:25]
	v_cvt_f32_f64_e32 v25, v[26:27]
	v_min3_f32 v28, v28, v29, v150
	v_min_f32_e32 v24, v24, v25
	v_min3_f32 v24, v32, v24, v28
	v_cvt_f64_f32_e32 v[24:25], v24
	v_lshl_add_u64 v[26:27], v[138:139], 3, v[72:73]
	global_store_dwordx2 v[26:27], v[24:25], off
	s_or_b64 exec, exec, s[2:3]
	s_and_b64 s[4:5], s[14:15], s[18:19]
	s_and_saveexec_b64 s[2:3], s[4:5]
	s_cbranch_execz .LBB178_338
.LBB178_364:
	s_and_b64 vcc, exec, s[0:1]
	s_cbranch_vccnz .LBB178_366
; %bb.365:
	v_lshl_add_u64 v[24:25], v[140:141], 3, v[74:75]
	global_load_dwordx2 v[24:25], v[24:25], off
	s_waitcnt vmcnt(0)
	v_mul_f64 v[24:25], s[22:23], v[24:25]
	v_cvt_f32_f64_e32 v24, v[24:25]
	s_branch .LBB178_367
.LBB178_366:
	v_mov_b32_e32 v24, 0
.LBB178_367:
	v_add_f64 v[22:23], v[22:23], v[14:15]
	v_add_f64 v[20:21], v[20:21], v[12:13]
	;; [unrolled: 1-line block ×4, first 2 shown]
	v_cvt_f32_f64_e32 v20, v[20:21]
	v_cvt_f32_f64_e32 v21, v[22:23]
	v_cvt_f32_f64_e32 v16, v[16:17]
	v_cvt_f32_f64_e32 v17, v[18:19]
	v_min3_f32 v20, v20, v21, v149
	v_min_f32_e32 v16, v16, v17
	v_min3_f32 v16, v24, v16, v20
	v_cvt_f64_f32_e32 v[16:17], v16
	v_lshl_add_u64 v[18:19], v[140:141], 3, v[72:73]
	global_store_dwordx2 v[18:19], v[16:17], off
	s_or_b64 exec, exec, s[2:3]
	s_and_b64 s[2:3], s[16:17], s[18:19]
	s_and_saveexec_b64 s[4:5], s[2:3]
	s_cbranch_execz .LBB178_339
.LBB178_368:
	s_and_b64 vcc, exec, s[0:1]
	s_cbranch_vccnz .LBB178_370
; %bb.369:
	v_lshl_add_u64 v[16:17], v[142:143], 3, v[74:75]
	global_load_dwordx2 v[16:17], v[16:17], off
	s_waitcnt vmcnt(0)
	v_mul_f64 v[16:17], s[22:23], v[16:17]
	v_cvt_f32_f64_e32 v16, v[16:17]
	s_branch .LBB178_371
.LBB178_370:
	v_mov_b32_e32 v16, 0
.LBB178_371:
	v_add_f64 v[6:7], v[6:7], v[14:15]
	v_add_f64 v[4:5], v[4:5], v[12:13]
	;; [unrolled: 1-line block ×4, first 2 shown]
	v_cvt_f32_f64_e32 v4, v[4:5]
	v_cvt_f32_f64_e32 v5, v[6:7]
	;; [unrolled: 1-line block ×4, first 2 shown]
	v_min3_f32 v4, v4, v5, v148
	v_min_f32_e32 v0, v0, v1
	v_min3_f32 v0, v16, v0, v4
	v_cvt_f64_f32_e32 v[0:1], v0
	v_lshl_add_u64 v[2:3], v[142:143], 3, v[72:73]
	global_store_dwordx2 v[2:3], v[0:1], off
	s_endpgm
	.section	.rodata,"a",@progbits
	.p2align	6, 0x0
	.amdhsa_kernel _ZN12_GLOBAL__N_120geam_min_plus_kernelId15HIP_vector_typeIdLj2EEdLi8ELi32ELi64ELi256ELi4ELi4ELi64ELi64ELi4ELc84ELc84ELb1ELb1ELb1EdKddEEviiiT16_PT17_ilS6_ilS4_S6_ilPT18_ili26rocblas_geam_ex_operation_
		.amdhsa_group_segment_fixed_size 20480
		.amdhsa_private_segment_fixed_size 0
		.amdhsa_kernarg_size 136
		.amdhsa_user_sgpr_count 2
		.amdhsa_user_sgpr_dispatch_ptr 0
		.amdhsa_user_sgpr_queue_ptr 0
		.amdhsa_user_sgpr_kernarg_segment_ptr 1
		.amdhsa_user_sgpr_dispatch_id 0
		.amdhsa_user_sgpr_kernarg_preload_length 0
		.amdhsa_user_sgpr_kernarg_preload_offset 0
		.amdhsa_user_sgpr_private_segment_size 0
		.amdhsa_uses_dynamic_stack 0
		.amdhsa_enable_private_segment 0
		.amdhsa_system_sgpr_workgroup_id_x 1
		.amdhsa_system_sgpr_workgroup_id_y 0
		.amdhsa_system_sgpr_workgroup_id_z 1
		.amdhsa_system_sgpr_workgroup_info 0
		.amdhsa_system_vgpr_workitem_id 1
		.amdhsa_next_free_vgpr 230
		.amdhsa_next_free_sgpr 40
		.amdhsa_accum_offset 232
		.amdhsa_reserve_vcc 1
		.amdhsa_float_round_mode_32 0
		.amdhsa_float_round_mode_16_64 0
		.amdhsa_float_denorm_mode_32 3
		.amdhsa_float_denorm_mode_16_64 3
		.amdhsa_dx10_clamp 1
		.amdhsa_ieee_mode 1
		.amdhsa_fp16_overflow 0
		.amdhsa_tg_split 0
		.amdhsa_exception_fp_ieee_invalid_op 0
		.amdhsa_exception_fp_denorm_src 0
		.amdhsa_exception_fp_ieee_div_zero 0
		.amdhsa_exception_fp_ieee_overflow 0
		.amdhsa_exception_fp_ieee_underflow 0
		.amdhsa_exception_fp_ieee_inexact 0
		.amdhsa_exception_int_div_zero 0
	.end_amdhsa_kernel
	.section	.text._ZN12_GLOBAL__N_120geam_min_plus_kernelId15HIP_vector_typeIdLj2EEdLi8ELi32ELi64ELi256ELi4ELi4ELi64ELi64ELi4ELc84ELc84ELb1ELb1ELb1EdKddEEviiiT16_PT17_ilS6_ilS4_S6_ilPT18_ili26rocblas_geam_ex_operation_,"axG",@progbits,_ZN12_GLOBAL__N_120geam_min_plus_kernelId15HIP_vector_typeIdLj2EEdLi8ELi32ELi64ELi256ELi4ELi4ELi64ELi64ELi4ELc84ELc84ELb1ELb1ELb1EdKddEEviiiT16_PT17_ilS6_ilS4_S6_ilPT18_ili26rocblas_geam_ex_operation_,comdat
.Lfunc_end178:
	.size	_ZN12_GLOBAL__N_120geam_min_plus_kernelId15HIP_vector_typeIdLj2EEdLi8ELi32ELi64ELi256ELi4ELi4ELi64ELi64ELi4ELc84ELc84ELb1ELb1ELb1EdKddEEviiiT16_PT17_ilS6_ilS4_S6_ilPT18_ili26rocblas_geam_ex_operation_, .Lfunc_end178-_ZN12_GLOBAL__N_120geam_min_plus_kernelId15HIP_vector_typeIdLj2EEdLi8ELi32ELi64ELi256ELi4ELi4ELi64ELi64ELi4ELc84ELc84ELb1ELb1ELb1EdKddEEviiiT16_PT17_ilS6_ilS4_S6_ilPT18_ili26rocblas_geam_ex_operation_
                                        ; -- End function
	.set _ZN12_GLOBAL__N_120geam_min_plus_kernelId15HIP_vector_typeIdLj2EEdLi8ELi32ELi64ELi256ELi4ELi4ELi64ELi64ELi4ELc84ELc84ELb1ELb1ELb1EdKddEEviiiT16_PT17_ilS6_ilS4_S6_ilPT18_ili26rocblas_geam_ex_operation_.num_vgpr, 230
	.set _ZN12_GLOBAL__N_120geam_min_plus_kernelId15HIP_vector_typeIdLj2EEdLi8ELi32ELi64ELi256ELi4ELi4ELi64ELi64ELi4ELc84ELc84ELb1ELb1ELb1EdKddEEviiiT16_PT17_ilS6_ilS4_S6_ilPT18_ili26rocblas_geam_ex_operation_.num_agpr, 0
	.set _ZN12_GLOBAL__N_120geam_min_plus_kernelId15HIP_vector_typeIdLj2EEdLi8ELi32ELi64ELi256ELi4ELi4ELi64ELi64ELi4ELc84ELc84ELb1ELb1ELb1EdKddEEviiiT16_PT17_ilS6_ilS4_S6_ilPT18_ili26rocblas_geam_ex_operation_.numbered_sgpr, 40
	.set _ZN12_GLOBAL__N_120geam_min_plus_kernelId15HIP_vector_typeIdLj2EEdLi8ELi32ELi64ELi256ELi4ELi4ELi64ELi64ELi4ELc84ELc84ELb1ELb1ELb1EdKddEEviiiT16_PT17_ilS6_ilS4_S6_ilPT18_ili26rocblas_geam_ex_operation_.num_named_barrier, 0
	.set _ZN12_GLOBAL__N_120geam_min_plus_kernelId15HIP_vector_typeIdLj2EEdLi8ELi32ELi64ELi256ELi4ELi4ELi64ELi64ELi4ELc84ELc84ELb1ELb1ELb1EdKddEEviiiT16_PT17_ilS6_ilS4_S6_ilPT18_ili26rocblas_geam_ex_operation_.private_seg_size, 0
	.set _ZN12_GLOBAL__N_120geam_min_plus_kernelId15HIP_vector_typeIdLj2EEdLi8ELi32ELi64ELi256ELi4ELi4ELi64ELi64ELi4ELc84ELc84ELb1ELb1ELb1EdKddEEviiiT16_PT17_ilS6_ilS4_S6_ilPT18_ili26rocblas_geam_ex_operation_.uses_vcc, 1
	.set _ZN12_GLOBAL__N_120geam_min_plus_kernelId15HIP_vector_typeIdLj2EEdLi8ELi32ELi64ELi256ELi4ELi4ELi64ELi64ELi4ELc84ELc84ELb1ELb1ELb1EdKddEEviiiT16_PT17_ilS6_ilS4_S6_ilPT18_ili26rocblas_geam_ex_operation_.uses_flat_scratch, 0
	.set _ZN12_GLOBAL__N_120geam_min_plus_kernelId15HIP_vector_typeIdLj2EEdLi8ELi32ELi64ELi256ELi4ELi4ELi64ELi64ELi4ELc84ELc84ELb1ELb1ELb1EdKddEEviiiT16_PT17_ilS6_ilS4_S6_ilPT18_ili26rocblas_geam_ex_operation_.has_dyn_sized_stack, 0
	.set _ZN12_GLOBAL__N_120geam_min_plus_kernelId15HIP_vector_typeIdLj2EEdLi8ELi32ELi64ELi256ELi4ELi4ELi64ELi64ELi4ELc84ELc84ELb1ELb1ELb1EdKddEEviiiT16_PT17_ilS6_ilS4_S6_ilPT18_ili26rocblas_geam_ex_operation_.has_recursion, 0
	.set _ZN12_GLOBAL__N_120geam_min_plus_kernelId15HIP_vector_typeIdLj2EEdLi8ELi32ELi64ELi256ELi4ELi4ELi64ELi64ELi4ELc84ELc84ELb1ELb1ELb1EdKddEEviiiT16_PT17_ilS6_ilS4_S6_ilPT18_ili26rocblas_geam_ex_operation_.has_indirect_call, 0
	.section	.AMDGPU.csdata,"",@progbits
; Kernel info:
; codeLenInByte = 26352
; TotalNumSgprs: 46
; NumVgprs: 230
; NumAgprs: 0
; TotalNumVgprs: 230
; ScratchSize: 0
; MemoryBound: 0
; FloatMode: 240
; IeeeMode: 1
; LDSByteSize: 20480 bytes/workgroup (compile time only)
; SGPRBlocks: 5
; VGPRBlocks: 28
; NumSGPRsForWavesPerEU: 46
; NumVGPRsForWavesPerEU: 230
; AccumOffset: 232
; Occupancy: 2
; WaveLimiterHint : 0
; COMPUTE_PGM_RSRC2:SCRATCH_EN: 0
; COMPUTE_PGM_RSRC2:USER_SGPR: 2
; COMPUTE_PGM_RSRC2:TRAP_HANDLER: 0
; COMPUTE_PGM_RSRC2:TGID_X_EN: 1
; COMPUTE_PGM_RSRC2:TGID_Y_EN: 0
; COMPUTE_PGM_RSRC2:TGID_Z_EN: 1
; COMPUTE_PGM_RSRC2:TIDIG_COMP_CNT: 1
; COMPUTE_PGM_RSRC3_GFX90A:ACCUM_OFFSET: 57
; COMPUTE_PGM_RSRC3_GFX90A:TG_SPLIT: 0
	.section	.text._ZN12_GLOBAL__N_120geam_min_plus_kernelId15HIP_vector_typeIdLj2EEdLi8ELi32ELi64ELi256ELi4ELi4ELi64ELi64ELi4ELc84ELc84ELb0ELb1ELb1EdKddEEviiiT16_PT17_ilS6_ilS4_S6_ilPT18_ili26rocblas_geam_ex_operation_,"axG",@progbits,_ZN12_GLOBAL__N_120geam_min_plus_kernelId15HIP_vector_typeIdLj2EEdLi8ELi32ELi64ELi256ELi4ELi4ELi64ELi64ELi4ELc84ELc84ELb0ELb1ELb1EdKddEEviiiT16_PT17_ilS6_ilS4_S6_ilPT18_ili26rocblas_geam_ex_operation_,comdat
	.globl	_ZN12_GLOBAL__N_120geam_min_plus_kernelId15HIP_vector_typeIdLj2EEdLi8ELi32ELi64ELi256ELi4ELi4ELi64ELi64ELi4ELc84ELc84ELb0ELb1ELb1EdKddEEviiiT16_PT17_ilS6_ilS4_S6_ilPT18_ili26rocblas_geam_ex_operation_ ; -- Begin function _ZN12_GLOBAL__N_120geam_min_plus_kernelId15HIP_vector_typeIdLj2EEdLi8ELi32ELi64ELi256ELi4ELi4ELi64ELi64ELi4ELc84ELc84ELb0ELb1ELb1EdKddEEviiiT16_PT17_ilS6_ilS4_S6_ilPT18_ili26rocblas_geam_ex_operation_
	.p2align	8
	.type	_ZN12_GLOBAL__N_120geam_min_plus_kernelId15HIP_vector_typeIdLj2EEdLi8ELi32ELi64ELi256ELi4ELi4ELi64ELi64ELi4ELc84ELc84ELb0ELb1ELb1EdKddEEviiiT16_PT17_ilS6_ilS4_S6_ilPT18_ili26rocblas_geam_ex_operation_,@function
_ZN12_GLOBAL__N_120geam_min_plus_kernelId15HIP_vector_typeIdLj2EEdLi8ELi32ELi64ELi256ELi4ELi4ELi64ELi64ELi4ELc84ELc84ELb0ELb1ELb1EdKddEEviiiT16_PT17_ilS6_ilS4_S6_ilPT18_ili26rocblas_geam_ex_operation_: ; @_ZN12_GLOBAL__N_120geam_min_plus_kernelId15HIP_vector_typeIdLj2EEdLi8ELi32ELi64ELi256ELi4ELi4ELi64ELi64ELi4ELc84ELc84ELb0ELb1ELb1EdKddEEviiiT16_PT17_ilS6_ilS4_S6_ilPT18_ili26rocblas_geam_ex_operation_
; %bb.0:
	s_load_dwordx4 s[28:31], s[0:1], 0x10
	s_load_dwordx4 s[4:7], s[0:1], 0x28
	s_mov_b64 s[36:37], 0
	s_waitcnt lgkmcnt(0)
	v_cmp_eq_f64_e64 s[8:9], s[28:29], 0
	s_and_b64 vcc, exec, s[8:9]
	s_cbranch_vccnz .LBB179_2
; %bb.1:
	s_mul_i32 s5, s5, s3
	s_mul_hi_u32 s10, s4, s3
	s_add_i32 s5, s10, s5
	s_mul_i32 s4, s4, s3
	s_lshl_b64 s[4:5], s[4:5], 3
	s_add_u32 s36, s30, s4
	s_addc_u32 s37, s31, s5
.LBB179_2:
	s_load_dwordx4 s[20:23], s[0:1], 0x40
	s_load_dwordx2 s[4:5], s[0:1], 0x50
	s_andn2_b64 vcc, exec, s[8:9]
	s_mov_b64 s[8:9], -1
	s_cbranch_vccnz .LBB179_4
; %bb.3:
	s_mov_b64 s[8:9], 0
.LBB179_4:
	s_mov_b64 s[30:31], 0
	s_andn2_b64 vcc, exec, s[8:9]
	s_mov_b64 s[34:35], 0
	s_cbranch_vccnz .LBB179_6
; %bb.5:
	s_waitcnt lgkmcnt(0)
	s_mul_i32 s8, s21, s3
	s_mul_hi_u32 s9, s20, s3
	s_add_i32 s9, s9, s8
	s_mul_i32 s8, s20, s3
	s_lshl_b64 s[8:9], s[8:9], 3
	s_add_u32 s34, s6, s8
	s_addc_u32 s35, s7, s9
.LBB179_6:
	s_load_dwordx4 s[16:19], s[0:1], 0x60
	s_waitcnt lgkmcnt(0)
	v_cmp_eq_f64_e64 s[6:7], s[22:23], 0
	v_cmp_neq_f64_e64 s[20:21], s[22:23], 0
	s_and_b64 vcc, exec, s[6:7]
	s_cbranch_vccnz .LBB179_8
; %bb.7:
	s_mul_i32 s6, s17, s3
	s_mul_hi_u32 s7, s16, s3
	s_add_i32 s7, s7, s6
	s_mul_i32 s6, s16, s3
	s_lshl_b64 s[6:7], s[6:7], 3
	s_add_u32 s30, s4, s6
	s_addc_u32 s31, s5, s7
.LBB179_8:
	s_load_dwordx4 s[24:27], s[0:1], 0x0
	s_load_dword s38, s[0:1], 0x20
	v_and_b32_e32 v144, 0x3ff, v0
	v_bfe_u32 v145, v0, 10, 10
	v_and_b32_e32 v146, 3, v0
	s_waitcnt lgkmcnt(0)
	s_add_i32 s4, s24, -1
	s_ashr_i32 s5, s4, 31
	s_lshr_b32 s5, s5, 26
	s_add_i32 s4, s4, s5
	s_ashr_i32 s6, s4, 6
	s_add_i32 s7, s6, 1
	v_cvt_f32_u32_e32 v1, s7
	s_not_b32 s6, s6
	v_lshl_add_u32 v2, v145, 3, v144
	v_lshrrev_b32_e32 v12, 2, v2
	v_rcp_iflag_f32_e32 v1, v1
	v_cmp_le_i32_e64 s[4:5], s26, v146
	v_cmp_eq_f64_e64 s[16:17], s[28:29], 0
	v_mul_f32_e32 v0, 0x4f7ffffe, v1
	v_cvt_u32_f32_e32 v0, v0
	s_nop 0
	v_readfirstlane_b32 s8, v0
	s_mul_i32 s6, s6, s8
	s_mul_hi_u32 s6, s8, s6
	s_add_i32 s8, s8, s6
	s_mul_hi_u32 s6, s2, s8
	s_mul_i32 s8, s6, s7
	s_sub_i32 s8, s2, s8
	s_add_i32 s9, s6, 1
	s_sub_i32 s10, s8, s7
	s_cmp_ge_u32 s8, s7
	s_cselect_b32 s6, s9, s6
	s_cselect_b32 s8, s10, s8
	s_add_i32 s9, s6, 1
	s_cmp_ge_u32 s8, s7
	s_cselect_b32 s8, s9, s6
	s_mul_i32 s6, s8, s7
	s_sub_i32 s2, s2, s6
	s_lshl_b32 s2, s2, 6
	v_add_u32_e32 v110, s2, v12
	v_cmp_le_i32_e32 vcc, s24, v110
	s_or_b64 s[4:5], s[4:5], vcc
	s_nor_b64 s[6:7], s[16:17], s[4:5]
                                        ; implicit-def: $vgpr0_vgpr1
                                        ; implicit-def: $sgpr9
	s_and_saveexec_b64 s[10:11], s[6:7]
	s_xor_b64 s[6:7], exec, s[10:11]
	s_cbranch_execz .LBB179_10
; %bb.9:
	s_add_i32 s9, s26, -1
	v_mad_i64_i32 v[0:1], s[10:11], v110, s38, 0
	v_min_u32_e32 v3, s9, v146
	v_lshl_add_u64 v[0:1], v[0:1], 3, s[36:37]
	v_lshlrev_b32_e32 v4, 3, v3
	v_mov_b32_e32 v5, 0
	v_lshl_add_u64 v[0:1], v[0:1], 0, v[4:5]
	global_load_dwordx2 v[0:1], v[0:1], off
	s_waitcnt vmcnt(0)
	v_mul_f64 v[0:1], s[28:29], v[0:1]
.LBB179_10:
	s_or_saveexec_b64 s[6:7], s[6:7]
	v_mov_b32_e32 v3, s9
	s_xor_b64 exec, exec, s[6:7]
; %bb.11:
	v_mov_b32_e32 v0, 0x7fefffff
	v_cndmask_b32_e64 v1, 0, v0, s[4:5]
	v_cndmask_b32_e64 v0, 0, -1, s[4:5]
	s_add_i32 s4, s26, -1
	v_mov_b32_e32 v3, s4
; %bb.12:
	s_or_b64 exec, exec, s[6:7]
	s_load_dword s27, s[0:1], 0x38
	v_and_b32_e32 v13, 63, v2
	v_lshrrev_b32_e32 v147, 6, v2
	s_lshl_b32 s33, s8, 8
	v_or_b32_e32 v128, s33, v13
	v_min_i32_e32 v2, v147, v3
	v_cmp_le_i32_e64 s[10:11], s26, v147
	s_waitcnt lgkmcnt(0)
	v_mad_i64_i32 v[2:3], s[4:5], v2, s27, 0
	v_cmp_le_i32_e64 s[12:13], s25, v128
	v_mov_b32_e32 v4, 0x7fefffff
	s_or_b64 s[4:5], s[12:13], s[10:11]
	v_lshl_add_u64 v[10:11], v[2:3], 3, s[34:35]
	v_cndmask_b32_e64 v3, 0, v4, s[4:5]
	s_nor_b64 s[6:7], s[16:17], s[4:5]
	v_cndmask_b32_e64 v2, 0, -1, s[4:5]
	v_ashrrev_i32_e32 v129, 31, v128
	s_and_saveexec_b64 s[4:5], s[6:7]
	s_cbranch_execz .LBB179_14
; %bb.13:
	v_lshl_add_u64 v[2:3], v[128:129], 3, v[10:11]
	global_load_dwordx2 v[2:3], v[2:3], off
	s_waitcnt vmcnt(0)
	v_mul_f64 v[2:3], s[28:29], v[2:3]
.LBB179_14:
	s_or_b64 exec, exec, s[4:5]
	v_or_b32_e32 v5, 64, v128
	v_cmp_le_i32_e64 s[4:5], s25, v5
	s_or_b64 s[6:7], s[4:5], s[10:11]
	v_cndmask_b32_e64 v5, 0, v4, s[6:7]
	s_nor_b64 s[8:9], s[16:17], s[6:7]
	v_cndmask_b32_e64 v4, 0, -1, s[6:7]
	s_and_saveexec_b64 s[6:7], s[8:9]
	s_cbranch_execz .LBB179_16
; %bb.15:
	v_lshl_add_u64 v[4:5], v[128:129], 3, v[10:11]
	global_load_dwordx2 v[4:5], v[4:5], off offset:512
	s_waitcnt vmcnt(0)
	v_mul_f64 v[4:5], s[28:29], v[4:5]
.LBB179_16:
	s_or_b64 exec, exec, s[6:7]
	v_or_b32_e32 v6, 0x80, v128
	v_cmp_le_i32_e64 s[6:7], s25, v6
	v_mov_b32_e32 v8, 0x7fefffff
	s_or_b64 s[8:9], s[6:7], s[10:11]
	v_cndmask_b32_e64 v7, 0, v8, s[8:9]
	s_nor_b64 s[14:15], s[16:17], s[8:9]
	v_cndmask_b32_e64 v6, 0, -1, s[8:9]
	s_and_saveexec_b64 s[8:9], s[14:15]
	s_cbranch_execz .LBB179_18
; %bb.17:
	v_lshl_add_u64 v[6:7], v[128:129], 3, v[10:11]
	global_load_dwordx2 v[6:7], v[6:7], off offset:1024
	s_waitcnt vmcnt(0)
	v_mul_f64 v[6:7], s[28:29], v[6:7]
.LBB179_18:
	s_or_b64 exec, exec, s[8:9]
	v_or_b32_e32 v9, 0xc0, v128
	v_cmp_le_i32_e64 s[8:9], s25, v9
	s_or_b64 s[10:11], s[8:9], s[10:11]
	v_cndmask_b32_e64 v9, 0, v8, s[10:11]
	s_nor_b64 s[14:15], s[16:17], s[10:11]
	v_cndmask_b32_e64 v8, 0, -1, s[10:11]
	s_and_saveexec_b64 s[10:11], s[14:15]
	s_cbranch_execz .LBB179_20
; %bb.19:
	v_lshl_add_u64 v[8:9], v[128:129], 3, v[10:11]
	global_load_dwordx2 v[8:9], v[8:9], off offset:1536
	s_waitcnt vmcnt(0)
	v_mul_f64 v[8:9], s[28:29], v[8:9]
.LBB179_20:
	s_or_b64 exec, exec, s[10:11]
	v_or_b32_e32 v10, 4, v146
	v_cmp_le_i32_e64 s[10:11], s26, v10
	s_or_b64 s[10:11], s[10:11], vcc
	s_nor_b64 s[14:15], s[16:17], s[10:11]
                                        ; implicit-def: $vgpr100_vgpr101
                                        ; implicit-def: $sgpr39
	s_and_saveexec_b64 s[40:41], s[14:15]
	s_xor_b64 s[14:15], exec, s[40:41]
	s_cbranch_execz .LBB179_22
; %bb.21:
	s_add_i32 s39, s26, -1
	v_mad_i64_i32 v[14:15], s[40:41], v110, s38, 0
	v_min_u32_e32 v10, s39, v10
	v_lshl_add_u64 v[14:15], v[14:15], 3, s[36:37]
	v_lshlrev_b32_e32 v10, 3, v10
	v_mov_b32_e32 v11, 0
	v_lshl_add_u64 v[10:11], v[14:15], 0, v[10:11]
	global_load_dwordx2 v[10:11], v[10:11], off
	s_waitcnt vmcnt(0)
	v_mul_f64 v[100:101], s[28:29], v[10:11]
.LBB179_22:
	s_or_saveexec_b64 s[14:15], s[14:15]
	v_mov_b32_e32 v10, s39
	s_xor_b64 exec, exec, s[14:15]
; %bb.23:
	v_mov_b32_e32 v10, 0x7fefffff
	v_cndmask_b32_e64 v101, 0, v10, s[10:11]
	v_cndmask_b32_e64 v100, 0, -1, s[10:11]
	s_add_i32 s10, s26, -1
	v_mov_b32_e32 v10, s10
; %bb.24:
	s_or_b64 exec, exec, s[14:15]
	v_add_u32_e32 v11, 4, v147
	v_min_i32_e32 v10, v11, v10
	v_cmp_le_i32_e64 s[10:11], s26, v11
	v_mad_i64_i32 v[10:11], s[14:15], v10, s27, 0
	v_mov_b32_e32 v14, 0x7fefffff
	s_or_b64 s[14:15], s[12:13], s[10:11]
	v_lshl_add_u64 v[10:11], v[10:11], 3, s[34:35]
	v_cndmask_b32_e64 v103, 0, v14, s[14:15]
	s_nor_b64 s[40:41], s[16:17], s[14:15]
	v_cndmask_b32_e64 v102, 0, -1, s[14:15]
	s_and_saveexec_b64 s[14:15], s[40:41]
	s_cbranch_execz .LBB179_26
; %bb.25:
	v_lshl_add_u64 v[16:17], v[128:129], 3, v[10:11]
	global_load_dwordx2 v[16:17], v[16:17], off
	s_waitcnt vmcnt(0)
	v_mul_f64 v[102:103], s[28:29], v[16:17]
.LBB179_26:
	s_or_b64 exec, exec, s[14:15]
	s_or_b64 s[14:15], s[4:5], s[10:11]
	v_cndmask_b32_e64 v105, 0, v14, s[14:15]
	s_nor_b64 s[40:41], s[16:17], s[14:15]
	v_cndmask_b32_e64 v104, 0, -1, s[14:15]
	s_and_saveexec_b64 s[14:15], s[40:41]
	s_cbranch_execz .LBB179_28
; %bb.27:
	v_lshl_add_u64 v[14:15], v[128:129], 3, v[10:11]
	global_load_dwordx2 v[14:15], v[14:15], off offset:512
	s_waitcnt vmcnt(0)
	v_mul_f64 v[104:105], s[28:29], v[14:15]
.LBB179_28:
	s_or_b64 exec, exec, s[14:15]
	v_mov_b32_e32 v14, 0x7fefffff
	s_or_b64 s[14:15], s[6:7], s[10:11]
	v_cndmask_b32_e64 v107, 0, v14, s[14:15]
	s_nor_b64 s[40:41], s[16:17], s[14:15]
	v_cndmask_b32_e64 v106, 0, -1, s[14:15]
	s_and_saveexec_b64 s[14:15], s[40:41]
	s_cbranch_execz .LBB179_30
; %bb.29:
	v_lshl_add_u64 v[16:17], v[128:129], 3, v[10:11]
	global_load_dwordx2 v[16:17], v[16:17], off offset:1024
	s_waitcnt vmcnt(0)
	v_mul_f64 v[106:107], s[28:29], v[16:17]
.LBB179_30:
	s_or_b64 exec, exec, s[14:15]
	s_or_b64 s[10:11], s[8:9], s[10:11]
	v_cndmask_b32_e64 v109, 0, v14, s[10:11]
	s_nor_b64 s[14:15], s[16:17], s[10:11]
	v_cndmask_b32_e64 v108, 0, -1, s[10:11]
	s_and_saveexec_b64 s[10:11], s[14:15]
	s_cbranch_execz .LBB179_32
; %bb.31:
	v_lshl_add_u64 v[10:11], v[128:129], 3, v[10:11]
	global_load_dwordx2 v[10:11], v[10:11], off offset:1536
	s_waitcnt vmcnt(0)
	v_mul_f64 v[108:109], s[28:29], v[10:11]
.LBB179_32:
	s_or_b64 exec, exec, s[10:11]
	v_lshlrev_b32_e32 v10, 3, v146
	v_lshl_or_b32 v111, v12, 5, v10
	ds_write_b64 v111, v[0:1] offset:16384
	v_lshlrev_b32_e32 v0, 5, v13
	v_lshl_add_u32 v165, v147, 3, v0
	v_lshlrev_b32_e32 v159, 5, v144
	ds_write2st64_b64 v165, v[2:3], v[4:5] offset1:4
	ds_write2st64_b64 v165, v[6:7], v[8:9] offset0:8 offset1:12
	s_waitcnt lgkmcnt(0)
	s_barrier
	v_lshlrev_b32_e32 v158, 5, v145
	ds_read_b128 v[32:35], v159 offset:16640
	ds_read_b128 v[28:31], v159 offset:16896
	;; [unrolled: 1-line block ×13, first 2 shown]
	ds_read_b128 v[96:99], v158
	ds_read_b128 v[44:47], v158 offset:6144
	ds_read_b128 v[36:39], v158 offset:7168
	;; [unrolled: 1-line block ×4, first 2 shown]
	s_waitcnt lgkmcnt(5)
	v_add_f64 v[114:115], v[42:43], v[94:95]
	v_add_f64 v[116:117], v[40:41], v[92:93]
	s_mov_b32 s10, 0x7f800000
	v_cvt_f32_f64_e32 v113, v[116:117]
	v_cvt_f32_f64_e32 v114, v[114:115]
	v_min3_f32 v179, v113, v114, s10
	v_add_f64 v[114:115], v[34:35], v[94:95]
	v_add_f64 v[116:117], v[32:33], v[92:93]
	v_cvt_f32_f64_e32 v113, v[116:117]
	v_cvt_f32_f64_e32 v114, v[114:115]
	v_min3_f32 v180, v113, v114, s10
	v_add_f64 v[114:115], v[30:31], v[94:95]
	v_add_f64 v[116:117], v[28:29], v[92:93]
	;; [unrolled: 5-line block ×34, first 2 shown]
	v_cvt_f32_f64_e32 v113, v[116:117]
	v_cvt_f32_f64_e32 v114, v[114:115]
	v_min3_f32 v119, v113, v114, s10
	s_waitcnt lgkmcnt(3)
	v_add_f64 v[114:115], v[42:43], v[46:47]
	v_add_f64 v[168:169], v[40:41], v[44:45]
	v_cvt_f32_f64_e32 v113, v[168:169]
	v_cvt_f32_f64_e32 v114, v[114:115]
	v_min3_f32 v125, v113, v114, s10
	v_add_f64 v[114:115], v[34:35], v[46:47]
	v_add_f64 v[168:169], v[32:33], v[44:45]
	v_cvt_f32_f64_e32 v113, v[168:169]
	v_cvt_f32_f64_e32 v114, v[114:115]
	v_min3_f32 v122, v113, v114, s10
	v_add_f64 v[114:115], v[30:31], v[46:47]
	v_add_f64 v[168:169], v[28:29], v[44:45]
	v_cvt_f32_f64_e32 v113, v[168:169]
	v_cvt_f32_f64_e32 v114, v[114:115]
	v_add_f64 v[56:57], v[42:43], v[98:99]
	v_add_f64 v[58:59], v[40:41], v[96:97]
	v_min3_f32 v120, v113, v114, s10
	v_add_f64 v[114:115], v[26:27], v[46:47]
	v_add_f64 v[168:169], v[24:25], v[44:45]
	v_cvt_f32_f64_e32 v58, v[58:59]
	v_cvt_f32_f64_e32 v56, v[56:57]
	;; [unrolled: 1-line block ×4, first 2 shown]
	v_min3_f32 v112, v58, v56, s10
	ds_read_b128 v[56:59], v159 offset:16656
	v_add_f64 v[60:61], v[34:35], v[98:99]
	v_add_f64 v[62:63], v[32:33], v[96:97]
	v_min3_f32 v118, v113, v114, s10
	v_add_f64 v[114:115], v[22:23], v[46:47]
	v_add_f64 v[168:169], v[20:21], v[44:45]
	v_cvt_f32_f64_e32 v62, v[62:63]
	v_cvt_f32_f64_e32 v60, v[60:61]
	;; [unrolled: 1-line block ×4, first 2 shown]
	v_add_f64 v[168:169], v[16:17], v[44:45]
	v_min3_f32 v172, v62, v60, s10
	ds_read_b128 v[60:63], v159 offset:16912
	v_add_f64 v[64:65], v[30:31], v[98:99]
	v_add_f64 v[66:67], v[28:29], v[96:97]
	;; [unrolled: 1-line block ×22, first 2 shown]
	v_min3_f32 v116, v113, v114, s10
	v_add_f64 v[114:115], v[18:19], v[46:47]
	v_cvt_f32_f64_e32 v113, v[168:169]
	v_add_f64 v[168:169], v[14:15], v[46:47]
	v_add_f64 v[170:171], v[12:13], v[44:45]
	;; [unrolled: 1-line block ×4, first 2 shown]
	s_waitcnt lgkmcnt(4)
	v_add_f64 v[14:15], v[14:15], v[38:39]
	v_add_f64 v[12:13], v[12:13], v[36:37]
	;; [unrolled: 1-line block ×4, first 2 shown]
	v_cvt_f32_f64_e32 v66, v[66:67]
	v_cvt_f32_f64_e32 v64, v[64:65]
	;; [unrolled: 1-line block ×7, first 2 shown]
	s_waitcnt lgkmcnt(2)
	v_add_f64 v[10:11], v[2:3], v[6:7]
	v_add_f64 v[14:15], v[0:1], v[4:5]
	v_min3_f32 v173, v66, v64, s10
	ds_read_b128 v[64:67], v159 offset:17168
	v_min3_f32 v115, v113, v114, s10
	v_cvt_f32_f64_e32 v113, v[170:171]
	v_cvt_f32_f64_e32 v114, v[168:169]
	;; [unrolled: 1-line block ×4, first 2 shown]
	v_min3_f32 v8, v8, v9, s10
	v_cvt_f32_f64_e32 v9, v[14:15]
	v_cvt_f32_f64_e32 v10, v[10:11]
	;; [unrolled: 1-line block ×4, first 2 shown]
	v_min3_f32 v114, v113, v114, s10
	v_min3_f32 v113, v44, v45, s10
	ds_read_b128 v[44:47], v158 offset:7184
	v_min3_f32 v221, v9, v10, v112
	s_waitcnt lgkmcnt(3)
	v_add_f64 v[10:11], v[58:59], v[6:7]
	v_add_f64 v[14:15], v[56:57], v[4:5]
	v_min3_f32 v174, v70, v68, s10
	ds_read_b128 v[68:71], v159 offset:17424
	v_cvt_f32_f64_e32 v9, v[14:15]
	v_cvt_f32_f64_e32 v10, v[10:11]
	v_cvt_f32_f64_e32 v74, v[74:75]
	v_cvt_f32_f64_e32 v72, v[72:73]
	v_min3_f32 v220, v9, v10, v172
	s_waitcnt lgkmcnt(3)
	v_add_f64 v[10:11], v[62:63], v[6:7]
	v_add_f64 v[14:15], v[60:61], v[4:5]
	v_min3_f32 v175, v74, v72, s10
	ds_read_b128 v[72:75], v159 offset:17680
	v_cvt_f32_f64_e32 v9, v[14:15]
	v_cvt_f32_f64_e32 v10, v[10:11]
	;; [unrolled: 1-line block ×6, first 2 shown]
	v_min3_f32 v219, v9, v10, v173
	s_waitcnt lgkmcnt(3)
	v_add_f64 v[10:11], v[66:67], v[6:7]
	v_add_f64 v[14:15], v[64:65], v[4:5]
	v_min3_f32 v176, v78, v76, s10
	ds_read_b128 v[76:79], v159 offset:17936
	v_min3_f32 v177, v82, v80, s10
	ds_read_b128 v[80:83], v159 offset:18192
	v_cvt_f32_f64_e32 v9, v[14:15]
	v_cvt_f32_f64_e32 v10, v[10:11]
	;; [unrolled: 1-line block ×4, first 2 shown]
	v_min3_f32 v218, v9, v10, v174
	s_waitcnt lgkmcnt(3)
	v_add_f64 v[10:11], v[70:71], v[6:7]
	v_add_f64 v[14:15], v[68:69], v[4:5]
	v_min3_f32 v178, v96, v97, s10
	ds_read_b128 v[96:99], v158 offset:1040
	v_cvt_f32_f64_e32 v9, v[14:15]
	v_cvt_f32_f64_e32 v10, v[10:11]
	v_min3_f32 v216, v9, v10, v175
	s_waitcnt lgkmcnt(3)
	v_add_f64 v[10:11], v[74:75], v[6:7]
	v_add_f64 v[14:15], v[72:73], v[4:5]
	v_cvt_f32_f64_e32 v9, v[14:15]
	v_cvt_f32_f64_e32 v10, v[10:11]
	v_min3_f32 v209, v9, v10, v176
	s_waitcnt lgkmcnt(2)
	v_add_f64 v[10:11], v[78:79], v[6:7]
	v_add_f64 v[14:15], v[76:77], v[4:5]
	s_waitcnt lgkmcnt(1)
	v_add_f64 v[6:7], v[82:83], v[6:7]
	v_add_f64 v[4:5], v[80:81], v[4:5]
	v_cvt_f32_f64_e32 v92, v[92:93]
	v_cvt_f32_f64_e32 v93, v[94:95]
	;; [unrolled: 1-line block ×4, first 2 shown]
	v_min3_f32 v154, v92, v93, s10
	ds_read_b128 v[92:95], v158 offset:2064
	v_min3_f32 v207, v4, v5, v178
	s_waitcnt lgkmcnt(1)
	v_add_f64 v[4:5], v[2:3], v[98:99]
	v_add_f64 v[6:7], v[0:1], v[96:97]
	v_cvt_f32_f64_e32 v6, v[6:7]
	v_cvt_f32_f64_e32 v4, v[4:5]
	v_min3_f32 v206, v6, v4, v179
	v_add_f64 v[4:5], v[58:59], v[98:99]
	v_add_f64 v[6:7], v[56:57], v[96:97]
	v_cvt_f32_f64_e32 v6, v[6:7]
	v_cvt_f32_f64_e32 v4, v[4:5]
	v_min3_f32 v205, v6, v4, v180
	;; [unrolled: 5-line block ×8, first 2 shown]
	s_waitcnt lgkmcnt(0)
	v_add_f64 v[4:5], v[2:3], v[94:95]
	v_add_f64 v[6:7], v[0:1], v[92:93]
	v_cvt_f32_f64_e32 v6, v[6:7]
	v_cvt_f32_f64_e32 v4, v[4:5]
	v_min3_f32 v198, v6, v4, v164
	v_add_f64 v[4:5], v[58:59], v[94:95]
	v_add_f64 v[6:7], v[56:57], v[92:93]
	v_cvt_f32_f64_e32 v6, v[6:7]
	v_cvt_f32_f64_e32 v4, v[4:5]
	v_min3_f32 v197, v6, v4, v162
	;; [unrolled: 5-line block ×4, first 2 shown]
	v_add_f64 v[4:5], v[70:71], v[94:95]
	v_add_f64 v[6:7], v[68:69], v[92:93]
	v_cvt_f32_f64_e32 v6, v[6:7]
	v_cvt_f32_f64_e32 v4, v[4:5]
	;; [unrolled: 1-line block ×4, first 2 shown]
	v_min3_f32 v194, v6, v4, v153
	v_add_f64 v[4:5], v[74:75], v[94:95]
	v_add_f64 v[6:7], v[72:73], v[92:93]
	v_min3_f32 v142, v88, v89, s10
	ds_read_b128 v[88:91], v158 offset:3088
	v_cvt_f32_f64_e32 v6, v[6:7]
	v_cvt_f32_f64_e32 v4, v[4:5]
	v_min3_f32 v193, v6, v4, v151
	v_add_f64 v[4:5], v[78:79], v[94:95]
	v_add_f64 v[6:7], v[76:77], v[92:93]
	v_cvt_f32_f64_e32 v6, v[6:7]
	v_cvt_f32_f64_e32 v4, v[4:5]
	v_min3_f32 v192, v6, v4, v149
	v_add_f64 v[4:5], v[82:83], v[94:95]
	v_add_f64 v[6:7], v[80:81], v[92:93]
	v_cvt_f32_f64_e32 v84, v[84:85]
	v_cvt_f32_f64_e32 v85, v[86:87]
	v_cvt_f32_f64_e32 v6, v[6:7]
	v_cvt_f32_f64_e32 v4, v[4:5]
	v_min3_f32 v134, v84, v85, s10
	ds_read_b128 v[84:87], v158 offset:4112
	v_min3_f32 v191, v6, v4, v142
	s_waitcnt lgkmcnt(1)
	v_add_f64 v[4:5], v[2:3], v[90:91]
	v_add_f64 v[6:7], v[0:1], v[88:89]
	v_cvt_f32_f64_e32 v6, v[6:7]
	v_cvt_f32_f64_e32 v4, v[4:5]
	v_min3_f32 v190, v6, v4, v155
	v_add_f64 v[4:5], v[58:59], v[90:91]
	v_add_f64 v[6:7], v[56:57], v[88:89]
	v_cvt_f32_f64_e32 v6, v[6:7]
	v_cvt_f32_f64_e32 v4, v[4:5]
	v_min3_f32 v189, v6, v4, v152
	;; [unrolled: 5-line block ×8, first 2 shown]
	s_waitcnt lgkmcnt(0)
	v_add_f64 v[4:5], v[2:3], v[86:87]
	v_add_f64 v[6:7], v[0:1], v[84:85]
	v_cvt_f32_f64_e32 v6, v[6:7]
	v_cvt_f32_f64_e32 v4, v[4:5]
	v_min3_f32 v182, v6, v4, v143
	v_add_f64 v[4:5], v[58:59], v[86:87]
	v_add_f64 v[6:7], v[56:57], v[84:85]
	v_cvt_f32_f64_e32 v6, v[6:7]
	v_cvt_f32_f64_e32 v4, v[4:5]
	v_min3_f32 v181, v6, v4, v140
	;; [unrolled: 5-line block ×4, first 2 shown]
	v_add_f64 v[4:5], v[70:71], v[86:87]
	v_add_f64 v[6:7], v[68:69], v[84:85]
	v_cvt_f32_f64_e32 v6, v[6:7]
	v_cvt_f32_f64_e32 v4, v[4:5]
	;; [unrolled: 1-line block ×4, first 2 shown]
	v_min3_f32 v178, v6, v4, v133
	v_add_f64 v[4:5], v[74:75], v[86:87]
	v_add_f64 v[6:7], v[72:73], v[84:85]
	v_min3_f32 v124, v52, v53, s10
	ds_read_b128 v[52:55], v158 offset:5136
	v_cvt_f32_f64_e32 v9, v[14:15]
	v_cvt_f32_f64_e32 v10, v[10:11]
	;; [unrolled: 1-line block ×4, first 2 shown]
	v_min3_f32 v208, v9, v10, v177
	v_min3_f32 v177, v6, v4, v131
	v_add_f64 v[4:5], v[78:79], v[86:87]
	v_add_f64 v[6:7], v[76:77], v[84:85]
	v_cvt_f32_f64_e32 v6, v[6:7]
	v_cvt_f32_f64_e32 v4, v[4:5]
	v_min3_f32 v176, v6, v4, v127
	v_add_f64 v[4:5], v[82:83], v[86:87]
	v_add_f64 v[6:7], v[80:81], v[84:85]
	v_cvt_f32_f64_e32 v48, v[48:49]
	v_cvt_f32_f64_e32 v49, v[50:51]
	;; [unrolled: 1-line block ×4, first 2 shown]
	v_min3_f32 v117, v48, v49, s10
	ds_read_b128 v[48:51], v158 offset:6160
	v_min3_f32 v175, v6, v4, v124
	s_waitcnt lgkmcnt(1)
	v_add_f64 v[4:5], v[2:3], v[54:55]
	v_add_f64 v[6:7], v[0:1], v[52:53]
	v_cvt_f32_f64_e32 v6, v[6:7]
	v_cvt_f32_f64_e32 v4, v[4:5]
	v_min3_f32 v174, v6, v4, v135
	v_add_f64 v[4:5], v[58:59], v[54:55]
	v_add_f64 v[6:7], v[56:57], v[52:53]
	v_cvt_f32_f64_e32 v6, v[6:7]
	v_cvt_f32_f64_e32 v4, v[4:5]
	v_min3_f32 v173, v6, v4, v132
	;; [unrolled: 5-line block ×7, first 2 shown]
	v_add_f64 v[4:5], v[82:83], v[54:55]
	v_add_f64 v[6:7], v[80:81], v[52:53]
	;; [unrolled: 1-line block ×4, first 2 shown]
	v_cvt_f32_f64_e32 v6, v[6:7]
	v_cvt_f32_f64_e32 v4, v[4:5]
	;; [unrolled: 1-line block ×4, first 2 shown]
	v_min3_f32 v167, v6, v4, v117
	s_waitcnt lgkmcnt(0)
	v_add_f64 v[4:5], v[2:3], v[50:51]
	v_add_f64 v[6:7], v[0:1], v[48:49]
	;; [unrolled: 1-line block ×4, first 2 shown]
	v_min3_f32 v40, v40, v41, s10
	v_add_f64 v[34:35], v[34:35], v[38:39]
	v_add_f64 v[32:33], v[32:33], v[36:37]
	v_cvt_f32_f64_e32 v6, v[6:7]
	v_cvt_f32_f64_e32 v4, v[4:5]
	v_cvt_f32_f64_e32 v0, v[0:1]
	v_cvt_f32_f64_e32 v1, v[2:3]
	v_cvt_f32_f64_e32 v32, v[32:33]
	v_cvt_f32_f64_e32 v33, v[34:35]
	v_min3_f32 v166, v6, v4, v125
	v_add_f64 v[4:5], v[58:59], v[50:51]
	v_add_f64 v[6:7], v[56:57], v[48:49]
	v_min3_f32 v155, v0, v1, v40
	v_add_f64 v[0:1], v[58:59], v[46:47]
	v_add_f64 v[2:3], v[56:57], v[44:45]
	v_min3_f32 v32, v32, v33, s10
	v_add_f64 v[30:31], v[30:31], v[38:39]
	v_add_f64 v[28:29], v[28:29], v[36:37]
	v_cvt_f32_f64_e32 v6, v[6:7]
	v_cvt_f32_f64_e32 v4, v[4:5]
	v_cvt_f32_f64_e32 v2, v[2:3]
	v_cvt_f32_f64_e32 v0, v[0:1]
	v_cvt_f32_f64_e32 v28, v[28:29]
	v_cvt_f32_f64_e32 v29, v[30:31]
	v_min3_f32 v164, v6, v4, v122
	v_add_f64 v[4:5], v[62:63], v[50:51]
	v_add_f64 v[6:7], v[60:61], v[48:49]
	v_min3_f32 v154, v2, v0, v32
	v_add_f64 v[0:1], v[62:63], v[46:47]
	v_add_f64 v[2:3], v[60:61], v[44:45]
	v_min3_f32 v28, v28, v29, s10
	v_add_f64 v[26:27], v[26:27], v[38:39]
	v_add_f64 v[24:25], v[24:25], v[36:37]
	v_cvt_f32_f64_e32 v6, v[6:7]
	v_cvt_f32_f64_e32 v4, v[4:5]
	v_cvt_f32_f64_e32 v2, v[2:3]
	v_cvt_f32_f64_e32 v0, v[0:1]
	v_cvt_f32_f64_e32 v24, v[24:25]
	v_cvt_f32_f64_e32 v25, v[26:27]
	v_min3_f32 v163, v6, v4, v120
	v_add_f64 v[4:5], v[66:67], v[50:51]
	v_add_f64 v[6:7], v[64:65], v[48:49]
	v_min3_f32 v153, v2, v0, v28
	v_add_f64 v[0:1], v[66:67], v[46:47]
	v_add_f64 v[2:3], v[64:65], v[44:45]
	v_min3_f32 v24, v24, v25, s10
	v_add_f64 v[22:23], v[22:23], v[38:39]
	v_add_f64 v[20:21], v[20:21], v[36:37]
	v_cvt_f32_f64_e32 v6, v[6:7]
	v_cvt_f32_f64_e32 v4, v[4:5]
	v_cvt_f32_f64_e32 v2, v[2:3]
	v_cvt_f32_f64_e32 v0, v[0:1]
	v_cvt_f32_f64_e32 v20, v[20:21]
	v_cvt_f32_f64_e32 v21, v[22:23]
	v_min3_f32 v162, v6, v4, v118
	v_add_f64 v[4:5], v[70:71], v[50:51]
	v_add_f64 v[6:7], v[68:69], v[48:49]
	v_min3_f32 v152, v2, v0, v24
	v_add_f64 v[0:1], v[70:71], v[46:47]
	v_add_f64 v[2:3], v[68:69], v[44:45]
	v_min3_f32 v20, v20, v21, s10
	v_add_f64 v[18:19], v[18:19], v[38:39]
	v_add_f64 v[16:17], v[16:17], v[36:37]
	v_cvt_f32_f64_e32 v6, v[6:7]
	v_cvt_f32_f64_e32 v4, v[4:5]
	v_cvt_f32_f64_e32 v2, v[2:3]
	v_cvt_f32_f64_e32 v0, v[0:1]
	v_cvt_f32_f64_e32 v16, v[16:17]
	v_cvt_f32_f64_e32 v17, v[18:19]
	v_min3_f32 v161, v6, v4, v116
	v_add_f64 v[4:5], v[74:75], v[50:51]
	v_add_f64 v[6:7], v[72:73], v[48:49]
	v_min3_f32 v151, v2, v0, v20
	v_add_f64 v[0:1], v[74:75], v[46:47]
	v_add_f64 v[2:3], v[72:73], v[44:45]
	v_min3_f32 v16, v16, v17, s10
	v_cvt_f32_f64_e32 v6, v[6:7]
	v_cvt_f32_f64_e32 v4, v[4:5]
	;; [unrolled: 1-line block ×4, first 2 shown]
	v_min3_f32 v160, v6, v4, v115
	v_add_f64 v[4:5], v[78:79], v[50:51]
	v_add_f64 v[6:7], v[76:77], v[48:49]
	v_min3_f32 v150, v2, v0, v16
	v_add_f64 v[0:1], v[78:79], v[46:47]
	v_add_f64 v[2:3], v[76:77], v[44:45]
	v_min3_f32 v12, v12, v13, s10
	v_cvt_f32_f64_e32 v6, v[6:7]
	v_cvt_f32_f64_e32 v4, v[4:5]
	;; [unrolled: 1-line block ×4, first 2 shown]
	v_min3_f32 v157, v6, v4, v114
	v_add_f64 v[4:5], v[82:83], v[50:51]
	v_add_f64 v[6:7], v[80:81], v[48:49]
	v_min3_f32 v149, v2, v0, v12
	v_add_f64 v[0:1], v[82:83], v[46:47]
	v_add_f64 v[2:3], v[80:81], v[44:45]
	v_cvt_f32_f64_e32 v6, v[6:7]
	v_cvt_f32_f64_e32 v4, v[4:5]
	;; [unrolled: 1-line block ×4, first 2 shown]
	v_min3_f32 v156, v6, v4, v113
	v_min3_f32 v148, v2, v0, v8
	s_cmp_lt_i32 s26, 9
	ds_write_b64 v111, v[100:101] offset:18432
	ds_write2st64_b64 v165, v[102:103], v[104:105] offset0:16 offset1:20
	ds_write2st64_b64 v165, v[106:107], v[108:109] offset0:24 offset1:28
	s_waitcnt lgkmcnt(0)
	s_barrier
	s_cbranch_scc1 .LBB179_59
; %bb.33:
	v_mov_b32_e32 v0, 0x4800
	v_lshl_add_u32 v214, v144, 5, v0
	v_mov_b32_e32 v0, 0x2000
	v_and_b32_e32 v2, 3, v144
	v_lshl_add_u32 v215, v145, 5, v0
	v_mad_i64_i32 v[0:1], s[10:11], s38, v110, 0
	v_lshlrev_b32_e32 v2, 3, v2
	v_mov_b32_e32 v3, 0
	v_lshl_add_u64 v[0:1], v[0:1], 3, v[2:3]
	v_lshl_add_u64 v[0:1], s[36:37], 0, v[0:1]
	v_add_u32_e32 v210, 0x4000, v111
	v_add_u32_e32 v211, 0x4000, v159
	;; [unrolled: 1-line block ×4, first 2 shown]
	s_add_i32 s39, s26, -8
	s_add_i32 s40, s26, -1
	v_lshl_add_u64 v[130:131], v[0:1], 0, 64
	s_mov_b32 s36, 0
	v_mov_b32_e32 v217, 0x7fefffff
	s_branch .LBB179_35
.LBB179_34:                             ;   in Loop: Header=BB179_35 Depth=1
	s_or_b64 exec, exec, s[10:11]
	v_add_f64 v[142:143], v[98:99], v[126:127]
	v_add_f64 v[222:223], v[96:97], v[124:125]
	v_cvt_f32_f64_e32 v222, v[222:223]
	v_cvt_f32_f64_e32 v142, v[142:143]
	v_min3_f32 v224, v222, v142, v221
	v_add_f64 v[142:143], v[94:95], v[126:127]
	v_add_f64 v[222:223], v[92:93], v[124:125]
	v_cvt_f32_f64_e32 v221, v[222:223]
	v_cvt_f32_f64_e32 v142, v[142:143]
	v_min3_f32 v222, v221, v142, v220
	;; [unrolled: 5-line block ×6, first 2 shown]
	v_add_f64 v[142:143], v[70:71], v[126:127]
	v_add_f64 v[218:219], v[68:69], v[124:125]
	;; [unrolled: 1-line block ×4, first 2 shown]
	v_cvt_f32_f64_e32 v124, v[124:125]
	v_cvt_f32_f64_e32 v125, v[126:127]
	;; [unrolled: 1-line block ×3, first 2 shown]
	v_min3_f32 v143, v124, v125, v207
	v_add_f64 v[124:125], v[98:99], v[122:123]
	v_add_f64 v[126:127], v[96:97], v[120:121]
	v_cvt_f32_f64_e32 v126, v[126:127]
	v_cvt_f32_f64_e32 v124, v[124:125]
	v_min3_f32 v206, v126, v124, v206
	v_add_f64 v[124:125], v[94:95], v[122:123]
	v_add_f64 v[126:127], v[92:93], v[120:121]
	v_cvt_f32_f64_e32 v126, v[126:127]
	v_cvt_f32_f64_e32 v124, v[124:125]
	v_min3_f32 v205, v126, v124, v205
	v_add_f64 v[124:125], v[90:91], v[122:123]
	v_add_f64 v[126:127], v[88:89], v[120:121]
	v_cvt_f32_f64_e32 v126, v[126:127]
	v_cvt_f32_f64_e32 v124, v[124:125]
	v_min3_f32 v204, v126, v124, v204
	v_add_f64 v[124:125], v[82:83], v[122:123]
	v_add_f64 v[126:127], v[80:81], v[120:121]
	v_cvt_f32_f64_e32 v126, v[126:127]
	v_cvt_f32_f64_e32 v124, v[124:125]
	v_min3_f32 v203, v126, v124, v203
	v_add_f64 v[124:125], v[78:79], v[122:123]
	v_add_f64 v[126:127], v[76:77], v[120:121]
	v_cvt_f32_f64_e32 v126, v[126:127]
	v_cvt_f32_f64_e32 v124, v[124:125]
	v_min3_f32 v202, v126, v124, v202
	v_add_f64 v[124:125], v[74:75], v[122:123]
	v_add_f64 v[126:127], v[72:73], v[120:121]
	v_cvt_f32_f64_e32 v126, v[126:127]
	v_cvt_f32_f64_e32 v124, v[124:125]
	v_min3_f32 v201, v126, v124, v201
	v_add_f64 v[124:125], v[70:71], v[122:123]
	v_add_f64 v[126:127], v[68:69], v[120:121]
	;; [unrolled: 1-line block ×4, first 2 shown]
	v_cvt_f32_f64_e32 v120, v[120:121]
	v_cvt_f32_f64_e32 v121, v[122:123]
	;; [unrolled: 1-line block ×3, first 2 shown]
	v_min3_f32 v125, v120, v121, v199
	v_add_f64 v[120:121], v[98:99], v[118:119]
	v_add_f64 v[122:123], v[96:97], v[116:117]
	v_cvt_f32_f64_e32 v126, v[126:127]
	v_cvt_f32_f64_e32 v122, v[122:123]
	;; [unrolled: 1-line block ×3, first 2 shown]
	v_min3_f32 v124, v126, v124, v200
	v_min3_f32 v126, v122, v120, v198
	v_add_f64 v[120:121], v[94:95], v[118:119]
	v_add_f64 v[122:123], v[92:93], v[116:117]
	v_cvt_f32_f64_e32 v122, v[122:123]
	v_cvt_f32_f64_e32 v120, v[120:121]
	v_min3_f32 v127, v122, v120, v197
	v_add_f64 v[120:121], v[90:91], v[118:119]
	v_add_f64 v[122:123], v[88:89], v[116:117]
	v_cvt_f32_f64_e32 v122, v[122:123]
	v_cvt_f32_f64_e32 v120, v[120:121]
	;; [unrolled: 5-line block ×5, first 2 shown]
	v_min3_f32 v193, v122, v120, v193
	v_add_f64 v[120:121], v[70:71], v[118:119]
	v_add_f64 v[122:123], v[68:69], v[116:117]
	;; [unrolled: 1-line block ×4, first 2 shown]
	v_cvt_f32_f64_e32 v116, v[116:117]
	v_cvt_f32_f64_e32 v117, v[118:119]
	;; [unrolled: 1-line block ×3, first 2 shown]
	v_min3_f32 v121, v116, v117, v191
	v_add_f64 v[116:117], v[98:99], v[114:115]
	v_add_f64 v[118:119], v[96:97], v[112:113]
	v_cvt_f32_f64_e32 v122, v[122:123]
	v_cvt_f32_f64_e32 v118, v[118:119]
	;; [unrolled: 1-line block ×3, first 2 shown]
	v_min3_f32 v120, v122, v120, v192
	v_min3_f32 v122, v118, v116, v190
	v_add_f64 v[116:117], v[94:95], v[114:115]
	v_add_f64 v[118:119], v[92:93], v[112:113]
	v_cvt_f32_f64_e32 v118, v[118:119]
	v_cvt_f32_f64_e32 v116, v[116:117]
	v_min3_f32 v123, v118, v116, v189
	v_add_f64 v[116:117], v[90:91], v[114:115]
	v_add_f64 v[118:119], v[88:89], v[112:113]
	v_cvt_f32_f64_e32 v118, v[118:119]
	v_cvt_f32_f64_e32 v116, v[116:117]
	v_min3_f32 v188, v118, v116, v188
	v_add_f64 v[116:117], v[82:83], v[114:115]
	v_add_f64 v[118:119], v[80:81], v[112:113]
	v_cvt_f32_f64_e32 v118, v[118:119]
	v_cvt_f32_f64_e32 v116, v[116:117]
	v_min3_f32 v187, v118, v116, v187
	v_add_f64 v[116:117], v[78:79], v[114:115]
	v_add_f64 v[118:119], v[76:77], v[112:113]
	v_cvt_f32_f64_e32 v118, v[118:119]
	v_cvt_f32_f64_e32 v116, v[116:117]
	v_min3_f32 v186, v118, v116, v186
	v_add_f64 v[116:117], v[74:75], v[114:115]
	v_add_f64 v[118:119], v[72:73], v[112:113]
	v_cvt_f32_f64_e32 v118, v[118:119]
	v_cvt_f32_f64_e32 v116, v[116:117]
	v_min3_f32 v185, v118, v116, v185
	v_add_f64 v[116:117], v[70:71], v[114:115]
	v_add_f64 v[118:119], v[68:69], v[112:113]
	v_add_f64 v[114:115], v[66:67], v[114:115]
	v_add_f64 v[112:113], v[64:65], v[112:113]
	v_cvt_f32_f64_e32 v112, v[112:113]
	v_cvt_f32_f64_e32 v113, v[114:115]
	v_min3_f32 v183, v112, v113, v183
	v_add_f64 v[112:113], v[98:99], v[110:111]
	v_add_f64 v[114:115], v[96:97], v[108:109]
	v_cvt_f32_f64_e32 v114, v[114:115]
	v_cvt_f32_f64_e32 v112, v[112:113]
	v_min3_f32 v182, v114, v112, v182
	v_add_f64 v[112:113], v[94:95], v[110:111]
	v_add_f64 v[114:115], v[92:93], v[108:109]
	v_cvt_f32_f64_e32 v114, v[114:115]
	v_cvt_f32_f64_e32 v112, v[112:113]
	v_min3_f32 v181, v114, v112, v181
	v_add_f64 v[112:113], v[90:91], v[110:111]
	v_add_f64 v[114:115], v[88:89], v[108:109]
	v_cvt_f32_f64_e32 v114, v[114:115]
	v_cvt_f32_f64_e32 v112, v[112:113]
	v_min3_f32 v180, v114, v112, v180
	v_add_f64 v[112:113], v[82:83], v[110:111]
	v_add_f64 v[114:115], v[80:81], v[108:109]
	v_cvt_f32_f64_e32 v114, v[114:115]
	v_cvt_f32_f64_e32 v112, v[112:113]
	v_min3_f32 v179, v114, v112, v179
	v_add_f64 v[112:113], v[78:79], v[110:111]
	v_add_f64 v[114:115], v[76:77], v[108:109]
	v_cvt_f32_f64_e32 v114, v[114:115]
	v_cvt_f32_f64_e32 v112, v[112:113]
	v_min3_f32 v178, v114, v112, v178
	v_add_f64 v[112:113], v[74:75], v[110:111]
	v_add_f64 v[114:115], v[72:73], v[108:109]
	v_cvt_f32_f64_e32 v114, v[114:115]
	v_cvt_f32_f64_e32 v112, v[112:113]
	v_min3_f32 v177, v114, v112, v177
	v_add_f64 v[112:113], v[70:71], v[110:111]
	v_add_f64 v[114:115], v[68:69], v[108:109]
	v_add_f64 v[110:111], v[66:67], v[110:111]
	v_add_f64 v[108:109], v[64:65], v[108:109]
	v_cvt_f32_f64_e32 v108, v[108:109]
	v_cvt_f32_f64_e32 v109, v[110:111]
	v_min3_f32 v175, v108, v109, v175
	v_add_f64 v[108:109], v[98:99], v[106:107]
	v_add_f64 v[110:111], v[96:97], v[104:105]
	v_cvt_f32_f64_e32 v110, v[110:111]
	v_cvt_f32_f64_e32 v108, v[108:109]
	v_min3_f32 v174, v110, v108, v174
	v_add_f64 v[108:109], v[94:95], v[106:107]
	v_add_f64 v[110:111], v[92:93], v[104:105]
	v_cvt_f32_f64_e32 v110, v[110:111]
	v_cvt_f32_f64_e32 v108, v[108:109]
	v_min3_f32 v173, v110, v108, v173
	v_add_f64 v[108:109], v[90:91], v[106:107]
	v_add_f64 v[110:111], v[88:89], v[104:105]
	v_cvt_f32_f64_e32 v110, v[110:111]
	v_cvt_f32_f64_e32 v108, v[108:109]
	v_min3_f32 v172, v110, v108, v172
	v_add_f64 v[108:109], v[82:83], v[106:107]
	v_add_f64 v[110:111], v[80:81], v[104:105]
	v_cvt_f32_f64_e32 v110, v[110:111]
	v_cvt_f32_f64_e32 v108, v[108:109]
	v_min3_f32 v171, v110, v108, v171
	v_add_f64 v[108:109], v[78:79], v[106:107]
	v_add_f64 v[110:111], v[76:77], v[104:105]
	v_cvt_f32_f64_e32 v110, v[110:111]
	v_cvt_f32_f64_e32 v108, v[108:109]
	v_min3_f32 v170, v110, v108, v170
	v_add_f64 v[108:109], v[74:75], v[106:107]
	v_add_f64 v[110:111], v[72:73], v[104:105]
	v_cvt_f32_f64_e32 v110, v[110:111]
	v_cvt_f32_f64_e32 v108, v[108:109]
	v_min3_f32 v169, v110, v108, v169
	v_add_f64 v[108:109], v[70:71], v[106:107]
	v_add_f64 v[110:111], v[68:69], v[104:105]
	v_add_f64 v[106:107], v[66:67], v[106:107]
	v_add_f64 v[104:105], v[64:65], v[104:105]
	v_cvt_f32_f64_e32 v104, v[104:105]
	v_cvt_f32_f64_e32 v105, v[106:107]
	v_min3_f32 v167, v104, v105, v167
	v_add_f64 v[104:105], v[98:99], v[102:103]
	v_add_f64 v[106:107], v[96:97], v[100:101]
	v_cvt_f32_f64_e32 v106, v[106:107]
	v_cvt_f32_f64_e32 v104, v[104:105]
	v_min3_f32 v166, v106, v104, v166
	v_add_f64 v[104:105], v[94:95], v[102:103]
	v_add_f64 v[106:107], v[92:93], v[100:101]
	v_cvt_f32_f64_e32 v106, v[106:107]
	v_cvt_f32_f64_e32 v104, v[104:105]
	v_min3_f32 v164, v106, v104, v164
	v_add_f64 v[104:105], v[90:91], v[102:103]
	v_add_f64 v[106:107], v[88:89], v[100:101]
	v_cvt_f32_f64_e32 v106, v[106:107]
	v_cvt_f32_f64_e32 v104, v[104:105]
	;; [unrolled: 5-line block ×5, first 2 shown]
	v_min3_f32 v191, v106, v104, v160
	v_add_f64 v[104:105], v[70:71], v[102:103]
	v_add_f64 v[106:107], v[68:69], v[100:101]
	;; [unrolled: 1-line block ×8, first 2 shown]
	v_cvt_f32_f64_e32 v76, v[76:77]
	v_cvt_f32_f64_e32 v77, v[78:79]
	;; [unrolled: 1-line block ×4, first 2 shown]
	v_min3_f32 v76, v76, v77, v151
	v_min3_f32 v77, v64, v65, v148
	v_add_f64 v[64:65], v[34:35], v[62:63]
	v_add_f64 v[66:67], v[32:33], v[60:61]
	v_cvt_f32_f64_e32 v66, v[66:67]
	v_cvt_f32_f64_e32 v64, v[64:65]
	v_add_f64 v[70:71], v[70:71], v[86:87]
	v_add_f64 v[68:69], v[68:69], v[84:85]
	v_min3_f32 v198, v66, v64, v224
	v_add_f64 v[64:65], v[30:31], v[62:63]
	v_add_f64 v[66:67], v[28:29], v[60:61]
	;; [unrolled: 1-line block ×4, first 2 shown]
	v_cvt_f32_f64_e32 v68, v[68:69]
	v_cvt_f32_f64_e32 v69, v[70:71]
	;; [unrolled: 1-line block ×6, first 2 shown]
	v_min3_f32 v75, v68, v69, v149
	v_min3_f32 v64, v66, v64, v222
	v_add_f64 v[66:67], v[26:27], v[62:63]
	v_add_f64 v[68:69], v[24:25], v[60:61]
	v_cvt_f32_f64_e32 v65, v[68:69]
	v_cvt_f32_f64_e32 v66, v[66:67]
	v_min3_f32 v65, v65, v66, v223
	v_add_f64 v[66:67], v[18:19], v[62:63]
	v_add_f64 v[68:69], v[16:17], v[60:61]
	v_cvt_f32_f64_e32 v68, v[68:69]
	v_cvt_f32_f64_e32 v66, v[66:67]
	v_min3_f32 v66, v68, v66, v220
	v_add_f64 v[68:69], v[14:15], v[62:63]
	v_add_f64 v[70:71], v[12:13], v[60:61]
	v_cvt_f32_f64_e32 v67, v[70:71]
	v_cvt_f32_f64_e32 v68, v[68:69]
	v_min3_f32 v67, v67, v68, v216
	v_add_f64 v[68:69], v[10:11], v[62:63]
	v_add_f64 v[70:71], v[8:9], v[60:61]
	v_cvt_f32_f64_e32 v70, v[70:71]
	v_cvt_f32_f64_e32 v68, v[68:69]
	v_min3_f32 v74, v72, v73, v150
	v_min3_f32 v68, v70, v68, v209
	v_add_f64 v[70:71], v[6:7], v[62:63]
	v_add_f64 v[72:73], v[4:5], v[60:61]
	v_add_f64 v[62:63], v[2:3], v[62:63]
	v_add_f64 v[60:61], v[0:1], v[60:61]
	v_cvt_f32_f64_e32 v100, v[100:101]
	v_cvt_f32_f64_e32 v101, v[102:103]
	v_cvt_f32_f64_e32 v60, v[60:61]
	v_cvt_f32_f64_e32 v61, v[62:63]
	v_min3_f32 v197, v100, v101, v156
	v_min3_f32 v100, v60, v61, v143
	v_add_f64 v[60:61], v[34:35], v[58:59]
	v_add_f64 v[62:63], v[32:33], v[56:57]
	v_cvt_f32_f64_e32 v62, v[62:63]
	v_cvt_f32_f64_e32 v60, v[60:61]
	v_min3_f32 v101, v62, v60, v206
	v_add_f64 v[60:61], v[30:31], v[58:59]
	v_add_f64 v[62:63], v[28:29], v[56:57]
	v_cvt_f32_f64_e32 v62, v[62:63]
	v_cvt_f32_f64_e32 v60, v[60:61]
	v_min3_f32 v102, v62, v60, v205
	v_add_f64 v[60:61], v[26:27], v[58:59]
	v_add_f64 v[62:63], v[24:25], v[56:57]
	v_cvt_f32_f64_e32 v62, v[62:63]
	v_cvt_f32_f64_e32 v60, v[60:61]
	v_min3_f32 v103, v62, v60, v204
	v_add_f64 v[60:61], v[18:19], v[58:59]
	v_add_f64 v[62:63], v[16:17], v[56:57]
	v_cvt_f32_f64_e32 v106, v[106:107]
	v_cvt_f32_f64_e32 v104, v[104:105]
	v_cvt_f32_f64_e32 v62, v[62:63]
	v_cvt_f32_f64_e32 v60, v[60:61]
	v_min3_f32 v192, v106, v104, v157
	v_min3_f32 v104, v62, v60, v203
	v_add_f64 v[60:61], v[14:15], v[58:59]
	v_add_f64 v[62:63], v[12:13], v[56:57]
	v_cvt_f32_f64_e32 v62, v[62:63]
	v_cvt_f32_f64_e32 v60, v[60:61]
	v_min3_f32 v105, v62, v60, v202
	v_add_f64 v[60:61], v[10:11], v[58:59]
	v_add_f64 v[62:63], v[8:9], v[56:57]
	v_cvt_f32_f64_e32 v62, v[62:63]
	v_cvt_f32_f64_e32 v60, v[60:61]
	v_min3_f32 v106, v62, v60, v201
	v_add_f64 v[60:61], v[6:7], v[58:59]
	v_add_f64 v[62:63], v[4:5], v[56:57]
	v_add_f64 v[58:59], v[2:3], v[58:59]
	v_add_f64 v[56:57], v[0:1], v[56:57]
	v_cvt_f32_f64_e32 v110, v[110:111]
	v_cvt_f32_f64_e32 v108, v[108:109]
	v_cvt_f32_f64_e32 v56, v[56:57]
	v_cvt_f32_f64_e32 v57, v[58:59]
	v_min3_f32 v168, v110, v108, v168
	v_min3_f32 v108, v56, v57, v125
	v_add_f64 v[56:57], v[34:35], v[54:55]
	v_add_f64 v[58:59], v[32:33], v[52:53]
	v_cvt_f32_f64_e32 v58, v[58:59]
	v_cvt_f32_f64_e32 v56, v[56:57]
	v_min3_f32 v109, v58, v56, v126
	v_add_f64 v[56:57], v[30:31], v[54:55]
	v_add_f64 v[58:59], v[28:29], v[52:53]
	v_cvt_f32_f64_e32 v58, v[58:59]
	v_cvt_f32_f64_e32 v56, v[56:57]
	v_min3_f32 v110, v58, v56, v127
	v_add_f64 v[56:57], v[26:27], v[54:55]
	v_add_f64 v[58:59], v[24:25], v[52:53]
	v_cvt_f32_f64_e32 v58, v[58:59]
	v_cvt_f32_f64_e32 v56, v[56:57]
	v_min3_f32 v111, v58, v56, v196
	v_add_f64 v[56:57], v[18:19], v[54:55]
	v_add_f64 v[58:59], v[16:17], v[52:53]
	v_cvt_f32_f64_e32 v114, v[114:115]
	v_cvt_f32_f64_e32 v112, v[112:113]
	v_cvt_f32_f64_e32 v58, v[58:59]
	v_cvt_f32_f64_e32 v56, v[56:57]
	v_min3_f32 v176, v114, v112, v176
	v_min3_f32 v112, v58, v56, v195
	v_add_f64 v[56:57], v[14:15], v[54:55]
	v_add_f64 v[58:59], v[12:13], v[52:53]
	v_cvt_f32_f64_e32 v58, v[58:59]
	v_cvt_f32_f64_e32 v56, v[56:57]
	v_min3_f32 v113, v58, v56, v194
	v_add_f64 v[56:57], v[10:11], v[54:55]
	v_add_f64 v[58:59], v[8:9], v[52:53]
	v_cvt_f32_f64_e32 v58, v[58:59]
	v_cvt_f32_f64_e32 v56, v[56:57]
	;; [unrolled: 43-line block ×3, first 2 shown]
	v_min3_f32 v122, v54, v52, v185
	v_add_f64 v[52:53], v[6:7], v[50:51]
	v_add_f64 v[54:55], v[4:5], v[48:49]
	;; [unrolled: 1-line block ×4, first 2 shown]
	v_cvt_f32_f64_e32 v62, v[62:63]
	v_cvt_f32_f64_e32 v60, v[60:61]
	;; [unrolled: 1-line block ×4, first 2 shown]
	v_min3_f32 v107, v62, v60, v124
	v_min3_f32 v124, v48, v49, v183
	v_add_f64 v[48:49], v[34:35], v[46:47]
	v_add_f64 v[50:51], v[32:33], v[44:45]
	v_cvt_f32_f64_e32 v50, v[50:51]
	v_cvt_f32_f64_e32 v48, v[48:49]
	v_min3_f32 v125, v50, v48, v182
	v_add_f64 v[48:49], v[30:31], v[46:47]
	v_add_f64 v[50:51], v[28:29], v[44:45]
	v_cvt_f32_f64_e32 v50, v[50:51]
	v_cvt_f32_f64_e32 v48, v[48:49]
	;; [unrolled: 5-line block ×3, first 2 shown]
	v_cvt_f32_f64_e32 v218, v[218:219]
	v_min3_f32 v127, v50, v48, v180
	v_add_f64 v[48:49], v[18:19], v[46:47]
	v_add_f64 v[50:51], v[16:17], v[44:45]
	v_min3_f32 v142, v218, v142, v208
	v_cvt_f32_f64_e32 v69, v[72:73]
	v_cvt_f32_f64_e32 v70, v[70:71]
	;; [unrolled: 1-line block ×4, first 2 shown]
	v_min3_f32 v69, v69, v70, v142
	v_min3_f32 v142, v50, v48, v179
	v_add_f64 v[48:49], v[14:15], v[46:47]
	v_add_f64 v[50:51], v[12:13], v[44:45]
	v_cvt_f32_f64_e32 v50, v[50:51]
	v_cvt_f32_f64_e32 v48, v[48:49]
	v_min3_f32 v143, v50, v48, v178
	v_add_f64 v[48:49], v[10:11], v[46:47]
	v_add_f64 v[50:51], v[8:9], v[44:45]
	v_cvt_f32_f64_e32 v50, v[50:51]
	v_cvt_f32_f64_e32 v48, v[48:49]
	v_min3_f32 v148, v50, v48, v177
	v_add_f64 v[48:49], v[6:7], v[46:47]
	v_add_f64 v[50:51], v[4:5], v[44:45]
	;; [unrolled: 1-line block ×4, first 2 shown]
	v_cvt_f32_f64_e32 v44, v[44:45]
	v_cvt_f32_f64_e32 v45, v[46:47]
	v_min3_f32 v150, v44, v45, v175
	v_add_f64 v[44:45], v[34:35], v[42:43]
	v_add_f64 v[46:47], v[32:33], v[40:41]
	v_cvt_f32_f64_e32 v46, v[46:47]
	v_cvt_f32_f64_e32 v44, v[44:45]
	v_add_f64 v[82:83], v[82:83], v[86:87]
	v_add_f64 v[80:81], v[80:81], v[84:85]
	v_min3_f32 v151, v46, v44, v174
	v_add_f64 v[44:45], v[30:31], v[42:43]
	v_add_f64 v[46:47], v[28:29], v[40:41]
	v_cvt_f32_f64_e32 v80, v[80:81]
	v_cvt_f32_f64_e32 v81, v[82:83]
	v_cvt_f32_f64_e32 v46, v[46:47]
	v_cvt_f32_f64_e32 v44, v[44:45]
	v_add_f64 v[90:91], v[90:91], v[86:87]
	v_add_f64 v[88:89], v[88:89], v[84:85]
	v_min3_f32 v80, v80, v81, v152
	v_min3_f32 v152, v46, v44, v173
	v_add_f64 v[44:45], v[26:27], v[42:43]
	v_add_f64 v[46:47], v[24:25], v[40:41]
	v_cvt_f32_f64_e32 v88, v[88:89]
	v_cvt_f32_f64_e32 v89, v[90:91]
	v_cvt_f32_f64_e32 v46, v[46:47]
	v_cvt_f32_f64_e32 v44, v[44:45]
	v_add_f64 v[94:95], v[94:95], v[86:87]
	v_add_f64 v[92:93], v[92:93], v[84:85]
	v_min3_f32 v88, v88, v89, v153
	;; [unrolled: 10-line block ×3, first 2 shown]
	v_min3_f32 v154, v46, v44, v171
	v_add_f64 v[44:45], v[14:15], v[42:43]
	v_add_f64 v[46:47], v[12:13], v[40:41]
	v_cvt_f32_f64_e32 v96, v[96:97]
	v_cvt_f32_f64_e32 v97, v[98:99]
	;; [unrolled: 1-line block ×4, first 2 shown]
	v_min3_f32 v96, v96, v97, v155
	v_min3_f32 v155, v46, v44, v170
	v_add_f64 v[44:45], v[10:11], v[42:43]
	v_add_f64 v[46:47], v[8:9], v[40:41]
	v_cvt_f32_f64_e32 v46, v[46:47]
	v_cvt_f32_f64_e32 v44, v[44:45]
	v_min3_f32 v156, v46, v44, v169
	v_add_f64 v[44:45], v[6:7], v[42:43]
	v_add_f64 v[46:47], v[4:5], v[40:41]
	v_add_f64 v[42:43], v[2:3], v[42:43]
	v_add_f64 v[40:41], v[0:1], v[40:41]
	v_cvt_f32_f64_e32 v40, v[40:41]
	v_cvt_f32_f64_e32 v41, v[42:43]
	v_min3_f32 v160, v40, v41, v167
	v_add_f64 v[40:41], v[34:35], v[38:39]
	v_add_f64 v[42:43], v[32:33], v[36:37]
	v_cvt_f32_f64_e32 v42, v[42:43]
	v_cvt_f32_f64_e32 v40, v[40:41]
	v_min3_f32 v161, v42, v40, v166
	v_add_f64 v[40:41], v[30:31], v[38:39]
	v_add_f64 v[42:43], v[28:29], v[36:37]
	;; [unrolled: 5-line block ×7, first 2 shown]
	v_add_f64 v[38:39], v[2:3], v[38:39]
	v_add_f64 v[36:37], v[0:1], v[36:37]
	v_add_f64 v[34:35], v[34:35], v[22:23]
	v_add_f64 v[32:33], v[32:33], v[20:21]
	v_add_f64 v[30:31], v[30:31], v[22:23]
	v_add_f64 v[28:29], v[28:29], v[20:21]
	v_add_f64 v[26:27], v[26:27], v[22:23]
	v_add_f64 v[24:25], v[24:25], v[20:21]
	v_add_f64 v[18:19], v[18:19], v[22:23]
	v_add_f64 v[16:17], v[16:17], v[20:21]
	v_add_f64 v[14:15], v[14:15], v[22:23]
	v_add_f64 v[12:13], v[12:13], v[20:21]
	v_add_f64 v[10:11], v[10:11], v[22:23]
	v_add_f64 v[8:9], v[8:9], v[20:21]
	v_add_f64 v[6:7], v[6:7], v[22:23]
	v_add_f64 v[4:5], v[4:5], v[20:21]
	v_add_f64 v[2:3], v[2:3], v[22:23]
	v_add_f64 v[0:1], v[0:1], v[20:21]
	v_cvt_f32_f64_e32 v54, v[54:55]
	v_cvt_f32_f64_e32 v52, v[52:53]
	;; [unrolled: 1-line block ×24, first 2 shown]
	v_min3_f32 v123, v54, v52, v184
	v_min3_f32 v149, v50, v48, v176
	;; [unrolled: 1-line block ×12, first 2 shown]
	ds_read_b128 v[36:39], v211 offset:256
	ds_read_b128 v[32:35], v211 offset:512
	;; [unrolled: 1-line block ×12, first 2 shown]
	ds_read_b128 v[96:99], v158
	ds_read_b128 v[48:51], v211
	ds_read_b128 v[72:75], v158 offset:6144
	ds_read_b128 v[24:27], v158 offset:7168
	;; [unrolled: 1-line block ×4, first 2 shown]
	s_waitcnt lgkmcnt(5)
	v_add_f64 v[44:45], v[38:39], v[98:99]
	v_add_f64 v[46:47], v[36:37], v[96:97]
	;; [unrolled: 1-line block ×8, first 2 shown]
	v_cvt_f32_f64_e32 v46, v[46:47]
	v_cvt_f32_f64_e32 v44, v[44:45]
	;; [unrolled: 1-line block ×10, first 2 shown]
	v_min3_f32 v179, v46, v44, v64
	v_min3_f32 v184, v54, v52, v65
	;; [unrolled: 1-line block ×4, first 2 shown]
	v_add_f64 v[64:65], v[18:19], v[98:99]
	v_add_f64 v[66:67], v[16:17], v[96:97]
	v_min3_f32 v168, v42, v40, v192
	s_waitcnt lgkmcnt(4)
	v_add_f64 v[40:41], v[50:51], v[98:99]
	v_add_f64 v[42:43], v[48:49], v[96:97]
	v_cvt_f32_f64_e32 v66, v[66:67]
	v_cvt_f32_f64_e32 v64, v[64:65]
	v_add_f64 v[70:71], v[14:15], v[98:99]
	v_add_f64 v[180:181], v[12:13], v[96:97]
	;; [unrolled: 1-line block ×4, first 2 shown]
	v_min3_f32 v187, v66, v64, v68
	v_cvt_f32_f64_e32 v68, v[180:181]
	v_cvt_f32_f64_e32 v96, v[96:97]
	;; [unrolled: 1-line block ×3, first 2 shown]
	v_add_f64 v[180:181], v[50:51], v[94:95]
	v_add_f64 v[182:183], v[48:49], v[92:93]
	v_min3_f32 v189, v96, v97, v100
	v_cvt_f32_f64_e32 v100, v[182:183]
	v_cvt_f32_f64_e32 v180, v[180:181]
	v_min3_f32 v182, v100, v180, v101
	v_add_f64 v[100:101], v[38:39], v[94:95]
	v_add_f64 v[180:181], v[36:37], v[92:93]
	v_cvt_f32_f64_e32 v180, v[180:181]
	v_cvt_f32_f64_e32 v100, v[100:101]
	v_min3_f32 v183, v180, v100, v102
	v_add_f64 v[100:101], v[34:35], v[94:95]
	v_add_f64 v[180:181], v[32:33], v[92:93]
	;; [unrolled: 5-line block ×34, first 2 shown]
	v_cvt_f32_f64_e32 v102, v[102:103]
	v_cvt_f32_f64_e32 v100, v[100:101]
	v_min3_f32 v157, v102, v100, v157
	s_waitcnt lgkmcnt(3)
	v_add_f64 v[100:101], v[50:51], v[74:75]
	v_add_f64 v[102:103], v[48:49], v[72:73]
	v_cvt_f32_f64_e32 v102, v[102:103]
	v_cvt_f32_f64_e32 v100, v[100:101]
	v_min3_f32 v161, v102, v100, v161
	v_add_f64 v[100:101], v[38:39], v[74:75]
	v_add_f64 v[102:103], v[36:37], v[72:73]
	v_cvt_f32_f64_e32 v102, v[102:103]
	v_cvt_f32_f64_e32 v100, v[100:101]
	v_min3_f32 v162, v102, v100, v162
	;; [unrolled: 5-line block ×4, first 2 shown]
	v_add_f64 v[100:101], v[22:23], v[74:75]
	v_add_f64 v[102:103], v[20:21], v[72:73]
	v_cvt_f32_f64_e32 v102, v[102:103]
	v_cvt_f32_f64_e32 v100, v[100:101]
	;; [unrolled: 1-line block ×4, first 2 shown]
	v_min3_f32 v223, v102, v100, v166
	v_add_f64 v[100:101], v[18:19], v[74:75]
	v_add_f64 v[102:103], v[16:17], v[72:73]
	v_min3_f32 v178, v42, v40, v198
	ds_read_b128 v[40:43], v211 offset:272
	v_cvt_f32_f64_e32 v102, v[102:103]
	v_cvt_f32_f64_e32 v100, v[100:101]
	v_add_f64 v[94:95], v[10:11], v[94:95]
	v_add_f64 v[92:93], v[8:9], v[92:93]
	;; [unrolled: 1-line block ×10, first 2 shown]
	v_min3_f32 v224, v102, v100, v167
	v_add_f64 v[100:101], v[14:15], v[74:75]
	v_add_f64 v[102:103], v[12:13], v[72:73]
	;; [unrolled: 1-line block ×4, first 2 shown]
	s_waitcnt lgkmcnt(3)
	v_add_f64 v[14:15], v[14:15], v[26:27]
	v_add_f64 v[12:13], v[12:13], v[24:25]
	;; [unrolled: 1-line block ×4, first 2 shown]
	ds_read_b128 v[44:47], v211 offset:528
	ds_read_b128 v[52:55], v211 offset:784
	v_cvt_f32_f64_e32 v12, v[12:13]
	v_cvt_f32_f64_e32 v13, v[14:15]
	;; [unrolled: 1-line block ×4, first 2 shown]
	v_min3_f32 v12, v12, v13, v176
	v_min3_f32 v13, v8, v9, v177
	s_waitcnt lgkmcnt(3)
	v_add_f64 v[8:9], v[2:3], v[6:7]
	v_add_f64 v[10:11], v[0:1], v[4:5]
	v_cvt_f32_f64_e32 v72, v[72:73]
	v_cvt_f32_f64_e32 v73, v[74:75]
	;; [unrolled: 1-line block ×5, first 2 shown]
	v_min3_f32 v101, v72, v73, v169
	ds_read_b128 v[72:75], v158 offset:7184
	v_min3_f32 v221, v10, v8, v178
	s_waitcnt lgkmcnt(3)
	v_add_f64 v[8:9], v[42:43], v[6:7]
	v_add_f64 v[10:11], v[40:41], v[4:5]
	ds_read_b128 v[56:59], v211 offset:1040
	ds_read_b128 v[60:63], v211 offset:1296
	v_cvt_f32_f64_e32 v10, v[10:11]
	v_cvt_f32_f64_e32 v8, v[8:9]
	v_min3_f32 v220, v10, v8, v179
	s_waitcnt lgkmcnt(4)
	v_add_f64 v[8:9], v[46:47], v[6:7]
	v_add_f64 v[10:11], v[44:45], v[4:5]
	v_cvt_f32_f64_e32 v10, v[10:11]
	v_cvt_f32_f64_e32 v8, v[8:9]
	;; [unrolled: 1-line block ×3, first 2 shown]
	v_min3_f32 v219, v10, v8, v184
	s_waitcnt lgkmcnt(3)
	v_add_f64 v[8:9], v[54:55], v[6:7]
	v_add_f64 v[10:11], v[52:53], v[4:5]
	ds_read_b128 v[64:67], v211 offset:1552
	v_min3_f32 v188, v68, v70, v69
	ds_read_b128 v[68:71], v211 offset:1808
	v_cvt_f32_f64_e32 v10, v[10:11]
	v_cvt_f32_f64_e32 v8, v[8:9]
	v_min3_f32 v218, v10, v8, v185
	s_waitcnt lgkmcnt(3)
	v_add_f64 v[8:9], v[58:59], v[6:7]
	v_add_f64 v[10:11], v[56:57], v[4:5]
	ds_read_b128 v[96:99], v158 offset:1040
	v_cvt_f32_f64_e32 v10, v[10:11]
	v_cvt_f32_f64_e32 v8, v[8:9]
	v_min3_f32 v216, v10, v8, v186
	s_waitcnt lgkmcnt(3)
	v_add_f64 v[8:9], v[62:63], v[6:7]
	v_add_f64 v[10:11], v[60:61], v[4:5]
	v_cvt_f32_f64_e32 v10, v[10:11]
	v_cvt_f32_f64_e32 v8, v[8:9]
	v_min3_f32 v209, v10, v8, v187
	s_waitcnt lgkmcnt(2)
	v_add_f64 v[8:9], v[66:67], v[6:7]
	v_add_f64 v[10:11], v[64:65], v[4:5]
	s_waitcnt lgkmcnt(1)
	v_add_f64 v[6:7], v[70:71], v[6:7]
	v_add_f64 v[4:5], v[68:69], v[4:5]
	v_cvt_f32_f64_e32 v92, v[92:93]
	v_cvt_f32_f64_e32 v93, v[94:95]
	;; [unrolled: 1-line block ×4, first 2 shown]
	v_min3_f32 v108, v92, v93, v108
	ds_read_b128 v[92:95], v158 offset:2064
	v_min3_f32 v207, v4, v5, v189
	s_waitcnt lgkmcnt(1)
	v_add_f64 v[4:5], v[2:3], v[98:99]
	v_add_f64 v[6:7], v[0:1], v[96:97]
	v_cvt_f32_f64_e32 v6, v[6:7]
	v_cvt_f32_f64_e32 v4, v[4:5]
	v_min3_f32 v206, v6, v4, v182
	v_add_f64 v[4:5], v[42:43], v[98:99]
	v_add_f64 v[6:7], v[40:41], v[96:97]
	v_cvt_f32_f64_e32 v6, v[6:7]
	v_cvt_f32_f64_e32 v4, v[4:5]
	v_min3_f32 v205, v6, v4, v183
	;; [unrolled: 5-line block ×8, first 2 shown]
	s_waitcnt lgkmcnt(0)
	v_add_f64 v[4:5], v[2:3], v[94:95]
	v_add_f64 v[6:7], v[0:1], v[92:93]
	v_cvt_f32_f64_e32 v6, v[6:7]
	v_cvt_f32_f64_e32 v4, v[4:5]
	v_min3_f32 v198, v6, v4, v109
	v_add_f64 v[4:5], v[42:43], v[94:95]
	v_add_f64 v[6:7], v[40:41], v[92:93]
	v_cvt_f32_f64_e32 v6, v[6:7]
	v_cvt_f32_f64_e32 v4, v[4:5]
	v_min3_f32 v197, v6, v4, v110
	;; [unrolled: 5-line block ×4, first 2 shown]
	v_add_f64 v[4:5], v[58:59], v[94:95]
	v_add_f64 v[6:7], v[56:57], v[92:93]
	v_cvt_f32_f64_e32 v6, v[6:7]
	v_cvt_f32_f64_e32 v4, v[4:5]
	;; [unrolled: 1-line block ×4, first 2 shown]
	v_min3_f32 v194, v6, v4, v113
	v_add_f64 v[4:5], v[62:63], v[94:95]
	v_add_f64 v[6:7], v[60:61], v[92:93]
	v_min3_f32 v116, v88, v89, v116
	ds_read_b128 v[88:91], v158 offset:3088
	v_cvt_f32_f64_e32 v6, v[6:7]
	v_cvt_f32_f64_e32 v4, v[4:5]
	v_min3_f32 v193, v6, v4, v114
	v_add_f64 v[4:5], v[66:67], v[94:95]
	v_add_f64 v[6:7], v[64:65], v[92:93]
	v_cvt_f32_f64_e32 v6, v[6:7]
	v_cvt_f32_f64_e32 v4, v[4:5]
	v_min3_f32 v192, v6, v4, v115
	v_add_f64 v[4:5], v[70:71], v[94:95]
	v_add_f64 v[6:7], v[68:69], v[92:93]
	v_cvt_f32_f64_e32 v84, v[84:85]
	v_cvt_f32_f64_e32 v85, v[86:87]
	;; [unrolled: 1-line block ×4, first 2 shown]
	v_min3_f32 v124, v84, v85, v124
	ds_read_b128 v[84:87], v158 offset:4112
	v_min3_f32 v191, v6, v4, v116
	s_waitcnt lgkmcnt(1)
	v_add_f64 v[4:5], v[2:3], v[90:91]
	v_add_f64 v[6:7], v[0:1], v[88:89]
	v_cvt_f32_f64_e32 v6, v[6:7]
	v_cvt_f32_f64_e32 v4, v[4:5]
	v_min3_f32 v190, v6, v4, v117
	v_add_f64 v[4:5], v[42:43], v[90:91]
	v_add_f64 v[6:7], v[40:41], v[88:89]
	v_cvt_f32_f64_e32 v6, v[6:7]
	v_cvt_f32_f64_e32 v4, v[4:5]
	v_min3_f32 v189, v6, v4, v118
	v_add_f64 v[4:5], v[46:47], v[90:91]
	v_add_f64 v[6:7], v[44:45], v[88:89]
	v_cvt_f32_f64_e32 v10, v[10:11]
	v_cvt_f32_f64_e32 v8, v[8:9]
	;; [unrolled: 1-line block ×4, first 2 shown]
	v_min3_f32 v208, v10, v8, v188
	v_min3_f32 v188, v6, v4, v119
	v_add_f64 v[4:5], v[54:55], v[90:91]
	v_add_f64 v[6:7], v[52:53], v[88:89]
	v_cvt_f32_f64_e32 v6, v[6:7]
	v_cvt_f32_f64_e32 v4, v[4:5]
	v_min3_f32 v187, v6, v4, v120
	v_add_f64 v[4:5], v[58:59], v[90:91]
	v_add_f64 v[6:7], v[56:57], v[88:89]
	v_cvt_f32_f64_e32 v6, v[6:7]
	v_cvt_f32_f64_e32 v4, v[4:5]
	;; [unrolled: 5-line block ×5, first 2 shown]
	v_min3_f32 v183, v6, v4, v124
	s_waitcnt lgkmcnt(0)
	v_add_f64 v[4:5], v[2:3], v[86:87]
	v_add_f64 v[6:7], v[0:1], v[84:85]
	v_cvt_f32_f64_e32 v6, v[6:7]
	v_cvt_f32_f64_e32 v4, v[4:5]
	v_min3_f32 v182, v6, v4, v125
	v_add_f64 v[4:5], v[42:43], v[86:87]
	v_add_f64 v[6:7], v[40:41], v[84:85]
	v_cvt_f32_f64_e32 v6, v[6:7]
	v_cvt_f32_f64_e32 v4, v[4:5]
	v_min3_f32 v181, v6, v4, v126
	;; [unrolled: 5-line block ×4, first 2 shown]
	v_add_f64 v[4:5], v[58:59], v[86:87]
	v_add_f64 v[6:7], v[56:57], v[84:85]
	v_cvt_f32_f64_e32 v6, v[6:7]
	v_cvt_f32_f64_e32 v4, v[4:5]
	;; [unrolled: 1-line block ×4, first 2 shown]
	v_min3_f32 v178, v6, v4, v143
	v_add_f64 v[4:5], v[62:63], v[86:87]
	v_add_f64 v[6:7], v[60:61], v[84:85]
	v_min3_f32 v150, v80, v81, v150
	ds_read_b128 v[80:83], v158 offset:5136
	v_cvt_f32_f64_e32 v6, v[6:7]
	v_cvt_f32_f64_e32 v4, v[4:5]
	v_min3_f32 v177, v6, v4, v148
	v_add_f64 v[4:5], v[66:67], v[86:87]
	v_add_f64 v[6:7], v[64:65], v[84:85]
	v_cvt_f32_f64_e32 v6, v[6:7]
	v_cvt_f32_f64_e32 v4, v[4:5]
	v_add_f64 v[18:19], v[18:19], v[26:27]
	v_add_f64 v[16:17], v[16:17], v[24:25]
	v_min3_f32 v176, v6, v4, v149
	v_add_f64 v[4:5], v[70:71], v[86:87]
	v_add_f64 v[6:7], v[68:69], v[84:85]
	v_cvt_f32_f64_e32 v76, v[76:77]
	v_cvt_f32_f64_e32 v77, v[78:79]
	;; [unrolled: 1-line block ×6, first 2 shown]
	v_min3_f32 v160, v76, v77, v160
	ds_read_b128 v[76:79], v158 offset:6160
	v_add_f64 v[22:23], v[22:23], v[26:27]
	v_add_f64 v[20:21], v[20:21], v[24:25]
	v_min3_f32 v16, v16, v17, v175
	v_min3_f32 v175, v6, v4, v150
	s_waitcnt lgkmcnt(1)
	v_add_f64 v[4:5], v[2:3], v[82:83]
	v_add_f64 v[6:7], v[0:1], v[80:81]
	v_cvt_f32_f64_e32 v20, v[20:21]
	v_cvt_f32_f64_e32 v21, v[22:23]
	v_cvt_f32_f64_e32 v6, v[6:7]
	v_cvt_f32_f64_e32 v4, v[4:5]
	v_add_f64 v[30:31], v[30:31], v[26:27]
	v_add_f64 v[28:29], v[28:29], v[24:25]
	v_min3_f32 v20, v20, v21, v174
	v_min3_f32 v174, v6, v4, v151
	v_add_f64 v[4:5], v[42:43], v[82:83]
	v_add_f64 v[6:7], v[40:41], v[80:81]
	v_cvt_f32_f64_e32 v28, v[28:29]
	v_cvt_f32_f64_e32 v29, v[30:31]
	v_cvt_f32_f64_e32 v6, v[6:7]
	v_cvt_f32_f64_e32 v4, v[4:5]
	v_add_f64 v[34:35], v[34:35], v[26:27]
	v_add_f64 v[32:33], v[32:33], v[24:25]
	v_min3_f32 v28, v28, v29, v173
	v_min3_f32 v173, v6, v4, v152
	;; [unrolled: 10-line block ×4, first 2 shown]
	v_add_f64 v[4:5], v[58:59], v[82:83]
	v_add_f64 v[6:7], v[56:57], v[80:81]
	v_cvt_f32_f64_e32 v48, v[48:49]
	v_cvt_f32_f64_e32 v49, v[50:51]
	v_cvt_f32_f64_e32 v6, v[6:7]
	v_cvt_f32_f64_e32 v4, v[4:5]
	v_min3_f32 v48, v48, v49, v170
	v_min3_f32 v170, v6, v4, v155
	v_add_f64 v[4:5], v[62:63], v[82:83]
	v_add_f64 v[6:7], v[60:61], v[80:81]
	v_cvt_f32_f64_e32 v6, v[6:7]
	v_cvt_f32_f64_e32 v4, v[4:5]
	v_min3_f32 v169, v6, v4, v156
	v_add_f64 v[4:5], v[66:67], v[82:83]
	v_add_f64 v[6:7], v[64:65], v[80:81]
	v_cvt_f32_f64_e32 v102, v[102:103]
	v_cvt_f32_f64_e32 v6, v[6:7]
	;; [unrolled: 1-line block ×3, first 2 shown]
	v_min3_f32 v100, v102, v100, v168
	v_min3_f32 v168, v6, v4, v157
	v_add_f64 v[4:5], v[70:71], v[82:83]
	v_add_f64 v[6:7], v[68:69], v[80:81]
	v_cvt_f32_f64_e32 v6, v[6:7]
	v_cvt_f32_f64_e32 v4, v[4:5]
	v_min3_f32 v167, v6, v4, v160
	s_waitcnt lgkmcnt(0)
	v_add_f64 v[4:5], v[2:3], v[78:79]
	v_add_f64 v[6:7], v[0:1], v[76:77]
	;; [unrolled: 1-line block ×4, first 2 shown]
	v_cvt_f32_f64_e32 v6, v[6:7]
	v_cvt_f32_f64_e32 v4, v[4:5]
	v_cvt_f32_f64_e32 v0, v[0:1]
	v_cvt_f32_f64_e32 v1, v[2:3]
	v_min3_f32 v166, v6, v4, v161
	v_add_f64 v[4:5], v[42:43], v[78:79]
	v_add_f64 v[6:7], v[40:41], v[76:77]
	v_min3_f32 v155, v0, v1, v48
	v_add_f64 v[0:1], v[42:43], v[74:75]
	v_add_f64 v[2:3], v[40:41], v[72:73]
	v_cvt_f32_f64_e32 v6, v[6:7]
	v_cvt_f32_f64_e32 v4, v[4:5]
	v_cvt_f32_f64_e32 v2, v[2:3]
	v_cvt_f32_f64_e32 v0, v[0:1]
	v_min3_f32 v164, v6, v4, v162
	v_add_f64 v[4:5], v[46:47], v[78:79]
	v_add_f64 v[6:7], v[44:45], v[76:77]
	v_min3_f32 v154, v2, v0, v36
	v_add_f64 v[0:1], v[46:47], v[74:75]
	v_add_f64 v[2:3], v[44:45], v[72:73]
	;; [unrolled: 10-line block ×7, first 2 shown]
	v_cvt_f32_f64_e32 v6, v[6:7]
	v_cvt_f32_f64_e32 v4, v[4:5]
	;; [unrolled: 1-line block ×4, first 2 shown]
	s_add_i32 s36, s36, 8
	v_min3_f32 v156, v6, v4, v101
	v_min3_f32 v148, v2, v0, v13
	s_cmp_ge_i32 s36, s39
	v_lshl_add_u64 v[130:131], v[130:131], 0, 64
	ds_write_b64 v212, v[132:133]
	ds_write2st64_b64 v213, v[134:135], v[136:137] offset1:4
	ds_write2st64_b64 v213, v[138:139], v[140:141] offset0:8 offset1:12
	s_waitcnt lgkmcnt(0)
	s_barrier
	s_cbranch_scc1 .LBB179_59
.LBB179_35:                             ; =>This Inner Loop Header: Depth=1
	v_add_u32_e32 v142, s36, v146
	v_add_u32_e32 v0, 8, v142
	v_cmp_le_i32_e64 s[10:11], s26, v0
	s_or_b64 s[10:11], s[10:11], vcc
	s_nor_b64 s[14:15], s[16:17], s[10:11]
                                        ; implicit-def: $vgpr132_vgpr133
	s_and_saveexec_b64 s[42:43], s[14:15]
	s_xor_b64 s[14:15], exec, s[42:43]
	s_cbranch_execz .LBB179_37
; %bb.36:                               ;   in Loop: Header=BB179_35 Depth=1
	global_load_dwordx2 v[0:1], v[130:131], off
	s_waitcnt vmcnt(0)
	v_mul_f64 v[132:133], s[28:29], v[0:1]
.LBB179_37:                             ;   in Loop: Header=BB179_35 Depth=1
	s_andn2_saveexec_b64 s[14:15], s[14:15]
; %bb.38:                               ;   in Loop: Header=BB179_35 Depth=1
	v_cndmask_b32_e64 v133, 0, v217, s[10:11]
	v_cndmask_b32_e64 v132, 0, -1, s[10:11]
; %bb.39:                               ;   in Loop: Header=BB179_35 Depth=1
	s_or_b64 exec, exec, s[14:15]
	v_add_u32_e32 v143, s36, v147
	v_add_u32_e32 v0, 8, v143
	v_cmp_le_i32_e64 s[10:11], s26, v0
	v_min_i32_e32 v0, s40, v0
	v_mad_i64_i32 v[0:1], s[14:15], v0, s27, 0
	v_lshl_add_u64 v[0:1], v[0:1], 3, s[34:35]
	s_or_b64 s[14:15], s[12:13], s[10:11]
	v_cndmask_b32_e64 v135, 0, v217, s[14:15]
	s_nor_b64 s[42:43], s[16:17], s[14:15]
	v_cndmask_b32_e64 v134, 0, -1, s[14:15]
	v_lshl_add_u64 v[0:1], v[128:129], 3, v[0:1]
	s_and_saveexec_b64 s[14:15], s[42:43]
	s_cbranch_execz .LBB179_41
; %bb.40:                               ;   in Loop: Header=BB179_35 Depth=1
	global_load_dwordx2 v[2:3], v[0:1], off
	s_waitcnt vmcnt(0)
	v_mul_f64 v[134:135], s[28:29], v[2:3]
.LBB179_41:                             ;   in Loop: Header=BB179_35 Depth=1
	s_or_b64 exec, exec, s[14:15]
	s_or_b64 s[14:15], s[4:5], s[10:11]
	v_cndmask_b32_e64 v137, 0, v217, s[14:15]
	s_nor_b64 s[42:43], s[16:17], s[14:15]
	v_cndmask_b32_e64 v136, 0, -1, s[14:15]
	s_and_saveexec_b64 s[14:15], s[42:43]
	s_cbranch_execz .LBB179_43
; %bb.42:                               ;   in Loop: Header=BB179_35 Depth=1
	global_load_dwordx2 v[2:3], v[0:1], off offset:512
	s_waitcnt vmcnt(0)
	v_mul_f64 v[136:137], s[28:29], v[2:3]
.LBB179_43:                             ;   in Loop: Header=BB179_35 Depth=1
	s_or_b64 exec, exec, s[14:15]
	s_or_b64 s[14:15], s[6:7], s[10:11]
	v_cndmask_b32_e64 v139, 0, v217, s[14:15]
	s_nor_b64 s[42:43], s[16:17], s[14:15]
	v_cndmask_b32_e64 v138, 0, -1, s[14:15]
	s_and_saveexec_b64 s[14:15], s[42:43]
	s_cbranch_execz .LBB179_45
; %bb.44:                               ;   in Loop: Header=BB179_35 Depth=1
	global_load_dwordx2 v[2:3], v[0:1], off offset:1024
	s_waitcnt vmcnt(0)
	v_mul_f64 v[138:139], s[28:29], v[2:3]
.LBB179_45:                             ;   in Loop: Header=BB179_35 Depth=1
	;; [unrolled: 12-line block ×3, first 2 shown]
	s_or_b64 exec, exec, s[10:11]
	ds_read_b128 v[124:127], v215
	ds_read_b128 v[60:63], v215 offset:16
	ds_read_b128 v[96:99], v214
	ds_read_b128 v[32:35], v214 offset:16
	ds_read_b128 v[92:95], v214 offset:256
	;; [unrolled: 1-line block ×29, first 2 shown]
	ds_write_b64 v210, v[132:133]
	ds_write2st64_b64 v165, v[134:135], v[136:137] offset1:4
	ds_write2st64_b64 v165, v[138:139], v[140:141] offset0:8 offset1:12
	v_add_u32_e32 v132, 12, v142
	v_cmp_le_i32_e64 s[10:11], s26, v132
	s_or_b64 s[10:11], s[10:11], vcc
	s_nor_b64 s[14:15], s[16:17], s[10:11]
	s_waitcnt lgkmcnt(0)
	s_barrier
                                        ; implicit-def: $vgpr132_vgpr133
	s_and_saveexec_b64 s[42:43], s[14:15]
	s_xor_b64 s[14:15], exec, s[42:43]
	s_cbranch_execz .LBB179_49
; %bb.48:                               ;   in Loop: Header=BB179_35 Depth=1
	global_load_dwordx2 v[132:133], v[130:131], off offset:32
	s_waitcnt vmcnt(0)
	v_mul_f64 v[132:133], s[28:29], v[132:133]
.LBB179_49:                             ;   in Loop: Header=BB179_35 Depth=1
	s_andn2_saveexec_b64 s[14:15], s[14:15]
; %bb.50:                               ;   in Loop: Header=BB179_35 Depth=1
	v_cndmask_b32_e64 v133, 0, v217, s[10:11]
	v_cndmask_b32_e64 v132, 0, -1, s[10:11]
; %bb.51:                               ;   in Loop: Header=BB179_35 Depth=1
	s_or_b64 exec, exec, s[14:15]
	v_add_u32_e32 v134, 12, v143
	v_cmp_le_i32_e64 s[10:11], s26, v134
	v_min_i32_e32 v134, s40, v134
	v_mad_i64_i32 v[134:135], s[14:15], v134, s27, 0
	v_lshl_add_u64 v[136:137], v[134:135], 3, s[34:35]
	s_or_b64 s[14:15], s[12:13], s[10:11]
	v_cndmask_b32_e64 v135, 0, v217, s[14:15]
	s_nor_b64 s[42:43], s[16:17], s[14:15]
	v_cndmask_b32_e64 v134, 0, -1, s[14:15]
	v_lshl_add_u64 v[142:143], v[128:129], 3, v[136:137]
	s_and_saveexec_b64 s[14:15], s[42:43]
	s_cbranch_execz .LBB179_53
; %bb.52:                               ;   in Loop: Header=BB179_35 Depth=1
	global_load_dwordx2 v[134:135], v[142:143], off
	s_waitcnt vmcnt(0)
	v_mul_f64 v[134:135], s[28:29], v[134:135]
.LBB179_53:                             ;   in Loop: Header=BB179_35 Depth=1
	s_or_b64 exec, exec, s[14:15]
	s_or_b64 s[14:15], s[4:5], s[10:11]
	v_cndmask_b32_e64 v137, 0, v217, s[14:15]
	s_nor_b64 s[42:43], s[16:17], s[14:15]
	v_cndmask_b32_e64 v136, 0, -1, s[14:15]
	s_and_saveexec_b64 s[14:15], s[42:43]
	s_cbranch_execz .LBB179_55
; %bb.54:                               ;   in Loop: Header=BB179_35 Depth=1
	global_load_dwordx2 v[136:137], v[142:143], off offset:512
	s_waitcnt vmcnt(0)
	v_mul_f64 v[136:137], s[28:29], v[136:137]
.LBB179_55:                             ;   in Loop: Header=BB179_35 Depth=1
	s_or_b64 exec, exec, s[14:15]
	s_or_b64 s[14:15], s[6:7], s[10:11]
	v_cndmask_b32_e64 v139, 0, v217, s[14:15]
	s_nor_b64 s[42:43], s[16:17], s[14:15]
	v_cndmask_b32_e64 v138, 0, -1, s[14:15]
	s_and_saveexec_b64 s[14:15], s[42:43]
	s_cbranch_execz .LBB179_57
; %bb.56:                               ;   in Loop: Header=BB179_35 Depth=1
	global_load_dwordx2 v[138:139], v[142:143], off offset:1024
	s_waitcnt vmcnt(0)
	v_mul_f64 v[138:139], s[28:29], v[138:139]
.LBB179_57:                             ;   in Loop: Header=BB179_35 Depth=1
	s_or_b64 exec, exec, s[14:15]
	s_or_b64 s[10:11], s[8:9], s[10:11]
	v_cndmask_b32_e64 v141, 0, v217, s[10:11]
	s_nor_b64 s[14:15], s[16:17], s[10:11]
	v_cndmask_b32_e64 v140, 0, -1, s[10:11]
	s_and_saveexec_b64 s[10:11], s[14:15]
	s_cbranch_execz .LBB179_34
; %bb.58:                               ;   in Loop: Header=BB179_35 Depth=1
	global_load_dwordx2 v[140:141], v[142:143], off offset:1536
	s_waitcnt vmcnt(0)
	v_mul_f64 v[140:141], s[28:29], v[140:141]
	s_branch .LBB179_34
.LBB179_59:
	s_load_dwordx2 s[4:5], s[0:1], 0x78
	s_load_dword s29, s[0:1], 0x58
	s_load_dword s28, s[0:1], 0x70
	ds_read_b128 v[68:71], v159 offset:18432
	ds_read_b128 v[64:67], v159 offset:18448
	;; [unrolled: 1-line block ×32, first 2 shown]
	v_add_u32_e32 v158, s33, v145
	s_waitcnt lgkmcnt(0)
	s_mul_i32 s1, s5, s3
	s_mul_hi_u32 s5, s4, s3
	s_mul_i32 s0, s4, s3
	s_add_i32 s1, s5, s1
	s_lshl_b64 s[0:1], s[0:1], 3
	s_add_u32 s26, s18, s0
	s_addc_u32 s27, s19, s1
	v_mad_i64_i32 v[130:131], s[0:1], v158, s29, 0
	v_add_u32_e32 v128, s2, v144
	v_lshl_add_u64 v[146:147], v[130:131], 3, s[30:31]
	v_mad_i64_i32 v[130:131], s[0:1], v158, s28, 0
	v_cmp_gt_i32_e64 s[2:3], s24, v128
	v_cmp_gt_i32_e64 s[18:19], s25, v158
	v_lshl_add_u64 v[144:145], v[130:131], 3, s[26:27]
	v_cndmask_b32_e64 v130, 0, 1, s[20:21]
	v_ashrrev_i32_e32 v129, 31, v128
	s_and_b64 s[6:7], s[2:3], s[18:19]
	v_cmp_ne_u32_e64 s[0:1], 1, v130
	s_and_saveexec_b64 s[4:5], s[6:7]
	s_cbranch_execz .LBB179_64
; %bb.60:
	s_and_b64 vcc, exec, s[0:1]
	s_cbranch_vccnz .LBB179_62
; %bb.61:
	v_lshl_add_u64 v[130:131], v[128:129], 3, v[146:147]
	global_load_dwordx2 v[130:131], v[130:131], off
	s_waitcnt vmcnt(0)
	v_mul_f64 v[130:131], s[22:23], v[130:131]
	v_cvt_f32_f64_e32 v130, v[130:131]
	s_branch .LBB179_63
.LBB179_62:
	v_mov_b32_e32 v130, 0
.LBB179_63:
	v_add_f64 v[132:133], v[70:71], v[126:127]
	v_add_f64 v[134:135], v[68:69], v[124:125]
	v_cvt_f32_f64_e32 v131, v[134:135]
	v_cvt_f32_f64_e32 v132, v[132:133]
	v_min3_f32 v131, v131, v132, v221
	v_add_f64 v[132:133], v[66:67], v[122:123]
	v_add_f64 v[134:135], v[64:65], v[120:121]
	v_cvt_f32_f64_e32 v134, v[134:135]
	v_cvt_f32_f64_e32 v132, v[132:133]
	v_min_f32_e32 v132, v134, v132
	v_min3_f32 v130, v130, v132, v131
	v_cvt_f64_f32_e32 v[130:131], v130
	v_lshl_add_u64 v[132:133], v[128:129], 3, v[144:145]
	global_store_dwordx2 v[132:133], v[130:131], off
.LBB179_64:
	s_or_b64 exec, exec, s[4:5]
	v_add_u32_e32 v130, 8, v128
	v_cmp_gt_i32_e64 s[4:5], s24, v130
	v_ashrrev_i32_e32 v131, 31, v130
	s_and_b64 s[8:9], s[4:5], s[18:19]
	s_and_saveexec_b64 s[6:7], s[8:9]
	s_cbranch_execz .LBB179_69
; %bb.65:
	s_and_b64 vcc, exec, s[0:1]
	s_cbranch_vccnz .LBB179_67
; %bb.66:
	v_lshl_add_u64 v[132:133], v[130:131], 3, v[146:147]
	global_load_dwordx2 v[132:133], v[132:133], off
	s_waitcnt vmcnt(0)
	v_mul_f64 v[132:133], s[22:23], v[132:133]
	v_cvt_f32_f64_e32 v132, v[132:133]
	s_branch .LBB179_68
.LBB179_67:
	v_mov_b32_e32 v132, 0
.LBB179_68:
	v_add_f64 v[134:135], v[62:63], v[126:127]
	v_add_f64 v[136:137], v[60:61], v[124:125]
	v_cvt_f32_f64_e32 v133, v[136:137]
	v_cvt_f32_f64_e32 v134, v[134:135]
	v_min3_f32 v133, v133, v134, v220
	v_add_f64 v[134:135], v[58:59], v[122:123]
	v_add_f64 v[136:137], v[56:57], v[120:121]
	v_cvt_f32_f64_e32 v136, v[136:137]
	v_cvt_f32_f64_e32 v134, v[134:135]
	v_min_f32_e32 v134, v136, v134
	v_min3_f32 v132, v132, v134, v133
	v_cvt_f64_f32_e32 v[132:133], v132
	v_lshl_add_u64 v[134:135], v[130:131], 3, v[144:145]
	global_store_dwordx2 v[134:135], v[132:133], off
.LBB179_69:
	s_or_b64 exec, exec, s[6:7]
	v_add_u32_e32 v132, 16, v128
	v_cmp_gt_i32_e64 s[6:7], s24, v132
	v_ashrrev_i32_e32 v133, 31, v132
	s_and_b64 s[10:11], s[6:7], s[18:19]
	;; [unrolled: 35-line block ×7, first 2 shown]
	s_and_saveexec_b64 s[18:19], s[20:21]
	s_cbranch_execz .LBB179_99
; %bb.95:
	s_and_b64 vcc, exec, s[0:1]
	s_cbranch_vccnz .LBB179_97
; %bb.96:
	v_lshl_add_u64 v[146:147], v[142:143], 3, v[146:147]
	global_load_dwordx2 v[146:147], v[146:147], off
	s_waitcnt vmcnt(0)
	v_mul_f64 v[146:147], s[22:23], v[146:147]
	v_cvt_f32_f64_e32 v146, v[146:147]
	s_branch .LBB179_98
.LBB179_97:
	v_mov_b32_e32 v146, 0
.LBB179_98:
	v_add_f64 v[126:127], v[6:7], v[126:127]
	v_add_f64 v[124:125], v[4:5], v[124:125]
	v_add_f64 v[122:123], v[2:3], v[122:123]
	v_add_f64 v[120:121], v[0:1], v[120:121]
	v_cvt_f32_f64_e32 v124, v[124:125]
	v_cvt_f32_f64_e32 v125, v[126:127]
	;; [unrolled: 1-line block ×4, first 2 shown]
	v_min3_f32 v124, v124, v125, v207
	v_min_f32_e32 v120, v120, v121
	v_min3_f32 v120, v146, v120, v124
	v_cvt_f64_f32_e32 v[120:121], v120
	v_lshl_add_u64 v[122:123], v[142:143], 3, v[144:145]
	global_store_dwordx2 v[122:123], v[120:121], off
.LBB179_99:
	s_or_b64 exec, exec, s[18:19]
	v_add_u32_e32 v124, 32, v158
	v_mad_i64_i32 v[120:121], s[20:21], v124, s29, 0
	v_cmp_gt_i32_e64 s[18:19], s25, v124
	v_lshl_add_u64 v[122:123], v[120:121], 3, s[30:31]
	v_mad_i64_i32 v[120:121], s[20:21], v124, s28, 0
	v_lshl_add_u64 v[120:121], v[120:121], 3, s[26:27]
	s_and_b64 s[34:35], s[2:3], s[18:19]
	s_and_saveexec_b64 s[20:21], s[34:35]
	s_cbranch_execnz .LBB179_107
; %bb.100:
	s_or_b64 exec, exec, s[20:21]
	s_and_b64 s[34:35], s[4:5], s[18:19]
	s_and_saveexec_b64 s[20:21], s[34:35]
	s_cbranch_execnz .LBB179_111
.LBB179_101:
	s_or_b64 exec, exec, s[20:21]
	s_and_b64 s[34:35], s[6:7], s[18:19]
	s_and_saveexec_b64 s[20:21], s[34:35]
	s_cbranch_execnz .LBB179_115
.LBB179_102:
	s_or_b64 exec, exec, s[20:21]
	s_and_b64 s[34:35], s[8:9], s[18:19]
	s_and_saveexec_b64 s[20:21], s[34:35]
	s_cbranch_execnz .LBB179_119
.LBB179_103:
	s_or_b64 exec, exec, s[20:21]
	s_and_b64 s[34:35], s[10:11], s[18:19]
	s_and_saveexec_b64 s[20:21], s[34:35]
	s_cbranch_execnz .LBB179_123
.LBB179_104:
	s_or_b64 exec, exec, s[20:21]
	s_and_b64 s[34:35], s[12:13], s[18:19]
	s_and_saveexec_b64 s[20:21], s[34:35]
	s_cbranch_execnz .LBB179_127
.LBB179_105:
	s_or_b64 exec, exec, s[20:21]
	s_and_b64 s[34:35], s[14:15], s[18:19]
	s_and_saveexec_b64 s[20:21], s[34:35]
	s_cbranch_execnz .LBB179_131
.LBB179_106:
	s_or_b64 exec, exec, s[20:21]
	s_and_b64 s[20:21], s[16:17], s[18:19]
	s_and_saveexec_b64 s[18:19], s[20:21]
	s_cbranch_execnz .LBB179_135
	s_branch .LBB179_139
.LBB179_107:
	s_and_b64 vcc, exec, s[0:1]
	s_cbranch_vccnz .LBB179_109
; %bb.108:
	v_lshl_add_u64 v[124:125], v[128:129], 3, v[122:123]
	global_load_dwordx2 v[124:125], v[124:125], off
	s_waitcnt vmcnt(0)
	v_mul_f64 v[124:125], s[22:23], v[124:125]
	v_cvt_f32_f64_e32 v124, v[124:125]
	s_branch .LBB179_110
.LBB179_109:
	v_mov_b32_e32 v124, 0
.LBB179_110:
	v_add_f64 v[126:127], v[70:71], v[118:119]
	v_add_f64 v[144:145], v[68:69], v[116:117]
	v_cvt_f32_f64_e32 v125, v[144:145]
	v_cvt_f32_f64_e32 v126, v[126:127]
	v_min3_f32 v125, v125, v126, v206
	v_add_f64 v[126:127], v[66:67], v[114:115]
	v_add_f64 v[144:145], v[64:65], v[112:113]
	v_cvt_f32_f64_e32 v144, v[144:145]
	v_cvt_f32_f64_e32 v126, v[126:127]
	v_min_f32_e32 v126, v144, v126
	v_min3_f32 v124, v124, v126, v125
	v_cvt_f64_f32_e32 v[124:125], v124
	v_lshl_add_u64 v[126:127], v[128:129], 3, v[120:121]
	global_store_dwordx2 v[126:127], v[124:125], off
	s_or_b64 exec, exec, s[20:21]
	s_and_b64 s[34:35], s[4:5], s[18:19]
	s_and_saveexec_b64 s[20:21], s[34:35]
	s_cbranch_execz .LBB179_101
.LBB179_111:
	s_and_b64 vcc, exec, s[0:1]
	s_cbranch_vccnz .LBB179_113
; %bb.112:
	v_lshl_add_u64 v[124:125], v[130:131], 3, v[122:123]
	global_load_dwordx2 v[124:125], v[124:125], off
	s_waitcnt vmcnt(0)
	v_mul_f64 v[124:125], s[22:23], v[124:125]
	v_cvt_f32_f64_e32 v124, v[124:125]
	s_branch .LBB179_114
.LBB179_113:
	v_mov_b32_e32 v124, 0
.LBB179_114:
	v_add_f64 v[126:127], v[62:63], v[118:119]
	v_add_f64 v[144:145], v[60:61], v[116:117]
	v_cvt_f32_f64_e32 v125, v[144:145]
	v_cvt_f32_f64_e32 v126, v[126:127]
	v_min3_f32 v125, v125, v126, v205
	v_add_f64 v[126:127], v[58:59], v[114:115]
	v_add_f64 v[144:145], v[56:57], v[112:113]
	v_cvt_f32_f64_e32 v144, v[144:145]
	v_cvt_f32_f64_e32 v126, v[126:127]
	v_min_f32_e32 v126, v144, v126
	v_min3_f32 v124, v124, v126, v125
	v_cvt_f64_f32_e32 v[124:125], v124
	v_lshl_add_u64 v[126:127], v[130:131], 3, v[120:121]
	global_store_dwordx2 v[126:127], v[124:125], off
	s_or_b64 exec, exec, s[20:21]
	s_and_b64 s[34:35], s[6:7], s[18:19]
	s_and_saveexec_b64 s[20:21], s[34:35]
	s_cbranch_execz .LBB179_102
.LBB179_115:
	s_and_b64 vcc, exec, s[0:1]
	s_cbranch_vccnz .LBB179_117
; %bb.116:
	v_lshl_add_u64 v[124:125], v[132:133], 3, v[122:123]
	global_load_dwordx2 v[124:125], v[124:125], off
	s_waitcnt vmcnt(0)
	v_mul_f64 v[124:125], s[22:23], v[124:125]
	v_cvt_f32_f64_e32 v124, v[124:125]
	s_branch .LBB179_118
.LBB179_117:
	v_mov_b32_e32 v124, 0
.LBB179_118:
	v_add_f64 v[126:127], v[54:55], v[118:119]
	v_add_f64 v[144:145], v[52:53], v[116:117]
	v_cvt_f32_f64_e32 v125, v[144:145]
	v_cvt_f32_f64_e32 v126, v[126:127]
	v_min3_f32 v125, v125, v126, v204
	v_add_f64 v[126:127], v[50:51], v[114:115]
	v_add_f64 v[144:145], v[48:49], v[112:113]
	v_cvt_f32_f64_e32 v144, v[144:145]
	v_cvt_f32_f64_e32 v126, v[126:127]
	v_min_f32_e32 v126, v144, v126
	v_min3_f32 v124, v124, v126, v125
	v_cvt_f64_f32_e32 v[124:125], v124
	v_lshl_add_u64 v[126:127], v[132:133], 3, v[120:121]
	global_store_dwordx2 v[126:127], v[124:125], off
	s_or_b64 exec, exec, s[20:21]
	s_and_b64 s[34:35], s[8:9], s[18:19]
	s_and_saveexec_b64 s[20:21], s[34:35]
	s_cbranch_execz .LBB179_103
.LBB179_119:
	s_and_b64 vcc, exec, s[0:1]
	s_cbranch_vccnz .LBB179_121
; %bb.120:
	v_lshl_add_u64 v[124:125], v[134:135], 3, v[122:123]
	global_load_dwordx2 v[124:125], v[124:125], off
	s_waitcnt vmcnt(0)
	v_mul_f64 v[124:125], s[22:23], v[124:125]
	v_cvt_f32_f64_e32 v124, v[124:125]
	s_branch .LBB179_122
.LBB179_121:
	v_mov_b32_e32 v124, 0
.LBB179_122:
	v_add_f64 v[126:127], v[46:47], v[118:119]
	v_add_f64 v[144:145], v[44:45], v[116:117]
	v_cvt_f32_f64_e32 v125, v[144:145]
	v_cvt_f32_f64_e32 v126, v[126:127]
	v_min3_f32 v125, v125, v126, v203
	v_add_f64 v[126:127], v[42:43], v[114:115]
	v_add_f64 v[144:145], v[40:41], v[112:113]
	v_cvt_f32_f64_e32 v144, v[144:145]
	v_cvt_f32_f64_e32 v126, v[126:127]
	v_min_f32_e32 v126, v144, v126
	v_min3_f32 v124, v124, v126, v125
	v_cvt_f64_f32_e32 v[124:125], v124
	v_lshl_add_u64 v[126:127], v[134:135], 3, v[120:121]
	global_store_dwordx2 v[126:127], v[124:125], off
	s_or_b64 exec, exec, s[20:21]
	s_and_b64 s[34:35], s[10:11], s[18:19]
	s_and_saveexec_b64 s[20:21], s[34:35]
	s_cbranch_execz .LBB179_104
.LBB179_123:
	s_and_b64 vcc, exec, s[0:1]
	s_cbranch_vccnz .LBB179_125
; %bb.124:
	v_lshl_add_u64 v[124:125], v[136:137], 3, v[122:123]
	global_load_dwordx2 v[124:125], v[124:125], off
	s_waitcnt vmcnt(0)
	v_mul_f64 v[124:125], s[22:23], v[124:125]
	v_cvt_f32_f64_e32 v124, v[124:125]
	s_branch .LBB179_126
.LBB179_125:
	v_mov_b32_e32 v124, 0
.LBB179_126:
	v_add_f64 v[126:127], v[38:39], v[118:119]
	v_add_f64 v[144:145], v[36:37], v[116:117]
	v_cvt_f32_f64_e32 v125, v[144:145]
	v_cvt_f32_f64_e32 v126, v[126:127]
	v_min3_f32 v125, v125, v126, v202
	v_add_f64 v[126:127], v[34:35], v[114:115]
	v_add_f64 v[144:145], v[32:33], v[112:113]
	v_cvt_f32_f64_e32 v144, v[144:145]
	v_cvt_f32_f64_e32 v126, v[126:127]
	v_min_f32_e32 v126, v144, v126
	v_min3_f32 v124, v124, v126, v125
	v_cvt_f64_f32_e32 v[124:125], v124
	v_lshl_add_u64 v[126:127], v[136:137], 3, v[120:121]
	global_store_dwordx2 v[126:127], v[124:125], off
	s_or_b64 exec, exec, s[20:21]
	s_and_b64 s[34:35], s[12:13], s[18:19]
	s_and_saveexec_b64 s[20:21], s[34:35]
	s_cbranch_execz .LBB179_105
.LBB179_127:
	s_and_b64 vcc, exec, s[0:1]
	s_cbranch_vccnz .LBB179_129
; %bb.128:
	v_lshl_add_u64 v[124:125], v[138:139], 3, v[122:123]
	global_load_dwordx2 v[124:125], v[124:125], off
	s_waitcnt vmcnt(0)
	v_mul_f64 v[124:125], s[22:23], v[124:125]
	v_cvt_f32_f64_e32 v124, v[124:125]
	s_branch .LBB179_130
.LBB179_129:
	v_mov_b32_e32 v124, 0
.LBB179_130:
	v_add_f64 v[126:127], v[30:31], v[118:119]
	v_add_f64 v[144:145], v[28:29], v[116:117]
	v_cvt_f32_f64_e32 v125, v[144:145]
	v_cvt_f32_f64_e32 v126, v[126:127]
	v_min3_f32 v125, v125, v126, v201
	v_add_f64 v[126:127], v[26:27], v[114:115]
	v_add_f64 v[144:145], v[24:25], v[112:113]
	v_cvt_f32_f64_e32 v144, v[144:145]
	v_cvt_f32_f64_e32 v126, v[126:127]
	v_min_f32_e32 v126, v144, v126
	v_min3_f32 v124, v124, v126, v125
	v_cvt_f64_f32_e32 v[124:125], v124
	v_lshl_add_u64 v[126:127], v[138:139], 3, v[120:121]
	global_store_dwordx2 v[126:127], v[124:125], off
	s_or_b64 exec, exec, s[20:21]
	s_and_b64 s[34:35], s[14:15], s[18:19]
	s_and_saveexec_b64 s[20:21], s[34:35]
	s_cbranch_execz .LBB179_106
.LBB179_131:
	s_and_b64 vcc, exec, s[0:1]
	s_cbranch_vccnz .LBB179_133
; %bb.132:
	v_lshl_add_u64 v[124:125], v[140:141], 3, v[122:123]
	global_load_dwordx2 v[124:125], v[124:125], off
	s_waitcnt vmcnt(0)
	v_mul_f64 v[124:125], s[22:23], v[124:125]
	v_cvt_f32_f64_e32 v124, v[124:125]
	s_branch .LBB179_134
.LBB179_133:
	v_mov_b32_e32 v124, 0
.LBB179_134:
	v_add_f64 v[126:127], v[22:23], v[118:119]
	v_add_f64 v[144:145], v[20:21], v[116:117]
	v_cvt_f32_f64_e32 v125, v[144:145]
	v_cvt_f32_f64_e32 v126, v[126:127]
	v_min3_f32 v125, v125, v126, v200
	v_add_f64 v[126:127], v[18:19], v[114:115]
	v_add_f64 v[144:145], v[16:17], v[112:113]
	v_cvt_f32_f64_e32 v144, v[144:145]
	v_cvt_f32_f64_e32 v126, v[126:127]
	v_min_f32_e32 v126, v144, v126
	v_min3_f32 v124, v124, v126, v125
	v_cvt_f64_f32_e32 v[124:125], v124
	v_lshl_add_u64 v[126:127], v[140:141], 3, v[120:121]
	global_store_dwordx2 v[126:127], v[124:125], off
	s_or_b64 exec, exec, s[20:21]
	s_and_b64 s[20:21], s[16:17], s[18:19]
	s_and_saveexec_b64 s[18:19], s[20:21]
	s_cbranch_execz .LBB179_139
.LBB179_135:
	s_and_b64 vcc, exec, s[0:1]
	s_cbranch_vccnz .LBB179_137
; %bb.136:
	v_lshl_add_u64 v[122:123], v[142:143], 3, v[122:123]
	global_load_dwordx2 v[122:123], v[122:123], off
	s_waitcnt vmcnt(0)
	v_mul_f64 v[122:123], s[22:23], v[122:123]
	v_cvt_f32_f64_e32 v122, v[122:123]
	s_branch .LBB179_138
.LBB179_137:
	v_mov_b32_e32 v122, 0
.LBB179_138:
	v_add_f64 v[118:119], v[6:7], v[118:119]
	v_add_f64 v[116:117], v[4:5], v[116:117]
	;; [unrolled: 1-line block ×4, first 2 shown]
	v_cvt_f32_f64_e32 v116, v[116:117]
	v_cvt_f32_f64_e32 v117, v[118:119]
	;; [unrolled: 1-line block ×4, first 2 shown]
	v_min3_f32 v116, v116, v117, v199
	v_min_f32_e32 v112, v112, v113
	v_min3_f32 v112, v122, v112, v116
	v_cvt_f64_f32_e32 v[112:113], v112
	v_lshl_add_u64 v[114:115], v[142:143], 3, v[120:121]
	global_store_dwordx2 v[114:115], v[112:113], off
.LBB179_139:
	s_or_b64 exec, exec, s[18:19]
	v_add_u32_e32 v116, 64, v158
	v_mad_i64_i32 v[112:113], s[20:21], v116, s29, 0
	v_cmp_gt_i32_e64 s[18:19], s25, v116
	v_lshl_add_u64 v[114:115], v[112:113], 3, s[30:31]
	v_mad_i64_i32 v[112:113], s[20:21], v116, s28, 0
	v_lshl_add_u64 v[112:113], v[112:113], 3, s[26:27]
	s_and_b64 s[34:35], s[2:3], s[18:19]
	s_and_saveexec_b64 s[20:21], s[34:35]
	s_cbranch_execnz .LBB179_147
; %bb.140:
	s_or_b64 exec, exec, s[20:21]
	s_and_b64 s[34:35], s[4:5], s[18:19]
	s_and_saveexec_b64 s[20:21], s[34:35]
	s_cbranch_execnz .LBB179_151
.LBB179_141:
	s_or_b64 exec, exec, s[20:21]
	s_and_b64 s[34:35], s[6:7], s[18:19]
	s_and_saveexec_b64 s[20:21], s[34:35]
	s_cbranch_execnz .LBB179_155
.LBB179_142:
	s_or_b64 exec, exec, s[20:21]
	s_and_b64 s[34:35], s[8:9], s[18:19]
	s_and_saveexec_b64 s[20:21], s[34:35]
	s_cbranch_execnz .LBB179_159
.LBB179_143:
	s_or_b64 exec, exec, s[20:21]
	s_and_b64 s[34:35], s[10:11], s[18:19]
	s_and_saveexec_b64 s[20:21], s[34:35]
	s_cbranch_execnz .LBB179_163
.LBB179_144:
	s_or_b64 exec, exec, s[20:21]
	s_and_b64 s[34:35], s[12:13], s[18:19]
	s_and_saveexec_b64 s[20:21], s[34:35]
	s_cbranch_execnz .LBB179_167
.LBB179_145:
	s_or_b64 exec, exec, s[20:21]
	s_and_b64 s[34:35], s[14:15], s[18:19]
	s_and_saveexec_b64 s[20:21], s[34:35]
	s_cbranch_execnz .LBB179_171
.LBB179_146:
	s_or_b64 exec, exec, s[20:21]
	s_and_b64 s[20:21], s[16:17], s[18:19]
	s_and_saveexec_b64 s[18:19], s[20:21]
	s_cbranch_execnz .LBB179_175
	s_branch .LBB179_179
.LBB179_147:
	s_and_b64 vcc, exec, s[0:1]
	s_cbranch_vccnz .LBB179_149
; %bb.148:
	v_lshl_add_u64 v[116:117], v[128:129], 3, v[114:115]
	global_load_dwordx2 v[116:117], v[116:117], off
	s_waitcnt vmcnt(0)
	v_mul_f64 v[116:117], s[22:23], v[116:117]
	v_cvt_f32_f64_e32 v116, v[116:117]
	s_branch .LBB179_150
.LBB179_149:
	v_mov_b32_e32 v116, 0
.LBB179_150:
	v_add_f64 v[118:119], v[70:71], v[110:111]
	v_add_f64 v[120:121], v[68:69], v[108:109]
	v_cvt_f32_f64_e32 v117, v[120:121]
	v_cvt_f32_f64_e32 v118, v[118:119]
	v_min3_f32 v117, v117, v118, v198
	v_add_f64 v[118:119], v[66:67], v[106:107]
	v_add_f64 v[120:121], v[64:65], v[104:105]
	v_cvt_f32_f64_e32 v120, v[120:121]
	v_cvt_f32_f64_e32 v118, v[118:119]
	v_min_f32_e32 v118, v120, v118
	v_min3_f32 v116, v116, v118, v117
	v_cvt_f64_f32_e32 v[116:117], v116
	v_lshl_add_u64 v[118:119], v[128:129], 3, v[112:113]
	global_store_dwordx2 v[118:119], v[116:117], off
	s_or_b64 exec, exec, s[20:21]
	s_and_b64 s[34:35], s[4:5], s[18:19]
	s_and_saveexec_b64 s[20:21], s[34:35]
	s_cbranch_execz .LBB179_141
.LBB179_151:
	s_and_b64 vcc, exec, s[0:1]
	s_cbranch_vccnz .LBB179_153
; %bb.152:
	v_lshl_add_u64 v[116:117], v[130:131], 3, v[114:115]
	global_load_dwordx2 v[116:117], v[116:117], off
	s_waitcnt vmcnt(0)
	v_mul_f64 v[116:117], s[22:23], v[116:117]
	v_cvt_f32_f64_e32 v116, v[116:117]
	s_branch .LBB179_154
.LBB179_153:
	v_mov_b32_e32 v116, 0
.LBB179_154:
	v_add_f64 v[118:119], v[62:63], v[110:111]
	v_add_f64 v[120:121], v[60:61], v[108:109]
	v_cvt_f32_f64_e32 v117, v[120:121]
	v_cvt_f32_f64_e32 v118, v[118:119]
	v_min3_f32 v117, v117, v118, v197
	v_add_f64 v[118:119], v[58:59], v[106:107]
	v_add_f64 v[120:121], v[56:57], v[104:105]
	v_cvt_f32_f64_e32 v120, v[120:121]
	v_cvt_f32_f64_e32 v118, v[118:119]
	v_min_f32_e32 v118, v120, v118
	v_min3_f32 v116, v116, v118, v117
	v_cvt_f64_f32_e32 v[116:117], v116
	v_lshl_add_u64 v[118:119], v[130:131], 3, v[112:113]
	global_store_dwordx2 v[118:119], v[116:117], off
	s_or_b64 exec, exec, s[20:21]
	s_and_b64 s[34:35], s[6:7], s[18:19]
	s_and_saveexec_b64 s[20:21], s[34:35]
	s_cbranch_execz .LBB179_142
.LBB179_155:
	s_and_b64 vcc, exec, s[0:1]
	s_cbranch_vccnz .LBB179_157
; %bb.156:
	v_lshl_add_u64 v[116:117], v[132:133], 3, v[114:115]
	global_load_dwordx2 v[116:117], v[116:117], off
	s_waitcnt vmcnt(0)
	v_mul_f64 v[116:117], s[22:23], v[116:117]
	v_cvt_f32_f64_e32 v116, v[116:117]
	s_branch .LBB179_158
.LBB179_157:
	v_mov_b32_e32 v116, 0
.LBB179_158:
	v_add_f64 v[118:119], v[54:55], v[110:111]
	v_add_f64 v[120:121], v[52:53], v[108:109]
	v_cvt_f32_f64_e32 v117, v[120:121]
	v_cvt_f32_f64_e32 v118, v[118:119]
	v_min3_f32 v117, v117, v118, v196
	v_add_f64 v[118:119], v[50:51], v[106:107]
	v_add_f64 v[120:121], v[48:49], v[104:105]
	v_cvt_f32_f64_e32 v120, v[120:121]
	v_cvt_f32_f64_e32 v118, v[118:119]
	v_min_f32_e32 v118, v120, v118
	v_min3_f32 v116, v116, v118, v117
	v_cvt_f64_f32_e32 v[116:117], v116
	v_lshl_add_u64 v[118:119], v[132:133], 3, v[112:113]
	global_store_dwordx2 v[118:119], v[116:117], off
	s_or_b64 exec, exec, s[20:21]
	s_and_b64 s[34:35], s[8:9], s[18:19]
	s_and_saveexec_b64 s[20:21], s[34:35]
	s_cbranch_execz .LBB179_143
.LBB179_159:
	s_and_b64 vcc, exec, s[0:1]
	s_cbranch_vccnz .LBB179_161
; %bb.160:
	v_lshl_add_u64 v[116:117], v[134:135], 3, v[114:115]
	global_load_dwordx2 v[116:117], v[116:117], off
	s_waitcnt vmcnt(0)
	v_mul_f64 v[116:117], s[22:23], v[116:117]
	v_cvt_f32_f64_e32 v116, v[116:117]
	s_branch .LBB179_162
.LBB179_161:
	v_mov_b32_e32 v116, 0
.LBB179_162:
	v_add_f64 v[118:119], v[46:47], v[110:111]
	v_add_f64 v[120:121], v[44:45], v[108:109]
	v_cvt_f32_f64_e32 v117, v[120:121]
	v_cvt_f32_f64_e32 v118, v[118:119]
	v_min3_f32 v117, v117, v118, v195
	v_add_f64 v[118:119], v[42:43], v[106:107]
	v_add_f64 v[120:121], v[40:41], v[104:105]
	v_cvt_f32_f64_e32 v120, v[120:121]
	v_cvt_f32_f64_e32 v118, v[118:119]
	v_min_f32_e32 v118, v120, v118
	v_min3_f32 v116, v116, v118, v117
	v_cvt_f64_f32_e32 v[116:117], v116
	v_lshl_add_u64 v[118:119], v[134:135], 3, v[112:113]
	global_store_dwordx2 v[118:119], v[116:117], off
	s_or_b64 exec, exec, s[20:21]
	s_and_b64 s[34:35], s[10:11], s[18:19]
	s_and_saveexec_b64 s[20:21], s[34:35]
	s_cbranch_execz .LBB179_144
.LBB179_163:
	s_and_b64 vcc, exec, s[0:1]
	s_cbranch_vccnz .LBB179_165
; %bb.164:
	v_lshl_add_u64 v[116:117], v[136:137], 3, v[114:115]
	global_load_dwordx2 v[116:117], v[116:117], off
	s_waitcnt vmcnt(0)
	v_mul_f64 v[116:117], s[22:23], v[116:117]
	v_cvt_f32_f64_e32 v116, v[116:117]
	s_branch .LBB179_166
.LBB179_165:
	v_mov_b32_e32 v116, 0
.LBB179_166:
	v_add_f64 v[118:119], v[38:39], v[110:111]
	v_add_f64 v[120:121], v[36:37], v[108:109]
	v_cvt_f32_f64_e32 v117, v[120:121]
	v_cvt_f32_f64_e32 v118, v[118:119]
	v_min3_f32 v117, v117, v118, v194
	v_add_f64 v[118:119], v[34:35], v[106:107]
	v_add_f64 v[120:121], v[32:33], v[104:105]
	v_cvt_f32_f64_e32 v120, v[120:121]
	v_cvt_f32_f64_e32 v118, v[118:119]
	v_min_f32_e32 v118, v120, v118
	v_min3_f32 v116, v116, v118, v117
	v_cvt_f64_f32_e32 v[116:117], v116
	v_lshl_add_u64 v[118:119], v[136:137], 3, v[112:113]
	global_store_dwordx2 v[118:119], v[116:117], off
	s_or_b64 exec, exec, s[20:21]
	s_and_b64 s[34:35], s[12:13], s[18:19]
	s_and_saveexec_b64 s[20:21], s[34:35]
	s_cbranch_execz .LBB179_145
.LBB179_167:
	s_and_b64 vcc, exec, s[0:1]
	s_cbranch_vccnz .LBB179_169
; %bb.168:
	v_lshl_add_u64 v[116:117], v[138:139], 3, v[114:115]
	global_load_dwordx2 v[116:117], v[116:117], off
	s_waitcnt vmcnt(0)
	v_mul_f64 v[116:117], s[22:23], v[116:117]
	v_cvt_f32_f64_e32 v116, v[116:117]
	s_branch .LBB179_170
.LBB179_169:
	v_mov_b32_e32 v116, 0
.LBB179_170:
	v_add_f64 v[118:119], v[30:31], v[110:111]
	v_add_f64 v[120:121], v[28:29], v[108:109]
	v_cvt_f32_f64_e32 v117, v[120:121]
	v_cvt_f32_f64_e32 v118, v[118:119]
	v_min3_f32 v117, v117, v118, v193
	v_add_f64 v[118:119], v[26:27], v[106:107]
	v_add_f64 v[120:121], v[24:25], v[104:105]
	v_cvt_f32_f64_e32 v120, v[120:121]
	v_cvt_f32_f64_e32 v118, v[118:119]
	v_min_f32_e32 v118, v120, v118
	v_min3_f32 v116, v116, v118, v117
	v_cvt_f64_f32_e32 v[116:117], v116
	v_lshl_add_u64 v[118:119], v[138:139], 3, v[112:113]
	global_store_dwordx2 v[118:119], v[116:117], off
	s_or_b64 exec, exec, s[20:21]
	s_and_b64 s[34:35], s[14:15], s[18:19]
	s_and_saveexec_b64 s[20:21], s[34:35]
	s_cbranch_execz .LBB179_146
.LBB179_171:
	s_and_b64 vcc, exec, s[0:1]
	s_cbranch_vccnz .LBB179_173
; %bb.172:
	v_lshl_add_u64 v[116:117], v[140:141], 3, v[114:115]
	global_load_dwordx2 v[116:117], v[116:117], off
	s_waitcnt vmcnt(0)
	v_mul_f64 v[116:117], s[22:23], v[116:117]
	v_cvt_f32_f64_e32 v116, v[116:117]
	s_branch .LBB179_174
.LBB179_173:
	v_mov_b32_e32 v116, 0
.LBB179_174:
	v_add_f64 v[118:119], v[22:23], v[110:111]
	v_add_f64 v[120:121], v[20:21], v[108:109]
	v_cvt_f32_f64_e32 v117, v[120:121]
	v_cvt_f32_f64_e32 v118, v[118:119]
	v_min3_f32 v117, v117, v118, v192
	v_add_f64 v[118:119], v[18:19], v[106:107]
	v_add_f64 v[120:121], v[16:17], v[104:105]
	v_cvt_f32_f64_e32 v120, v[120:121]
	v_cvt_f32_f64_e32 v118, v[118:119]
	v_min_f32_e32 v118, v120, v118
	v_min3_f32 v116, v116, v118, v117
	v_cvt_f64_f32_e32 v[116:117], v116
	v_lshl_add_u64 v[118:119], v[140:141], 3, v[112:113]
	global_store_dwordx2 v[118:119], v[116:117], off
	s_or_b64 exec, exec, s[20:21]
	s_and_b64 s[20:21], s[16:17], s[18:19]
	s_and_saveexec_b64 s[18:19], s[20:21]
	s_cbranch_execz .LBB179_179
.LBB179_175:
	s_and_b64 vcc, exec, s[0:1]
	s_cbranch_vccnz .LBB179_177
; %bb.176:
	v_lshl_add_u64 v[114:115], v[142:143], 3, v[114:115]
	global_load_dwordx2 v[114:115], v[114:115], off
	s_waitcnt vmcnt(0)
	v_mul_f64 v[114:115], s[22:23], v[114:115]
	v_cvt_f32_f64_e32 v114, v[114:115]
	s_branch .LBB179_178
.LBB179_177:
	v_mov_b32_e32 v114, 0
.LBB179_178:
	v_add_f64 v[110:111], v[6:7], v[110:111]
	v_add_f64 v[108:109], v[4:5], v[108:109]
	;; [unrolled: 1-line block ×4, first 2 shown]
	v_cvt_f32_f64_e32 v108, v[108:109]
	v_cvt_f32_f64_e32 v109, v[110:111]
	;; [unrolled: 1-line block ×4, first 2 shown]
	v_min3_f32 v108, v108, v109, v191
	v_min_f32_e32 v104, v104, v105
	v_min3_f32 v104, v114, v104, v108
	v_cvt_f64_f32_e32 v[104:105], v104
	v_lshl_add_u64 v[106:107], v[142:143], 3, v[112:113]
	global_store_dwordx2 v[106:107], v[104:105], off
.LBB179_179:
	s_or_b64 exec, exec, s[18:19]
	v_add_u32_e32 v108, 0x60, v158
	v_mad_i64_i32 v[104:105], s[20:21], v108, s29, 0
	v_cmp_gt_i32_e64 s[18:19], s25, v108
	v_lshl_add_u64 v[106:107], v[104:105], 3, s[30:31]
	v_mad_i64_i32 v[104:105], s[20:21], v108, s28, 0
	v_lshl_add_u64 v[104:105], v[104:105], 3, s[26:27]
	s_and_b64 s[34:35], s[2:3], s[18:19]
	s_and_saveexec_b64 s[20:21], s[34:35]
	s_cbranch_execnz .LBB179_187
; %bb.180:
	s_or_b64 exec, exec, s[20:21]
	s_and_b64 s[34:35], s[4:5], s[18:19]
	s_and_saveexec_b64 s[20:21], s[34:35]
	s_cbranch_execnz .LBB179_191
.LBB179_181:
	s_or_b64 exec, exec, s[20:21]
	s_and_b64 s[34:35], s[6:7], s[18:19]
	s_and_saveexec_b64 s[20:21], s[34:35]
	s_cbranch_execnz .LBB179_195
.LBB179_182:
	s_or_b64 exec, exec, s[20:21]
	s_and_b64 s[34:35], s[8:9], s[18:19]
	s_and_saveexec_b64 s[20:21], s[34:35]
	s_cbranch_execnz .LBB179_199
.LBB179_183:
	s_or_b64 exec, exec, s[20:21]
	s_and_b64 s[34:35], s[10:11], s[18:19]
	s_and_saveexec_b64 s[20:21], s[34:35]
	s_cbranch_execnz .LBB179_203
.LBB179_184:
	s_or_b64 exec, exec, s[20:21]
	s_and_b64 s[34:35], s[12:13], s[18:19]
	s_and_saveexec_b64 s[20:21], s[34:35]
	s_cbranch_execnz .LBB179_207
.LBB179_185:
	s_or_b64 exec, exec, s[20:21]
	s_and_b64 s[34:35], s[14:15], s[18:19]
	s_and_saveexec_b64 s[20:21], s[34:35]
	s_cbranch_execnz .LBB179_211
.LBB179_186:
	s_or_b64 exec, exec, s[20:21]
	s_and_b64 s[20:21], s[16:17], s[18:19]
	s_and_saveexec_b64 s[18:19], s[20:21]
	s_cbranch_execnz .LBB179_215
	s_branch .LBB179_219
.LBB179_187:
	s_and_b64 vcc, exec, s[0:1]
	s_cbranch_vccnz .LBB179_189
; %bb.188:
	v_lshl_add_u64 v[108:109], v[128:129], 3, v[106:107]
	global_load_dwordx2 v[108:109], v[108:109], off
	s_waitcnt vmcnt(0)
	v_mul_f64 v[108:109], s[22:23], v[108:109]
	v_cvt_f32_f64_e32 v108, v[108:109]
	s_branch .LBB179_190
.LBB179_189:
	v_mov_b32_e32 v108, 0
.LBB179_190:
	v_add_f64 v[110:111], v[70:71], v[102:103]
	v_add_f64 v[112:113], v[68:69], v[100:101]
	v_cvt_f32_f64_e32 v109, v[112:113]
	v_cvt_f32_f64_e32 v110, v[110:111]
	v_min3_f32 v109, v109, v110, v190
	v_add_f64 v[110:111], v[66:67], v[98:99]
	v_add_f64 v[112:113], v[64:65], v[96:97]
	v_cvt_f32_f64_e32 v112, v[112:113]
	v_cvt_f32_f64_e32 v110, v[110:111]
	v_min_f32_e32 v110, v112, v110
	v_min3_f32 v108, v108, v110, v109
	v_cvt_f64_f32_e32 v[108:109], v108
	v_lshl_add_u64 v[110:111], v[128:129], 3, v[104:105]
	global_store_dwordx2 v[110:111], v[108:109], off
	s_or_b64 exec, exec, s[20:21]
	s_and_b64 s[34:35], s[4:5], s[18:19]
	s_and_saveexec_b64 s[20:21], s[34:35]
	s_cbranch_execz .LBB179_181
.LBB179_191:
	s_and_b64 vcc, exec, s[0:1]
	s_cbranch_vccnz .LBB179_193
; %bb.192:
	v_lshl_add_u64 v[108:109], v[130:131], 3, v[106:107]
	global_load_dwordx2 v[108:109], v[108:109], off
	s_waitcnt vmcnt(0)
	v_mul_f64 v[108:109], s[22:23], v[108:109]
	v_cvt_f32_f64_e32 v108, v[108:109]
	s_branch .LBB179_194
.LBB179_193:
	v_mov_b32_e32 v108, 0
.LBB179_194:
	v_add_f64 v[110:111], v[62:63], v[102:103]
	v_add_f64 v[112:113], v[60:61], v[100:101]
	v_cvt_f32_f64_e32 v109, v[112:113]
	v_cvt_f32_f64_e32 v110, v[110:111]
	v_min3_f32 v109, v109, v110, v189
	v_add_f64 v[110:111], v[58:59], v[98:99]
	v_add_f64 v[112:113], v[56:57], v[96:97]
	v_cvt_f32_f64_e32 v112, v[112:113]
	v_cvt_f32_f64_e32 v110, v[110:111]
	v_min_f32_e32 v110, v112, v110
	v_min3_f32 v108, v108, v110, v109
	v_cvt_f64_f32_e32 v[108:109], v108
	v_lshl_add_u64 v[110:111], v[130:131], 3, v[104:105]
	global_store_dwordx2 v[110:111], v[108:109], off
	s_or_b64 exec, exec, s[20:21]
	s_and_b64 s[34:35], s[6:7], s[18:19]
	s_and_saveexec_b64 s[20:21], s[34:35]
	s_cbranch_execz .LBB179_182
.LBB179_195:
	s_and_b64 vcc, exec, s[0:1]
	s_cbranch_vccnz .LBB179_197
; %bb.196:
	v_lshl_add_u64 v[108:109], v[132:133], 3, v[106:107]
	global_load_dwordx2 v[108:109], v[108:109], off
	s_waitcnt vmcnt(0)
	v_mul_f64 v[108:109], s[22:23], v[108:109]
	v_cvt_f32_f64_e32 v108, v[108:109]
	s_branch .LBB179_198
.LBB179_197:
	v_mov_b32_e32 v108, 0
.LBB179_198:
	v_add_f64 v[110:111], v[54:55], v[102:103]
	v_add_f64 v[112:113], v[52:53], v[100:101]
	v_cvt_f32_f64_e32 v109, v[112:113]
	v_cvt_f32_f64_e32 v110, v[110:111]
	v_min3_f32 v109, v109, v110, v188
	v_add_f64 v[110:111], v[50:51], v[98:99]
	v_add_f64 v[112:113], v[48:49], v[96:97]
	v_cvt_f32_f64_e32 v112, v[112:113]
	v_cvt_f32_f64_e32 v110, v[110:111]
	v_min_f32_e32 v110, v112, v110
	v_min3_f32 v108, v108, v110, v109
	v_cvt_f64_f32_e32 v[108:109], v108
	v_lshl_add_u64 v[110:111], v[132:133], 3, v[104:105]
	global_store_dwordx2 v[110:111], v[108:109], off
	s_or_b64 exec, exec, s[20:21]
	s_and_b64 s[34:35], s[8:9], s[18:19]
	s_and_saveexec_b64 s[20:21], s[34:35]
	s_cbranch_execz .LBB179_183
.LBB179_199:
	s_and_b64 vcc, exec, s[0:1]
	s_cbranch_vccnz .LBB179_201
; %bb.200:
	v_lshl_add_u64 v[108:109], v[134:135], 3, v[106:107]
	global_load_dwordx2 v[108:109], v[108:109], off
	s_waitcnt vmcnt(0)
	v_mul_f64 v[108:109], s[22:23], v[108:109]
	v_cvt_f32_f64_e32 v108, v[108:109]
	s_branch .LBB179_202
.LBB179_201:
	v_mov_b32_e32 v108, 0
.LBB179_202:
	v_add_f64 v[110:111], v[46:47], v[102:103]
	v_add_f64 v[112:113], v[44:45], v[100:101]
	v_cvt_f32_f64_e32 v109, v[112:113]
	v_cvt_f32_f64_e32 v110, v[110:111]
	v_min3_f32 v109, v109, v110, v187
	v_add_f64 v[110:111], v[42:43], v[98:99]
	v_add_f64 v[112:113], v[40:41], v[96:97]
	v_cvt_f32_f64_e32 v112, v[112:113]
	v_cvt_f32_f64_e32 v110, v[110:111]
	v_min_f32_e32 v110, v112, v110
	v_min3_f32 v108, v108, v110, v109
	v_cvt_f64_f32_e32 v[108:109], v108
	v_lshl_add_u64 v[110:111], v[134:135], 3, v[104:105]
	global_store_dwordx2 v[110:111], v[108:109], off
	s_or_b64 exec, exec, s[20:21]
	s_and_b64 s[34:35], s[10:11], s[18:19]
	s_and_saveexec_b64 s[20:21], s[34:35]
	s_cbranch_execz .LBB179_184
.LBB179_203:
	s_and_b64 vcc, exec, s[0:1]
	s_cbranch_vccnz .LBB179_205
; %bb.204:
	v_lshl_add_u64 v[108:109], v[136:137], 3, v[106:107]
	global_load_dwordx2 v[108:109], v[108:109], off
	s_waitcnt vmcnt(0)
	v_mul_f64 v[108:109], s[22:23], v[108:109]
	v_cvt_f32_f64_e32 v108, v[108:109]
	s_branch .LBB179_206
.LBB179_205:
	v_mov_b32_e32 v108, 0
.LBB179_206:
	v_add_f64 v[110:111], v[38:39], v[102:103]
	v_add_f64 v[112:113], v[36:37], v[100:101]
	v_cvt_f32_f64_e32 v109, v[112:113]
	v_cvt_f32_f64_e32 v110, v[110:111]
	v_min3_f32 v109, v109, v110, v186
	v_add_f64 v[110:111], v[34:35], v[98:99]
	v_add_f64 v[112:113], v[32:33], v[96:97]
	v_cvt_f32_f64_e32 v112, v[112:113]
	v_cvt_f32_f64_e32 v110, v[110:111]
	v_min_f32_e32 v110, v112, v110
	v_min3_f32 v108, v108, v110, v109
	v_cvt_f64_f32_e32 v[108:109], v108
	v_lshl_add_u64 v[110:111], v[136:137], 3, v[104:105]
	global_store_dwordx2 v[110:111], v[108:109], off
	s_or_b64 exec, exec, s[20:21]
	s_and_b64 s[34:35], s[12:13], s[18:19]
	s_and_saveexec_b64 s[20:21], s[34:35]
	s_cbranch_execz .LBB179_185
.LBB179_207:
	s_and_b64 vcc, exec, s[0:1]
	s_cbranch_vccnz .LBB179_209
; %bb.208:
	v_lshl_add_u64 v[108:109], v[138:139], 3, v[106:107]
	global_load_dwordx2 v[108:109], v[108:109], off
	s_waitcnt vmcnt(0)
	v_mul_f64 v[108:109], s[22:23], v[108:109]
	v_cvt_f32_f64_e32 v108, v[108:109]
	s_branch .LBB179_210
.LBB179_209:
	v_mov_b32_e32 v108, 0
.LBB179_210:
	v_add_f64 v[110:111], v[30:31], v[102:103]
	v_add_f64 v[112:113], v[28:29], v[100:101]
	v_cvt_f32_f64_e32 v109, v[112:113]
	v_cvt_f32_f64_e32 v110, v[110:111]
	v_min3_f32 v109, v109, v110, v185
	v_add_f64 v[110:111], v[26:27], v[98:99]
	v_add_f64 v[112:113], v[24:25], v[96:97]
	v_cvt_f32_f64_e32 v112, v[112:113]
	v_cvt_f32_f64_e32 v110, v[110:111]
	v_min_f32_e32 v110, v112, v110
	v_min3_f32 v108, v108, v110, v109
	v_cvt_f64_f32_e32 v[108:109], v108
	v_lshl_add_u64 v[110:111], v[138:139], 3, v[104:105]
	global_store_dwordx2 v[110:111], v[108:109], off
	s_or_b64 exec, exec, s[20:21]
	s_and_b64 s[34:35], s[14:15], s[18:19]
	s_and_saveexec_b64 s[20:21], s[34:35]
	s_cbranch_execz .LBB179_186
.LBB179_211:
	s_and_b64 vcc, exec, s[0:1]
	s_cbranch_vccnz .LBB179_213
; %bb.212:
	v_lshl_add_u64 v[108:109], v[140:141], 3, v[106:107]
	global_load_dwordx2 v[108:109], v[108:109], off
	s_waitcnt vmcnt(0)
	v_mul_f64 v[108:109], s[22:23], v[108:109]
	v_cvt_f32_f64_e32 v108, v[108:109]
	s_branch .LBB179_214
.LBB179_213:
	v_mov_b32_e32 v108, 0
.LBB179_214:
	v_add_f64 v[110:111], v[22:23], v[102:103]
	v_add_f64 v[112:113], v[20:21], v[100:101]
	v_cvt_f32_f64_e32 v109, v[112:113]
	v_cvt_f32_f64_e32 v110, v[110:111]
	v_min3_f32 v109, v109, v110, v184
	v_add_f64 v[110:111], v[18:19], v[98:99]
	v_add_f64 v[112:113], v[16:17], v[96:97]
	v_cvt_f32_f64_e32 v112, v[112:113]
	v_cvt_f32_f64_e32 v110, v[110:111]
	v_min_f32_e32 v110, v112, v110
	v_min3_f32 v108, v108, v110, v109
	v_cvt_f64_f32_e32 v[108:109], v108
	v_lshl_add_u64 v[110:111], v[140:141], 3, v[104:105]
	global_store_dwordx2 v[110:111], v[108:109], off
	s_or_b64 exec, exec, s[20:21]
	s_and_b64 s[20:21], s[16:17], s[18:19]
	s_and_saveexec_b64 s[18:19], s[20:21]
	s_cbranch_execz .LBB179_219
.LBB179_215:
	s_and_b64 vcc, exec, s[0:1]
	s_cbranch_vccnz .LBB179_217
; %bb.216:
	v_lshl_add_u64 v[106:107], v[142:143], 3, v[106:107]
	global_load_dwordx2 v[106:107], v[106:107], off
	s_waitcnt vmcnt(0)
	v_mul_f64 v[106:107], s[22:23], v[106:107]
	v_cvt_f32_f64_e32 v106, v[106:107]
	s_branch .LBB179_218
.LBB179_217:
	v_mov_b32_e32 v106, 0
.LBB179_218:
	v_add_f64 v[102:103], v[6:7], v[102:103]
	v_add_f64 v[100:101], v[4:5], v[100:101]
	;; [unrolled: 1-line block ×4, first 2 shown]
	v_cvt_f32_f64_e32 v100, v[100:101]
	v_cvt_f32_f64_e32 v101, v[102:103]
	;; [unrolled: 1-line block ×4, first 2 shown]
	v_min3_f32 v100, v100, v101, v183
	v_min_f32_e32 v96, v96, v97
	v_min3_f32 v96, v106, v96, v100
	v_cvt_f64_f32_e32 v[96:97], v96
	v_lshl_add_u64 v[98:99], v[142:143], 3, v[104:105]
	global_store_dwordx2 v[98:99], v[96:97], off
.LBB179_219:
	s_or_b64 exec, exec, s[18:19]
	v_add_u32_e32 v100, 0x80, v158
	v_mad_i64_i32 v[96:97], s[20:21], v100, s29, 0
	v_cmp_gt_i32_e64 s[18:19], s25, v100
	v_lshl_add_u64 v[98:99], v[96:97], 3, s[30:31]
	v_mad_i64_i32 v[96:97], s[20:21], v100, s28, 0
	v_lshl_add_u64 v[96:97], v[96:97], 3, s[26:27]
	s_and_b64 s[34:35], s[2:3], s[18:19]
	s_and_saveexec_b64 s[20:21], s[34:35]
	s_cbranch_execnz .LBB179_227
; %bb.220:
	s_or_b64 exec, exec, s[20:21]
	s_and_b64 s[34:35], s[4:5], s[18:19]
	s_and_saveexec_b64 s[20:21], s[34:35]
	s_cbranch_execnz .LBB179_231
.LBB179_221:
	s_or_b64 exec, exec, s[20:21]
	s_and_b64 s[34:35], s[6:7], s[18:19]
	s_and_saveexec_b64 s[20:21], s[34:35]
	s_cbranch_execnz .LBB179_235
.LBB179_222:
	s_or_b64 exec, exec, s[20:21]
	s_and_b64 s[34:35], s[8:9], s[18:19]
	s_and_saveexec_b64 s[20:21], s[34:35]
	s_cbranch_execnz .LBB179_239
.LBB179_223:
	s_or_b64 exec, exec, s[20:21]
	s_and_b64 s[34:35], s[10:11], s[18:19]
	s_and_saveexec_b64 s[20:21], s[34:35]
	s_cbranch_execnz .LBB179_243
.LBB179_224:
	s_or_b64 exec, exec, s[20:21]
	s_and_b64 s[34:35], s[12:13], s[18:19]
	s_and_saveexec_b64 s[20:21], s[34:35]
	s_cbranch_execnz .LBB179_247
.LBB179_225:
	s_or_b64 exec, exec, s[20:21]
	s_and_b64 s[34:35], s[14:15], s[18:19]
	s_and_saveexec_b64 s[20:21], s[34:35]
	s_cbranch_execnz .LBB179_251
.LBB179_226:
	s_or_b64 exec, exec, s[20:21]
	s_and_b64 s[20:21], s[16:17], s[18:19]
	s_and_saveexec_b64 s[18:19], s[20:21]
	s_cbranch_execnz .LBB179_255
	s_branch .LBB179_259
.LBB179_227:
	s_and_b64 vcc, exec, s[0:1]
	s_cbranch_vccnz .LBB179_229
; %bb.228:
	v_lshl_add_u64 v[100:101], v[128:129], 3, v[98:99]
	global_load_dwordx2 v[100:101], v[100:101], off
	s_waitcnt vmcnt(0)
	v_mul_f64 v[100:101], s[22:23], v[100:101]
	v_cvt_f32_f64_e32 v100, v[100:101]
	s_branch .LBB179_230
.LBB179_229:
	v_mov_b32_e32 v100, 0
.LBB179_230:
	v_add_f64 v[102:103], v[70:71], v[94:95]
	v_add_f64 v[104:105], v[68:69], v[92:93]
	v_cvt_f32_f64_e32 v101, v[104:105]
	v_cvt_f32_f64_e32 v102, v[102:103]
	v_min3_f32 v101, v101, v102, v182
	v_add_f64 v[102:103], v[66:67], v[90:91]
	v_add_f64 v[104:105], v[64:65], v[88:89]
	v_cvt_f32_f64_e32 v104, v[104:105]
	v_cvt_f32_f64_e32 v102, v[102:103]
	v_min_f32_e32 v102, v104, v102
	v_min3_f32 v100, v100, v102, v101
	v_cvt_f64_f32_e32 v[100:101], v100
	v_lshl_add_u64 v[102:103], v[128:129], 3, v[96:97]
	global_store_dwordx2 v[102:103], v[100:101], off
	s_or_b64 exec, exec, s[20:21]
	s_and_b64 s[34:35], s[4:5], s[18:19]
	s_and_saveexec_b64 s[20:21], s[34:35]
	s_cbranch_execz .LBB179_221
.LBB179_231:
	s_and_b64 vcc, exec, s[0:1]
	s_cbranch_vccnz .LBB179_233
; %bb.232:
	v_lshl_add_u64 v[100:101], v[130:131], 3, v[98:99]
	global_load_dwordx2 v[100:101], v[100:101], off
	s_waitcnt vmcnt(0)
	v_mul_f64 v[100:101], s[22:23], v[100:101]
	v_cvt_f32_f64_e32 v100, v[100:101]
	s_branch .LBB179_234
.LBB179_233:
	v_mov_b32_e32 v100, 0
.LBB179_234:
	v_add_f64 v[102:103], v[62:63], v[94:95]
	v_add_f64 v[104:105], v[60:61], v[92:93]
	v_cvt_f32_f64_e32 v101, v[104:105]
	v_cvt_f32_f64_e32 v102, v[102:103]
	v_min3_f32 v101, v101, v102, v181
	v_add_f64 v[102:103], v[58:59], v[90:91]
	v_add_f64 v[104:105], v[56:57], v[88:89]
	v_cvt_f32_f64_e32 v104, v[104:105]
	v_cvt_f32_f64_e32 v102, v[102:103]
	v_min_f32_e32 v102, v104, v102
	v_min3_f32 v100, v100, v102, v101
	v_cvt_f64_f32_e32 v[100:101], v100
	v_lshl_add_u64 v[102:103], v[130:131], 3, v[96:97]
	global_store_dwordx2 v[102:103], v[100:101], off
	s_or_b64 exec, exec, s[20:21]
	s_and_b64 s[34:35], s[6:7], s[18:19]
	s_and_saveexec_b64 s[20:21], s[34:35]
	s_cbranch_execz .LBB179_222
.LBB179_235:
	s_and_b64 vcc, exec, s[0:1]
	s_cbranch_vccnz .LBB179_237
; %bb.236:
	v_lshl_add_u64 v[100:101], v[132:133], 3, v[98:99]
	global_load_dwordx2 v[100:101], v[100:101], off
	s_waitcnt vmcnt(0)
	v_mul_f64 v[100:101], s[22:23], v[100:101]
	v_cvt_f32_f64_e32 v100, v[100:101]
	s_branch .LBB179_238
.LBB179_237:
	v_mov_b32_e32 v100, 0
.LBB179_238:
	v_add_f64 v[102:103], v[54:55], v[94:95]
	v_add_f64 v[104:105], v[52:53], v[92:93]
	v_cvt_f32_f64_e32 v101, v[104:105]
	v_cvt_f32_f64_e32 v102, v[102:103]
	v_min3_f32 v101, v101, v102, v180
	v_add_f64 v[102:103], v[50:51], v[90:91]
	v_add_f64 v[104:105], v[48:49], v[88:89]
	v_cvt_f32_f64_e32 v104, v[104:105]
	v_cvt_f32_f64_e32 v102, v[102:103]
	v_min_f32_e32 v102, v104, v102
	v_min3_f32 v100, v100, v102, v101
	v_cvt_f64_f32_e32 v[100:101], v100
	v_lshl_add_u64 v[102:103], v[132:133], 3, v[96:97]
	global_store_dwordx2 v[102:103], v[100:101], off
	s_or_b64 exec, exec, s[20:21]
	s_and_b64 s[34:35], s[8:9], s[18:19]
	s_and_saveexec_b64 s[20:21], s[34:35]
	s_cbranch_execz .LBB179_223
.LBB179_239:
	s_and_b64 vcc, exec, s[0:1]
	s_cbranch_vccnz .LBB179_241
; %bb.240:
	v_lshl_add_u64 v[100:101], v[134:135], 3, v[98:99]
	global_load_dwordx2 v[100:101], v[100:101], off
	s_waitcnt vmcnt(0)
	v_mul_f64 v[100:101], s[22:23], v[100:101]
	v_cvt_f32_f64_e32 v100, v[100:101]
	s_branch .LBB179_242
.LBB179_241:
	v_mov_b32_e32 v100, 0
.LBB179_242:
	v_add_f64 v[102:103], v[46:47], v[94:95]
	v_add_f64 v[104:105], v[44:45], v[92:93]
	v_cvt_f32_f64_e32 v101, v[104:105]
	v_cvt_f32_f64_e32 v102, v[102:103]
	v_min3_f32 v101, v101, v102, v179
	v_add_f64 v[102:103], v[42:43], v[90:91]
	v_add_f64 v[104:105], v[40:41], v[88:89]
	v_cvt_f32_f64_e32 v104, v[104:105]
	v_cvt_f32_f64_e32 v102, v[102:103]
	v_min_f32_e32 v102, v104, v102
	v_min3_f32 v100, v100, v102, v101
	v_cvt_f64_f32_e32 v[100:101], v100
	v_lshl_add_u64 v[102:103], v[134:135], 3, v[96:97]
	global_store_dwordx2 v[102:103], v[100:101], off
	s_or_b64 exec, exec, s[20:21]
	s_and_b64 s[34:35], s[10:11], s[18:19]
	s_and_saveexec_b64 s[20:21], s[34:35]
	s_cbranch_execz .LBB179_224
.LBB179_243:
	s_and_b64 vcc, exec, s[0:1]
	s_cbranch_vccnz .LBB179_245
; %bb.244:
	v_lshl_add_u64 v[100:101], v[136:137], 3, v[98:99]
	global_load_dwordx2 v[100:101], v[100:101], off
	s_waitcnt vmcnt(0)
	v_mul_f64 v[100:101], s[22:23], v[100:101]
	v_cvt_f32_f64_e32 v100, v[100:101]
	s_branch .LBB179_246
.LBB179_245:
	v_mov_b32_e32 v100, 0
.LBB179_246:
	v_add_f64 v[102:103], v[38:39], v[94:95]
	v_add_f64 v[104:105], v[36:37], v[92:93]
	v_cvt_f32_f64_e32 v101, v[104:105]
	v_cvt_f32_f64_e32 v102, v[102:103]
	v_min3_f32 v101, v101, v102, v178
	v_add_f64 v[102:103], v[34:35], v[90:91]
	v_add_f64 v[104:105], v[32:33], v[88:89]
	v_cvt_f32_f64_e32 v104, v[104:105]
	v_cvt_f32_f64_e32 v102, v[102:103]
	v_min_f32_e32 v102, v104, v102
	v_min3_f32 v100, v100, v102, v101
	v_cvt_f64_f32_e32 v[100:101], v100
	v_lshl_add_u64 v[102:103], v[136:137], 3, v[96:97]
	global_store_dwordx2 v[102:103], v[100:101], off
	s_or_b64 exec, exec, s[20:21]
	s_and_b64 s[34:35], s[12:13], s[18:19]
	s_and_saveexec_b64 s[20:21], s[34:35]
	s_cbranch_execz .LBB179_225
.LBB179_247:
	s_and_b64 vcc, exec, s[0:1]
	s_cbranch_vccnz .LBB179_249
; %bb.248:
	v_lshl_add_u64 v[100:101], v[138:139], 3, v[98:99]
	global_load_dwordx2 v[100:101], v[100:101], off
	s_waitcnt vmcnt(0)
	v_mul_f64 v[100:101], s[22:23], v[100:101]
	v_cvt_f32_f64_e32 v100, v[100:101]
	s_branch .LBB179_250
.LBB179_249:
	v_mov_b32_e32 v100, 0
.LBB179_250:
	v_add_f64 v[102:103], v[30:31], v[94:95]
	v_add_f64 v[104:105], v[28:29], v[92:93]
	v_cvt_f32_f64_e32 v101, v[104:105]
	v_cvt_f32_f64_e32 v102, v[102:103]
	v_min3_f32 v101, v101, v102, v177
	v_add_f64 v[102:103], v[26:27], v[90:91]
	v_add_f64 v[104:105], v[24:25], v[88:89]
	v_cvt_f32_f64_e32 v104, v[104:105]
	v_cvt_f32_f64_e32 v102, v[102:103]
	v_min_f32_e32 v102, v104, v102
	v_min3_f32 v100, v100, v102, v101
	v_cvt_f64_f32_e32 v[100:101], v100
	v_lshl_add_u64 v[102:103], v[138:139], 3, v[96:97]
	global_store_dwordx2 v[102:103], v[100:101], off
	s_or_b64 exec, exec, s[20:21]
	s_and_b64 s[34:35], s[14:15], s[18:19]
	s_and_saveexec_b64 s[20:21], s[34:35]
	s_cbranch_execz .LBB179_226
.LBB179_251:
	s_and_b64 vcc, exec, s[0:1]
	s_cbranch_vccnz .LBB179_253
; %bb.252:
	v_lshl_add_u64 v[100:101], v[140:141], 3, v[98:99]
	global_load_dwordx2 v[100:101], v[100:101], off
	s_waitcnt vmcnt(0)
	v_mul_f64 v[100:101], s[22:23], v[100:101]
	v_cvt_f32_f64_e32 v100, v[100:101]
	s_branch .LBB179_254
.LBB179_253:
	v_mov_b32_e32 v100, 0
.LBB179_254:
	v_add_f64 v[102:103], v[22:23], v[94:95]
	v_add_f64 v[104:105], v[20:21], v[92:93]
	v_cvt_f32_f64_e32 v101, v[104:105]
	v_cvt_f32_f64_e32 v102, v[102:103]
	v_min3_f32 v101, v101, v102, v176
	v_add_f64 v[102:103], v[18:19], v[90:91]
	v_add_f64 v[104:105], v[16:17], v[88:89]
	v_cvt_f32_f64_e32 v104, v[104:105]
	v_cvt_f32_f64_e32 v102, v[102:103]
	v_min_f32_e32 v102, v104, v102
	v_min3_f32 v100, v100, v102, v101
	v_cvt_f64_f32_e32 v[100:101], v100
	v_lshl_add_u64 v[102:103], v[140:141], 3, v[96:97]
	global_store_dwordx2 v[102:103], v[100:101], off
	s_or_b64 exec, exec, s[20:21]
	s_and_b64 s[20:21], s[16:17], s[18:19]
	s_and_saveexec_b64 s[18:19], s[20:21]
	s_cbranch_execz .LBB179_259
.LBB179_255:
	s_and_b64 vcc, exec, s[0:1]
	s_cbranch_vccnz .LBB179_257
; %bb.256:
	v_lshl_add_u64 v[98:99], v[142:143], 3, v[98:99]
	global_load_dwordx2 v[98:99], v[98:99], off
	s_waitcnt vmcnt(0)
	v_mul_f64 v[98:99], s[22:23], v[98:99]
	v_cvt_f32_f64_e32 v98, v[98:99]
	s_branch .LBB179_258
.LBB179_257:
	v_mov_b32_e32 v98, 0
.LBB179_258:
	v_add_f64 v[94:95], v[6:7], v[94:95]
	v_add_f64 v[92:93], v[4:5], v[92:93]
	;; [unrolled: 1-line block ×4, first 2 shown]
	v_cvt_f32_f64_e32 v92, v[92:93]
	v_cvt_f32_f64_e32 v93, v[94:95]
	;; [unrolled: 1-line block ×4, first 2 shown]
	v_min3_f32 v92, v92, v93, v175
	v_min_f32_e32 v88, v88, v89
	v_min3_f32 v88, v98, v88, v92
	v_cvt_f64_f32_e32 v[88:89], v88
	v_lshl_add_u64 v[90:91], v[142:143], 3, v[96:97]
	global_store_dwordx2 v[90:91], v[88:89], off
.LBB179_259:
	s_or_b64 exec, exec, s[18:19]
	v_add_u32_e32 v92, 0xa0, v158
	v_mad_i64_i32 v[88:89], s[20:21], v92, s29, 0
	v_cmp_gt_i32_e64 s[18:19], s25, v92
	v_lshl_add_u64 v[90:91], v[88:89], 3, s[30:31]
	v_mad_i64_i32 v[88:89], s[20:21], v92, s28, 0
	v_lshl_add_u64 v[88:89], v[88:89], 3, s[26:27]
	s_and_b64 s[34:35], s[2:3], s[18:19]
	s_and_saveexec_b64 s[20:21], s[34:35]
	s_cbranch_execnz .LBB179_267
; %bb.260:
	s_or_b64 exec, exec, s[20:21]
	s_and_b64 s[34:35], s[4:5], s[18:19]
	s_and_saveexec_b64 s[20:21], s[34:35]
	s_cbranch_execnz .LBB179_271
.LBB179_261:
	s_or_b64 exec, exec, s[20:21]
	s_and_b64 s[34:35], s[6:7], s[18:19]
	s_and_saveexec_b64 s[20:21], s[34:35]
	s_cbranch_execnz .LBB179_275
.LBB179_262:
	s_or_b64 exec, exec, s[20:21]
	s_and_b64 s[34:35], s[8:9], s[18:19]
	s_and_saveexec_b64 s[20:21], s[34:35]
	s_cbranch_execnz .LBB179_279
.LBB179_263:
	s_or_b64 exec, exec, s[20:21]
	s_and_b64 s[34:35], s[10:11], s[18:19]
	s_and_saveexec_b64 s[20:21], s[34:35]
	s_cbranch_execnz .LBB179_283
.LBB179_264:
	s_or_b64 exec, exec, s[20:21]
	s_and_b64 s[34:35], s[12:13], s[18:19]
	s_and_saveexec_b64 s[20:21], s[34:35]
	s_cbranch_execnz .LBB179_287
.LBB179_265:
	s_or_b64 exec, exec, s[20:21]
	s_and_b64 s[34:35], s[14:15], s[18:19]
	s_and_saveexec_b64 s[20:21], s[34:35]
	s_cbranch_execnz .LBB179_291
.LBB179_266:
	s_or_b64 exec, exec, s[20:21]
	s_and_b64 s[20:21], s[16:17], s[18:19]
	s_and_saveexec_b64 s[18:19], s[20:21]
	s_cbranch_execnz .LBB179_295
	s_branch .LBB179_299
.LBB179_267:
	s_and_b64 vcc, exec, s[0:1]
	s_cbranch_vccnz .LBB179_269
; %bb.268:
	v_lshl_add_u64 v[92:93], v[128:129], 3, v[90:91]
	global_load_dwordx2 v[92:93], v[92:93], off
	s_waitcnt vmcnt(0)
	v_mul_f64 v[92:93], s[22:23], v[92:93]
	v_cvt_f32_f64_e32 v92, v[92:93]
	s_branch .LBB179_270
.LBB179_269:
	v_mov_b32_e32 v92, 0
.LBB179_270:
	v_add_f64 v[94:95], v[70:71], v[86:87]
	v_add_f64 v[96:97], v[68:69], v[84:85]
	v_cvt_f32_f64_e32 v93, v[96:97]
	v_cvt_f32_f64_e32 v94, v[94:95]
	v_min3_f32 v93, v93, v94, v174
	v_add_f64 v[94:95], v[66:67], v[82:83]
	v_add_f64 v[96:97], v[64:65], v[80:81]
	v_cvt_f32_f64_e32 v96, v[96:97]
	v_cvt_f32_f64_e32 v94, v[94:95]
	v_min_f32_e32 v94, v96, v94
	v_min3_f32 v92, v92, v94, v93
	v_cvt_f64_f32_e32 v[92:93], v92
	v_lshl_add_u64 v[94:95], v[128:129], 3, v[88:89]
	global_store_dwordx2 v[94:95], v[92:93], off
	s_or_b64 exec, exec, s[20:21]
	s_and_b64 s[34:35], s[4:5], s[18:19]
	s_and_saveexec_b64 s[20:21], s[34:35]
	s_cbranch_execz .LBB179_261
.LBB179_271:
	s_and_b64 vcc, exec, s[0:1]
	s_cbranch_vccnz .LBB179_273
; %bb.272:
	v_lshl_add_u64 v[92:93], v[130:131], 3, v[90:91]
	global_load_dwordx2 v[92:93], v[92:93], off
	s_waitcnt vmcnt(0)
	v_mul_f64 v[92:93], s[22:23], v[92:93]
	v_cvt_f32_f64_e32 v92, v[92:93]
	s_branch .LBB179_274
.LBB179_273:
	v_mov_b32_e32 v92, 0
.LBB179_274:
	v_add_f64 v[94:95], v[62:63], v[86:87]
	v_add_f64 v[96:97], v[60:61], v[84:85]
	v_cvt_f32_f64_e32 v93, v[96:97]
	v_cvt_f32_f64_e32 v94, v[94:95]
	v_min3_f32 v93, v93, v94, v173
	v_add_f64 v[94:95], v[58:59], v[82:83]
	v_add_f64 v[96:97], v[56:57], v[80:81]
	v_cvt_f32_f64_e32 v96, v[96:97]
	v_cvt_f32_f64_e32 v94, v[94:95]
	v_min_f32_e32 v94, v96, v94
	v_min3_f32 v92, v92, v94, v93
	v_cvt_f64_f32_e32 v[92:93], v92
	v_lshl_add_u64 v[94:95], v[130:131], 3, v[88:89]
	global_store_dwordx2 v[94:95], v[92:93], off
	s_or_b64 exec, exec, s[20:21]
	s_and_b64 s[34:35], s[6:7], s[18:19]
	s_and_saveexec_b64 s[20:21], s[34:35]
	s_cbranch_execz .LBB179_262
.LBB179_275:
	s_and_b64 vcc, exec, s[0:1]
	s_cbranch_vccnz .LBB179_277
; %bb.276:
	v_lshl_add_u64 v[92:93], v[132:133], 3, v[90:91]
	global_load_dwordx2 v[92:93], v[92:93], off
	s_waitcnt vmcnt(0)
	v_mul_f64 v[92:93], s[22:23], v[92:93]
	v_cvt_f32_f64_e32 v92, v[92:93]
	s_branch .LBB179_278
.LBB179_277:
	v_mov_b32_e32 v92, 0
.LBB179_278:
	v_add_f64 v[94:95], v[54:55], v[86:87]
	v_add_f64 v[96:97], v[52:53], v[84:85]
	v_cvt_f32_f64_e32 v93, v[96:97]
	v_cvt_f32_f64_e32 v94, v[94:95]
	v_min3_f32 v93, v93, v94, v172
	v_add_f64 v[94:95], v[50:51], v[82:83]
	v_add_f64 v[96:97], v[48:49], v[80:81]
	v_cvt_f32_f64_e32 v96, v[96:97]
	v_cvt_f32_f64_e32 v94, v[94:95]
	v_min_f32_e32 v94, v96, v94
	v_min3_f32 v92, v92, v94, v93
	v_cvt_f64_f32_e32 v[92:93], v92
	v_lshl_add_u64 v[94:95], v[132:133], 3, v[88:89]
	global_store_dwordx2 v[94:95], v[92:93], off
	s_or_b64 exec, exec, s[20:21]
	s_and_b64 s[34:35], s[8:9], s[18:19]
	s_and_saveexec_b64 s[20:21], s[34:35]
	s_cbranch_execz .LBB179_263
.LBB179_279:
	s_and_b64 vcc, exec, s[0:1]
	s_cbranch_vccnz .LBB179_281
; %bb.280:
	v_lshl_add_u64 v[92:93], v[134:135], 3, v[90:91]
	global_load_dwordx2 v[92:93], v[92:93], off
	s_waitcnt vmcnt(0)
	v_mul_f64 v[92:93], s[22:23], v[92:93]
	v_cvt_f32_f64_e32 v92, v[92:93]
	s_branch .LBB179_282
.LBB179_281:
	v_mov_b32_e32 v92, 0
.LBB179_282:
	v_add_f64 v[94:95], v[46:47], v[86:87]
	v_add_f64 v[96:97], v[44:45], v[84:85]
	v_cvt_f32_f64_e32 v93, v[96:97]
	v_cvt_f32_f64_e32 v94, v[94:95]
	v_min3_f32 v93, v93, v94, v171
	v_add_f64 v[94:95], v[42:43], v[82:83]
	v_add_f64 v[96:97], v[40:41], v[80:81]
	v_cvt_f32_f64_e32 v96, v[96:97]
	v_cvt_f32_f64_e32 v94, v[94:95]
	v_min_f32_e32 v94, v96, v94
	v_min3_f32 v92, v92, v94, v93
	v_cvt_f64_f32_e32 v[92:93], v92
	v_lshl_add_u64 v[94:95], v[134:135], 3, v[88:89]
	global_store_dwordx2 v[94:95], v[92:93], off
	s_or_b64 exec, exec, s[20:21]
	s_and_b64 s[34:35], s[10:11], s[18:19]
	s_and_saveexec_b64 s[20:21], s[34:35]
	s_cbranch_execz .LBB179_264
.LBB179_283:
	s_and_b64 vcc, exec, s[0:1]
	s_cbranch_vccnz .LBB179_285
; %bb.284:
	v_lshl_add_u64 v[92:93], v[136:137], 3, v[90:91]
	global_load_dwordx2 v[92:93], v[92:93], off
	s_waitcnt vmcnt(0)
	v_mul_f64 v[92:93], s[22:23], v[92:93]
	v_cvt_f32_f64_e32 v92, v[92:93]
	s_branch .LBB179_286
.LBB179_285:
	v_mov_b32_e32 v92, 0
.LBB179_286:
	v_add_f64 v[94:95], v[38:39], v[86:87]
	v_add_f64 v[96:97], v[36:37], v[84:85]
	v_cvt_f32_f64_e32 v93, v[96:97]
	v_cvt_f32_f64_e32 v94, v[94:95]
	v_min3_f32 v93, v93, v94, v170
	v_add_f64 v[94:95], v[34:35], v[82:83]
	v_add_f64 v[96:97], v[32:33], v[80:81]
	v_cvt_f32_f64_e32 v96, v[96:97]
	v_cvt_f32_f64_e32 v94, v[94:95]
	v_min_f32_e32 v94, v96, v94
	v_min3_f32 v92, v92, v94, v93
	v_cvt_f64_f32_e32 v[92:93], v92
	v_lshl_add_u64 v[94:95], v[136:137], 3, v[88:89]
	global_store_dwordx2 v[94:95], v[92:93], off
	s_or_b64 exec, exec, s[20:21]
	s_and_b64 s[34:35], s[12:13], s[18:19]
	s_and_saveexec_b64 s[20:21], s[34:35]
	s_cbranch_execz .LBB179_265
.LBB179_287:
	s_and_b64 vcc, exec, s[0:1]
	s_cbranch_vccnz .LBB179_289
; %bb.288:
	v_lshl_add_u64 v[92:93], v[138:139], 3, v[90:91]
	global_load_dwordx2 v[92:93], v[92:93], off
	s_waitcnt vmcnt(0)
	v_mul_f64 v[92:93], s[22:23], v[92:93]
	v_cvt_f32_f64_e32 v92, v[92:93]
	s_branch .LBB179_290
.LBB179_289:
	v_mov_b32_e32 v92, 0
.LBB179_290:
	v_add_f64 v[94:95], v[30:31], v[86:87]
	v_add_f64 v[96:97], v[28:29], v[84:85]
	v_cvt_f32_f64_e32 v93, v[96:97]
	v_cvt_f32_f64_e32 v94, v[94:95]
	v_min3_f32 v93, v93, v94, v169
	v_add_f64 v[94:95], v[26:27], v[82:83]
	v_add_f64 v[96:97], v[24:25], v[80:81]
	v_cvt_f32_f64_e32 v96, v[96:97]
	v_cvt_f32_f64_e32 v94, v[94:95]
	v_min_f32_e32 v94, v96, v94
	v_min3_f32 v92, v92, v94, v93
	v_cvt_f64_f32_e32 v[92:93], v92
	v_lshl_add_u64 v[94:95], v[138:139], 3, v[88:89]
	global_store_dwordx2 v[94:95], v[92:93], off
	s_or_b64 exec, exec, s[20:21]
	s_and_b64 s[34:35], s[14:15], s[18:19]
	s_and_saveexec_b64 s[20:21], s[34:35]
	s_cbranch_execz .LBB179_266
.LBB179_291:
	s_and_b64 vcc, exec, s[0:1]
	s_cbranch_vccnz .LBB179_293
; %bb.292:
	v_lshl_add_u64 v[92:93], v[140:141], 3, v[90:91]
	global_load_dwordx2 v[92:93], v[92:93], off
	s_waitcnt vmcnt(0)
	v_mul_f64 v[92:93], s[22:23], v[92:93]
	v_cvt_f32_f64_e32 v92, v[92:93]
	s_branch .LBB179_294
.LBB179_293:
	v_mov_b32_e32 v92, 0
.LBB179_294:
	v_add_f64 v[94:95], v[22:23], v[86:87]
	v_add_f64 v[96:97], v[20:21], v[84:85]
	v_cvt_f32_f64_e32 v93, v[96:97]
	v_cvt_f32_f64_e32 v94, v[94:95]
	v_min3_f32 v93, v93, v94, v168
	v_add_f64 v[94:95], v[18:19], v[82:83]
	v_add_f64 v[96:97], v[16:17], v[80:81]
	v_cvt_f32_f64_e32 v96, v[96:97]
	v_cvt_f32_f64_e32 v94, v[94:95]
	v_min_f32_e32 v94, v96, v94
	v_min3_f32 v92, v92, v94, v93
	v_cvt_f64_f32_e32 v[92:93], v92
	v_lshl_add_u64 v[94:95], v[140:141], 3, v[88:89]
	global_store_dwordx2 v[94:95], v[92:93], off
	s_or_b64 exec, exec, s[20:21]
	s_and_b64 s[20:21], s[16:17], s[18:19]
	s_and_saveexec_b64 s[18:19], s[20:21]
	s_cbranch_execz .LBB179_299
.LBB179_295:
	s_and_b64 vcc, exec, s[0:1]
	s_cbranch_vccnz .LBB179_297
; %bb.296:
	v_lshl_add_u64 v[90:91], v[142:143], 3, v[90:91]
	global_load_dwordx2 v[90:91], v[90:91], off
	s_waitcnt vmcnt(0)
	v_mul_f64 v[90:91], s[22:23], v[90:91]
	v_cvt_f32_f64_e32 v90, v[90:91]
	s_branch .LBB179_298
.LBB179_297:
	v_mov_b32_e32 v90, 0
.LBB179_298:
	v_add_f64 v[86:87], v[6:7], v[86:87]
	v_add_f64 v[84:85], v[4:5], v[84:85]
	;; [unrolled: 1-line block ×4, first 2 shown]
	v_cvt_f32_f64_e32 v84, v[84:85]
	v_cvt_f32_f64_e32 v85, v[86:87]
	v_cvt_f32_f64_e32 v80, v[80:81]
	v_cvt_f32_f64_e32 v81, v[82:83]
	v_min3_f32 v84, v84, v85, v167
	v_min_f32_e32 v80, v80, v81
	v_min3_f32 v80, v90, v80, v84
	v_cvt_f64_f32_e32 v[80:81], v80
	v_lshl_add_u64 v[82:83], v[142:143], 3, v[88:89]
	global_store_dwordx2 v[82:83], v[80:81], off
.LBB179_299:
	s_or_b64 exec, exec, s[18:19]
	v_add_u32_e32 v84, 0xc0, v158
	v_mad_i64_i32 v[80:81], s[20:21], v84, s29, 0
	v_cmp_gt_i32_e64 s[18:19], s25, v84
	v_lshl_add_u64 v[82:83], v[80:81], 3, s[30:31]
	v_mad_i64_i32 v[80:81], s[20:21], v84, s28, 0
	v_lshl_add_u64 v[80:81], v[80:81], 3, s[26:27]
	s_and_b64 s[34:35], s[2:3], s[18:19]
	s_and_saveexec_b64 s[20:21], s[34:35]
	s_cbranch_execnz .LBB179_307
; %bb.300:
	s_or_b64 exec, exec, s[20:21]
	s_and_b64 s[34:35], s[4:5], s[18:19]
	s_and_saveexec_b64 s[20:21], s[34:35]
	s_cbranch_execnz .LBB179_311
.LBB179_301:
	s_or_b64 exec, exec, s[20:21]
	s_and_b64 s[34:35], s[6:7], s[18:19]
	s_and_saveexec_b64 s[20:21], s[34:35]
	s_cbranch_execnz .LBB179_315
.LBB179_302:
	s_or_b64 exec, exec, s[20:21]
	s_and_b64 s[34:35], s[8:9], s[18:19]
	s_and_saveexec_b64 s[20:21], s[34:35]
	s_cbranch_execnz .LBB179_319
.LBB179_303:
	s_or_b64 exec, exec, s[20:21]
	s_and_b64 s[34:35], s[10:11], s[18:19]
	s_and_saveexec_b64 s[20:21], s[34:35]
	s_cbranch_execnz .LBB179_323
.LBB179_304:
	s_or_b64 exec, exec, s[20:21]
	s_and_b64 s[34:35], s[12:13], s[18:19]
	s_and_saveexec_b64 s[20:21], s[34:35]
	s_cbranch_execnz .LBB179_327
.LBB179_305:
	s_or_b64 exec, exec, s[20:21]
	s_and_b64 s[34:35], s[14:15], s[18:19]
	s_and_saveexec_b64 s[20:21], s[34:35]
	s_cbranch_execnz .LBB179_331
.LBB179_306:
	s_or_b64 exec, exec, s[20:21]
	s_and_b64 s[20:21], s[16:17], s[18:19]
	s_and_saveexec_b64 s[18:19], s[20:21]
	s_cbranch_execnz .LBB179_335
	s_branch .LBB179_339
.LBB179_307:
	s_and_b64 vcc, exec, s[0:1]
	s_cbranch_vccnz .LBB179_309
; %bb.308:
	v_lshl_add_u64 v[84:85], v[128:129], 3, v[82:83]
	global_load_dwordx2 v[84:85], v[84:85], off
	s_waitcnt vmcnt(0)
	v_mul_f64 v[84:85], s[22:23], v[84:85]
	v_cvt_f32_f64_e32 v84, v[84:85]
	s_branch .LBB179_310
.LBB179_309:
	v_mov_b32_e32 v84, 0
.LBB179_310:
	v_add_f64 v[86:87], v[70:71], v[78:79]
	v_add_f64 v[88:89], v[68:69], v[76:77]
	v_cvt_f32_f64_e32 v85, v[88:89]
	v_cvt_f32_f64_e32 v86, v[86:87]
	v_min3_f32 v85, v85, v86, v166
	v_add_f64 v[86:87], v[66:67], v[74:75]
	v_add_f64 v[88:89], v[64:65], v[72:73]
	v_cvt_f32_f64_e32 v88, v[88:89]
	v_cvt_f32_f64_e32 v86, v[86:87]
	v_min_f32_e32 v86, v88, v86
	v_min3_f32 v84, v84, v86, v85
	v_cvt_f64_f32_e32 v[84:85], v84
	v_lshl_add_u64 v[86:87], v[128:129], 3, v[80:81]
	global_store_dwordx2 v[86:87], v[84:85], off
	s_or_b64 exec, exec, s[20:21]
	s_and_b64 s[34:35], s[4:5], s[18:19]
	s_and_saveexec_b64 s[20:21], s[34:35]
	s_cbranch_execz .LBB179_301
.LBB179_311:
	s_and_b64 vcc, exec, s[0:1]
	s_cbranch_vccnz .LBB179_313
; %bb.312:
	v_lshl_add_u64 v[84:85], v[130:131], 3, v[82:83]
	global_load_dwordx2 v[84:85], v[84:85], off
	s_waitcnt vmcnt(0)
	v_mul_f64 v[84:85], s[22:23], v[84:85]
	v_cvt_f32_f64_e32 v84, v[84:85]
	s_branch .LBB179_314
.LBB179_313:
	v_mov_b32_e32 v84, 0
.LBB179_314:
	v_add_f64 v[86:87], v[62:63], v[78:79]
	v_add_f64 v[88:89], v[60:61], v[76:77]
	v_cvt_f32_f64_e32 v85, v[88:89]
	v_cvt_f32_f64_e32 v86, v[86:87]
	v_min3_f32 v85, v85, v86, v164
	v_add_f64 v[86:87], v[58:59], v[74:75]
	v_add_f64 v[88:89], v[56:57], v[72:73]
	v_cvt_f32_f64_e32 v88, v[88:89]
	v_cvt_f32_f64_e32 v86, v[86:87]
	v_min_f32_e32 v86, v88, v86
	v_min3_f32 v84, v84, v86, v85
	v_cvt_f64_f32_e32 v[84:85], v84
	v_lshl_add_u64 v[86:87], v[130:131], 3, v[80:81]
	global_store_dwordx2 v[86:87], v[84:85], off
	s_or_b64 exec, exec, s[20:21]
	s_and_b64 s[34:35], s[6:7], s[18:19]
	s_and_saveexec_b64 s[20:21], s[34:35]
	s_cbranch_execz .LBB179_302
.LBB179_315:
	s_and_b64 vcc, exec, s[0:1]
	s_cbranch_vccnz .LBB179_317
; %bb.316:
	v_lshl_add_u64 v[84:85], v[132:133], 3, v[82:83]
	global_load_dwordx2 v[84:85], v[84:85], off
	s_waitcnt vmcnt(0)
	v_mul_f64 v[84:85], s[22:23], v[84:85]
	v_cvt_f32_f64_e32 v84, v[84:85]
	s_branch .LBB179_318
.LBB179_317:
	v_mov_b32_e32 v84, 0
.LBB179_318:
	v_add_f64 v[86:87], v[54:55], v[78:79]
	v_add_f64 v[88:89], v[52:53], v[76:77]
	v_cvt_f32_f64_e32 v85, v[88:89]
	v_cvt_f32_f64_e32 v86, v[86:87]
	v_min3_f32 v85, v85, v86, v163
	v_add_f64 v[86:87], v[50:51], v[74:75]
	v_add_f64 v[88:89], v[48:49], v[72:73]
	v_cvt_f32_f64_e32 v88, v[88:89]
	v_cvt_f32_f64_e32 v86, v[86:87]
	v_min_f32_e32 v86, v88, v86
	v_min3_f32 v84, v84, v86, v85
	v_cvt_f64_f32_e32 v[84:85], v84
	v_lshl_add_u64 v[86:87], v[132:133], 3, v[80:81]
	global_store_dwordx2 v[86:87], v[84:85], off
	s_or_b64 exec, exec, s[20:21]
	s_and_b64 s[34:35], s[8:9], s[18:19]
	s_and_saveexec_b64 s[20:21], s[34:35]
	s_cbranch_execz .LBB179_303
.LBB179_319:
	s_and_b64 vcc, exec, s[0:1]
	s_cbranch_vccnz .LBB179_321
; %bb.320:
	v_lshl_add_u64 v[84:85], v[134:135], 3, v[82:83]
	global_load_dwordx2 v[84:85], v[84:85], off
	s_waitcnt vmcnt(0)
	v_mul_f64 v[84:85], s[22:23], v[84:85]
	v_cvt_f32_f64_e32 v84, v[84:85]
	s_branch .LBB179_322
.LBB179_321:
	v_mov_b32_e32 v84, 0
.LBB179_322:
	v_add_f64 v[86:87], v[46:47], v[78:79]
	v_add_f64 v[88:89], v[44:45], v[76:77]
	v_cvt_f32_f64_e32 v85, v[88:89]
	v_cvt_f32_f64_e32 v86, v[86:87]
	v_min3_f32 v85, v85, v86, v162
	v_add_f64 v[86:87], v[42:43], v[74:75]
	v_add_f64 v[88:89], v[40:41], v[72:73]
	v_cvt_f32_f64_e32 v88, v[88:89]
	v_cvt_f32_f64_e32 v86, v[86:87]
	v_min_f32_e32 v86, v88, v86
	v_min3_f32 v84, v84, v86, v85
	v_cvt_f64_f32_e32 v[84:85], v84
	v_lshl_add_u64 v[86:87], v[134:135], 3, v[80:81]
	global_store_dwordx2 v[86:87], v[84:85], off
	s_or_b64 exec, exec, s[20:21]
	s_and_b64 s[34:35], s[10:11], s[18:19]
	s_and_saveexec_b64 s[20:21], s[34:35]
	s_cbranch_execz .LBB179_304
.LBB179_323:
	s_and_b64 vcc, exec, s[0:1]
	s_cbranch_vccnz .LBB179_325
; %bb.324:
	v_lshl_add_u64 v[84:85], v[136:137], 3, v[82:83]
	global_load_dwordx2 v[84:85], v[84:85], off
	s_waitcnt vmcnt(0)
	v_mul_f64 v[84:85], s[22:23], v[84:85]
	v_cvt_f32_f64_e32 v84, v[84:85]
	s_branch .LBB179_326
.LBB179_325:
	v_mov_b32_e32 v84, 0
.LBB179_326:
	v_add_f64 v[86:87], v[38:39], v[78:79]
	v_add_f64 v[88:89], v[36:37], v[76:77]
	v_cvt_f32_f64_e32 v85, v[88:89]
	v_cvt_f32_f64_e32 v86, v[86:87]
	v_min3_f32 v85, v85, v86, v161
	v_add_f64 v[86:87], v[34:35], v[74:75]
	v_add_f64 v[88:89], v[32:33], v[72:73]
	v_cvt_f32_f64_e32 v88, v[88:89]
	v_cvt_f32_f64_e32 v86, v[86:87]
	v_min_f32_e32 v86, v88, v86
	v_min3_f32 v84, v84, v86, v85
	v_cvt_f64_f32_e32 v[84:85], v84
	v_lshl_add_u64 v[86:87], v[136:137], 3, v[80:81]
	global_store_dwordx2 v[86:87], v[84:85], off
	s_or_b64 exec, exec, s[20:21]
	s_and_b64 s[34:35], s[12:13], s[18:19]
	s_and_saveexec_b64 s[20:21], s[34:35]
	s_cbranch_execz .LBB179_305
.LBB179_327:
	s_and_b64 vcc, exec, s[0:1]
	s_cbranch_vccnz .LBB179_329
; %bb.328:
	v_lshl_add_u64 v[84:85], v[138:139], 3, v[82:83]
	global_load_dwordx2 v[84:85], v[84:85], off
	s_waitcnt vmcnt(0)
	v_mul_f64 v[84:85], s[22:23], v[84:85]
	v_cvt_f32_f64_e32 v84, v[84:85]
	s_branch .LBB179_330
.LBB179_329:
	v_mov_b32_e32 v84, 0
.LBB179_330:
	v_add_f64 v[86:87], v[30:31], v[78:79]
	v_add_f64 v[88:89], v[28:29], v[76:77]
	v_cvt_f32_f64_e32 v85, v[88:89]
	v_cvt_f32_f64_e32 v86, v[86:87]
	v_min3_f32 v85, v85, v86, v160
	v_add_f64 v[86:87], v[26:27], v[74:75]
	v_add_f64 v[88:89], v[24:25], v[72:73]
	v_cvt_f32_f64_e32 v88, v[88:89]
	v_cvt_f32_f64_e32 v86, v[86:87]
	v_min_f32_e32 v86, v88, v86
	v_min3_f32 v84, v84, v86, v85
	v_cvt_f64_f32_e32 v[84:85], v84
	v_lshl_add_u64 v[86:87], v[138:139], 3, v[80:81]
	global_store_dwordx2 v[86:87], v[84:85], off
	s_or_b64 exec, exec, s[20:21]
	s_and_b64 s[34:35], s[14:15], s[18:19]
	s_and_saveexec_b64 s[20:21], s[34:35]
	s_cbranch_execz .LBB179_306
.LBB179_331:
	s_and_b64 vcc, exec, s[0:1]
	s_cbranch_vccnz .LBB179_333
; %bb.332:
	v_lshl_add_u64 v[84:85], v[140:141], 3, v[82:83]
	global_load_dwordx2 v[84:85], v[84:85], off
	s_waitcnt vmcnt(0)
	v_mul_f64 v[84:85], s[22:23], v[84:85]
	v_cvt_f32_f64_e32 v84, v[84:85]
	s_branch .LBB179_334
.LBB179_333:
	v_mov_b32_e32 v84, 0
.LBB179_334:
	v_add_f64 v[86:87], v[22:23], v[78:79]
	v_add_f64 v[88:89], v[20:21], v[76:77]
	v_cvt_f32_f64_e32 v85, v[88:89]
	v_cvt_f32_f64_e32 v86, v[86:87]
	v_min3_f32 v85, v85, v86, v157
	v_add_f64 v[86:87], v[18:19], v[74:75]
	v_add_f64 v[88:89], v[16:17], v[72:73]
	v_cvt_f32_f64_e32 v88, v[88:89]
	v_cvt_f32_f64_e32 v86, v[86:87]
	v_min_f32_e32 v86, v88, v86
	v_min3_f32 v84, v84, v86, v85
	v_cvt_f64_f32_e32 v[84:85], v84
	v_lshl_add_u64 v[86:87], v[140:141], 3, v[80:81]
	global_store_dwordx2 v[86:87], v[84:85], off
	s_or_b64 exec, exec, s[20:21]
	s_and_b64 s[20:21], s[16:17], s[18:19]
	s_and_saveexec_b64 s[18:19], s[20:21]
	s_cbranch_execz .LBB179_339
.LBB179_335:
	s_and_b64 vcc, exec, s[0:1]
	s_cbranch_vccnz .LBB179_337
; %bb.336:
	v_lshl_add_u64 v[82:83], v[142:143], 3, v[82:83]
	global_load_dwordx2 v[82:83], v[82:83], off
	s_waitcnt vmcnt(0)
	v_mul_f64 v[82:83], s[22:23], v[82:83]
	v_cvt_f32_f64_e32 v82, v[82:83]
	s_branch .LBB179_338
.LBB179_337:
	v_mov_b32_e32 v82, 0
.LBB179_338:
	v_add_f64 v[78:79], v[6:7], v[78:79]
	v_add_f64 v[76:77], v[4:5], v[76:77]
	;; [unrolled: 1-line block ×4, first 2 shown]
	v_cvt_f32_f64_e32 v76, v[76:77]
	v_cvt_f32_f64_e32 v77, v[78:79]
	;; [unrolled: 1-line block ×4, first 2 shown]
	v_min3_f32 v76, v76, v77, v156
	v_min_f32_e32 v72, v72, v73
	v_min3_f32 v72, v82, v72, v76
	v_cvt_f64_f32_e32 v[72:73], v72
	v_lshl_add_u64 v[74:75], v[142:143], 3, v[80:81]
	global_store_dwordx2 v[74:75], v[72:73], off
.LBB179_339:
	s_or_b64 exec, exec, s[18:19]
	v_add_u32_e32 v76, 0xe0, v158
	v_mad_i64_i32 v[72:73], s[20:21], v76, s29, 0
	v_cmp_gt_i32_e64 s[18:19], s25, v76
	v_lshl_add_u64 v[74:75], v[72:73], 3, s[30:31]
	v_mad_i64_i32 v[72:73], s[20:21], v76, s28, 0
	v_lshl_add_u64 v[72:73], v[72:73], 3, s[26:27]
	s_and_b64 s[20:21], s[2:3], s[18:19]
	s_and_saveexec_b64 s[2:3], s[20:21]
	s_cbranch_execnz .LBB179_348
; %bb.340:
	s_or_b64 exec, exec, s[2:3]
	s_and_b64 s[4:5], s[4:5], s[18:19]
	s_and_saveexec_b64 s[2:3], s[4:5]
	s_cbranch_execnz .LBB179_352
.LBB179_341:
	s_or_b64 exec, exec, s[2:3]
	s_and_b64 s[4:5], s[6:7], s[18:19]
	s_and_saveexec_b64 s[2:3], s[4:5]
	s_cbranch_execnz .LBB179_356
.LBB179_342:
	s_or_b64 exec, exec, s[2:3]
	s_and_b64 s[4:5], s[8:9], s[18:19]
	s_and_saveexec_b64 s[2:3], s[4:5]
	s_cbranch_execnz .LBB179_360
.LBB179_343:
	s_or_b64 exec, exec, s[2:3]
	s_and_b64 s[4:5], s[10:11], s[18:19]
	s_and_saveexec_b64 s[2:3], s[4:5]
	s_cbranch_execnz .LBB179_364
.LBB179_344:
	s_or_b64 exec, exec, s[2:3]
	s_and_b64 s[4:5], s[12:13], s[18:19]
	s_and_saveexec_b64 s[2:3], s[4:5]
	s_cbranch_execnz .LBB179_368
.LBB179_345:
	s_or_b64 exec, exec, s[2:3]
	s_and_b64 s[4:5], s[14:15], s[18:19]
	s_and_saveexec_b64 s[2:3], s[4:5]
	s_cbranch_execnz .LBB179_372
.LBB179_346:
	s_or_b64 exec, exec, s[2:3]
	s_and_b64 s[2:3], s[16:17], s[18:19]
	s_and_saveexec_b64 s[4:5], s[2:3]
	s_cbranch_execnz .LBB179_376
.LBB179_347:
	s_endpgm
.LBB179_348:
	s_and_b64 vcc, exec, s[0:1]
	s_cbranch_vccnz .LBB179_350
; %bb.349:
	v_lshl_add_u64 v[76:77], v[128:129], 3, v[74:75]
	global_load_dwordx2 v[76:77], v[76:77], off
	s_waitcnt vmcnt(0)
	v_mul_f64 v[76:77], s[22:23], v[76:77]
	v_cvt_f32_f64_e32 v76, v[76:77]
	s_branch .LBB179_351
.LBB179_350:
	v_mov_b32_e32 v76, 0
.LBB179_351:
	v_add_f64 v[70:71], v[70:71], v[14:15]
	v_add_f64 v[68:69], v[68:69], v[12:13]
	;; [unrolled: 1-line block ×4, first 2 shown]
	v_cvt_f32_f64_e32 v68, v[68:69]
	v_cvt_f32_f64_e32 v69, v[70:71]
	;; [unrolled: 1-line block ×4, first 2 shown]
	v_min3_f32 v68, v68, v69, v155
	v_min_f32_e32 v64, v64, v65
	v_min3_f32 v64, v76, v64, v68
	v_cvt_f64_f32_e32 v[64:65], v64
	v_lshl_add_u64 v[66:67], v[128:129], 3, v[72:73]
	global_store_dwordx2 v[66:67], v[64:65], off
	s_or_b64 exec, exec, s[2:3]
	s_and_b64 s[4:5], s[4:5], s[18:19]
	s_and_saveexec_b64 s[2:3], s[4:5]
	s_cbranch_execz .LBB179_341
.LBB179_352:
	s_and_b64 vcc, exec, s[0:1]
	s_cbranch_vccnz .LBB179_354
; %bb.353:
	v_lshl_add_u64 v[64:65], v[130:131], 3, v[74:75]
	global_load_dwordx2 v[64:65], v[64:65], off
	s_waitcnt vmcnt(0)
	v_mul_f64 v[64:65], s[22:23], v[64:65]
	v_cvt_f32_f64_e32 v64, v[64:65]
	s_branch .LBB179_355
.LBB179_354:
	v_mov_b32_e32 v64, 0
.LBB179_355:
	v_add_f64 v[62:63], v[62:63], v[14:15]
	v_add_f64 v[60:61], v[60:61], v[12:13]
	;; [unrolled: 1-line block ×4, first 2 shown]
	v_cvt_f32_f64_e32 v60, v[60:61]
	v_cvt_f32_f64_e32 v61, v[62:63]
	;; [unrolled: 1-line block ×4, first 2 shown]
	v_min3_f32 v60, v60, v61, v154
	v_min_f32_e32 v56, v56, v57
	v_min3_f32 v56, v64, v56, v60
	v_cvt_f64_f32_e32 v[56:57], v56
	v_lshl_add_u64 v[58:59], v[130:131], 3, v[72:73]
	global_store_dwordx2 v[58:59], v[56:57], off
	s_or_b64 exec, exec, s[2:3]
	s_and_b64 s[4:5], s[6:7], s[18:19]
	s_and_saveexec_b64 s[2:3], s[4:5]
	s_cbranch_execz .LBB179_342
.LBB179_356:
	s_and_b64 vcc, exec, s[0:1]
	s_cbranch_vccnz .LBB179_358
; %bb.357:
	v_lshl_add_u64 v[56:57], v[132:133], 3, v[74:75]
	global_load_dwordx2 v[56:57], v[56:57], off
	s_waitcnt vmcnt(0)
	v_mul_f64 v[56:57], s[22:23], v[56:57]
	v_cvt_f32_f64_e32 v56, v[56:57]
	s_branch .LBB179_359
.LBB179_358:
	v_mov_b32_e32 v56, 0
.LBB179_359:
	v_add_f64 v[54:55], v[54:55], v[14:15]
	v_add_f64 v[52:53], v[52:53], v[12:13]
	;; [unrolled: 1-line block ×4, first 2 shown]
	v_cvt_f32_f64_e32 v52, v[52:53]
	v_cvt_f32_f64_e32 v53, v[54:55]
	;; [unrolled: 1-line block ×4, first 2 shown]
	v_min3_f32 v52, v52, v53, v153
	v_min_f32_e32 v48, v48, v49
	v_min3_f32 v48, v56, v48, v52
	v_cvt_f64_f32_e32 v[48:49], v48
	v_lshl_add_u64 v[50:51], v[132:133], 3, v[72:73]
	global_store_dwordx2 v[50:51], v[48:49], off
	s_or_b64 exec, exec, s[2:3]
	s_and_b64 s[4:5], s[8:9], s[18:19]
	s_and_saveexec_b64 s[2:3], s[4:5]
	s_cbranch_execz .LBB179_343
.LBB179_360:
	s_and_b64 vcc, exec, s[0:1]
	s_cbranch_vccnz .LBB179_362
; %bb.361:
	v_lshl_add_u64 v[48:49], v[134:135], 3, v[74:75]
	global_load_dwordx2 v[48:49], v[48:49], off
	s_waitcnt vmcnt(0)
	v_mul_f64 v[48:49], s[22:23], v[48:49]
	v_cvt_f32_f64_e32 v48, v[48:49]
	s_branch .LBB179_363
.LBB179_362:
	v_mov_b32_e32 v48, 0
.LBB179_363:
	v_add_f64 v[46:47], v[46:47], v[14:15]
	v_add_f64 v[44:45], v[44:45], v[12:13]
	;; [unrolled: 1-line block ×4, first 2 shown]
	v_cvt_f32_f64_e32 v44, v[44:45]
	v_cvt_f32_f64_e32 v45, v[46:47]
	;; [unrolled: 1-line block ×4, first 2 shown]
	v_min3_f32 v44, v44, v45, v152
	v_min_f32_e32 v40, v40, v41
	v_min3_f32 v40, v48, v40, v44
	v_cvt_f64_f32_e32 v[40:41], v40
	v_lshl_add_u64 v[42:43], v[134:135], 3, v[72:73]
	global_store_dwordx2 v[42:43], v[40:41], off
	s_or_b64 exec, exec, s[2:3]
	s_and_b64 s[4:5], s[10:11], s[18:19]
	s_and_saveexec_b64 s[2:3], s[4:5]
	s_cbranch_execz .LBB179_344
.LBB179_364:
	s_and_b64 vcc, exec, s[0:1]
	s_cbranch_vccnz .LBB179_366
; %bb.365:
	v_lshl_add_u64 v[40:41], v[136:137], 3, v[74:75]
	global_load_dwordx2 v[40:41], v[40:41], off
	s_waitcnt vmcnt(0)
	v_mul_f64 v[40:41], s[22:23], v[40:41]
	v_cvt_f32_f64_e32 v40, v[40:41]
	s_branch .LBB179_367
.LBB179_366:
	v_mov_b32_e32 v40, 0
.LBB179_367:
	v_add_f64 v[38:39], v[38:39], v[14:15]
	v_add_f64 v[36:37], v[36:37], v[12:13]
	;; [unrolled: 1-line block ×4, first 2 shown]
	v_cvt_f32_f64_e32 v36, v[36:37]
	v_cvt_f32_f64_e32 v37, v[38:39]
	;; [unrolled: 1-line block ×4, first 2 shown]
	v_min3_f32 v36, v36, v37, v151
	v_min_f32_e32 v32, v32, v33
	v_min3_f32 v32, v40, v32, v36
	v_cvt_f64_f32_e32 v[32:33], v32
	v_lshl_add_u64 v[34:35], v[136:137], 3, v[72:73]
	global_store_dwordx2 v[34:35], v[32:33], off
	s_or_b64 exec, exec, s[2:3]
	s_and_b64 s[4:5], s[12:13], s[18:19]
	s_and_saveexec_b64 s[2:3], s[4:5]
	s_cbranch_execz .LBB179_345
.LBB179_368:
	s_and_b64 vcc, exec, s[0:1]
	s_cbranch_vccnz .LBB179_370
; %bb.369:
	v_lshl_add_u64 v[32:33], v[138:139], 3, v[74:75]
	global_load_dwordx2 v[32:33], v[32:33], off
	s_waitcnt vmcnt(0)
	v_mul_f64 v[32:33], s[22:23], v[32:33]
	v_cvt_f32_f64_e32 v32, v[32:33]
	s_branch .LBB179_371
.LBB179_370:
	v_mov_b32_e32 v32, 0
.LBB179_371:
	v_add_f64 v[30:31], v[30:31], v[14:15]
	v_add_f64 v[28:29], v[28:29], v[12:13]
	;; [unrolled: 1-line block ×4, first 2 shown]
	v_cvt_f32_f64_e32 v28, v[28:29]
	v_cvt_f32_f64_e32 v29, v[30:31]
	;; [unrolled: 1-line block ×4, first 2 shown]
	v_min3_f32 v28, v28, v29, v150
	v_min_f32_e32 v24, v24, v25
	v_min3_f32 v24, v32, v24, v28
	v_cvt_f64_f32_e32 v[24:25], v24
	v_lshl_add_u64 v[26:27], v[138:139], 3, v[72:73]
	global_store_dwordx2 v[26:27], v[24:25], off
	s_or_b64 exec, exec, s[2:3]
	s_and_b64 s[4:5], s[14:15], s[18:19]
	s_and_saveexec_b64 s[2:3], s[4:5]
	s_cbranch_execz .LBB179_346
.LBB179_372:
	s_and_b64 vcc, exec, s[0:1]
	s_cbranch_vccnz .LBB179_374
; %bb.373:
	v_lshl_add_u64 v[24:25], v[140:141], 3, v[74:75]
	global_load_dwordx2 v[24:25], v[24:25], off
	s_waitcnt vmcnt(0)
	v_mul_f64 v[24:25], s[22:23], v[24:25]
	v_cvt_f32_f64_e32 v24, v[24:25]
	s_branch .LBB179_375
.LBB179_374:
	v_mov_b32_e32 v24, 0
.LBB179_375:
	v_add_f64 v[22:23], v[22:23], v[14:15]
	v_add_f64 v[20:21], v[20:21], v[12:13]
	;; [unrolled: 1-line block ×4, first 2 shown]
	v_cvt_f32_f64_e32 v20, v[20:21]
	v_cvt_f32_f64_e32 v21, v[22:23]
	;; [unrolled: 1-line block ×4, first 2 shown]
	v_min3_f32 v20, v20, v21, v149
	v_min_f32_e32 v16, v16, v17
	v_min3_f32 v16, v24, v16, v20
	v_cvt_f64_f32_e32 v[16:17], v16
	v_lshl_add_u64 v[18:19], v[140:141], 3, v[72:73]
	global_store_dwordx2 v[18:19], v[16:17], off
	s_or_b64 exec, exec, s[2:3]
	s_and_b64 s[2:3], s[16:17], s[18:19]
	s_and_saveexec_b64 s[4:5], s[2:3]
	s_cbranch_execz .LBB179_347
.LBB179_376:
	s_and_b64 vcc, exec, s[0:1]
	s_cbranch_vccnz .LBB179_378
; %bb.377:
	v_lshl_add_u64 v[16:17], v[142:143], 3, v[74:75]
	global_load_dwordx2 v[16:17], v[16:17], off
	s_waitcnt vmcnt(0)
	v_mul_f64 v[16:17], s[22:23], v[16:17]
	v_cvt_f32_f64_e32 v16, v[16:17]
	s_branch .LBB179_379
.LBB179_378:
	v_mov_b32_e32 v16, 0
.LBB179_379:
	v_add_f64 v[6:7], v[6:7], v[14:15]
	v_add_f64 v[4:5], v[4:5], v[12:13]
	;; [unrolled: 1-line block ×4, first 2 shown]
	v_cvt_f32_f64_e32 v4, v[4:5]
	v_cvt_f32_f64_e32 v5, v[6:7]
	v_cvt_f32_f64_e32 v0, v[0:1]
	v_cvt_f32_f64_e32 v1, v[2:3]
	v_min3_f32 v4, v4, v5, v148
	v_min_f32_e32 v0, v0, v1
	v_min3_f32 v0, v16, v0, v4
	v_cvt_f64_f32_e32 v[0:1], v0
	v_lshl_add_u64 v[2:3], v[142:143], 3, v[72:73]
	global_store_dwordx2 v[2:3], v[0:1], off
	s_endpgm
	.section	.rodata,"a",@progbits
	.p2align	6, 0x0
	.amdhsa_kernel _ZN12_GLOBAL__N_120geam_min_plus_kernelId15HIP_vector_typeIdLj2EEdLi8ELi32ELi64ELi256ELi4ELi4ELi64ELi64ELi4ELc84ELc84ELb0ELb1ELb1EdKddEEviiiT16_PT17_ilS6_ilS4_S6_ilPT18_ili26rocblas_geam_ex_operation_
		.amdhsa_group_segment_fixed_size 20480
		.amdhsa_private_segment_fixed_size 0
		.amdhsa_kernarg_size 136
		.amdhsa_user_sgpr_count 2
		.amdhsa_user_sgpr_dispatch_ptr 0
		.amdhsa_user_sgpr_queue_ptr 0
		.amdhsa_user_sgpr_kernarg_segment_ptr 1
		.amdhsa_user_sgpr_dispatch_id 0
		.amdhsa_user_sgpr_kernarg_preload_length 0
		.amdhsa_user_sgpr_kernarg_preload_offset 0
		.amdhsa_user_sgpr_private_segment_size 0
		.amdhsa_uses_dynamic_stack 0
		.amdhsa_enable_private_segment 0
		.amdhsa_system_sgpr_workgroup_id_x 1
		.amdhsa_system_sgpr_workgroup_id_y 0
		.amdhsa_system_sgpr_workgroup_id_z 1
		.amdhsa_system_sgpr_workgroup_info 0
		.amdhsa_system_vgpr_workitem_id 1
		.amdhsa_next_free_vgpr 225
		.amdhsa_next_free_sgpr 44
		.amdhsa_accum_offset 228
		.amdhsa_reserve_vcc 1
		.amdhsa_float_round_mode_32 0
		.amdhsa_float_round_mode_16_64 0
		.amdhsa_float_denorm_mode_32 3
		.amdhsa_float_denorm_mode_16_64 3
		.amdhsa_dx10_clamp 1
		.amdhsa_ieee_mode 1
		.amdhsa_fp16_overflow 0
		.amdhsa_tg_split 0
		.amdhsa_exception_fp_ieee_invalid_op 0
		.amdhsa_exception_fp_denorm_src 0
		.amdhsa_exception_fp_ieee_div_zero 0
		.amdhsa_exception_fp_ieee_overflow 0
		.amdhsa_exception_fp_ieee_underflow 0
		.amdhsa_exception_fp_ieee_inexact 0
		.amdhsa_exception_int_div_zero 0
	.end_amdhsa_kernel
	.section	.text._ZN12_GLOBAL__N_120geam_min_plus_kernelId15HIP_vector_typeIdLj2EEdLi8ELi32ELi64ELi256ELi4ELi4ELi64ELi64ELi4ELc84ELc84ELb0ELb1ELb1EdKddEEviiiT16_PT17_ilS6_ilS4_S6_ilPT18_ili26rocblas_geam_ex_operation_,"axG",@progbits,_ZN12_GLOBAL__N_120geam_min_plus_kernelId15HIP_vector_typeIdLj2EEdLi8ELi32ELi64ELi256ELi4ELi4ELi64ELi64ELi4ELc84ELc84ELb0ELb1ELb1EdKddEEviiiT16_PT17_ilS6_ilS4_S6_ilPT18_ili26rocblas_geam_ex_operation_,comdat
.Lfunc_end179:
	.size	_ZN12_GLOBAL__N_120geam_min_plus_kernelId15HIP_vector_typeIdLj2EEdLi8ELi32ELi64ELi256ELi4ELi4ELi64ELi64ELi4ELc84ELc84ELb0ELb1ELb1EdKddEEviiiT16_PT17_ilS6_ilS4_S6_ilPT18_ili26rocblas_geam_ex_operation_, .Lfunc_end179-_ZN12_GLOBAL__N_120geam_min_plus_kernelId15HIP_vector_typeIdLj2EEdLi8ELi32ELi64ELi256ELi4ELi4ELi64ELi64ELi4ELc84ELc84ELb0ELb1ELb1EdKddEEviiiT16_PT17_ilS6_ilS4_S6_ilPT18_ili26rocblas_geam_ex_operation_
                                        ; -- End function
	.set _ZN12_GLOBAL__N_120geam_min_plus_kernelId15HIP_vector_typeIdLj2EEdLi8ELi32ELi64ELi256ELi4ELi4ELi64ELi64ELi4ELc84ELc84ELb0ELb1ELb1EdKddEEviiiT16_PT17_ilS6_ilS4_S6_ilPT18_ili26rocblas_geam_ex_operation_.num_vgpr, 225
	.set _ZN12_GLOBAL__N_120geam_min_plus_kernelId15HIP_vector_typeIdLj2EEdLi8ELi32ELi64ELi256ELi4ELi4ELi64ELi64ELi4ELc84ELc84ELb0ELb1ELb1EdKddEEviiiT16_PT17_ilS6_ilS4_S6_ilPT18_ili26rocblas_geam_ex_operation_.num_agpr, 0
	.set _ZN12_GLOBAL__N_120geam_min_plus_kernelId15HIP_vector_typeIdLj2EEdLi8ELi32ELi64ELi256ELi4ELi4ELi64ELi64ELi4ELc84ELc84ELb0ELb1ELb1EdKddEEviiiT16_PT17_ilS6_ilS4_S6_ilPT18_ili26rocblas_geam_ex_operation_.numbered_sgpr, 44
	.set _ZN12_GLOBAL__N_120geam_min_plus_kernelId15HIP_vector_typeIdLj2EEdLi8ELi32ELi64ELi256ELi4ELi4ELi64ELi64ELi4ELc84ELc84ELb0ELb1ELb1EdKddEEviiiT16_PT17_ilS6_ilS4_S6_ilPT18_ili26rocblas_geam_ex_operation_.num_named_barrier, 0
	.set _ZN12_GLOBAL__N_120geam_min_plus_kernelId15HIP_vector_typeIdLj2EEdLi8ELi32ELi64ELi256ELi4ELi4ELi64ELi64ELi4ELc84ELc84ELb0ELb1ELb1EdKddEEviiiT16_PT17_ilS6_ilS4_S6_ilPT18_ili26rocblas_geam_ex_operation_.private_seg_size, 0
	.set _ZN12_GLOBAL__N_120geam_min_plus_kernelId15HIP_vector_typeIdLj2EEdLi8ELi32ELi64ELi256ELi4ELi4ELi64ELi64ELi4ELc84ELc84ELb0ELb1ELb1EdKddEEviiiT16_PT17_ilS6_ilS4_S6_ilPT18_ili26rocblas_geam_ex_operation_.uses_vcc, 1
	.set _ZN12_GLOBAL__N_120geam_min_plus_kernelId15HIP_vector_typeIdLj2EEdLi8ELi32ELi64ELi256ELi4ELi4ELi64ELi64ELi4ELc84ELc84ELb0ELb1ELb1EdKddEEviiiT16_PT17_ilS6_ilS4_S6_ilPT18_ili26rocblas_geam_ex_operation_.uses_flat_scratch, 0
	.set _ZN12_GLOBAL__N_120geam_min_plus_kernelId15HIP_vector_typeIdLj2EEdLi8ELi32ELi64ELi256ELi4ELi4ELi64ELi64ELi4ELc84ELc84ELb0ELb1ELb1EdKddEEviiiT16_PT17_ilS6_ilS4_S6_ilPT18_ili26rocblas_geam_ex_operation_.has_dyn_sized_stack, 0
	.set _ZN12_GLOBAL__N_120geam_min_plus_kernelId15HIP_vector_typeIdLj2EEdLi8ELi32ELi64ELi256ELi4ELi4ELi64ELi64ELi4ELc84ELc84ELb0ELb1ELb1EdKddEEviiiT16_PT17_ilS6_ilS4_S6_ilPT18_ili26rocblas_geam_ex_operation_.has_recursion, 0
	.set _ZN12_GLOBAL__N_120geam_min_plus_kernelId15HIP_vector_typeIdLj2EEdLi8ELi32ELi64ELi256ELi4ELi4ELi64ELi64ELi4ELc84ELc84ELb0ELb1ELb1EdKddEEviiiT16_PT17_ilS6_ilS4_S6_ilPT18_ili26rocblas_geam_ex_operation_.has_indirect_call, 0
	.section	.AMDGPU.csdata,"",@progbits
; Kernel info:
; codeLenInByte = 26952
; TotalNumSgprs: 50
; NumVgprs: 225
; NumAgprs: 0
; TotalNumVgprs: 225
; ScratchSize: 0
; MemoryBound: 1
; FloatMode: 240
; IeeeMode: 1
; LDSByteSize: 20480 bytes/workgroup (compile time only)
; SGPRBlocks: 6
; VGPRBlocks: 28
; NumSGPRsForWavesPerEU: 50
; NumVGPRsForWavesPerEU: 225
; AccumOffset: 228
; Occupancy: 2
; WaveLimiterHint : 0
; COMPUTE_PGM_RSRC2:SCRATCH_EN: 0
; COMPUTE_PGM_RSRC2:USER_SGPR: 2
; COMPUTE_PGM_RSRC2:TRAP_HANDLER: 0
; COMPUTE_PGM_RSRC2:TGID_X_EN: 1
; COMPUTE_PGM_RSRC2:TGID_Y_EN: 0
; COMPUTE_PGM_RSRC2:TGID_Z_EN: 1
; COMPUTE_PGM_RSRC2:TIDIG_COMP_CNT: 1
; COMPUTE_PGM_RSRC3_GFX90A:ACCUM_OFFSET: 56
; COMPUTE_PGM_RSRC3_GFX90A:TG_SPLIT: 0
	.section	.text._ZN12_GLOBAL__N_120geam_min_plus_kernelIdddLi4ELi64ELi128ELi128ELi4ELi64ELi4ELi4ELi64ELc78ELc78ELb0ELb0ELb0EPKdS1_dEEviiiT16_PT17_ilS5_ilS3_S5_ilPT18_ili26rocblas_geam_ex_operation_,"axG",@progbits,_ZN12_GLOBAL__N_120geam_min_plus_kernelIdddLi4ELi64ELi128ELi128ELi4ELi64ELi4ELi4ELi64ELc78ELc78ELb0ELb0ELb0EPKdS1_dEEviiiT16_PT17_ilS5_ilS3_S5_ilPT18_ili26rocblas_geam_ex_operation_,comdat
	.globl	_ZN12_GLOBAL__N_120geam_min_plus_kernelIdddLi4ELi64ELi128ELi128ELi4ELi64ELi4ELi4ELi64ELc78ELc78ELb0ELb0ELb0EPKdS1_dEEviiiT16_PT17_ilS5_ilS3_S5_ilPT18_ili26rocblas_geam_ex_operation_ ; -- Begin function _ZN12_GLOBAL__N_120geam_min_plus_kernelIdddLi4ELi64ELi128ELi128ELi4ELi64ELi4ELi4ELi64ELc78ELc78ELb0ELb0ELb0EPKdS1_dEEviiiT16_PT17_ilS5_ilS3_S5_ilPT18_ili26rocblas_geam_ex_operation_
	.p2align	8
	.type	_ZN12_GLOBAL__N_120geam_min_plus_kernelIdddLi4ELi64ELi128ELi128ELi4ELi64ELi4ELi4ELi64ELc78ELc78ELb0ELb0ELb0EPKdS1_dEEviiiT16_PT17_ilS5_ilS3_S5_ilPT18_ili26rocblas_geam_ex_operation_,@function
_ZN12_GLOBAL__N_120geam_min_plus_kernelIdddLi4ELi64ELi128ELi128ELi4ELi64ELi4ELi4ELi64ELc78ELc78ELb0ELb0ELb0EPKdS1_dEEviiiT16_PT17_ilS5_ilS3_S5_ilPT18_ili26rocblas_geam_ex_operation_: ; @_ZN12_GLOBAL__N_120geam_min_plus_kernelIdddLi4ELi64ELi128ELi128ELi4ELi64ELi4ELi4ELi64ELc78ELc78ELb0ELb0ELb0EPKdS1_dEEviiiT16_PT17_ilS5_ilS3_S5_ilPT18_ili26rocblas_geam_ex_operation_
; %bb.0:
	s_load_dwordx4 s[4:7], s[0:1], 0x10
	s_load_dwordx4 s[8:11], s[0:1], 0x28
	s_load_dwordx4 s[12:15], s[0:1], 0x40
	s_mov_b32 s18, s3
	s_mov_b32 s19, 0
	s_lshl_b64 s[16:17], s[18:19], 3
	s_waitcnt lgkmcnt(0)
	s_add_u32 s4, s4, s16
	s_addc_u32 s5, s5, s17
	s_load_dwordx2 s[20:21], s[4:5], 0x0
	s_load_dwordx2 s[26:27], s[0:1], 0x50
	s_add_u32 s14, s14, s16
	s_addc_u32 s15, s15, s17
	s_mov_b64 s[22:23], 0
	s_waitcnt lgkmcnt(0)
	v_cmp_eq_f64_e64 s[4:5], s[20:21], 0
	s_and_b64 s[4:5], exec, s[4:5]
	v_cmp_neq_f64_e64 s[28:29], s[20:21], 0
	s_mov_b64 s[24:25], 0
	s_mov_b64 vcc, s[4:5]
	s_cbranch_vccnz .LBB180_2
; %bb.1:
	s_mul_i32 s3, s9, s18
	s_mul_hi_u32 s9, s8, s18
	s_add_i32 s9, s9, s3
	s_mul_i32 s8, s8, s18
	s_lshl_b64 s[8:9], s[8:9], 3
	s_add_u32 s24, s6, s8
	s_addc_u32 s25, s7, s9
.LBB180_2:
	s_load_dwordx2 s[16:17], s[14:15], 0x0
	v_cndmask_b32_e64 v1, 0, 1, s[28:29]
	v_cmp_ne_u32_e64 s[6:7], 1, v1
	s_andn2_b64 vcc, exec, s[28:29]
	s_cbranch_vccnz .LBB180_4
; %bb.3:
	s_mul_i32 s3, s13, s18
	s_mul_hi_u32 s8, s12, s18
	s_add_i32 s9, s8, s3
	s_mul_i32 s8, s12, s18
	s_lshl_b64 s[8:9], s[8:9], 3
	s_add_u32 s22, s10, s8
	s_addc_u32 s23, s11, s9
.LBB180_4:
	s_load_dwordx4 s[12:15], s[0:1], 0x60
	s_waitcnt lgkmcnt(0)
	v_cmp_eq_f64_e64 s[8:9], s[16:17], 0
	s_and_b64 s[8:9], exec, s[8:9]
	s_mov_b64 s[10:11], 0
	s_mov_b64 vcc, s[8:9]
	s_cbranch_vccnz .LBB180_6
; %bb.5:
	s_mul_i32 s3, s13, s18
	s_mul_hi_u32 s10, s12, s18
	s_add_i32 s11, s10, s3
	s_mul_i32 s10, s12, s18
	s_lshl_b64 s[10:11], s[10:11], 3
	s_add_u32 s10, s26, s10
	s_addc_u32 s11, s27, s11
.LBB180_6:
	s_load_dword s3, s[0:1], 0x0
	s_load_dword s19, s[0:1], 0x20
	v_and_b32_e32 v144, 0x3ff, v0
	v_bfe_u32 v145, v0, 10, 10
	v_lshl_add_u32 v2, v145, 2, v144
	s_waitcnt lgkmcnt(0)
	s_add_i32 s3, s3, -1
	s_ashr_i32 s12, s3, 31
	s_lshr_b32 s12, s12, 25
	s_add_i32 s3, s3, s12
	s_ashr_i32 s3, s3, 7
	s_add_i32 s12, s3, 1
	v_cvt_f32_u32_e32 v1, s12
	s_not_b32 s3, s3
	s_ashr_i32 s26, s19, 31
	v_and_b32_e32 v138, 63, v2
	v_rcp_iflag_f32_e32 v0, v1
	v_mov_b64_e32 v[6:7], 0
	v_lshrrev_b32_e32 v146, 6, v2
	v_mov_b64_e32 v[8:9], 0
	v_mul_f32_e32 v0, 0x4f7ffffe, v0
	v_cvt_u32_f32_e32 v0, v0
	v_mov_b64_e32 v[10:11], 0
	v_readfirstlane_b32 s13, v0
	s_mul_i32 s3, s3, s13
	s_mul_hi_u32 s3, s13, s3
	s_add_i32 s13, s13, s3
	s_mul_hi_u32 s3, s2, s13
	s_mul_i32 s13, s3, s12
	s_sub_i32 s13, s2, s13
	s_add_i32 s27, s3, 1
	s_sub_i32 s28, s13, s12
	s_cmp_ge_u32 s13, s12
	s_cselect_b32 s3, s27, s3
	s_cselect_b32 s13, s28, s13
	s_add_i32 s27, s3, 1
	s_cmp_ge_u32 s13, s12
	s_cselect_b32 s3, s27, s3
	s_mul_i32 s12, s3, s12
	s_sub_i32 s2, s2, s12
	s_lshl_b32 s12, s2, 7
	v_or_b32_e32 v0, s12, v138
	s_and_b64 vcc, exec, s[6:7]
	v_ashrrev_i32_e32 v1, 31, v0
	s_cbranch_vccnz .LBB180_8
; %bb.7:
	v_mad_i64_i32 v[4:5], s[28:29], s19, v146, 0
	v_lshl_add_u64 v[4:5], v[4:5], 3, s[24:25]
	v_lshl_add_u64 v[4:5], v[0:1], 3, v[4:5]
	global_load_dwordx2 v[8:9], v[4:5], off
	global_load_dwordx2 v[12:13], v[4:5], off offset:512
	s_waitcnt vmcnt(1)
	v_mul_f64 v[10:11], s[20:21], v[8:9]
	s_waitcnt vmcnt(0)
	v_mul_f64 v[8:9], s[20:21], v[12:13]
.LBB180_8:
	s_load_dword s27, s[0:1], 0x38
	v_lshrrev_b32_e32 v16, 2, v2
	s_lshl_b32 s13, s3, 7
	v_and_b32_e32 v147, 3, v144
	v_add_u32_e32 v140, s13, v16
	s_and_b64 vcc, exec, s[6:7]
	v_lshlrev_b32_e32 v12, 3, v147
	v_add_u32_e32 v139, 64, v140
	v_mov_b64_e32 v[14:15], 0
	s_cbranch_vccnz .LBB180_10
; %bb.9:
	v_mov_b32_e32 v13, 0
	v_lshl_add_u64 v[2:3], s[22:23], 0, v[12:13]
	s_waitcnt lgkmcnt(0)
	v_mad_i64_i32 v[4:5], s[2:3], v140, s27, 0
	v_lshl_add_u64 v[4:5], v[4:5], 3, v[2:3]
	v_mad_i64_i32 v[6:7], s[2:3], v139, s27, 0
	v_lshl_add_u64 v[2:3], v[6:7], 3, v[2:3]
	global_load_dwordx2 v[6:7], v[4:5], off
	global_load_dwordx2 v[18:19], v[2:3], off
	s_waitcnt vmcnt(1)
	v_mul_f64 v[14:15], s[20:21], v[6:7]
	s_waitcnt vmcnt(0)
	v_mul_f64 v[6:7], s[20:21], v[18:19]
.LBB180_10:
	v_mov_b64_e32 v[134:135], 0
	s_and_b64 vcc, exec, s[6:7]
	v_add_u32_e32 v149, 4, v146
	v_mov_b64_e32 v[2:3], 0
	v_mov_b64_e32 v[4:5], 0
	s_cbranch_vccnz .LBB180_12
; %bb.11:
	v_mad_i64_i32 v[2:3], s[2:3], s19, v149, 0
	v_lshl_add_u64 v[2:3], v[2:3], 3, s[24:25]
	v_lshl_add_u64 v[2:3], v[0:1], 3, v[2:3]
	global_load_dwordx2 v[4:5], v[2:3], off
	global_load_dwordx2 v[18:19], v[2:3], off offset:512
	s_waitcnt vmcnt(1)
	v_mul_f64 v[4:5], s[20:21], v[4:5]
	s_waitcnt vmcnt(0)
	v_mul_f64 v[2:3], s[20:21], v[18:19]
.LBB180_12:
	s_and_b64 vcc, exec, s[6:7]
	v_mov_b64_e32 v[136:137], 0
	s_cbranch_vccnz .LBB180_14
; %bb.13:
	v_mov_b32_e32 v13, 0
	v_lshl_add_u64 v[18:19], s[22:23], 0, v[12:13]
	s_waitcnt lgkmcnt(0)
	v_mad_i64_i32 v[20:21], s[2:3], v140, s27, 0
	v_lshl_add_u64 v[20:21], v[20:21], 3, v[18:19]
	v_mad_i64_i32 v[22:23], s[2:3], v139, s27, 0
	v_lshl_add_u64 v[18:19], v[22:23], 3, v[18:19]
	global_load_dwordx2 v[22:23], v[20:21], off offset:32
	global_load_dwordx2 v[24:25], v[18:19], off offset:32
	s_waitcnt vmcnt(1)
	v_mul_f64 v[136:137], s[20:21], v[22:23]
	s_waitcnt vmcnt(0)
	v_mul_f64 v[134:135], s[20:21], v[24:25]
.LBB180_14:
	v_lshlrev_b32_e32 v13, 5, v138
	v_lshl_add_u32 v150, v146, 3, v13
	v_lshl_or_b32 v142, v16, 5, v12
	v_lshlrev_b32_e32 v141, 5, v145
	ds_write2st64_b64 v150, v[10:11], v[8:9] offset1:4
	v_add_u32_e32 v151, 0x2000, v142
	ds_write2st64_b64 v142, v[14:15], v[6:7] offset0:16 offset1:20
	v_lshlrev_b32_e32 v152, 5, v144
	v_add_u32_e32 v153, 0x2000, v141
	v_mov_b64_e32 v[132:133], 0
	s_mov_b32 s2, 0
	v_mov_b64_e32 v[130:131], 0
	v_mov_b64_e32 v[128:129], 0
	;; [unrolled: 1-line block ×63, first 2 shown]
	s_waitcnt lgkmcnt(0)
	s_barrier
.LBB180_15:                             ; =>This Inner Loop Header: Depth=1
	v_add_u32_e32 v143, s2, v152
	v_add_u32_e32 v148, s2, v153
	ds_read2_b64 v[154:157], v143 offset1:16
	ds_read2_b64 v[158:161], v143 offset0:32 offset1:48
	ds_read2_b64 v[162:165], v143 offset0:64 offset1:80
	;; [unrolled: 1-line block ×7, first 2 shown]
	ds_read2st64_b64 v[186:189], v148 offset1:4
	v_add_u32_e32 v143, 0x800, v143
	ds_read2_b64 v[190:193], v143 offset1:16
	ds_read2_b64 v[194:197], v143 offset0:32 offset1:48
	ds_read2_b64 v[198:201], v143 offset0:64 offset1:80
	ds_read2_b64 v[202:205], v143 offset0:96 offset1:112
	ds_read2_b64 v[206:209], v143 offset0:128 offset1:144
	ds_read2_b64 v[210:213], v143 offset0:160 offset1:176
	ds_read2_b64 v[214:217], v143 offset0:192 offset1:208
	ds_read2_b64 v[218:221], v143 offset0:224 offset1:240
	s_waitcnt lgkmcnt(14)
	v_max_f64 v[154:155], v[154:155], v[154:155]
	v_max_f64 v[156:157], v[156:157], v[156:157]
	;; [unrolled: 1-line block ×6, first 2 shown]
	s_waitcnt lgkmcnt(13)
	v_max_f64 v[166:167], v[166:167], v[166:167]
	v_max_f64 v[168:169], v[168:169], v[168:169]
	s_waitcnt lgkmcnt(12)
	v_max_f64 v[170:171], v[170:171], v[170:171]
	v_max_f64 v[172:173], v[172:173], v[172:173]
	;; [unrolled: 3-line block ×14, first 2 shown]
	v_min_f64 v[222:223], v[154:155], v[186:187]
	v_min_f64 v[224:225], v[156:157], v[186:187]
	;; [unrolled: 1-line block ×32, first 2 shown]
	s_add_i32 s2, s2, 8
	v_add_f64 v[68:69], v[68:69], v[154:155]
	v_add_f64 v[66:67], v[66:67], v[156:157]
	;; [unrolled: 1-line block ×16, first 2 shown]
	v_min_f64 v[154:155], v[190:191], v[186:187]
	v_min_f64 v[156:157], v[192:193], v[186:187]
	;; [unrolled: 1-line block ×32, first 2 shown]
	s_cmp_eq_u32 s2, 32
	v_add_f64 v[132:133], v[132:133], v[222:223]
	v_add_f64 v[130:131], v[130:131], v[224:225]
	;; [unrolled: 1-line block ×48, first 2 shown]
	s_cbranch_scc0 .LBB180_15
; %bb.16:
	s_load_dword s6, s[0:1], 0x8
	v_lshlrev_b32_e32 v143, 3, v146
	v_lshl_add_u32 v138, v138, 5, v143
	ds_write2st64_b64 v138, v[4:5], v[2:3] offset0:8 offset1:12
	ds_write2st64_b64 v142, v[136:137], v[134:135] offset0:24 offset1:28
	s_waitcnt lgkmcnt(0)
	s_cmp_gt_i32 s6, 8
	s_barrier
	s_cbranch_scc1 .LBB180_18
; %bb.17:
	v_add_u32_e32 v148, 0x3000, v141
	s_cbranch_execz .LBB180_19
	s_branch .LBB180_41
.LBB180_18:
                                        ; implicit-def: $vgpr148
.LBB180_19:
	v_or_b32_e32 v154, 0x1000, v138
	v_mad_i64_i32 v[136:137], s[2:3], v139, s27, 0
	v_lshl_add_u64 v[138:139], v[0:1], 3, s[24:25]
	v_mov_b32_e32 v0, 0x1000
	v_add_u32_e32 v155, 0x3000, v142
	s_add_i32 s6, s6, -8
	v_mad_i64_i32 v[134:135], s[2:3], v140, s27, 0
	v_lshl_add_u32 v156, v144, 5, v0
	v_add_u32_e32 v148, 0x3000, v141
	s_mov_b32 s7, 8
	s_mov_b32 s24, 0
	v_mov_b32_e32 v141, 0
	s_mov_b32 s25, 0
.LBB180_20:                             ; =>This Loop Header: Depth=1
                                        ;     Child Loop BB180_26 Depth 2
                                        ;     Child Loop BB180_33 Depth 2
	s_mov_b64 s[2:3], -1
	s_mov_b64 vcc, s[4:5]
                                        ; implicit-def: $vgpr0_vgpr1_vgpr2_vgpr3
	s_cbranch_vccnz .LBB180_35
; %bb.21:                               ;   in Loop: Header=BB180_20 Depth=1
	s_andn2_b64 vcc, exec, s[2:3]
	v_mov_b64_e32 v[142:143], 0
	s_cbranch_vccz .LBB180_36
.LBB180_22:                             ;   in Loop: Header=BB180_20 Depth=1
	s_mov_b64 s[2:3], -1
	s_mov_b64 vcc, s[4:5]
                                        ; implicit-def: $vgpr2_vgpr3_vgpr4_vgpr5
	s_cbranch_vccnz .LBB180_37
.LBB180_23:                             ;   in Loop: Header=BB180_20 Depth=1
	s_andn2_b64 vcc, exec, s[2:3]
	v_mov_b64_e32 v[4:5], 0
	s_cbranch_vccnz .LBB180_25
.LBB180_24:                             ;   in Loop: Header=BB180_20 Depth=1
	v_or_b32_e32 v140, s7, v147
	v_lshl_add_u64 v[2:3], v[140:141], 3, s[22:23]
	v_lshl_add_u64 v[4:5], v[134:135], 3, v[2:3]
	;; [unrolled: 1-line block ×3, first 2 shown]
	global_load_dwordx2 v[4:5], v[4:5], off
	s_nop 0
	global_load_dwordx2 v[158:159], v[2:3], off
	s_waitcnt vmcnt(1)
	v_mul_f64 v[2:3], s[20:21], v[4:5]
	s_waitcnt vmcnt(0)
	v_mul_f64 v[4:5], s[20:21], v[158:159]
.LBB180_25:                             ;   in Loop: Header=BB180_20 Depth=1
	s_mov_b32 s2, 0
.LBB180_26:                             ;   Parent Loop BB180_20 Depth=1
                                        ; =>  This Inner Loop Header: Depth=2
	v_add_u32_e32 v140, s2, v156
	ds_read2_b64 v[158:161], v140 offset1:16
	ds_read2_b64 v[162:165], v140 offset0:32 offset1:48
	ds_read2_b64 v[166:169], v140 offset0:64 offset1:80
	;; [unrolled: 1-line block ×7, first 2 shown]
	v_add_u32_e32 v140, 0x800, v140
	ds_read2_b64 v[190:193], v140 offset1:16
	ds_read2_b64 v[194:197], v140 offset0:32 offset1:48
	ds_read2_b64 v[198:201], v140 offset0:64 offset1:80
	ds_read2_b64 v[202:205], v140 offset0:96 offset1:112
	ds_read2_b64 v[206:209], v140 offset0:128 offset1:144
	ds_read2_b64 v[210:213], v140 offset0:160 offset1:176
	ds_read2_b64 v[214:217], v140 offset0:192 offset1:208
	ds_read2_b64 v[218:221], v140 offset0:224 offset1:240
	v_add_u32_e32 v140, s2, v148
	ds_read2st64_b64 v[222:225], v140 offset1:4
	s_waitcnt lgkmcnt(14)
	v_max_f64 v[158:159], v[158:159], v[158:159]
	v_max_f64 v[160:161], v[160:161], v[160:161]
	;; [unrolled: 1-line block ×4, first 2 shown]
	s_waitcnt lgkmcnt(0)
	v_max_f64 v[222:223], v[222:223], v[222:223]
	v_min_f64 v[226:227], v[158:159], v[222:223]
	v_add_f64 v[132:133], v[132:133], v[226:227]
	v_min_f64 v[226:227], v[160:161], v[222:223]
	v_add_f64 v[130:131], v[130:131], v[226:227]
	;; [unrolled: 2-line block ×3, first 2 shown]
	v_min_f64 v[226:227], v[164:165], v[222:223]
	v_max_f64 v[166:167], v[166:167], v[166:167]
	v_add_f64 v[126:127], v[126:127], v[226:227]
	v_min_f64 v[226:227], v[166:167], v[222:223]
	v_max_f64 v[168:169], v[168:169], v[168:169]
	v_add_f64 v[124:125], v[124:125], v[226:227]
	;; [unrolled: 3-line block ×26, first 2 shown]
	v_min_f64 v[226:227], v[216:217], v[222:223]
	v_max_f64 v[218:219], v[218:219], v[218:219]
	v_max_f64 v[220:221], v[220:221], v[220:221]
	v_add_f64 v[74:75], v[74:75], v[226:227]
	v_min_f64 v[226:227], v[218:219], v[222:223]
	v_min_f64 v[222:223], v[220:221], v[222:223]
	v_add_f64 v[70:71], v[70:71], v[222:223]
	v_max_f64 v[222:223], v[224:225], v[224:225]
	v_min_f64 v[158:159], v[158:159], v[222:223]
	v_add_f64 v[68:69], v[68:69], v[158:159]
	v_min_f64 v[158:159], v[160:161], v[222:223]
	v_add_f64 v[66:67], v[66:67], v[158:159]
	;; [unrolled: 2-line block ×31, first 2 shown]
	v_min_f64 v[158:159], v[220:221], v[222:223]
	s_add_i32 s2, s2, 8
	v_add_f64 v[72:73], v[72:73], v[226:227]
	v_add_f64 v[6:7], v[6:7], v[158:159]
	s_cmp_eq_u32 s2, 32
	s_cbranch_scc0 .LBB180_26
; %bb.27:                               ;   in Loop: Header=BB180_20 Depth=1
	s_mov_b64 s[2:3], -1
	s_mov_b64 vcc, s[4:5]
	ds_write2st64_b64 v150, v[0:1], v[142:143] offset1:4
	ds_write2st64_b64 v151, v[2:3], v[4:5] offset1:4
	s_waitcnt lgkmcnt(0)
	s_barrier
                                        ; implicit-def: $vgpr0_vgpr1_vgpr2_vgpr3
	s_cbranch_vccnz .LBB180_38
; %bb.28:                               ;   in Loop: Header=BB180_20 Depth=1
	s_andn2_b64 vcc, exec, s[2:3]
	v_mov_b64_e32 v[142:143], 0
	s_cbranch_vccz .LBB180_39
.LBB180_29:                             ;   in Loop: Header=BB180_20 Depth=1
	s_mov_b64 s[2:3], -1
	s_mov_b64 vcc, s[4:5]
                                        ; implicit-def: $vgpr2_vgpr3_vgpr4_vgpr5
	s_cbranch_vccnz .LBB180_40
.LBB180_30:                             ;   in Loop: Header=BB180_20 Depth=1
	s_andn2_b64 vcc, exec, s[2:3]
	v_mov_b64_e32 v[4:5], 0
	s_cbranch_vccnz .LBB180_32
.LBB180_31:                             ;   in Loop: Header=BB180_20 Depth=1
	v_or_b32_e32 v140, s7, v147
	v_lshl_add_u64 v[2:3], v[140:141], 3, s[22:23]
	v_lshl_add_u64 v[4:5], v[134:135], 3, v[2:3]
	;; [unrolled: 1-line block ×3, first 2 shown]
	global_load_dwordx2 v[4:5], v[4:5], off offset:32
	s_nop 0
	global_load_dwordx2 v[158:159], v[2:3], off offset:32
	s_waitcnt vmcnt(1)
	v_mul_f64 v[2:3], s[20:21], v[4:5]
	s_waitcnt vmcnt(0)
	v_mul_f64 v[4:5], s[20:21], v[158:159]
.LBB180_32:                             ;   in Loop: Header=BB180_20 Depth=1
	s_mov_b32 s2, 0
.LBB180_33:                             ;   Parent Loop BB180_20 Depth=1
                                        ; =>  This Inner Loop Header: Depth=2
	v_add_u32_e32 v140, s2, v152
	ds_read2_b64 v[158:161], v140 offset1:16
	ds_read2_b64 v[162:165], v140 offset0:32 offset1:48
	ds_read2_b64 v[166:169], v140 offset0:64 offset1:80
	ds_read2_b64 v[170:173], v140 offset0:96 offset1:112
	ds_read2_b64 v[174:177], v140 offset0:128 offset1:144
	ds_read2_b64 v[178:181], v140 offset0:160 offset1:176
	ds_read2_b64 v[182:185], v140 offset0:192 offset1:208
	ds_read2_b64 v[186:189], v140 offset0:224 offset1:240
	v_add_u32_e32 v140, 0x800, v140
	ds_read2_b64 v[190:193], v140 offset1:16
	ds_read2_b64 v[194:197], v140 offset0:32 offset1:48
	ds_read2_b64 v[198:201], v140 offset0:64 offset1:80
	;; [unrolled: 1-line block ×7, first 2 shown]
	v_add_u32_e32 v140, s2, v153
	ds_read2st64_b64 v[222:225], v140 offset1:4
	s_waitcnt lgkmcnt(14)
	v_max_f64 v[158:159], v[158:159], v[158:159]
	v_max_f64 v[160:161], v[160:161], v[160:161]
	;; [unrolled: 1-line block ×4, first 2 shown]
	s_waitcnt lgkmcnt(0)
	v_max_f64 v[222:223], v[222:223], v[222:223]
	v_min_f64 v[226:227], v[158:159], v[222:223]
	v_add_f64 v[132:133], v[132:133], v[226:227]
	v_min_f64 v[226:227], v[160:161], v[222:223]
	v_add_f64 v[130:131], v[130:131], v[226:227]
	;; [unrolled: 2-line block ×3, first 2 shown]
	v_min_f64 v[226:227], v[164:165], v[222:223]
	v_max_f64 v[166:167], v[166:167], v[166:167]
	v_add_f64 v[126:127], v[126:127], v[226:227]
	v_min_f64 v[226:227], v[166:167], v[222:223]
	v_max_f64 v[168:169], v[168:169], v[168:169]
	v_add_f64 v[124:125], v[124:125], v[226:227]
	v_min_f64 v[226:227], v[168:169], v[222:223]
	v_max_f64 v[170:171], v[170:171], v[170:171]
	v_add_f64 v[122:123], v[122:123], v[226:227]
	v_min_f64 v[226:227], v[170:171], v[222:223]
	v_max_f64 v[172:173], v[172:173], v[172:173]
	v_add_f64 v[120:121], v[120:121], v[226:227]
	v_min_f64 v[226:227], v[172:173], v[222:223]
	v_max_f64 v[174:175], v[174:175], v[174:175]
	v_add_f64 v[118:119], v[118:119], v[226:227]
	v_min_f64 v[226:227], v[174:175], v[222:223]
	v_max_f64 v[176:177], v[176:177], v[176:177]
	v_add_f64 v[116:117], v[116:117], v[226:227]
	v_min_f64 v[226:227], v[176:177], v[222:223]
	v_max_f64 v[178:179], v[178:179], v[178:179]
	v_add_f64 v[114:115], v[114:115], v[226:227]
	v_min_f64 v[226:227], v[178:179], v[222:223]
	v_max_f64 v[180:181], v[180:181], v[180:181]
	v_add_f64 v[112:113], v[112:113], v[226:227]
	v_min_f64 v[226:227], v[180:181], v[222:223]
	v_max_f64 v[182:183], v[182:183], v[182:183]
	v_add_f64 v[110:111], v[110:111], v[226:227]
	v_min_f64 v[226:227], v[182:183], v[222:223]
	v_max_f64 v[184:185], v[184:185], v[184:185]
	v_add_f64 v[108:109], v[108:109], v[226:227]
	v_min_f64 v[226:227], v[184:185], v[222:223]
	v_max_f64 v[186:187], v[186:187], v[186:187]
	v_add_f64 v[106:107], v[106:107], v[226:227]
	v_min_f64 v[226:227], v[186:187], v[222:223]
	v_max_f64 v[188:189], v[188:189], v[188:189]
	v_add_f64 v[104:105], v[104:105], v[226:227]
	v_min_f64 v[226:227], v[188:189], v[222:223]
	v_max_f64 v[190:191], v[190:191], v[190:191]
	v_add_f64 v[102:103], v[102:103], v[226:227]
	v_min_f64 v[226:227], v[190:191], v[222:223]
	v_max_f64 v[192:193], v[192:193], v[192:193]
	v_add_f64 v[100:101], v[100:101], v[226:227]
	v_min_f64 v[226:227], v[192:193], v[222:223]
	v_max_f64 v[194:195], v[194:195], v[194:195]
	v_add_f64 v[98:99], v[98:99], v[226:227]
	v_min_f64 v[226:227], v[194:195], v[222:223]
	v_max_f64 v[196:197], v[196:197], v[196:197]
	v_add_f64 v[96:97], v[96:97], v[226:227]
	v_min_f64 v[226:227], v[196:197], v[222:223]
	v_max_f64 v[198:199], v[198:199], v[198:199]
	v_add_f64 v[94:95], v[94:95], v[226:227]
	v_min_f64 v[226:227], v[198:199], v[222:223]
	v_max_f64 v[200:201], v[200:201], v[200:201]
	v_add_f64 v[92:93], v[92:93], v[226:227]
	v_min_f64 v[226:227], v[200:201], v[222:223]
	v_max_f64 v[202:203], v[202:203], v[202:203]
	v_add_f64 v[90:91], v[90:91], v[226:227]
	v_min_f64 v[226:227], v[202:203], v[222:223]
	v_max_f64 v[204:205], v[204:205], v[204:205]
	v_add_f64 v[88:89], v[88:89], v[226:227]
	v_min_f64 v[226:227], v[204:205], v[222:223]
	v_max_f64 v[206:207], v[206:207], v[206:207]
	v_add_f64 v[86:87], v[86:87], v[226:227]
	v_min_f64 v[226:227], v[206:207], v[222:223]
	v_max_f64 v[208:209], v[208:209], v[208:209]
	v_add_f64 v[84:85], v[84:85], v[226:227]
	v_min_f64 v[226:227], v[208:209], v[222:223]
	v_max_f64 v[210:211], v[210:211], v[210:211]
	v_add_f64 v[82:83], v[82:83], v[226:227]
	v_min_f64 v[226:227], v[210:211], v[222:223]
	v_max_f64 v[212:213], v[212:213], v[212:213]
	v_add_f64 v[80:81], v[80:81], v[226:227]
	v_min_f64 v[226:227], v[212:213], v[222:223]
	v_max_f64 v[214:215], v[214:215], v[214:215]
	v_add_f64 v[78:79], v[78:79], v[226:227]
	v_min_f64 v[226:227], v[214:215], v[222:223]
	v_max_f64 v[216:217], v[216:217], v[216:217]
	v_add_f64 v[76:77], v[76:77], v[226:227]
	v_min_f64 v[226:227], v[216:217], v[222:223]
	v_max_f64 v[218:219], v[218:219], v[218:219]
	v_max_f64 v[220:221], v[220:221], v[220:221]
	v_add_f64 v[74:75], v[74:75], v[226:227]
	v_min_f64 v[226:227], v[218:219], v[222:223]
	v_min_f64 v[222:223], v[220:221], v[222:223]
	v_add_f64 v[70:71], v[70:71], v[222:223]
	v_max_f64 v[222:223], v[224:225], v[224:225]
	v_min_f64 v[158:159], v[158:159], v[222:223]
	v_add_f64 v[68:69], v[68:69], v[158:159]
	v_min_f64 v[158:159], v[160:161], v[222:223]
	v_add_f64 v[66:67], v[66:67], v[158:159]
	;; [unrolled: 2-line block ×31, first 2 shown]
	v_min_f64 v[158:159], v[220:221], v[222:223]
	s_add_i32 s2, s2, 8
	v_add_f64 v[72:73], v[72:73], v[226:227]
	v_add_f64 v[6:7], v[6:7], v[158:159]
	s_cmp_eq_u32 s2, 32
	s_cbranch_scc0 .LBB180_33
; %bb.34:                               ;   in Loop: Header=BB180_20 Depth=1
	s_add_i32 s7, s7, 8
	s_add_i32 s25, s25, 8
	s_cmp_ge_i32 s25, s6
	ds_write2st64_b64 v154, v[0:1], v[142:143] offset1:4
	ds_write2st64_b64 v155, v[2:3], v[4:5] offset1:4
	s_waitcnt lgkmcnt(0)
	s_barrier
	s_cbranch_scc0 .LBB180_20
	s_branch .LBB180_41
.LBB180_35:                             ;   in Loop: Header=BB180_20 Depth=1
	v_mov_b32_e32 v0, s24
	v_mov_b32_e32 v1, s24
	v_mov_b64_e32 v[142:143], 0
	s_cbranch_execnz .LBB180_22
.LBB180_36:                             ;   in Loop: Header=BB180_20 Depth=1
	v_add_u32_e32 v3, s7, v146
	v_mad_u64_u32 v[0:1], s[2:3], v3, s19, 0
	v_mov_b32_e32 v2, v1
	v_mad_u64_u32 v[2:3], s[2:3], v3, s26, v[2:3]
	v_mov_b32_e32 v1, v2
	v_lshl_add_u64 v[0:1], v[0:1], 3, v[138:139]
	global_load_dwordx2 v[2:3], v[0:1], off
	global_load_dwordx2 v[4:5], v[0:1], off offset:512
	s_waitcnt vmcnt(1)
	v_mul_f64 v[0:1], s[20:21], v[2:3]
	s_waitcnt vmcnt(0)
	v_mul_f64 v[142:143], s[20:21], v[4:5]
	s_mov_b64 s[2:3], -1
	s_mov_b64 vcc, s[4:5]
                                        ; implicit-def: $vgpr2_vgpr3_vgpr4_vgpr5
	s_cbranch_vccz .LBB180_23
.LBB180_37:                             ;   in Loop: Header=BB180_20 Depth=1
	v_mov_b32_e32 v2, s24
	v_mov_b32_e32 v3, s24
	v_mov_b64_e32 v[4:5], 0
	s_cbranch_execz .LBB180_24
	s_branch .LBB180_25
.LBB180_38:                             ;   in Loop: Header=BB180_20 Depth=1
	v_mov_b32_e32 v0, s24
	v_mov_b32_e32 v1, s24
	v_mov_b64_e32 v[142:143], 0
	s_cbranch_execnz .LBB180_29
.LBB180_39:                             ;   in Loop: Header=BB180_20 Depth=1
	v_add_u32_e32 v3, s7, v149
	v_mad_u64_u32 v[0:1], s[2:3], v3, s19, 0
	v_mov_b32_e32 v2, v1
	v_mad_u64_u32 v[2:3], s[2:3], v3, s26, v[2:3]
	v_mov_b32_e32 v1, v2
	v_lshl_add_u64 v[0:1], v[0:1], 3, v[138:139]
	global_load_dwordx2 v[2:3], v[0:1], off
	global_load_dwordx2 v[4:5], v[0:1], off offset:512
	s_waitcnt vmcnt(1)
	v_mul_f64 v[0:1], s[20:21], v[2:3]
	s_waitcnt vmcnt(0)
	v_mul_f64 v[142:143], s[20:21], v[4:5]
	s_mov_b64 s[2:3], -1
	s_mov_b64 vcc, s[4:5]
                                        ; implicit-def: $vgpr2_vgpr3_vgpr4_vgpr5
	s_cbranch_vccz .LBB180_30
.LBB180_40:                             ;   in Loop: Header=BB180_20 Depth=1
	v_mov_b32_e32 v2, s24
	v_mov_b32_e32 v3, s24
	v_mov_b64_e32 v[4:5], 0
	s_cbranch_execz .LBB180_31
	s_branch .LBB180_32
.LBB180_41:
	v_mov_b32_e32 v0, 0x1000
	v_lshl_add_u32 v0, v144, 5, v0
	s_mov_b32 s2, 0
.LBB180_42:                             ; =>This Inner Loop Header: Depth=1
	v_add_u32_e32 v1, s2, v0
	v_add_u32_e32 v142, s2, v148
	ds_read2_b64 v[2:5], v1 offset1:16
	ds_read2_b64 v[134:137], v1 offset0:32 offset1:48
	ds_read2_b64 v[138:141], v1 offset0:64 offset1:80
	;; [unrolled: 1-line block ×7, first 2 shown]
	v_add_u32_e32 v1, 0x800, v1
	ds_read2st64_b64 v[170:173], v142 offset1:4
	ds_read2_b64 v[174:177], v1 offset1:16
	ds_read2_b64 v[178:181], v1 offset0:32 offset1:48
	ds_read2_b64 v[182:185], v1 offset0:64 offset1:80
	;; [unrolled: 1-line block ×7, first 2 shown]
	s_waitcnt lgkmcnt(14)
	v_max_f64 v[2:3], v[2:3], v[2:3]
	v_max_f64 v[4:5], v[4:5], v[4:5]
	;; [unrolled: 1-line block ×3, first 2 shown]
	s_waitcnt lgkmcnt(8)
	v_max_f64 v[142:143], v[170:171], v[170:171]
	v_max_f64 v[136:137], v[136:137], v[136:137]
	;; [unrolled: 1-line block ×15, first 2 shown]
	v_min_f64 v[170:171], v[2:3], v[142:143]
	v_min_f64 v[172:173], v[4:5], v[142:143]
	;; [unrolled: 1-line block ×16, first 2 shown]
	s_waitcnt lgkmcnt(7)
	v_max_f64 v[174:175], v[174:175], v[174:175]
	v_max_f64 v[176:177], v[176:177], v[176:177]
	s_waitcnt lgkmcnt(6)
	v_max_f64 v[178:179], v[178:179], v[178:179]
	v_max_f64 v[180:181], v[180:181], v[180:181]
	;; [unrolled: 3-line block ×8, first 2 shown]
	v_min_f64 v[2:3], v[2:3], v[168:169]
	v_min_f64 v[4:5], v[4:5], v[168:169]
	;; [unrolled: 1-line block ×16, first 2 shown]
	s_add_i32 s2, s2, 8
	v_add_f64 v[132:133], v[132:133], v[170:171]
	v_add_f64 v[130:131], v[130:131], v[172:173]
	;; [unrolled: 1-line block ×15, first 2 shown]
	v_min_f64 v[170:171], v[174:175], v[142:143]
	v_min_f64 v[172:173], v[176:177], v[142:143]
	v_min_f64 v[206:207], v[178:179], v[142:143]
	v_min_f64 v[208:209], v[180:181], v[142:143]
	v_min_f64 v[210:211], v[182:183], v[142:143]
	v_min_f64 v[212:213], v[184:185], v[142:143]
	v_min_f64 v[214:215], v[186:187], v[142:143]
	v_min_f64 v[216:217], v[188:189], v[142:143]
	v_min_f64 v[218:219], v[190:191], v[142:143]
	v_min_f64 v[220:221], v[192:193], v[142:143]
	v_min_f64 v[222:223], v[194:195], v[142:143]
	v_min_f64 v[224:225], v[196:197], v[142:143]
	v_min_f64 v[226:227], v[198:199], v[142:143]
	v_min_f64 v[228:229], v[200:201], v[142:143]
	v_min_f64 v[230:231], v[202:203], v[142:143]
	v_min_f64 v[142:143], v[204:205], v[142:143]
	v_add_f64 v[68:69], v[68:69], v[2:3]
	v_add_f64 v[66:67], v[66:67], v[4:5]
	;; [unrolled: 1-line block ×16, first 2 shown]
	v_min_f64 v[2:3], v[174:175], v[168:169]
	v_min_f64 v[4:5], v[176:177], v[168:169]
	;; [unrolled: 1-line block ×16, first 2 shown]
	s_cmp_eq_u32 s2, 32
	v_add_f64 v[102:103], v[102:103], v[232:233]
	v_add_f64 v[100:101], v[100:101], v[170:171]
	;; [unrolled: 1-line block ×33, first 2 shown]
	s_cbranch_scc0 .LBB180_42
; %bb.43:
	s_load_dwordx2 s[2:3], s[0:1], 0x78
	s_load_dword s4, s[0:1], 0x58
	s_load_dword s5, s[0:1], 0x70
	v_add_u32_e32 v170, s13, v145
	v_add_u32_e32 v134, s12, v144
	s_waitcnt lgkmcnt(0)
	s_mul_i32 s1, s3, s18
	s_mul_hi_u32 s3, s2, s18
	s_mul_i32 s0, s2, s18
	s_add_i32 s1, s3, s1
	s_lshl_b64 s[0:1], s[0:1], 3
	s_add_u32 s0, s14, s0
	s_addc_u32 s1, s15, s1
	v_mad_i64_i32 v[2:3], s[2:3], v170, s5, 0
	v_add_u32_e32 v0, 4, v134
	v_lshl_add_u64 v[138:139], v[2:3], 3, s[0:1]
	v_mad_i64_i32 v[2:3], s[2:3], v170, s4, 0
	v_ashrrev_i32_e32 v135, 31, v134
	v_ashrrev_i32_e32 v1, 31, v0
	s_mov_b64 s[2:3], -1
	s_mov_b64 vcc, s[8:9]
	s_cbranch_vccz .LBB180_45
; %bb.44:
	v_add_f64 v[4:5], v[132:133], 0
	v_lshl_add_u64 v[136:137], v[134:135], 3, v[138:139]
	s_mov_b64 s[2:3], 0
	global_store_dwordx2 v[136:137], v[4:5], off
.LBB180_45:
	v_lshl_add_u64 v[146:147], v[2:3], 3, s[10:11]
	v_mov_b64_e32 v[4:5], 0
	s_andn2_b64 vcc, exec, s[2:3]
	v_lshlrev_b64 v[136:137], 3, v[134:135]
	s_cbranch_vccnz .LBB180_47
; %bb.46:
	v_lshl_add_u64 v[2:3], v[146:147], 0, v[136:137]
	global_load_dwordx2 v[2:3], v[2:3], off
	v_lshl_add_u64 v[4:5], v[138:139], 0, v[136:137]
	s_waitcnt vmcnt(0)
	v_fmac_f64_e32 v[132:133], s[16:17], v[2:3]
	global_store_dwordx2 v[4:5], v[132:133], off
	v_lshl_add_u64 v[2:3], v[0:1], 3, v[146:147]
	global_load_dwordx2 v[2:3], v[2:3], off
	s_waitcnt vmcnt(0)
	v_mul_f64 v[4:5], s[16:17], v[2:3]
.LBB180_47:
	v_add_u32_e32 v132, 8, v134
	v_add_u32_e32 v2, 12, v134
	v_ashrrev_i32_e32 v133, 31, v132
	v_ashrrev_i32_e32 v3, 31, v2
	v_add_f64 v[4:5], v[130:131], v[4:5]
	v_lshl_add_u64 v[130:131], v[0:1], 3, v[138:139]
	s_mov_b64 s[2:3], -1
	s_mov_b64 vcc, s[8:9]
	global_store_dwordx2 v[130:131], v[4:5], off
	s_cbranch_vccz .LBB180_49
; %bb.48:
	v_add_f64 v[4:5], v[128:129], 0
	v_lshl_add_u64 v[130:131], v[132:133], 3, v[138:139]
	s_mov_b64 s[2:3], 0
	global_store_dwordx2 v[130:131], v[4:5], off
.LBB180_49:
	v_mov_b64_e32 v[140:141], 0
	s_andn2_b64 vcc, exec, s[2:3]
	v_lshlrev_b64 v[130:131], 3, v[132:133]
	s_cbranch_vccnz .LBB180_51
; %bb.50:
	v_lshl_add_u64 v[4:5], v[146:147], 0, v[130:131]
	global_load_dwordx2 v[4:5], v[4:5], off
	v_lshl_add_u64 v[140:141], v[138:139], 0, v[130:131]
	s_waitcnt vmcnt(0)
	v_fmac_f64_e32 v[128:129], s[16:17], v[4:5]
	global_store_dwordx2 v[140:141], v[128:129], off
	v_lshl_add_u64 v[4:5], v[2:3], 3, v[146:147]
	global_load_dwordx2 v[4:5], v[4:5], off
	s_waitcnt vmcnt(0)
	v_mul_f64 v[140:141], s[16:17], v[4:5]
.LBB180_51:
	v_add_u32_e32 v128, 16, v134
	v_add_u32_e32 v4, 20, v134
	v_ashrrev_i32_e32 v129, 31, v128
	v_ashrrev_i32_e32 v5, 31, v4
	v_add_f64 v[126:127], v[126:127], v[140:141]
	v_lshl_add_u64 v[140:141], v[2:3], 3, v[138:139]
	s_mov_b64 s[2:3], -1
	s_mov_b64 vcc, s[8:9]
	global_store_dwordx2 v[140:141], v[126:127], off
	s_cbranch_vccz .LBB180_53
; %bb.52:
	v_add_f64 v[126:127], v[124:125], 0
	v_lshl_add_u64 v[140:141], v[128:129], 3, v[138:139]
	s_mov_b64 s[2:3], 0
	global_store_dwordx2 v[140:141], v[126:127], off
.LBB180_53:
	;; [unrolled: 32-line block ×15, first 2 shown]
	v_mov_b64_e32 v[168:169], 0
	s_andn2_b64 vcc, exec, s[2:3]
	v_lshlrev_b64 v[74:75], 3, v[78:79]
	s_cbranch_vccnz .LBB180_107
; %bb.106:
	v_lshl_add_u64 v[168:169], v[146:147], 0, v[74:75]
	global_load_dwordx2 v[168:169], v[168:169], off
	v_lshl_add_u64 v[172:173], v[138:139], 0, v[74:75]
	s_waitcnt vmcnt(0)
	v_fmac_f64_e32 v[72:73], s[16:17], v[168:169]
	global_store_dwordx2 v[172:173], v[72:73], off
	v_lshl_add_u64 v[72:73], v[76:77], 3, v[146:147]
	global_load_dwordx2 v[72:73], v[72:73], off
	s_waitcnt vmcnt(0)
	v_mul_f64 v[168:169], s[16:17], v[72:73]
.LBB180_107:
	v_add_f64 v[70:71], v[70:71], v[168:169]
	v_lshl_add_u64 v[72:73], v[76:77], 3, v[138:139]
	global_store_dwordx2 v[72:73], v[70:71], off
	v_add_u32_e32 v72, 64, v170
	v_mad_i64_i32 v[70:71], s[2:3], v72, s5, 0
	v_lshl_add_u64 v[70:71], v[70:71], 3, s[0:1]
	v_mad_i64_i32 v[72:73], s[0:1], v72, s4, 0
	s_mov_b64 s[0:1], -1
	s_mov_b64 vcc, s[8:9]
	s_cbranch_vccz .LBB180_109
; %bb.108:
	v_add_f64 v[138:139], v[68:69], 0
	v_lshl_add_u64 v[134:135], v[134:135], 3, v[70:71]
	s_mov_b64 s[0:1], 0
	global_store_dwordx2 v[134:135], v[138:139], off
.LBB180_109:
	v_lshl_add_u64 v[72:73], v[72:73], 3, s[10:11]
	s_andn2_b64 vcc, exec, s[0:1]
	v_mov_b64_e32 v[134:135], 0
	s_cbranch_vccnz .LBB180_111
; %bb.110:
	v_lshl_add_u64 v[134:135], v[72:73], 0, v[136:137]
	global_load_dwordx2 v[134:135], v[134:135], off
	v_lshl_add_u64 v[136:137], v[70:71], 0, v[136:137]
	s_waitcnt vmcnt(0)
	v_fmac_f64_e32 v[68:69], s[16:17], v[134:135]
	global_store_dwordx2 v[136:137], v[68:69], off
	v_lshl_add_u64 v[68:69], v[0:1], 3, v[72:73]
	global_load_dwordx2 v[68:69], v[68:69], off
	s_waitcnt vmcnt(0)
	v_mul_f64 v[134:135], s[16:17], v[68:69]
.LBB180_111:
	v_add_f64 v[66:67], v[66:67], v[134:135]
	v_lshl_add_u64 v[0:1], v[0:1], 3, v[70:71]
	s_mov_b64 s[0:1], -1
	s_mov_b64 vcc, s[8:9]
	global_store_dwordx2 v[0:1], v[66:67], off
	s_cbranch_vccz .LBB180_113
; %bb.112:
	v_add_f64 v[0:1], v[64:65], 0
	v_lshl_add_u64 v[66:67], v[132:133], 3, v[70:71]
	s_mov_b64 s[0:1], 0
	global_store_dwordx2 v[66:67], v[0:1], off
.LBB180_113:
	s_andn2_b64 vcc, exec, s[0:1]
	v_mov_b64_e32 v[0:1], 0
	s_cbranch_vccnz .LBB180_115
; %bb.114:
	v_lshl_add_u64 v[0:1], v[72:73], 0, v[130:131]
	global_load_dwordx2 v[0:1], v[0:1], off
	v_lshl_add_u64 v[66:67], v[70:71], 0, v[130:131]
	s_waitcnt vmcnt(0)
	v_fmac_f64_e32 v[64:65], s[16:17], v[0:1]
	global_store_dwordx2 v[66:67], v[64:65], off
	v_lshl_add_u64 v[0:1], v[2:3], 3, v[72:73]
	global_load_dwordx2 v[0:1], v[0:1], off
	s_waitcnt vmcnt(0)
	v_mul_f64 v[0:1], s[16:17], v[0:1]
.LBB180_115:
	v_add_f64 v[0:1], v[62:63], v[0:1]
	v_lshl_add_u64 v[2:3], v[2:3], 3, v[70:71]
	s_mov_b64 s[0:1], -1
	s_mov_b64 vcc, s[8:9]
	global_store_dwordx2 v[2:3], v[0:1], off
	s_cbranch_vccz .LBB180_117
; %bb.116:
	v_add_f64 v[0:1], v[60:61], 0
	v_lshl_add_u64 v[2:3], v[128:129], 3, v[70:71]
	s_mov_b64 s[0:1], 0
	global_store_dwordx2 v[2:3], v[0:1], off
.LBB180_117:
	;; [unrolled: 27-line block ×14, first 2 shown]
	s_andn2_b64 vcc, exec, s[0:1]
	v_mov_b64_e32 v[0:1], 0
	s_cbranch_vccnz .LBB180_167
; %bb.166:
	v_lshl_add_u64 v[0:1], v[72:73], 0, v[166:167]
	global_load_dwordx2 v[0:1], v[0:1], off
	v_lshl_add_u64 v[2:3], v[70:71], 0, v[166:167]
	s_waitcnt vmcnt(0)
	v_fmac_f64_e32 v[12:13], s[16:17], v[0:1]
	global_store_dwordx2 v[2:3], v[12:13], off
	v_lshl_add_u64 v[0:1], v[80:81], 3, v[72:73]
	global_load_dwordx2 v[0:1], v[0:1], off
	s_waitcnt vmcnt(0)
	v_mul_f64 v[0:1], s[16:17], v[0:1]
.LBB180_167:
	v_add_f64 v[0:1], v[10:11], v[0:1]
	v_lshl_add_u64 v[2:3], v[80:81], 3, v[70:71]
	s_mov_b64 s[0:1], -1
	s_mov_b64 vcc, s[8:9]
	global_store_dwordx2 v[2:3], v[0:1], off
	s_cbranch_vccnz .LBB180_170
; %bb.168:
	s_andn2_b64 vcc, exec, s[0:1]
	v_mov_b64_e32 v[0:1], 0
	s_cbranch_vccz .LBB180_171
.LBB180_169:
	v_add_f64 v[0:1], v[6:7], v[0:1]
	v_lshl_add_u64 v[2:3], v[76:77], 3, v[70:71]
	global_store_dwordx2 v[2:3], v[0:1], off
	s_endpgm
.LBB180_170:
	v_add_f64 v[0:1], v[8:9], 0
	v_lshl_add_u64 v[2:3], v[78:79], 3, v[70:71]
	global_store_dwordx2 v[2:3], v[0:1], off
	v_mov_b64_e32 v[0:1], 0
	s_cbranch_execnz .LBB180_169
.LBB180_171:
	v_lshl_add_u64 v[0:1], v[72:73], 0, v[74:75]
	global_load_dwordx2 v[0:1], v[0:1], off
	v_lshl_add_u64 v[2:3], v[70:71], 0, v[74:75]
	s_waitcnt vmcnt(0)
	v_fmac_f64_e32 v[8:9], s[16:17], v[0:1]
	global_store_dwordx2 v[2:3], v[8:9], off
	v_lshl_add_u64 v[0:1], v[76:77], 3, v[72:73]
	global_load_dwordx2 v[0:1], v[0:1], off
	s_waitcnt vmcnt(0)
	v_mul_f64 v[0:1], s[16:17], v[0:1]
	v_add_f64 v[0:1], v[6:7], v[0:1]
	v_lshl_add_u64 v[2:3], v[76:77], 3, v[70:71]
	global_store_dwordx2 v[2:3], v[0:1], off
	s_endpgm
	.section	.rodata,"a",@progbits
	.p2align	6, 0x0
	.amdhsa_kernel _ZN12_GLOBAL__N_120geam_min_plus_kernelIdddLi4ELi64ELi128ELi128ELi4ELi64ELi4ELi4ELi64ELc78ELc78ELb0ELb0ELb0EPKdS1_dEEviiiT16_PT17_ilS5_ilS3_S5_ilPT18_ili26rocblas_geam_ex_operation_
		.amdhsa_group_segment_fixed_size 16384
		.amdhsa_private_segment_fixed_size 0
		.amdhsa_kernarg_size 136
		.amdhsa_user_sgpr_count 2
		.amdhsa_user_sgpr_dispatch_ptr 0
		.amdhsa_user_sgpr_queue_ptr 0
		.amdhsa_user_sgpr_kernarg_segment_ptr 1
		.amdhsa_user_sgpr_dispatch_id 0
		.amdhsa_user_sgpr_kernarg_preload_length 0
		.amdhsa_user_sgpr_kernarg_preload_offset 0
		.amdhsa_user_sgpr_private_segment_size 0
		.amdhsa_uses_dynamic_stack 0
		.amdhsa_enable_private_segment 0
		.amdhsa_system_sgpr_workgroup_id_x 1
		.amdhsa_system_sgpr_workgroup_id_y 0
		.amdhsa_system_sgpr_workgroup_id_z 1
		.amdhsa_system_sgpr_workgroup_info 0
		.amdhsa_system_vgpr_workitem_id 1
		.amdhsa_next_free_vgpr 254
		.amdhsa_next_free_sgpr 30
		.amdhsa_accum_offset 256
		.amdhsa_reserve_vcc 1
		.amdhsa_float_round_mode_32 0
		.amdhsa_float_round_mode_16_64 0
		.amdhsa_float_denorm_mode_32 3
		.amdhsa_float_denorm_mode_16_64 3
		.amdhsa_dx10_clamp 1
		.amdhsa_ieee_mode 1
		.amdhsa_fp16_overflow 0
		.amdhsa_tg_split 0
		.amdhsa_exception_fp_ieee_invalid_op 0
		.amdhsa_exception_fp_denorm_src 0
		.amdhsa_exception_fp_ieee_div_zero 0
		.amdhsa_exception_fp_ieee_overflow 0
		.amdhsa_exception_fp_ieee_underflow 0
		.amdhsa_exception_fp_ieee_inexact 0
		.amdhsa_exception_int_div_zero 0
	.end_amdhsa_kernel
	.section	.text._ZN12_GLOBAL__N_120geam_min_plus_kernelIdddLi4ELi64ELi128ELi128ELi4ELi64ELi4ELi4ELi64ELc78ELc78ELb0ELb0ELb0EPKdS1_dEEviiiT16_PT17_ilS5_ilS3_S5_ilPT18_ili26rocblas_geam_ex_operation_,"axG",@progbits,_ZN12_GLOBAL__N_120geam_min_plus_kernelIdddLi4ELi64ELi128ELi128ELi4ELi64ELi4ELi4ELi64ELc78ELc78ELb0ELb0ELb0EPKdS1_dEEviiiT16_PT17_ilS5_ilS3_S5_ilPT18_ili26rocblas_geam_ex_operation_,comdat
.Lfunc_end180:
	.size	_ZN12_GLOBAL__N_120geam_min_plus_kernelIdddLi4ELi64ELi128ELi128ELi4ELi64ELi4ELi4ELi64ELc78ELc78ELb0ELb0ELb0EPKdS1_dEEviiiT16_PT17_ilS5_ilS3_S5_ilPT18_ili26rocblas_geam_ex_operation_, .Lfunc_end180-_ZN12_GLOBAL__N_120geam_min_plus_kernelIdddLi4ELi64ELi128ELi128ELi4ELi64ELi4ELi4ELi64ELc78ELc78ELb0ELb0ELb0EPKdS1_dEEviiiT16_PT17_ilS5_ilS3_S5_ilPT18_ili26rocblas_geam_ex_operation_
                                        ; -- End function
	.set _ZN12_GLOBAL__N_120geam_min_plus_kernelIdddLi4ELi64ELi128ELi128ELi4ELi64ELi4ELi4ELi64ELc78ELc78ELb0ELb0ELb0EPKdS1_dEEviiiT16_PT17_ilS5_ilS3_S5_ilPT18_ili26rocblas_geam_ex_operation_.num_vgpr, 254
	.set _ZN12_GLOBAL__N_120geam_min_plus_kernelIdddLi4ELi64ELi128ELi128ELi4ELi64ELi4ELi4ELi64ELc78ELc78ELb0ELb0ELb0EPKdS1_dEEviiiT16_PT17_ilS5_ilS3_S5_ilPT18_ili26rocblas_geam_ex_operation_.num_agpr, 0
	.set _ZN12_GLOBAL__N_120geam_min_plus_kernelIdddLi4ELi64ELi128ELi128ELi4ELi64ELi4ELi4ELi64ELc78ELc78ELb0ELb0ELb0EPKdS1_dEEviiiT16_PT17_ilS5_ilS3_S5_ilPT18_ili26rocblas_geam_ex_operation_.numbered_sgpr, 30
	.set _ZN12_GLOBAL__N_120geam_min_plus_kernelIdddLi4ELi64ELi128ELi128ELi4ELi64ELi4ELi4ELi64ELc78ELc78ELb0ELb0ELb0EPKdS1_dEEviiiT16_PT17_ilS5_ilS3_S5_ilPT18_ili26rocblas_geam_ex_operation_.num_named_barrier, 0
	.set _ZN12_GLOBAL__N_120geam_min_plus_kernelIdddLi4ELi64ELi128ELi128ELi4ELi64ELi4ELi4ELi64ELc78ELc78ELb0ELb0ELb0EPKdS1_dEEviiiT16_PT17_ilS5_ilS3_S5_ilPT18_ili26rocblas_geam_ex_operation_.private_seg_size, 0
	.set _ZN12_GLOBAL__N_120geam_min_plus_kernelIdddLi4ELi64ELi128ELi128ELi4ELi64ELi4ELi4ELi64ELc78ELc78ELb0ELb0ELb0EPKdS1_dEEviiiT16_PT17_ilS5_ilS3_S5_ilPT18_ili26rocblas_geam_ex_operation_.uses_vcc, 1
	.set _ZN12_GLOBAL__N_120geam_min_plus_kernelIdddLi4ELi64ELi128ELi128ELi4ELi64ELi4ELi4ELi64ELc78ELc78ELb0ELb0ELb0EPKdS1_dEEviiiT16_PT17_ilS5_ilS3_S5_ilPT18_ili26rocblas_geam_ex_operation_.uses_flat_scratch, 0
	.set _ZN12_GLOBAL__N_120geam_min_plus_kernelIdddLi4ELi64ELi128ELi128ELi4ELi64ELi4ELi4ELi64ELc78ELc78ELb0ELb0ELb0EPKdS1_dEEviiiT16_PT17_ilS5_ilS3_S5_ilPT18_ili26rocblas_geam_ex_operation_.has_dyn_sized_stack, 0
	.set _ZN12_GLOBAL__N_120geam_min_plus_kernelIdddLi4ELi64ELi128ELi128ELi4ELi64ELi4ELi4ELi64ELc78ELc78ELb0ELb0ELb0EPKdS1_dEEviiiT16_PT17_ilS5_ilS3_S5_ilPT18_ili26rocblas_geam_ex_operation_.has_recursion, 0
	.set _ZN12_GLOBAL__N_120geam_min_plus_kernelIdddLi4ELi64ELi128ELi128ELi4ELi64ELi4ELi4ELi64ELc78ELc78ELb0ELb0ELb0EPKdS1_dEEviiiT16_PT17_ilS5_ilS3_S5_ilPT18_ili26rocblas_geam_ex_operation_.has_indirect_call, 0
	.section	.AMDGPU.csdata,"",@progbits
; Kernel info:
; codeLenInByte = 13088
; TotalNumSgprs: 36
; NumVgprs: 254
; NumAgprs: 0
; TotalNumVgprs: 254
; ScratchSize: 0
; MemoryBound: 0
; FloatMode: 240
; IeeeMode: 1
; LDSByteSize: 16384 bytes/workgroup (compile time only)
; SGPRBlocks: 4
; VGPRBlocks: 31
; NumSGPRsForWavesPerEU: 36
; NumVGPRsForWavesPerEU: 254
; AccumOffset: 256
; Occupancy: 2
; WaveLimiterHint : 1
; COMPUTE_PGM_RSRC2:SCRATCH_EN: 0
; COMPUTE_PGM_RSRC2:USER_SGPR: 2
; COMPUTE_PGM_RSRC2:TRAP_HANDLER: 0
; COMPUTE_PGM_RSRC2:TGID_X_EN: 1
; COMPUTE_PGM_RSRC2:TGID_Y_EN: 0
; COMPUTE_PGM_RSRC2:TGID_Z_EN: 1
; COMPUTE_PGM_RSRC2:TIDIG_COMP_CNT: 1
; COMPUTE_PGM_RSRC3_GFX90A:ACCUM_OFFSET: 63
; COMPUTE_PGM_RSRC3_GFX90A:TG_SPLIT: 0
	.section	.text._ZN12_GLOBAL__N_120geam_min_plus_kernelIdddLi4ELi64ELi128ELi128ELi4ELi64ELi4ELi4ELi64ELc78ELc78ELb1ELb0ELb0EdKddEEviiiT16_PT17_ilS4_ilS2_S4_ilPT18_ili26rocblas_geam_ex_operation_,"axG",@progbits,_ZN12_GLOBAL__N_120geam_min_plus_kernelIdddLi4ELi64ELi128ELi128ELi4ELi64ELi4ELi4ELi64ELc78ELc78ELb1ELb0ELb0EdKddEEviiiT16_PT17_ilS4_ilS2_S4_ilPT18_ili26rocblas_geam_ex_operation_,comdat
	.globl	_ZN12_GLOBAL__N_120geam_min_plus_kernelIdddLi4ELi64ELi128ELi128ELi4ELi64ELi4ELi4ELi64ELc78ELc78ELb1ELb0ELb0EdKddEEviiiT16_PT17_ilS4_ilS2_S4_ilPT18_ili26rocblas_geam_ex_operation_ ; -- Begin function _ZN12_GLOBAL__N_120geam_min_plus_kernelIdddLi4ELi64ELi128ELi128ELi4ELi64ELi4ELi4ELi64ELc78ELc78ELb1ELb0ELb0EdKddEEviiiT16_PT17_ilS4_ilS2_S4_ilPT18_ili26rocblas_geam_ex_operation_
	.p2align	8
	.type	_ZN12_GLOBAL__N_120geam_min_plus_kernelIdddLi4ELi64ELi128ELi128ELi4ELi64ELi4ELi4ELi64ELc78ELc78ELb1ELb0ELb0EdKddEEviiiT16_PT17_ilS4_ilS2_S4_ilPT18_ili26rocblas_geam_ex_operation_,@function
_ZN12_GLOBAL__N_120geam_min_plus_kernelIdddLi4ELi64ELi128ELi128ELi4ELi64ELi4ELi4ELi64ELc78ELc78ELb1ELb0ELb0EdKddEEviiiT16_PT17_ilS4_ilS2_S4_ilPT18_ili26rocblas_geam_ex_operation_: ; @_ZN12_GLOBAL__N_120geam_min_plus_kernelIdddLi4ELi64ELi128ELi128ELi4ELi64ELi4ELi4ELi64ELc78ELc78ELb1ELb0ELb0EdKddEEviiiT16_PT17_ilS4_ilS2_S4_ilPT18_ili26rocblas_geam_ex_operation_
; %bb.0:
	s_load_dwordx4 s[4:7], s[0:1], 0x10
	s_load_dwordx4 s[8:11], s[0:1], 0x28
	s_mov_b64 s[16:17], 0
	s_waitcnt lgkmcnt(0)
	v_cmp_eq_f64_e64 s[12:13], s[4:5], 0
	s_and_b64 vcc, exec, s[12:13]
	s_cbranch_vccnz .LBB181_2
; %bb.1:
	s_mul_i32 s4, s9, s3
	s_mul_hi_u32 s5, s8, s3
	s_add_i32 s5, s5, s4
	s_mul_i32 s4, s8, s3
	s_lshl_b64 s[4:5], s[4:5], 3
	s_add_u32 s16, s6, s4
	s_addc_u32 s17, s7, s5
.LBB181_2:
	s_load_dwordx4 s[4:7], s[0:1], 0x40
	s_load_dwordx2 s[18:19], s[0:1], 0x50
	s_andn2_b64 vcc, exec, s[12:13]
	s_mov_b64 s[8:9], -1
	s_cbranch_vccnz .LBB181_4
; %bb.3:
	s_mov_b64 s[8:9], 0
.LBB181_4:
	s_mov_b64 s[12:13], 0
	s_andn2_b64 vcc, exec, s[8:9]
	s_mov_b64 s[14:15], 0
	s_cbranch_vccnz .LBB181_6
; %bb.5:
	s_waitcnt lgkmcnt(0)
	s_mul_i32 s5, s5, s3
	s_mul_hi_u32 s8, s4, s3
	s_add_i32 s5, s8, s5
	s_mul_i32 s4, s4, s3
	s_lshl_b64 s[4:5], s[4:5], 3
	s_add_u32 s14, s10, s4
	s_addc_u32 s15, s11, s5
.LBB181_6:
	s_load_dwordx4 s[8:11], s[0:1], 0x60
	s_waitcnt lgkmcnt(0)
	v_cmp_eq_f64_e64 s[4:5], s[6:7], 0
	s_and_b64 s[4:5], exec, s[4:5]
	s_mov_b64 vcc, s[4:5]
	s_cbranch_vccnz .LBB181_8
; %bb.7:
	s_mul_i32 s9, s9, s3
	s_mul_hi_u32 s12, s8, s3
	s_add_i32 s9, s12, s9
	s_mul_i32 s8, s8, s3
	s_lshl_b64 s[8:9], s[8:9], 3
	s_add_u32 s12, s18, s8
	s_addc_u32 s13, s19, s9
.LBB181_8:
	s_load_dword s8, s[0:1], 0x0
	s_load_dword s19, s[0:1], 0x20
	;; [unrolled: 1-line block ×3, first 2 shown]
	v_and_b32_e32 v148, 0x3ff, v0
	v_bfe_u32 v149, v0, 10, 10
	s_waitcnt lgkmcnt(0)
	s_add_i32 s8, s8, -1
	s_ashr_i32 s9, s8, 31
	s_lshr_b32 s9, s9, 25
	s_add_i32 s8, s8, s9
	s_ashr_i32 s8, s8, 7
	s_add_i32 s9, s8, 1
	v_cvt_f32_u32_e32 v1, s9
	v_and_b32_e32 v150, 3, v0
	s_not_b32 s8, s8
	s_ashr_i32 s20, s19, 31
	v_rcp_iflag_f32_e32 v0, v1
	v_lshl_add_u32 v1, v149, 2, v148
	v_and_b32_e32 v142, 63, v1
	v_lshrrev_b32_e32 v151, 6, v1
	v_mul_f32_e32 v0, 0x4f7ffffe, v0
	v_cvt_u32_f32_e32 v0, v0
	v_lshrrev_b32_e32 v18, 2, v1
	v_lshlrev_b32_e32 v2, 3, v150
	v_mov_b32_e32 v3, 0
	v_readfirstlane_b32 s18, v0
	s_mul_i32 s8, s8, s18
	s_mul_hi_u32 s8, s18, s8
	s_add_i32 s18, s18, s8
	s_mul_hi_u32 s8, s2, s18
	s_mul_i32 s18, s8, s9
	s_sub_i32 s18, s2, s18
	s_add_i32 s22, s8, 1
	s_sub_i32 s23, s18, s9
	s_cmp_ge_u32 s18, s9
	s_cselect_b32 s8, s22, s8
	s_cselect_b32 s18, s23, s18
	s_add_i32 s22, s8, 1
	s_cmp_ge_u32 s18, s9
	s_cselect_b32 s8, s22, s8
	s_mul_i32 s9, s8, s9
	s_sub_i32 s2, s2, s9
	s_lshl_b32 s2, s2, 7
	s_lshl_b32 s18, s8, 7
	v_or_b32_e32 v132, s2, v142
	v_mad_i64_i32 v[0:1], s[8:9], s19, v151, 0
	v_add_u32_e32 v8, s18, v18
	v_ashrrev_i32_e32 v133, 31, v132
	v_lshl_add_u64 v[4:5], s[14:15], 0, v[2:3]
	v_mad_i64_i32 v[128:129], s[8:9], v8, s21, 0
	v_add_u32_e32 v3, 64, v8
	v_lshl_add_u64 v[0:1], v[0:1], 3, s[16:17]
	v_lshlrev_b64 v[12:13], 3, v[132:133]
	v_lshl_add_u64 v[6:7], v[128:129], 3, v[4:5]
	v_mad_i64_i32 v[130:131], s[8:9], v3, s21, 0
	v_lshl_add_u64 v[0:1], v[0:1], 0, v[12:13]
	v_lshl_add_u64 v[4:5], v[130:131], 3, v[4:5]
	global_load_dwordx2 v[8:9], v[6:7], off
	global_load_dwordx2 v[10:11], v[4:5], off
	global_load_dwordx2 v[14:15], v[0:1], off
	global_load_dwordx2 v[16:17], v[0:1], off offset:512
	v_lshlrev_b32_e32 v0, 5, v142
	v_add_u32_e32 v155, 4, v151
	v_lshl_add_u32 v156, v151, 3, v0
	v_mad_i64_i32 v[0:1], s[22:23], s19, v155, 0
	v_lshl_add_u64 v[0:1], v[0:1], 3, s[16:17]
	v_lshl_add_u64 v[0:1], v[0:1], 0, v[12:13]
	global_load_dwordx2 v[134:135], v[4:5], off offset:32
	global_load_dwordx2 v[136:137], v[6:7], off offset:32
	global_load_dwordx2 v[138:139], v[0:1], off
	global_load_dwordx2 v[140:141], v[0:1], off offset:512
	v_lshlrev_b32_e32 v143, 5, v149
	v_lshl_or_b32 v144, v18, 5, v2
	v_mov_b64_e32 v[126:127], 0
	s_mov_b32 s8, 0
	v_mov_b64_e32 v[124:125], 0
	v_mov_b64_e32 v[122:123], 0
	;; [unrolled: 1-line block ×19, first 2 shown]
	v_lshlrev_b32_e32 v153, 5, v148
	v_add_u32_e32 v154, 0x2000, v143
	v_add_u32_e32 v157, 0x2000, v144
	v_mov_b64_e32 v[86:87], 0
	v_mov_b64_e32 v[84:85], 0
	;; [unrolled: 1-line block ×28, first 2 shown]
	s_waitcnt vmcnt(6)
	ds_write2st64_b64 v144, v[8:9], v[10:11] offset0:16 offset1:20
	s_waitcnt vmcnt(4)
	ds_write2st64_b64 v156, v[14:15], v[16:17] offset1:4
	v_mov_b64_e32 v[30:31], 0
	v_mov_b64_e32 v[28:29], 0
	;; [unrolled: 1-line block ×16, first 2 shown]
	s_waitcnt lgkmcnt(0)
	s_barrier
.LBB181_9:                              ; =>This Inner Loop Header: Depth=1
	v_add_u32_e32 v145, s8, v153
	v_add_u32_e32 v146, s8, v154
	ds_read2_b64 v[158:161], v145 offset1:16
	ds_read2_b64 v[162:165], v145 offset0:32 offset1:48
	ds_read2_b64 v[166:169], v145 offset0:64 offset1:80
	;; [unrolled: 1-line block ×7, first 2 shown]
	ds_read2st64_b64 v[190:193], v146 offset1:4
	v_add_u32_e32 v145, 0x800, v145
	ds_read2_b64 v[194:197], v145 offset1:16
	ds_read2_b64 v[198:201], v145 offset0:32 offset1:48
	ds_read2_b64 v[202:205], v145 offset0:64 offset1:80
	;; [unrolled: 1-line block ×7, first 2 shown]
	s_waitcnt lgkmcnt(14)
	v_max_f64 v[146:147], v[158:159], v[158:159]
	v_max_f64 v[158:159], v[160:161], v[160:161]
	;; [unrolled: 1-line block ×6, first 2 shown]
	s_waitcnt lgkmcnt(13)
	v_max_f64 v[168:169], v[170:171], v[170:171]
	v_max_f64 v[170:171], v[172:173], v[172:173]
	s_waitcnt lgkmcnt(12)
	v_max_f64 v[172:173], v[174:175], v[174:175]
	v_max_f64 v[174:175], v[176:177], v[176:177]
	;; [unrolled: 3-line block ×14, first 2 shown]
	v_min_f64 v[224:225], v[146:147], v[188:189]
	v_min_f64 v[226:227], v[158:159], v[188:189]
	;; [unrolled: 1-line block ×32, first 2 shown]
	s_add_i32 s8, s8, 8
	v_add_f64 v[62:63], v[62:63], v[146:147]
	v_add_f64 v[60:61], v[60:61], v[158:159]
	;; [unrolled: 1-line block ×16, first 2 shown]
	v_min_f64 v[146:147], v[192:193], v[188:189]
	v_min_f64 v[158:159], v[194:195], v[188:189]
	v_min_f64 v[160:161], v[196:197], v[188:189]
	v_min_f64 v[162:163], v[198:199], v[188:189]
	v_min_f64 v[164:165], v[200:201], v[188:189]
	v_min_f64 v[166:167], v[202:203], v[188:189]
	v_min_f64 v[168:169], v[204:205], v[188:189]
	v_min_f64 v[170:171], v[206:207], v[188:189]
	v_min_f64 v[172:173], v[208:209], v[188:189]
	v_min_f64 v[174:175], v[210:211], v[188:189]
	v_min_f64 v[176:177], v[212:213], v[188:189]
	v_min_f64 v[178:179], v[214:215], v[188:189]
	v_min_f64 v[180:181], v[216:217], v[188:189]
	v_min_f64 v[182:183], v[218:219], v[188:189]
	v_min_f64 v[184:185], v[220:221], v[188:189]
	v_min_f64 v[186:187], v[222:223], v[188:189]
	v_min_f64 v[188:189], v[192:193], v[190:191]
	v_min_f64 v[192:193], v[194:195], v[190:191]
	v_min_f64 v[194:195], v[196:197], v[190:191]
	v_min_f64 v[196:197], v[198:199], v[190:191]
	v_min_f64 v[198:199], v[200:201], v[190:191]
	v_min_f64 v[200:201], v[202:203], v[190:191]
	v_min_f64 v[202:203], v[204:205], v[190:191]
	v_min_f64 v[204:205], v[206:207], v[190:191]
	v_min_f64 v[206:207], v[208:209], v[190:191]
	v_min_f64 v[208:209], v[210:211], v[190:191]
	v_min_f64 v[210:211], v[212:213], v[190:191]
	v_min_f64 v[212:213], v[214:215], v[190:191]
	v_min_f64 v[214:215], v[216:217], v[190:191]
	v_min_f64 v[216:217], v[218:219], v[190:191]
	v_min_f64 v[218:219], v[220:221], v[190:191]
	v_min_f64 v[190:191], v[222:223], v[190:191]
	s_cmp_eq_u32 s8, 32
	v_add_f64 v[126:127], v[126:127], v[224:225]
	v_add_f64 v[124:125], v[124:125], v[226:227]
	v_add_f64 v[122:123], v[122:123], v[228:229]
	v_add_f64 v[120:121], v[120:121], v[230:231]
	v_add_f64 v[118:119], v[118:119], v[232:233]
	v_add_f64 v[116:117], v[116:117], v[234:235]
	v_add_f64 v[114:115], v[114:115], v[236:237]
	v_add_f64 v[112:113], v[112:113], v[238:239]
	v_add_f64 v[110:111], v[110:111], v[240:241]
	v_add_f64 v[108:109], v[108:109], v[242:243]
	v_add_f64 v[106:107], v[106:107], v[244:245]
	v_add_f64 v[104:105], v[104:105], v[246:247]
	v_add_f64 v[102:103], v[102:103], v[248:249]
	v_add_f64 v[100:101], v[100:101], v[250:251]
	v_add_f64 v[98:99], v[98:99], v[252:253]
	v_add_f64 v[96:97], v[96:97], v[254:255]
	v_add_f64 v[92:93], v[92:93], v[146:147]
	v_add_f64 v[94:95], v[94:95], v[158:159]
	v_add_f64 v[90:91], v[90:91], v[160:161]
	v_add_f64 v[88:89], v[88:89], v[162:163]
	v_add_f64 v[86:87], v[86:87], v[164:165]
	v_add_f64 v[84:85], v[84:85], v[166:167]
	v_add_f64 v[82:83], v[82:83], v[168:169]
	v_add_f64 v[80:81], v[80:81], v[170:171]
	v_add_f64 v[78:79], v[78:79], v[172:173]
	v_add_f64 v[76:77], v[76:77], v[174:175]
	v_add_f64 v[74:75], v[74:75], v[176:177]
	v_add_f64 v[72:73], v[72:73], v[178:179]
	v_add_f64 v[70:71], v[70:71], v[180:181]
	v_add_f64 v[68:69], v[68:69], v[182:183]
	v_add_f64 v[66:67], v[66:67], v[184:185]
	v_add_f64 v[64:65], v[64:65], v[186:187]
	v_add_f64 v[30:31], v[30:31], v[188:189]
	v_add_f64 v[28:29], v[28:29], v[192:193]
	v_add_f64 v[26:27], v[26:27], v[194:195]
	v_add_f64 v[24:25], v[24:25], v[196:197]
	v_add_f64 v[22:23], v[22:23], v[198:199]
	v_add_f64 v[20:21], v[20:21], v[200:201]
	v_add_f64 v[18:19], v[18:19], v[202:203]
	v_add_f64 v[16:17], v[16:17], v[204:205]
	v_add_f64 v[14:15], v[14:15], v[206:207]
	v_add_f64 v[12:13], v[12:13], v[208:209]
	v_add_f64 v[10:11], v[10:11], v[210:211]
	v_add_f64 v[8:9], v[8:9], v[212:213]
	v_add_f64 v[6:7], v[6:7], v[214:215]
	v_add_f64 v[4:5], v[4:5], v[216:217]
	v_add_f64 v[2:3], v[2:3], v[218:219]
	v_add_f64 v[0:1], v[0:1], v[190:191]
	s_cbranch_scc0 .LBB181_9
; %bb.10:
	s_load_dword s21, s[0:1], 0x8
	v_lshlrev_b32_e32 v145, 3, v151
	v_lshl_add_u32 v142, v142, 5, v145
	s_waitcnt vmcnt(0)
	ds_write2st64_b64 v142, v[138:139], v[140:141] offset0:8 offset1:12
	ds_write2st64_b64 v144, v[136:137], v[134:135] offset0:24 offset1:28
	s_waitcnt lgkmcnt(0)
	s_cmp_gt_i32 s21, 8
	s_barrier
	s_cbranch_scc1 .LBB181_12
; %bb.11:
	v_add_u32_e32 v152, 0x3000, v143
	s_cbranch_execz .LBB181_13
	s_branch .LBB181_19
.LBB181_12:
                                        ; implicit-def: $vgpr152
.LBB181_13:
	v_mov_b32_e32 v134, 0x1000
	v_or_b32_e32 v158, 0x1000, v142
	v_add_u32_e32 v159, 0x3000, v144
	s_add_i32 s8, s21, -8
	v_lshl_add_u32 v160, v148, 5, v134
	v_lshl_add_u64 v[132:133], v[132:133], 3, s[16:17]
	v_add_u32_e32 v152, 0x3000, v143
	s_mov_b32 s9, 8
	s_mov_b32 s16, 0
	v_mov_b32_e32 v135, 0
.LBB181_14:                             ; =>This Loop Header: Depth=1
                                        ;     Child Loop BB181_15 Depth 2
                                        ;     Child Loop BB181_17 Depth 2
	v_add_u32_e32 v138, s9, v151
	v_mad_u64_u32 v[136:137], s[22:23], v138, s19, 0
	v_mov_b32_e32 v134, v137
	v_mad_u64_u32 v[138:139], s[22:23], v138, s20, v[134:135]
	v_mov_b32_e32 v137, v138
	v_or_b32_e32 v134, s9, v150
	v_lshl_add_u64 v[136:137], v[136:137], 3, v[132:133]
	v_lshl_add_u64 v[138:139], v[134:135], 3, s[14:15]
	global_load_dwordx2 v[140:141], v[136:137], off
	global_load_dwordx2 v[142:143], v[136:137], off offset:512
	v_lshl_add_u64 v[136:137], v[128:129], 3, v[138:139]
	v_lshl_add_u64 v[138:139], v[130:131], 3, v[138:139]
	global_load_dwordx2 v[144:145], v[136:137], off
	global_load_dwordx2 v[146:147], v[138:139], off
	s_mov_b32 s17, 0
.LBB181_15:                             ;   Parent Loop BB181_14 Depth=1
                                        ; =>  This Inner Loop Header: Depth=2
	v_add_u32_e32 v134, s17, v160
	ds_read2_b64 v[162:165], v134 offset1:16
	ds_read2_b64 v[166:169], v134 offset0:32 offset1:48
	ds_read2_b64 v[170:173], v134 offset0:64 offset1:80
	;; [unrolled: 1-line block ×7, first 2 shown]
	v_add_u32_e32 v134, 0x800, v134
	ds_read2_b64 v[194:197], v134 offset1:16
	ds_read2_b64 v[198:201], v134 offset0:32 offset1:48
	ds_read2_b64 v[202:205], v134 offset0:64 offset1:80
	;; [unrolled: 1-line block ×7, first 2 shown]
	v_add_u32_e32 v134, s17, v152
	ds_read2st64_b64 v[226:229], v134 offset1:4
	s_waitcnt lgkmcnt(14)
	v_max_f64 v[162:163], v[162:163], v[162:163]
	v_max_f64 v[164:165], v[164:165], v[164:165]
	;; [unrolled: 1-line block ×4, first 2 shown]
	s_waitcnt lgkmcnt(0)
	v_max_f64 v[226:227], v[226:227], v[226:227]
	v_min_f64 v[230:231], v[162:163], v[226:227]
	v_add_f64 v[126:127], v[126:127], v[230:231]
	v_min_f64 v[230:231], v[164:165], v[226:227]
	v_add_f64 v[124:125], v[124:125], v[230:231]
	;; [unrolled: 2-line block ×3, first 2 shown]
	v_min_f64 v[230:231], v[168:169], v[226:227]
	v_max_f64 v[170:171], v[170:171], v[170:171]
	v_add_f64 v[120:121], v[120:121], v[230:231]
	v_min_f64 v[230:231], v[170:171], v[226:227]
	v_max_f64 v[172:173], v[172:173], v[172:173]
	v_add_f64 v[118:119], v[118:119], v[230:231]
	v_min_f64 v[230:231], v[172:173], v[226:227]
	v_max_f64 v[174:175], v[174:175], v[174:175]
	v_add_f64 v[116:117], v[116:117], v[230:231]
	v_min_f64 v[230:231], v[174:175], v[226:227]
	v_max_f64 v[176:177], v[176:177], v[176:177]
	v_add_f64 v[114:115], v[114:115], v[230:231]
	v_min_f64 v[230:231], v[176:177], v[226:227]
	v_max_f64 v[178:179], v[178:179], v[178:179]
	v_add_f64 v[112:113], v[112:113], v[230:231]
	v_min_f64 v[230:231], v[178:179], v[226:227]
	v_max_f64 v[180:181], v[180:181], v[180:181]
	v_add_f64 v[110:111], v[110:111], v[230:231]
	v_min_f64 v[230:231], v[180:181], v[226:227]
	v_max_f64 v[182:183], v[182:183], v[182:183]
	v_add_f64 v[108:109], v[108:109], v[230:231]
	v_min_f64 v[230:231], v[182:183], v[226:227]
	v_max_f64 v[184:185], v[184:185], v[184:185]
	v_add_f64 v[106:107], v[106:107], v[230:231]
	v_min_f64 v[230:231], v[184:185], v[226:227]
	v_max_f64 v[186:187], v[186:187], v[186:187]
	v_add_f64 v[104:105], v[104:105], v[230:231]
	v_min_f64 v[230:231], v[186:187], v[226:227]
	v_max_f64 v[188:189], v[188:189], v[188:189]
	v_add_f64 v[102:103], v[102:103], v[230:231]
	v_min_f64 v[230:231], v[188:189], v[226:227]
	v_max_f64 v[190:191], v[190:191], v[190:191]
	v_add_f64 v[100:101], v[100:101], v[230:231]
	v_min_f64 v[230:231], v[190:191], v[226:227]
	v_max_f64 v[192:193], v[192:193], v[192:193]
	v_add_f64 v[98:99], v[98:99], v[230:231]
	v_min_f64 v[230:231], v[192:193], v[226:227]
	v_max_f64 v[194:195], v[194:195], v[194:195]
	v_add_f64 v[96:97], v[96:97], v[230:231]
	v_min_f64 v[230:231], v[194:195], v[226:227]
	v_max_f64 v[196:197], v[196:197], v[196:197]
	v_add_f64 v[92:93], v[92:93], v[230:231]
	v_min_f64 v[230:231], v[196:197], v[226:227]
	v_max_f64 v[198:199], v[198:199], v[198:199]
	v_add_f64 v[94:95], v[94:95], v[230:231]
	v_min_f64 v[230:231], v[198:199], v[226:227]
	v_max_f64 v[200:201], v[200:201], v[200:201]
	v_add_f64 v[90:91], v[90:91], v[230:231]
	v_min_f64 v[230:231], v[200:201], v[226:227]
	v_max_f64 v[202:203], v[202:203], v[202:203]
	v_add_f64 v[88:89], v[88:89], v[230:231]
	v_min_f64 v[230:231], v[202:203], v[226:227]
	v_max_f64 v[204:205], v[204:205], v[204:205]
	v_add_f64 v[86:87], v[86:87], v[230:231]
	v_min_f64 v[230:231], v[204:205], v[226:227]
	v_max_f64 v[206:207], v[206:207], v[206:207]
	v_add_f64 v[84:85], v[84:85], v[230:231]
	v_min_f64 v[230:231], v[206:207], v[226:227]
	v_max_f64 v[208:209], v[208:209], v[208:209]
	v_add_f64 v[82:83], v[82:83], v[230:231]
	v_min_f64 v[230:231], v[208:209], v[226:227]
	v_max_f64 v[210:211], v[210:211], v[210:211]
	v_add_f64 v[80:81], v[80:81], v[230:231]
	v_min_f64 v[230:231], v[210:211], v[226:227]
	v_max_f64 v[212:213], v[212:213], v[212:213]
	v_add_f64 v[78:79], v[78:79], v[230:231]
	v_min_f64 v[230:231], v[212:213], v[226:227]
	v_max_f64 v[214:215], v[214:215], v[214:215]
	v_add_f64 v[76:77], v[76:77], v[230:231]
	v_min_f64 v[230:231], v[214:215], v[226:227]
	v_max_f64 v[216:217], v[216:217], v[216:217]
	v_add_f64 v[74:75], v[74:75], v[230:231]
	v_min_f64 v[230:231], v[216:217], v[226:227]
	v_max_f64 v[218:219], v[218:219], v[218:219]
	v_add_f64 v[72:73], v[72:73], v[230:231]
	v_min_f64 v[230:231], v[218:219], v[226:227]
	v_max_f64 v[220:221], v[220:221], v[220:221]
	v_add_f64 v[70:71], v[70:71], v[230:231]
	v_min_f64 v[230:231], v[220:221], v[226:227]
	v_max_f64 v[222:223], v[222:223], v[222:223]
	v_max_f64 v[224:225], v[224:225], v[224:225]
	v_add_f64 v[68:69], v[68:69], v[230:231]
	v_min_f64 v[230:231], v[222:223], v[226:227]
	v_min_f64 v[226:227], v[224:225], v[226:227]
	v_add_f64 v[64:65], v[64:65], v[226:227]
	v_max_f64 v[226:227], v[228:229], v[228:229]
	v_min_f64 v[162:163], v[162:163], v[226:227]
	v_add_f64 v[62:63], v[62:63], v[162:163]
	v_min_f64 v[162:163], v[164:165], v[226:227]
	v_add_f64 v[60:61], v[60:61], v[162:163]
	;; [unrolled: 2-line block ×31, first 2 shown]
	v_min_f64 v[162:163], v[224:225], v[226:227]
	s_add_i32 s17, s17, 8
	v_add_f64 v[66:67], v[66:67], v[230:231]
	v_add_f64 v[0:1], v[0:1], v[162:163]
	s_cmp_eq_u32 s17, 32
	s_cbranch_scc0 .LBB181_15
; %bb.16:                               ;   in Loop: Header=BB181_14 Depth=1
	s_waitcnt vmcnt(2)
	ds_write2st64_b64 v156, v[140:141], v[142:143] offset1:4
	s_waitcnt vmcnt(0)
	ds_write2st64_b64 v157, v[144:145], v[146:147] offset1:4
	v_add_u32_e32 v142, s9, v155
	v_mad_u64_u32 v[140:141], s[22:23], v142, s19, 0
	v_mov_b32_e32 v134, v141
	v_mad_u64_u32 v[142:143], s[22:23], v142, s20, v[134:135]
	v_mov_b32_e32 v141, v142
	v_lshl_add_u64 v[142:143], v[140:141], 3, v[132:133]
	s_waitcnt lgkmcnt(0)
	s_barrier
	global_load_dwordx2 v[140:141], v[142:143], off
	s_nop 0
	global_load_dwordx2 v[142:143], v[142:143], off offset:512
	s_nop 0
	global_load_dwordx2 v[136:137], v[136:137], off offset:32
	;; [unrolled: 2-line block ×3, first 2 shown]
	s_mov_b32 s17, 0
.LBB181_17:                             ;   Parent Loop BB181_14 Depth=1
                                        ; =>  This Inner Loop Header: Depth=2
	v_add_u32_e32 v134, s17, v153
	ds_read2_b64 v[144:147], v134 offset1:16
	ds_read2_b64 v[162:165], v134 offset0:32 offset1:48
	ds_read2_b64 v[166:169], v134 offset0:64 offset1:80
	ds_read2_b64 v[170:173], v134 offset0:96 offset1:112
	ds_read2_b64 v[174:177], v134 offset0:128 offset1:144
	ds_read2_b64 v[178:181], v134 offset0:160 offset1:176
	ds_read2_b64 v[182:185], v134 offset0:192 offset1:208
	ds_read2_b64 v[186:189], v134 offset0:224 offset1:240
	v_add_u32_e32 v134, 0x800, v134
	ds_read2_b64 v[190:193], v134 offset1:16
	ds_read2_b64 v[194:197], v134 offset0:32 offset1:48
	ds_read2_b64 v[198:201], v134 offset0:64 offset1:80
	;; [unrolled: 1-line block ×7, first 2 shown]
	v_add_u32_e32 v134, s17, v154
	ds_read2st64_b64 v[222:225], v134 offset1:4
	s_waitcnt lgkmcnt(14)
	v_max_f64 v[144:145], v[144:145], v[144:145]
	v_max_f64 v[146:147], v[146:147], v[146:147]
	;; [unrolled: 1-line block ×4, first 2 shown]
	s_waitcnt lgkmcnt(0)
	v_max_f64 v[222:223], v[222:223], v[222:223]
	v_min_f64 v[226:227], v[144:145], v[222:223]
	v_add_f64 v[126:127], v[126:127], v[226:227]
	v_min_f64 v[226:227], v[146:147], v[222:223]
	v_add_f64 v[124:125], v[124:125], v[226:227]
	;; [unrolled: 2-line block ×3, first 2 shown]
	v_min_f64 v[226:227], v[164:165], v[222:223]
	v_max_f64 v[166:167], v[166:167], v[166:167]
	v_add_f64 v[120:121], v[120:121], v[226:227]
	v_min_f64 v[226:227], v[166:167], v[222:223]
	v_max_f64 v[168:169], v[168:169], v[168:169]
	v_add_f64 v[118:119], v[118:119], v[226:227]
	v_min_f64 v[226:227], v[168:169], v[222:223]
	v_max_f64 v[170:171], v[170:171], v[170:171]
	v_add_f64 v[116:117], v[116:117], v[226:227]
	v_min_f64 v[226:227], v[170:171], v[222:223]
	v_max_f64 v[172:173], v[172:173], v[172:173]
	v_add_f64 v[114:115], v[114:115], v[226:227]
	v_min_f64 v[226:227], v[172:173], v[222:223]
	v_max_f64 v[174:175], v[174:175], v[174:175]
	v_add_f64 v[112:113], v[112:113], v[226:227]
	v_min_f64 v[226:227], v[174:175], v[222:223]
	v_max_f64 v[176:177], v[176:177], v[176:177]
	v_add_f64 v[110:111], v[110:111], v[226:227]
	v_min_f64 v[226:227], v[176:177], v[222:223]
	v_max_f64 v[178:179], v[178:179], v[178:179]
	v_add_f64 v[108:109], v[108:109], v[226:227]
	v_min_f64 v[226:227], v[178:179], v[222:223]
	v_max_f64 v[180:181], v[180:181], v[180:181]
	v_add_f64 v[106:107], v[106:107], v[226:227]
	v_min_f64 v[226:227], v[180:181], v[222:223]
	v_max_f64 v[182:183], v[182:183], v[182:183]
	v_add_f64 v[104:105], v[104:105], v[226:227]
	v_min_f64 v[226:227], v[182:183], v[222:223]
	v_max_f64 v[184:185], v[184:185], v[184:185]
	v_add_f64 v[102:103], v[102:103], v[226:227]
	v_min_f64 v[226:227], v[184:185], v[222:223]
	v_max_f64 v[186:187], v[186:187], v[186:187]
	v_add_f64 v[100:101], v[100:101], v[226:227]
	v_min_f64 v[226:227], v[186:187], v[222:223]
	v_max_f64 v[188:189], v[188:189], v[188:189]
	v_add_f64 v[98:99], v[98:99], v[226:227]
	v_min_f64 v[226:227], v[188:189], v[222:223]
	v_max_f64 v[190:191], v[190:191], v[190:191]
	v_add_f64 v[96:97], v[96:97], v[226:227]
	v_min_f64 v[226:227], v[190:191], v[222:223]
	v_max_f64 v[192:193], v[192:193], v[192:193]
	v_add_f64 v[92:93], v[92:93], v[226:227]
	v_min_f64 v[226:227], v[192:193], v[222:223]
	v_max_f64 v[194:195], v[194:195], v[194:195]
	v_add_f64 v[94:95], v[94:95], v[226:227]
	v_min_f64 v[226:227], v[194:195], v[222:223]
	v_max_f64 v[196:197], v[196:197], v[196:197]
	v_add_f64 v[90:91], v[90:91], v[226:227]
	v_min_f64 v[226:227], v[196:197], v[222:223]
	v_max_f64 v[198:199], v[198:199], v[198:199]
	v_add_f64 v[88:89], v[88:89], v[226:227]
	v_min_f64 v[226:227], v[198:199], v[222:223]
	v_max_f64 v[200:201], v[200:201], v[200:201]
	v_add_f64 v[86:87], v[86:87], v[226:227]
	v_min_f64 v[226:227], v[200:201], v[222:223]
	v_max_f64 v[202:203], v[202:203], v[202:203]
	v_add_f64 v[84:85], v[84:85], v[226:227]
	v_min_f64 v[226:227], v[202:203], v[222:223]
	v_max_f64 v[204:205], v[204:205], v[204:205]
	v_add_f64 v[82:83], v[82:83], v[226:227]
	v_min_f64 v[226:227], v[204:205], v[222:223]
	v_max_f64 v[206:207], v[206:207], v[206:207]
	v_add_f64 v[80:81], v[80:81], v[226:227]
	v_min_f64 v[226:227], v[206:207], v[222:223]
	v_max_f64 v[208:209], v[208:209], v[208:209]
	v_add_f64 v[78:79], v[78:79], v[226:227]
	v_min_f64 v[226:227], v[208:209], v[222:223]
	v_max_f64 v[210:211], v[210:211], v[210:211]
	v_add_f64 v[76:77], v[76:77], v[226:227]
	v_min_f64 v[226:227], v[210:211], v[222:223]
	v_max_f64 v[212:213], v[212:213], v[212:213]
	v_add_f64 v[74:75], v[74:75], v[226:227]
	v_min_f64 v[226:227], v[212:213], v[222:223]
	v_max_f64 v[214:215], v[214:215], v[214:215]
	v_add_f64 v[72:73], v[72:73], v[226:227]
	v_min_f64 v[226:227], v[214:215], v[222:223]
	v_max_f64 v[216:217], v[216:217], v[216:217]
	v_add_f64 v[70:71], v[70:71], v[226:227]
	v_min_f64 v[226:227], v[216:217], v[222:223]
	v_max_f64 v[218:219], v[218:219], v[218:219]
	v_max_f64 v[220:221], v[220:221], v[220:221]
	v_add_f64 v[68:69], v[68:69], v[226:227]
	v_min_f64 v[226:227], v[218:219], v[222:223]
	v_min_f64 v[222:223], v[220:221], v[222:223]
	v_add_f64 v[64:65], v[64:65], v[222:223]
	v_max_f64 v[222:223], v[224:225], v[224:225]
	v_min_f64 v[144:145], v[144:145], v[222:223]
	v_add_f64 v[62:63], v[62:63], v[144:145]
	v_min_f64 v[144:145], v[146:147], v[222:223]
	v_add_f64 v[60:61], v[60:61], v[144:145]
	;; [unrolled: 2-line block ×31, first 2 shown]
	v_min_f64 v[144:145], v[220:221], v[222:223]
	s_add_i32 s17, s17, 8
	v_add_f64 v[66:67], v[66:67], v[226:227]
	v_add_f64 v[0:1], v[0:1], v[144:145]
	s_cmp_eq_u32 s17, 32
	s_cbranch_scc0 .LBB181_17
; %bb.18:                               ;   in Loop: Header=BB181_14 Depth=1
	s_add_i32 s9, s9, 8
	s_add_i32 s16, s16, 8
	s_cmp_ge_i32 s16, s8
	s_waitcnt vmcnt(2)
	ds_write2st64_b64 v158, v[140:141], v[142:143] offset1:4
	s_waitcnt vmcnt(0)
	ds_write2st64_b64 v159, v[136:137], v[138:139] offset1:4
	s_waitcnt lgkmcnt(0)
	s_barrier
	s_cbranch_scc0 .LBB181_14
.LBB181_19:
	v_mov_b32_e32 v128, 0x1000
	v_lshl_add_u32 v128, v148, 5, v128
	s_mov_b32 s8, 0
.LBB181_20:                             ; =>This Inner Loop Header: Depth=1
	v_add_u32_e32 v129, s8, v128
	v_add_u32_e32 v146, s8, v152
	ds_read2_b64 v[130:133], v129 offset1:16
	ds_read2_b64 v[134:137], v129 offset0:32 offset1:48
	ds_read2_b64 v[138:141], v129 offset0:64 offset1:80
	;; [unrolled: 1-line block ×7, first 2 shown]
	v_add_u32_e32 v129, 0x800, v129
	ds_read2st64_b64 v[170:173], v146 offset1:4
	ds_read2_b64 v[174:177], v129 offset1:16
	ds_read2_b64 v[178:181], v129 offset0:32 offset1:48
	ds_read2_b64 v[182:185], v129 offset0:64 offset1:80
	ds_read2_b64 v[186:189], v129 offset0:96 offset1:112
	ds_read2_b64 v[190:193], v129 offset0:128 offset1:144
	ds_read2_b64 v[194:197], v129 offset0:160 offset1:176
	ds_read2_b64 v[198:201], v129 offset0:192 offset1:208
	ds_read2_b64 v[202:205], v129 offset0:224 offset1:240
	s_waitcnt lgkmcnt(14)
	v_max_f64 v[130:131], v[130:131], v[130:131]
	v_max_f64 v[132:133], v[132:133], v[132:133]
	;; [unrolled: 1-line block ×3, first 2 shown]
	s_waitcnt lgkmcnt(8)
	v_max_f64 v[146:147], v[170:171], v[170:171]
	v_max_f64 v[136:137], v[136:137], v[136:137]
	;; [unrolled: 1-line block ×15, first 2 shown]
	v_min_f64 v[170:171], v[130:131], v[146:147]
	v_min_f64 v[172:173], v[132:133], v[146:147]
	;; [unrolled: 1-line block ×16, first 2 shown]
	s_waitcnt lgkmcnt(7)
	v_max_f64 v[174:175], v[174:175], v[174:175]
	v_max_f64 v[176:177], v[176:177], v[176:177]
	s_waitcnt lgkmcnt(6)
	v_max_f64 v[178:179], v[178:179], v[178:179]
	v_max_f64 v[180:181], v[180:181], v[180:181]
	;; [unrolled: 3-line block ×8, first 2 shown]
	v_min_f64 v[130:131], v[130:131], v[168:169]
	v_min_f64 v[132:133], v[132:133], v[168:169]
	;; [unrolled: 1-line block ×16, first 2 shown]
	s_add_i32 s8, s8, 8
	v_add_f64 v[126:127], v[126:127], v[170:171]
	v_add_f64 v[124:125], v[124:125], v[172:173]
	;; [unrolled: 1-line block ×15, first 2 shown]
	v_min_f64 v[170:171], v[174:175], v[146:147]
	v_min_f64 v[172:173], v[176:177], v[146:147]
	;; [unrolled: 1-line block ×16, first 2 shown]
	v_add_f64 v[62:63], v[62:63], v[130:131]
	v_add_f64 v[60:61], v[60:61], v[132:133]
	;; [unrolled: 1-line block ×16, first 2 shown]
	v_min_f64 v[130:131], v[174:175], v[168:169]
	v_min_f64 v[132:133], v[176:177], v[168:169]
	v_min_f64 v[134:135], v[178:179], v[168:169]
	v_min_f64 v[136:137], v[180:181], v[168:169]
	v_min_f64 v[138:139], v[182:183], v[168:169]
	v_min_f64 v[140:141], v[184:185], v[168:169]
	v_min_f64 v[142:143], v[186:187], v[168:169]
	v_min_f64 v[144:145], v[188:189], v[168:169]
	v_min_f64 v[150:151], v[190:191], v[168:169]
	v_min_f64 v[154:155], v[192:193], v[168:169]
	v_min_f64 v[156:157], v[194:195], v[168:169]
	v_min_f64 v[158:159], v[196:197], v[168:169]
	v_min_f64 v[160:161], v[198:199], v[168:169]
	v_min_f64 v[162:163], v[200:201], v[168:169]
	v_min_f64 v[164:165], v[202:203], v[168:169]
	v_min_f64 v[166:167], v[204:205], v[168:169]
	s_cmp_eq_u32 s8, 32
	v_add_f64 v[96:97], v[96:97], v[232:233]
	v_add_f64 v[92:93], v[92:93], v[170:171]
	;; [unrolled: 1-line block ×33, first 2 shown]
	s_cbranch_scc0 .LBB181_20
; %bb.21:
	s_load_dwordx2 s[14:15], s[0:1], 0x78
	s_load_dword s8, s[0:1], 0x58
	s_load_dword s9, s[0:1], 0x70
	v_add_u32_e32 v170, s18, v149
	v_add_u32_e32 v130, s2, v148
	s_waitcnt lgkmcnt(0)
	s_mul_i32 s1, s15, s3
	s_mul_hi_u32 s15, s14, s3
	s_mul_i32 s0, s14, s3
	s_add_i32 s1, s15, s1
	s_lshl_b64 s[0:1], s[0:1], 3
	s_add_u32 s0, s10, s0
	s_addc_u32 s1, s11, s1
	v_mad_i64_i32 v[132:133], s[2:3], v170, s9, 0
	v_add_u32_e32 v128, 4, v130
	v_lshl_add_u64 v[138:139], v[132:133], 3, s[0:1]
	v_mad_i64_i32 v[132:133], s[2:3], v170, s8, 0
	v_ashrrev_i32_e32 v131, 31, v130
	v_ashrrev_i32_e32 v129, 31, v128
	s_mov_b64 s[2:3], -1
	s_mov_b64 vcc, s[4:5]
	s_cbranch_vccz .LBB181_23
; %bb.22:
	v_add_f64 v[134:135], v[126:127], 0
	v_lshl_add_u64 v[136:137], v[130:131], 3, v[138:139]
	s_mov_b64 s[2:3], 0
	global_store_dwordx2 v[136:137], v[134:135], off
.LBB181_23:
	v_lshl_add_u64 v[146:147], v[132:133], 3, s[12:13]
	v_mov_b64_e32 v[136:137], 0
	s_andn2_b64 vcc, exec, s[2:3]
	v_lshlrev_b64 v[134:135], 3, v[130:131]
	s_cbranch_vccnz .LBB181_25
; %bb.24:
	v_lshl_add_u64 v[132:133], v[146:147], 0, v[134:135]
	global_load_dwordx2 v[132:133], v[132:133], off
	v_lshl_add_u64 v[136:137], v[138:139], 0, v[134:135]
	s_waitcnt vmcnt(0)
	v_fmac_f64_e32 v[126:127], s[6:7], v[132:133]
	global_store_dwordx2 v[136:137], v[126:127], off
	v_lshl_add_u64 v[126:127], v[128:129], 3, v[146:147]
	global_load_dwordx2 v[126:127], v[126:127], off
	s_waitcnt vmcnt(0)
	v_mul_f64 v[136:137], s[6:7], v[126:127]
.LBB181_25:
	v_add_u32_e32 v132, 8, v130
	v_add_u32_e32 v126, 12, v130
	v_ashrrev_i32_e32 v133, 31, v132
	v_ashrrev_i32_e32 v127, 31, v126
	v_add_f64 v[124:125], v[124:125], v[136:137]
	v_lshl_add_u64 v[136:137], v[128:129], 3, v[138:139]
	s_mov_b64 s[2:3], -1
	s_mov_b64 vcc, s[4:5]
	global_store_dwordx2 v[136:137], v[124:125], off
	s_cbranch_vccz .LBB181_27
; %bb.26:
	v_add_f64 v[124:125], v[122:123], 0
	v_lshl_add_u64 v[136:137], v[132:133], 3, v[138:139]
	s_mov_b64 s[2:3], 0
	global_store_dwordx2 v[136:137], v[124:125], off
.LBB181_27:
	v_mov_b64_e32 v[140:141], 0
	s_andn2_b64 vcc, exec, s[2:3]
	v_lshlrev_b64 v[136:137], 3, v[132:133]
	s_cbranch_vccnz .LBB181_29
; %bb.28:
	v_lshl_add_u64 v[124:125], v[146:147], 0, v[136:137]
	global_load_dwordx2 v[124:125], v[124:125], off
	v_lshl_add_u64 v[140:141], v[138:139], 0, v[136:137]
	s_waitcnt vmcnt(0)
	v_fmac_f64_e32 v[122:123], s[6:7], v[124:125]
	global_store_dwordx2 v[140:141], v[122:123], off
	v_lshl_add_u64 v[122:123], v[126:127], 3, v[146:147]
	global_load_dwordx2 v[122:123], v[122:123], off
	s_waitcnt vmcnt(0)
	v_mul_f64 v[140:141], s[6:7], v[122:123]
.LBB181_29:
	v_add_u32_e32 v124, 16, v130
	v_add_u32_e32 v122, 20, v130
	v_ashrrev_i32_e32 v125, 31, v124
	v_ashrrev_i32_e32 v123, 31, v122
	v_add_f64 v[120:121], v[120:121], v[140:141]
	v_lshl_add_u64 v[140:141], v[126:127], 3, v[138:139]
	s_mov_b64 s[2:3], -1
	s_mov_b64 vcc, s[4:5]
	global_store_dwordx2 v[140:141], v[120:121], off
	s_cbranch_vccz .LBB181_31
; %bb.30:
	v_add_f64 v[120:121], v[118:119], 0
	v_lshl_add_u64 v[140:141], v[124:125], 3, v[138:139]
	s_mov_b64 s[2:3], 0
	global_store_dwordx2 v[140:141], v[120:121], off
.LBB181_31:
	;; [unrolled: 32-line block ×15, first 2 shown]
	v_mov_b64_e32 v[168:169], 0
	s_andn2_b64 vcc, exec, s[2:3]
	v_lshlrev_b64 v[68:69], 3, v[72:73]
	s_cbranch_vccnz .LBB181_85
; %bb.84:
	v_lshl_add_u64 v[168:169], v[146:147], 0, v[68:69]
	global_load_dwordx2 v[168:169], v[168:169], off
	v_lshl_add_u64 v[172:173], v[138:139], 0, v[68:69]
	s_waitcnt vmcnt(0)
	v_fmac_f64_e32 v[66:67], s[6:7], v[168:169]
	global_store_dwordx2 v[172:173], v[66:67], off
	v_lshl_add_u64 v[66:67], v[70:71], 3, v[146:147]
	global_load_dwordx2 v[66:67], v[66:67], off
	s_waitcnt vmcnt(0)
	v_mul_f64 v[168:169], s[6:7], v[66:67]
.LBB181_85:
	v_add_f64 v[64:65], v[64:65], v[168:169]
	v_lshl_add_u64 v[66:67], v[70:71], 3, v[138:139]
	global_store_dwordx2 v[66:67], v[64:65], off
	v_add_u32_e32 v66, 64, v170
	v_mad_i64_i32 v[64:65], s[2:3], v66, s9, 0
	v_lshl_add_u64 v[64:65], v[64:65], 3, s[0:1]
	v_mad_i64_i32 v[66:67], s[0:1], v66, s8, 0
	s_mov_b64 s[0:1], -1
	s_mov_b64 vcc, s[4:5]
	s_cbranch_vccz .LBB181_87
; %bb.86:
	v_add_f64 v[138:139], v[62:63], 0
	v_lshl_add_u64 v[130:131], v[130:131], 3, v[64:65]
	s_mov_b64 s[0:1], 0
	global_store_dwordx2 v[130:131], v[138:139], off
.LBB181_87:
	v_lshl_add_u64 v[66:67], v[66:67], 3, s[12:13]
	s_andn2_b64 vcc, exec, s[0:1]
	v_mov_b64_e32 v[130:131], 0
	s_cbranch_vccnz .LBB181_89
; %bb.88:
	v_lshl_add_u64 v[130:131], v[66:67], 0, v[134:135]
	global_load_dwordx2 v[130:131], v[130:131], off
	v_lshl_add_u64 v[134:135], v[64:65], 0, v[134:135]
	s_waitcnt vmcnt(0)
	v_fmac_f64_e32 v[62:63], s[6:7], v[130:131]
	global_store_dwordx2 v[134:135], v[62:63], off
	v_lshl_add_u64 v[62:63], v[128:129], 3, v[66:67]
	global_load_dwordx2 v[62:63], v[62:63], off
	s_waitcnt vmcnt(0)
	v_mul_f64 v[130:131], s[6:7], v[62:63]
.LBB181_89:
	v_add_f64 v[60:61], v[60:61], v[130:131]
	v_lshl_add_u64 v[62:63], v[128:129], 3, v[64:65]
	s_mov_b64 s[0:1], -1
	s_mov_b64 vcc, s[4:5]
	global_store_dwordx2 v[62:63], v[60:61], off
	s_cbranch_vccz .LBB181_91
; %bb.90:
	v_add_f64 v[60:61], v[58:59], 0
	v_lshl_add_u64 v[62:63], v[132:133], 3, v[64:65]
	s_mov_b64 s[0:1], 0
	global_store_dwordx2 v[62:63], v[60:61], off
.LBB181_91:
	s_andn2_b64 vcc, exec, s[0:1]
	v_mov_b64_e32 v[60:61], 0
	s_cbranch_vccnz .LBB181_93
; %bb.92:
	v_lshl_add_u64 v[60:61], v[66:67], 0, v[136:137]
	global_load_dwordx2 v[60:61], v[60:61], off
	v_lshl_add_u64 v[62:63], v[64:65], 0, v[136:137]
	s_waitcnt vmcnt(0)
	v_fmac_f64_e32 v[58:59], s[6:7], v[60:61]
	global_store_dwordx2 v[62:63], v[58:59], off
	v_lshl_add_u64 v[58:59], v[126:127], 3, v[66:67]
	global_load_dwordx2 v[58:59], v[58:59], off
	s_waitcnt vmcnt(0)
	v_mul_f64 v[60:61], s[6:7], v[58:59]
.LBB181_93:
	v_add_f64 v[56:57], v[56:57], v[60:61]
	v_lshl_add_u64 v[58:59], v[126:127], 3, v[64:65]
	s_mov_b64 s[0:1], -1
	s_mov_b64 vcc, s[4:5]
	global_store_dwordx2 v[58:59], v[56:57], off
	s_cbranch_vccz .LBB181_95
; %bb.94:
	v_add_f64 v[56:57], v[54:55], 0
	v_lshl_add_u64 v[58:59], v[124:125], 3, v[64:65]
	s_mov_b64 s[0:1], 0
	global_store_dwordx2 v[58:59], v[56:57], off
.LBB181_95:
	;; [unrolled: 27-line block ×14, first 2 shown]
	s_andn2_b64 vcc, exec, s[0:1]
	v_mov_b64_e32 v[8:9], 0
	s_cbranch_vccnz .LBB181_145
; %bb.144:
	v_lshl_add_u64 v[8:9], v[66:67], 0, v[166:167]
	global_load_dwordx2 v[8:9], v[8:9], off
	v_lshl_add_u64 v[10:11], v[64:65], 0, v[166:167]
	s_waitcnt vmcnt(0)
	v_fmac_f64_e32 v[6:7], s[6:7], v[8:9]
	global_store_dwordx2 v[10:11], v[6:7], off
	v_lshl_add_u64 v[6:7], v[74:75], 3, v[66:67]
	global_load_dwordx2 v[6:7], v[6:7], off
	s_waitcnt vmcnt(0)
	v_mul_f64 v[8:9], s[6:7], v[6:7]
.LBB181_145:
	v_add_f64 v[4:5], v[4:5], v[8:9]
	v_lshl_add_u64 v[6:7], v[74:75], 3, v[64:65]
	s_mov_b64 s[0:1], -1
	s_mov_b64 vcc, s[4:5]
	global_store_dwordx2 v[6:7], v[4:5], off
	s_cbranch_vccnz .LBB181_148
; %bb.146:
	s_andn2_b64 vcc, exec, s[0:1]
	v_mov_b64_e32 v[4:5], 0
	s_cbranch_vccz .LBB181_149
.LBB181_147:
	v_add_f64 v[0:1], v[0:1], v[4:5]
	v_lshl_add_u64 v[2:3], v[70:71], 3, v[64:65]
	global_store_dwordx2 v[2:3], v[0:1], off
	s_endpgm
.LBB181_148:
	v_add_f64 v[4:5], v[2:3], 0
	v_lshl_add_u64 v[6:7], v[72:73], 3, v[64:65]
	global_store_dwordx2 v[6:7], v[4:5], off
	v_mov_b64_e32 v[4:5], 0
	s_cbranch_execnz .LBB181_147
.LBB181_149:
	v_lshl_add_u64 v[4:5], v[66:67], 0, v[68:69]
	global_load_dwordx2 v[4:5], v[4:5], off
	v_lshl_add_u64 v[6:7], v[64:65], 0, v[68:69]
	s_waitcnt vmcnt(0)
	v_fmac_f64_e32 v[2:3], s[6:7], v[4:5]
	global_store_dwordx2 v[6:7], v[2:3], off
	v_lshl_add_u64 v[2:3], v[70:71], 3, v[66:67]
	global_load_dwordx2 v[2:3], v[2:3], off
	s_waitcnt vmcnt(0)
	v_mul_f64 v[4:5], s[6:7], v[2:3]
	v_add_f64 v[0:1], v[0:1], v[4:5]
	v_lshl_add_u64 v[2:3], v[70:71], 3, v[64:65]
	global_store_dwordx2 v[2:3], v[0:1], off
	s_endpgm
	.section	.rodata,"a",@progbits
	.p2align	6, 0x0
	.amdhsa_kernel _ZN12_GLOBAL__N_120geam_min_plus_kernelIdddLi4ELi64ELi128ELi128ELi4ELi64ELi4ELi4ELi64ELc78ELc78ELb1ELb0ELb0EdKddEEviiiT16_PT17_ilS4_ilS2_S4_ilPT18_ili26rocblas_geam_ex_operation_
		.amdhsa_group_segment_fixed_size 16384
		.amdhsa_private_segment_fixed_size 0
		.amdhsa_kernarg_size 136
		.amdhsa_user_sgpr_count 2
		.amdhsa_user_sgpr_dispatch_ptr 0
		.amdhsa_user_sgpr_queue_ptr 0
		.amdhsa_user_sgpr_kernarg_segment_ptr 1
		.amdhsa_user_sgpr_dispatch_id 0
		.amdhsa_user_sgpr_kernarg_preload_length 0
		.amdhsa_user_sgpr_kernarg_preload_offset 0
		.amdhsa_user_sgpr_private_segment_size 0
		.amdhsa_uses_dynamic_stack 0
		.amdhsa_enable_private_segment 0
		.amdhsa_system_sgpr_workgroup_id_x 1
		.amdhsa_system_sgpr_workgroup_id_y 0
		.amdhsa_system_sgpr_workgroup_id_z 1
		.amdhsa_system_sgpr_workgroup_info 0
		.amdhsa_system_vgpr_workitem_id 1
		.amdhsa_next_free_vgpr 256
		.amdhsa_next_free_sgpr 24
		.amdhsa_accum_offset 256
		.amdhsa_reserve_vcc 1
		.amdhsa_float_round_mode_32 0
		.amdhsa_float_round_mode_16_64 0
		.amdhsa_float_denorm_mode_32 3
		.amdhsa_float_denorm_mode_16_64 3
		.amdhsa_dx10_clamp 1
		.amdhsa_ieee_mode 1
		.amdhsa_fp16_overflow 0
		.amdhsa_tg_split 0
		.amdhsa_exception_fp_ieee_invalid_op 0
		.amdhsa_exception_fp_denorm_src 0
		.amdhsa_exception_fp_ieee_div_zero 0
		.amdhsa_exception_fp_ieee_overflow 0
		.amdhsa_exception_fp_ieee_underflow 0
		.amdhsa_exception_fp_ieee_inexact 0
		.amdhsa_exception_int_div_zero 0
	.end_amdhsa_kernel
	.section	.text._ZN12_GLOBAL__N_120geam_min_plus_kernelIdddLi4ELi64ELi128ELi128ELi4ELi64ELi4ELi4ELi64ELc78ELc78ELb1ELb0ELb0EdKddEEviiiT16_PT17_ilS4_ilS2_S4_ilPT18_ili26rocblas_geam_ex_operation_,"axG",@progbits,_ZN12_GLOBAL__N_120geam_min_plus_kernelIdddLi4ELi64ELi128ELi128ELi4ELi64ELi4ELi4ELi64ELc78ELc78ELb1ELb0ELb0EdKddEEviiiT16_PT17_ilS4_ilS2_S4_ilPT18_ili26rocblas_geam_ex_operation_,comdat
.Lfunc_end181:
	.size	_ZN12_GLOBAL__N_120geam_min_plus_kernelIdddLi4ELi64ELi128ELi128ELi4ELi64ELi4ELi4ELi64ELc78ELc78ELb1ELb0ELb0EdKddEEviiiT16_PT17_ilS4_ilS2_S4_ilPT18_ili26rocblas_geam_ex_operation_, .Lfunc_end181-_ZN12_GLOBAL__N_120geam_min_plus_kernelIdddLi4ELi64ELi128ELi128ELi4ELi64ELi4ELi4ELi64ELc78ELc78ELb1ELb0ELb0EdKddEEviiiT16_PT17_ilS4_ilS2_S4_ilPT18_ili26rocblas_geam_ex_operation_
                                        ; -- End function
	.set _ZN12_GLOBAL__N_120geam_min_plus_kernelIdddLi4ELi64ELi128ELi128ELi4ELi64ELi4ELi4ELi64ELc78ELc78ELb1ELb0ELb0EdKddEEviiiT16_PT17_ilS4_ilS2_S4_ilPT18_ili26rocblas_geam_ex_operation_.num_vgpr, 256
	.set _ZN12_GLOBAL__N_120geam_min_plus_kernelIdddLi4ELi64ELi128ELi128ELi4ELi64ELi4ELi4ELi64ELc78ELc78ELb1ELb0ELb0EdKddEEviiiT16_PT17_ilS4_ilS2_S4_ilPT18_ili26rocblas_geam_ex_operation_.num_agpr, 0
	.set _ZN12_GLOBAL__N_120geam_min_plus_kernelIdddLi4ELi64ELi128ELi128ELi4ELi64ELi4ELi4ELi64ELc78ELc78ELb1ELb0ELb0EdKddEEviiiT16_PT17_ilS4_ilS2_S4_ilPT18_ili26rocblas_geam_ex_operation_.numbered_sgpr, 24
	.set _ZN12_GLOBAL__N_120geam_min_plus_kernelIdddLi4ELi64ELi128ELi128ELi4ELi64ELi4ELi4ELi64ELc78ELc78ELb1ELb0ELb0EdKddEEviiiT16_PT17_ilS4_ilS2_S4_ilPT18_ili26rocblas_geam_ex_operation_.num_named_barrier, 0
	.set _ZN12_GLOBAL__N_120geam_min_plus_kernelIdddLi4ELi64ELi128ELi128ELi4ELi64ELi4ELi4ELi64ELc78ELc78ELb1ELb0ELb0EdKddEEviiiT16_PT17_ilS4_ilS2_S4_ilPT18_ili26rocblas_geam_ex_operation_.private_seg_size, 0
	.set _ZN12_GLOBAL__N_120geam_min_plus_kernelIdddLi4ELi64ELi128ELi128ELi4ELi64ELi4ELi4ELi64ELc78ELc78ELb1ELb0ELb0EdKddEEviiiT16_PT17_ilS4_ilS2_S4_ilPT18_ili26rocblas_geam_ex_operation_.uses_vcc, 1
	.set _ZN12_GLOBAL__N_120geam_min_plus_kernelIdddLi4ELi64ELi128ELi128ELi4ELi64ELi4ELi4ELi64ELc78ELc78ELb1ELb0ELb0EdKddEEviiiT16_PT17_ilS4_ilS2_S4_ilPT18_ili26rocblas_geam_ex_operation_.uses_flat_scratch, 0
	.set _ZN12_GLOBAL__N_120geam_min_plus_kernelIdddLi4ELi64ELi128ELi128ELi4ELi64ELi4ELi4ELi64ELc78ELc78ELb1ELb0ELb0EdKddEEviiiT16_PT17_ilS4_ilS2_S4_ilPT18_ili26rocblas_geam_ex_operation_.has_dyn_sized_stack, 0
	.set _ZN12_GLOBAL__N_120geam_min_plus_kernelIdddLi4ELi64ELi128ELi128ELi4ELi64ELi4ELi4ELi64ELc78ELc78ELb1ELb0ELb0EdKddEEviiiT16_PT17_ilS4_ilS2_S4_ilPT18_ili26rocblas_geam_ex_operation_.has_recursion, 0
	.set _ZN12_GLOBAL__N_120geam_min_plus_kernelIdddLi4ELi64ELi128ELi128ELi4ELi64ELi4ELi4ELi64ELc78ELc78ELb1ELb0ELb0EdKddEEviiiT16_PT17_ilS4_ilS2_S4_ilPT18_ili26rocblas_geam_ex_operation_.has_indirect_call, 0
	.section	.AMDGPU.csdata,"",@progbits
; Kernel info:
; codeLenInByte = 12520
; TotalNumSgprs: 30
; NumVgprs: 256
; NumAgprs: 0
; TotalNumVgprs: 256
; ScratchSize: 0
; MemoryBound: 0
; FloatMode: 240
; IeeeMode: 1
; LDSByteSize: 16384 bytes/workgroup (compile time only)
; SGPRBlocks: 3
; VGPRBlocks: 31
; NumSGPRsForWavesPerEU: 30
; NumVGPRsForWavesPerEU: 256
; AccumOffset: 256
; Occupancy: 2
; WaveLimiterHint : 1
; COMPUTE_PGM_RSRC2:SCRATCH_EN: 0
; COMPUTE_PGM_RSRC2:USER_SGPR: 2
; COMPUTE_PGM_RSRC2:TRAP_HANDLER: 0
; COMPUTE_PGM_RSRC2:TGID_X_EN: 1
; COMPUTE_PGM_RSRC2:TGID_Y_EN: 0
; COMPUTE_PGM_RSRC2:TGID_Z_EN: 1
; COMPUTE_PGM_RSRC2:TIDIG_COMP_CNT: 1
; COMPUTE_PGM_RSRC3_GFX90A:ACCUM_OFFSET: 63
; COMPUTE_PGM_RSRC3_GFX90A:TG_SPLIT: 0
	.section	.text._ZN12_GLOBAL__N_120geam_min_plus_kernelIdddLi4ELi64ELi128ELi128ELi4ELi64ELi4ELi4ELi64ELc78ELc78ELb0ELb0ELb0EdKddEEviiiT16_PT17_ilS4_ilS2_S4_ilPT18_ili26rocblas_geam_ex_operation_,"axG",@progbits,_ZN12_GLOBAL__N_120geam_min_plus_kernelIdddLi4ELi64ELi128ELi128ELi4ELi64ELi4ELi4ELi64ELc78ELc78ELb0ELb0ELb0EdKddEEviiiT16_PT17_ilS4_ilS2_S4_ilPT18_ili26rocblas_geam_ex_operation_,comdat
	.globl	_ZN12_GLOBAL__N_120geam_min_plus_kernelIdddLi4ELi64ELi128ELi128ELi4ELi64ELi4ELi4ELi64ELc78ELc78ELb0ELb0ELb0EdKddEEviiiT16_PT17_ilS4_ilS2_S4_ilPT18_ili26rocblas_geam_ex_operation_ ; -- Begin function _ZN12_GLOBAL__N_120geam_min_plus_kernelIdddLi4ELi64ELi128ELi128ELi4ELi64ELi4ELi4ELi64ELc78ELc78ELb0ELb0ELb0EdKddEEviiiT16_PT17_ilS4_ilS2_S4_ilPT18_ili26rocblas_geam_ex_operation_
	.p2align	8
	.type	_ZN12_GLOBAL__N_120geam_min_plus_kernelIdddLi4ELi64ELi128ELi128ELi4ELi64ELi4ELi4ELi64ELc78ELc78ELb0ELb0ELb0EdKddEEviiiT16_PT17_ilS4_ilS2_S4_ilPT18_ili26rocblas_geam_ex_operation_,@function
_ZN12_GLOBAL__N_120geam_min_plus_kernelIdddLi4ELi64ELi128ELi128ELi4ELi64ELi4ELi4ELi64ELc78ELc78ELb0ELb0ELb0EdKddEEviiiT16_PT17_ilS4_ilS2_S4_ilPT18_ili26rocblas_geam_ex_operation_: ; @_ZN12_GLOBAL__N_120geam_min_plus_kernelIdddLi4ELi64ELi128ELi128ELi4ELi64ELi4ELi4ELi64ELc78ELc78ELb0ELb0ELb0EdKddEEviiiT16_PT17_ilS4_ilS2_S4_ilPT18_ili26rocblas_geam_ex_operation_
; %bb.0:
	s_load_dwordx4 s[16:19], s[0:1], 0x10
	s_load_dwordx4 s[12:15], s[0:1], 0x28
	s_mov_b64 s[22:23], 0
	s_waitcnt lgkmcnt(0)
	v_cmp_eq_f64_e64 s[20:21], s[16:17], 0
	s_and_b64 s[4:5], exec, s[20:21]
	s_mov_b64 vcc, s[4:5]
	s_cbranch_vccnz .LBB182_2
; %bb.1:
	s_mul_i32 s6, s13, s3
	s_mul_hi_u32 s7, s12, s3
	s_add_i32 s7, s7, s6
	s_mul_i32 s6, s12, s3
	s_lshl_b64 s[6:7], s[6:7], 3
	s_add_u32 s22, s18, s6
	s_addc_u32 s23, s19, s7
.LBB182_2:
	s_load_dwordx4 s[8:11], s[0:1], 0x40
	s_load_dwordx2 s[6:7], s[0:1], 0x50
	s_andn2_b64 vcc, exec, s[20:21]
	s_mov_b64 s[12:13], -1
	s_cbranch_vccnz .LBB182_4
; %bb.3:
	s_mov_b64 s[12:13], 0
.LBB182_4:
	s_mov_b64 s[18:19], 0
	s_andn2_b64 vcc, exec, s[12:13]
	s_mov_b64 s[20:21], 0
	s_cbranch_vccnz .LBB182_6
; %bb.5:
	s_waitcnt lgkmcnt(0)
	s_mul_i32 s9, s9, s3
	s_mul_hi_u32 s12, s8, s3
	s_add_i32 s9, s12, s9
	s_mul_i32 s8, s8, s3
	s_lshl_b64 s[8:9], s[8:9], 3
	s_add_u32 s20, s14, s8
	s_addc_u32 s21, s15, s9
.LBB182_6:
	s_load_dwordx4 s[12:15], s[0:1], 0x60
	s_waitcnt lgkmcnt(0)
	v_cmp_eq_f64_e64 s[8:9], s[10:11], 0
	s_and_b64 s[8:9], exec, s[8:9]
	v_cmp_neq_f64_e64 s[24:25], s[16:17], 0
	s_mov_b64 vcc, s[8:9]
	s_cbranch_vccnz .LBB182_8
; %bb.7:
	s_mul_i32 s13, s13, s3
	s_mul_hi_u32 s18, s12, s3
	s_add_i32 s13, s18, s13
	s_mul_i32 s12, s12, s3
	s_lshl_b64 s[12:13], s[12:13], 3
	s_add_u32 s18, s6, s12
	s_addc_u32 s19, s7, s13
.LBB182_8:
	s_load_dword s6, s[0:1], 0x0
	s_load_dword s13, s[0:1], 0x20
	v_and_b32_e32 v144, 0x3ff, v0
	v_bfe_u32 v145, v0, 10, 10
	v_lshl_add_u32 v2, v145, 2, v144
	s_waitcnt lgkmcnt(0)
	s_add_i32 s6, s6, -1
	s_ashr_i32 s7, s6, 31
	s_lshr_b32 s7, s7, 25
	s_add_i32 s6, s6, s7
	s_ashr_i32 s6, s6, 7
	s_add_i32 s7, s6, 1
	v_cvt_f32_u32_e32 v1, s7
	s_not_b32 s6, s6
	s_ashr_i32 s26, s13, 31
	v_and_b32_e32 v138, 63, v2
	v_rcp_iflag_f32_e32 v0, v1
	v_cndmask_b32_e64 v1, 0, 1, s[24:25]
	v_mov_b64_e32 v[6:7], 0
	v_lshrrev_b32_e32 v146, 6, v2
	v_mul_f32_e32 v0, 0x4f7ffffe, v0
	v_cvt_u32_f32_e32 v0, v0
	v_mov_b64_e32 v[8:9], 0
	v_mov_b64_e32 v[10:11], 0
	v_readfirstlane_b32 s12, v0
	s_mul_i32 s6, s6, s12
	s_mul_hi_u32 s6, s12, s6
	s_add_i32 s12, s12, s6
	s_mul_hi_u32 s6, s2, s12
	s_mul_i32 s12, s6, s7
	s_sub_i32 s12, s2, s12
	s_add_i32 s27, s6, 1
	s_sub_i32 s28, s12, s7
	s_cmp_ge_u32 s12, s7
	s_cselect_b32 s6, s27, s6
	s_cselect_b32 s12, s28, s12
	s_add_i32 s27, s6, 1
	s_cmp_ge_u32 s12, s7
	s_cselect_b32 s12, s27, s6
	s_mul_i32 s6, s12, s7
	s_sub_i32 s2, s2, s6
	s_lshl_b32 s2, s2, 7
	v_or_b32_e32 v0, s2, v138
	v_cmp_ne_u32_e64 s[6:7], 1, v1
	s_andn2_b64 vcc, exec, s[24:25]
	v_ashrrev_i32_e32 v1, 31, v0
	s_cbranch_vccnz .LBB182_10
; %bb.9:
	v_mad_i64_i32 v[4:5], s[24:25], s13, v146, 0
	v_lshl_add_u64 v[4:5], v[4:5], 3, s[22:23]
	v_lshl_add_u64 v[4:5], v[0:1], 3, v[4:5]
	global_load_dwordx2 v[8:9], v[4:5], off
	global_load_dwordx2 v[12:13], v[4:5], off offset:512
	s_waitcnt vmcnt(1)
	v_mul_f64 v[10:11], s[16:17], v[8:9]
	s_waitcnt vmcnt(0)
	v_mul_f64 v[8:9], s[16:17], v[12:13]
.LBB182_10:
	s_load_dword s25, s[0:1], 0x38
	v_lshrrev_b32_e32 v16, 2, v2
	s_lshl_b32 s12, s12, 7
	v_and_b32_e32 v147, 3, v144
	v_add_u32_e32 v140, s12, v16
	s_and_b64 vcc, exec, s[6:7]
	v_lshlrev_b32_e32 v12, 3, v147
	v_add_u32_e32 v139, 64, v140
	v_mov_b64_e32 v[14:15], 0
	s_cbranch_vccnz .LBB182_12
; %bb.11:
	v_mov_b32_e32 v13, 0
	v_lshl_add_u64 v[2:3], s[20:21], 0, v[12:13]
	s_waitcnt lgkmcnt(0)
	v_mad_i64_i32 v[4:5], s[28:29], v140, s25, 0
	v_lshl_add_u64 v[4:5], v[4:5], 3, v[2:3]
	v_mad_i64_i32 v[6:7], s[28:29], v139, s25, 0
	v_lshl_add_u64 v[2:3], v[6:7], 3, v[2:3]
	global_load_dwordx2 v[6:7], v[4:5], off
	global_load_dwordx2 v[18:19], v[2:3], off
	s_waitcnt vmcnt(1)
	v_mul_f64 v[14:15], s[16:17], v[6:7]
	s_waitcnt vmcnt(0)
	v_mul_f64 v[6:7], s[16:17], v[18:19]
.LBB182_12:
	v_mov_b64_e32 v[134:135], 0
	s_and_b64 vcc, exec, s[6:7]
	v_add_u32_e32 v149, 4, v146
	v_mov_b64_e32 v[2:3], 0
	v_mov_b64_e32 v[4:5], 0
	s_cbranch_vccnz .LBB182_14
; %bb.13:
	v_mad_i64_i32 v[2:3], s[28:29], s13, v149, 0
	v_lshl_add_u64 v[2:3], v[2:3], 3, s[22:23]
	v_lshl_add_u64 v[2:3], v[0:1], 3, v[2:3]
	global_load_dwordx2 v[4:5], v[2:3], off
	global_load_dwordx2 v[18:19], v[2:3], off offset:512
	s_waitcnt vmcnt(1)
	v_mul_f64 v[4:5], s[16:17], v[4:5]
	s_waitcnt vmcnt(0)
	v_mul_f64 v[2:3], s[16:17], v[18:19]
.LBB182_14:
	s_and_b64 vcc, exec, s[6:7]
	v_mov_b64_e32 v[136:137], 0
	s_cbranch_vccnz .LBB182_16
; %bb.15:
	v_mov_b32_e32 v13, 0
	v_lshl_add_u64 v[18:19], s[20:21], 0, v[12:13]
	s_waitcnt lgkmcnt(0)
	v_mad_i64_i32 v[20:21], s[6:7], v140, s25, 0
	v_lshl_add_u64 v[20:21], v[20:21], 3, v[18:19]
	v_mad_i64_i32 v[22:23], s[6:7], v139, s25, 0
	v_lshl_add_u64 v[18:19], v[22:23], 3, v[18:19]
	global_load_dwordx2 v[22:23], v[20:21], off offset:32
	global_load_dwordx2 v[24:25], v[18:19], off offset:32
	s_waitcnt vmcnt(1)
	v_mul_f64 v[136:137], s[16:17], v[22:23]
	s_waitcnt vmcnt(0)
	v_mul_f64 v[134:135], s[16:17], v[24:25]
.LBB182_16:
	v_lshlrev_b32_e32 v13, 5, v138
	v_lshl_add_u32 v150, v146, 3, v13
	v_lshl_or_b32 v142, v16, 5, v12
	v_lshlrev_b32_e32 v141, 5, v145
	ds_write2st64_b64 v150, v[10:11], v[8:9] offset1:4
	v_add_u32_e32 v151, 0x2000, v142
	ds_write2st64_b64 v142, v[14:15], v[6:7] offset0:16 offset1:20
	v_lshlrev_b32_e32 v152, 5, v144
	v_add_u32_e32 v153, 0x2000, v141
	v_mov_b64_e32 v[132:133], 0
	s_mov_b32 s6, 0
	v_mov_b64_e32 v[130:131], 0
	v_mov_b64_e32 v[128:129], 0
	;; [unrolled: 1-line block ×63, first 2 shown]
	s_waitcnt lgkmcnt(0)
	s_barrier
.LBB182_17:                             ; =>This Inner Loop Header: Depth=1
	v_add_u32_e32 v143, s6, v152
	v_add_u32_e32 v148, s6, v153
	ds_read2_b64 v[154:157], v143 offset1:16
	ds_read2_b64 v[158:161], v143 offset0:32 offset1:48
	ds_read2_b64 v[162:165], v143 offset0:64 offset1:80
	;; [unrolled: 1-line block ×7, first 2 shown]
	ds_read2st64_b64 v[186:189], v148 offset1:4
	v_add_u32_e32 v143, 0x800, v143
	ds_read2_b64 v[190:193], v143 offset1:16
	ds_read2_b64 v[194:197], v143 offset0:32 offset1:48
	ds_read2_b64 v[198:201], v143 offset0:64 offset1:80
	;; [unrolled: 1-line block ×7, first 2 shown]
	s_waitcnt lgkmcnt(14)
	v_max_f64 v[154:155], v[154:155], v[154:155]
	v_max_f64 v[156:157], v[156:157], v[156:157]
	;; [unrolled: 1-line block ×6, first 2 shown]
	s_waitcnt lgkmcnt(13)
	v_max_f64 v[166:167], v[166:167], v[166:167]
	v_max_f64 v[168:169], v[168:169], v[168:169]
	s_waitcnt lgkmcnt(12)
	v_max_f64 v[170:171], v[170:171], v[170:171]
	v_max_f64 v[172:173], v[172:173], v[172:173]
	;; [unrolled: 3-line block ×14, first 2 shown]
	v_min_f64 v[222:223], v[154:155], v[186:187]
	v_min_f64 v[224:225], v[156:157], v[186:187]
	;; [unrolled: 1-line block ×32, first 2 shown]
	s_add_i32 s6, s6, 8
	v_add_f64 v[68:69], v[68:69], v[154:155]
	v_add_f64 v[66:67], v[66:67], v[156:157]
	;; [unrolled: 1-line block ×16, first 2 shown]
	v_min_f64 v[154:155], v[190:191], v[186:187]
	v_min_f64 v[156:157], v[192:193], v[186:187]
	;; [unrolled: 1-line block ×32, first 2 shown]
	s_cmp_eq_u32 s6, 32
	v_add_f64 v[132:133], v[132:133], v[222:223]
	v_add_f64 v[130:131], v[130:131], v[224:225]
	;; [unrolled: 1-line block ×48, first 2 shown]
	s_cbranch_scc0 .LBB182_17
; %bb.18:
	s_load_dword s24, s[0:1], 0x8
	v_lshlrev_b32_e32 v143, 3, v146
	v_lshl_add_u32 v138, v138, 5, v143
	ds_write2st64_b64 v138, v[4:5], v[2:3] offset0:8 offset1:12
	ds_write2st64_b64 v142, v[136:137], v[134:135] offset0:24 offset1:28
	s_waitcnt lgkmcnt(0)
	s_cmp_gt_i32 s24, 8
	s_barrier
	s_cbranch_scc1 .LBB182_20
; %bb.19:
	v_add_u32_e32 v148, 0x3000, v141
	s_cbranch_execz .LBB182_21
	s_branch .LBB182_43
.LBB182_20:
                                        ; implicit-def: $vgpr148
.LBB182_21:
	v_or_b32_e32 v154, 0x1000, v138
	v_mad_i64_i32 v[136:137], s[6:7], v139, s25, 0
	v_lshl_add_u64 v[138:139], v[0:1], 3, s[22:23]
	v_mov_b32_e32 v0, 0x1000
	v_add_u32_e32 v155, 0x3000, v142
	s_add_i32 s24, s24, -8
	v_mad_i64_i32 v[134:135], s[6:7], v140, s25, 0
	v_lshl_add_u32 v156, v144, 5, v0
	v_add_u32_e32 v148, 0x3000, v141
	s_mov_b32 s22, 8
	s_mov_b32 s23, 0
	v_mov_b32_e32 v141, 0
	s_mov_b32 s25, 0
.LBB182_22:                             ; =>This Loop Header: Depth=1
                                        ;     Child Loop BB182_28 Depth 2
                                        ;     Child Loop BB182_35 Depth 2
	s_mov_b64 s[6:7], -1
	s_mov_b64 vcc, s[4:5]
                                        ; implicit-def: $vgpr0_vgpr1_vgpr2_vgpr3
	s_cbranch_vccnz .LBB182_37
; %bb.23:                               ;   in Loop: Header=BB182_22 Depth=1
	s_andn2_b64 vcc, exec, s[6:7]
	v_mov_b64_e32 v[142:143], 0
	s_cbranch_vccz .LBB182_38
.LBB182_24:                             ;   in Loop: Header=BB182_22 Depth=1
	s_mov_b64 s[6:7], -1
	s_mov_b64 vcc, s[4:5]
                                        ; implicit-def: $vgpr2_vgpr3_vgpr4_vgpr5
	s_cbranch_vccnz .LBB182_39
.LBB182_25:                             ;   in Loop: Header=BB182_22 Depth=1
	s_andn2_b64 vcc, exec, s[6:7]
	v_mov_b64_e32 v[4:5], 0
	s_cbranch_vccnz .LBB182_27
.LBB182_26:                             ;   in Loop: Header=BB182_22 Depth=1
	v_or_b32_e32 v140, s22, v147
	v_lshl_add_u64 v[2:3], v[140:141], 3, s[20:21]
	v_lshl_add_u64 v[4:5], v[134:135], 3, v[2:3]
	v_lshl_add_u64 v[2:3], v[136:137], 3, v[2:3]
	global_load_dwordx2 v[4:5], v[4:5], off
	s_nop 0
	global_load_dwordx2 v[158:159], v[2:3], off
	s_waitcnt vmcnt(1)
	v_mul_f64 v[2:3], s[16:17], v[4:5]
	s_waitcnt vmcnt(0)
	v_mul_f64 v[4:5], s[16:17], v[158:159]
.LBB182_27:                             ;   in Loop: Header=BB182_22 Depth=1
	s_mov_b32 s6, 0
.LBB182_28:                             ;   Parent Loop BB182_22 Depth=1
                                        ; =>  This Inner Loop Header: Depth=2
	v_add_u32_e32 v140, s6, v156
	ds_read2_b64 v[158:161], v140 offset1:16
	ds_read2_b64 v[162:165], v140 offset0:32 offset1:48
	ds_read2_b64 v[166:169], v140 offset0:64 offset1:80
	;; [unrolled: 1-line block ×7, first 2 shown]
	v_add_u32_e32 v140, 0x800, v140
	ds_read2_b64 v[190:193], v140 offset1:16
	ds_read2_b64 v[194:197], v140 offset0:32 offset1:48
	ds_read2_b64 v[198:201], v140 offset0:64 offset1:80
	;; [unrolled: 1-line block ×7, first 2 shown]
	v_add_u32_e32 v140, s6, v148
	ds_read2st64_b64 v[222:225], v140 offset1:4
	s_waitcnt lgkmcnt(14)
	v_max_f64 v[158:159], v[158:159], v[158:159]
	v_max_f64 v[160:161], v[160:161], v[160:161]
	;; [unrolled: 1-line block ×4, first 2 shown]
	s_waitcnt lgkmcnt(0)
	v_max_f64 v[222:223], v[222:223], v[222:223]
	v_min_f64 v[226:227], v[158:159], v[222:223]
	v_add_f64 v[132:133], v[132:133], v[226:227]
	v_min_f64 v[226:227], v[160:161], v[222:223]
	v_add_f64 v[130:131], v[130:131], v[226:227]
	;; [unrolled: 2-line block ×3, first 2 shown]
	v_min_f64 v[226:227], v[164:165], v[222:223]
	v_max_f64 v[166:167], v[166:167], v[166:167]
	v_add_f64 v[126:127], v[126:127], v[226:227]
	v_min_f64 v[226:227], v[166:167], v[222:223]
	v_max_f64 v[168:169], v[168:169], v[168:169]
	v_add_f64 v[124:125], v[124:125], v[226:227]
	;; [unrolled: 3-line block ×26, first 2 shown]
	v_min_f64 v[226:227], v[216:217], v[222:223]
	v_max_f64 v[218:219], v[218:219], v[218:219]
	v_max_f64 v[220:221], v[220:221], v[220:221]
	v_add_f64 v[74:75], v[74:75], v[226:227]
	v_min_f64 v[226:227], v[218:219], v[222:223]
	v_min_f64 v[222:223], v[220:221], v[222:223]
	v_add_f64 v[70:71], v[70:71], v[222:223]
	v_max_f64 v[222:223], v[224:225], v[224:225]
	v_min_f64 v[158:159], v[158:159], v[222:223]
	v_add_f64 v[68:69], v[68:69], v[158:159]
	v_min_f64 v[158:159], v[160:161], v[222:223]
	v_add_f64 v[66:67], v[66:67], v[158:159]
	v_min_f64 v[158:159], v[162:163], v[222:223]
	v_add_f64 v[64:65], v[64:65], v[158:159]
	v_min_f64 v[158:159], v[164:165], v[222:223]
	v_add_f64 v[62:63], v[62:63], v[158:159]
	v_min_f64 v[158:159], v[166:167], v[222:223]
	v_add_f64 v[60:61], v[60:61], v[158:159]
	v_min_f64 v[158:159], v[168:169], v[222:223]
	v_add_f64 v[58:59], v[58:59], v[158:159]
	v_min_f64 v[158:159], v[170:171], v[222:223]
	v_add_f64 v[56:57], v[56:57], v[158:159]
	v_min_f64 v[158:159], v[172:173], v[222:223]
	v_add_f64 v[54:55], v[54:55], v[158:159]
	v_min_f64 v[158:159], v[174:175], v[222:223]
	v_add_f64 v[52:53], v[52:53], v[158:159]
	v_min_f64 v[158:159], v[176:177], v[222:223]
	v_add_f64 v[50:51], v[50:51], v[158:159]
	v_min_f64 v[158:159], v[178:179], v[222:223]
	v_add_f64 v[48:49], v[48:49], v[158:159]
	v_min_f64 v[158:159], v[180:181], v[222:223]
	v_add_f64 v[46:47], v[46:47], v[158:159]
	v_min_f64 v[158:159], v[182:183], v[222:223]
	v_add_f64 v[44:45], v[44:45], v[158:159]
	v_min_f64 v[158:159], v[184:185], v[222:223]
	v_add_f64 v[42:43], v[42:43], v[158:159]
	v_min_f64 v[158:159], v[186:187], v[222:223]
	v_add_f64 v[40:41], v[40:41], v[158:159]
	v_min_f64 v[158:159], v[188:189], v[222:223]
	v_add_f64 v[38:39], v[38:39], v[158:159]
	v_min_f64 v[158:159], v[190:191], v[222:223]
	v_add_f64 v[36:37], v[36:37], v[158:159]
	v_min_f64 v[158:159], v[192:193], v[222:223]
	v_add_f64 v[34:35], v[34:35], v[158:159]
	v_min_f64 v[158:159], v[194:195], v[222:223]
	v_add_f64 v[32:33], v[32:33], v[158:159]
	v_min_f64 v[158:159], v[196:197], v[222:223]
	v_add_f64 v[30:31], v[30:31], v[158:159]
	v_min_f64 v[158:159], v[198:199], v[222:223]
	v_add_f64 v[28:29], v[28:29], v[158:159]
	v_min_f64 v[158:159], v[200:201], v[222:223]
	v_add_f64 v[26:27], v[26:27], v[158:159]
	v_min_f64 v[158:159], v[202:203], v[222:223]
	v_add_f64 v[24:25], v[24:25], v[158:159]
	v_min_f64 v[158:159], v[204:205], v[222:223]
	v_add_f64 v[22:23], v[22:23], v[158:159]
	v_min_f64 v[158:159], v[206:207], v[222:223]
	v_add_f64 v[20:21], v[20:21], v[158:159]
	v_min_f64 v[158:159], v[208:209], v[222:223]
	v_add_f64 v[18:19], v[18:19], v[158:159]
	v_min_f64 v[158:159], v[210:211], v[222:223]
	v_add_f64 v[16:17], v[16:17], v[158:159]
	v_min_f64 v[158:159], v[212:213], v[222:223]
	v_add_f64 v[14:15], v[14:15], v[158:159]
	v_min_f64 v[158:159], v[214:215], v[222:223]
	v_add_f64 v[12:13], v[12:13], v[158:159]
	v_min_f64 v[158:159], v[216:217], v[222:223]
	v_add_f64 v[10:11], v[10:11], v[158:159]
	v_min_f64 v[158:159], v[218:219], v[222:223]
	v_add_f64 v[8:9], v[8:9], v[158:159]
	v_min_f64 v[158:159], v[220:221], v[222:223]
	s_add_i32 s6, s6, 8
	v_add_f64 v[72:73], v[72:73], v[226:227]
	v_add_f64 v[6:7], v[6:7], v[158:159]
	s_cmp_eq_u32 s6, 32
	s_cbranch_scc0 .LBB182_28
; %bb.29:                               ;   in Loop: Header=BB182_22 Depth=1
	s_mov_b64 s[6:7], -1
	s_mov_b64 vcc, s[4:5]
	ds_write2st64_b64 v150, v[0:1], v[142:143] offset1:4
	ds_write2st64_b64 v151, v[2:3], v[4:5] offset1:4
	s_waitcnt lgkmcnt(0)
	s_barrier
                                        ; implicit-def: $vgpr0_vgpr1_vgpr2_vgpr3
	s_cbranch_vccnz .LBB182_40
; %bb.30:                               ;   in Loop: Header=BB182_22 Depth=1
	s_andn2_b64 vcc, exec, s[6:7]
	v_mov_b64_e32 v[142:143], 0
	s_cbranch_vccz .LBB182_41
.LBB182_31:                             ;   in Loop: Header=BB182_22 Depth=1
	s_mov_b64 s[6:7], -1
	s_mov_b64 vcc, s[4:5]
                                        ; implicit-def: $vgpr2_vgpr3_vgpr4_vgpr5
	s_cbranch_vccnz .LBB182_42
.LBB182_32:                             ;   in Loop: Header=BB182_22 Depth=1
	s_andn2_b64 vcc, exec, s[6:7]
	v_mov_b64_e32 v[4:5], 0
	s_cbranch_vccnz .LBB182_34
.LBB182_33:                             ;   in Loop: Header=BB182_22 Depth=1
	v_or_b32_e32 v140, s22, v147
	v_lshl_add_u64 v[2:3], v[140:141], 3, s[20:21]
	v_lshl_add_u64 v[4:5], v[134:135], 3, v[2:3]
	;; [unrolled: 1-line block ×3, first 2 shown]
	global_load_dwordx2 v[4:5], v[4:5], off offset:32
	s_nop 0
	global_load_dwordx2 v[158:159], v[2:3], off offset:32
	s_waitcnt vmcnt(1)
	v_mul_f64 v[2:3], s[16:17], v[4:5]
	s_waitcnt vmcnt(0)
	v_mul_f64 v[4:5], s[16:17], v[158:159]
.LBB182_34:                             ;   in Loop: Header=BB182_22 Depth=1
	s_mov_b32 s6, 0
.LBB182_35:                             ;   Parent Loop BB182_22 Depth=1
                                        ; =>  This Inner Loop Header: Depth=2
	v_add_u32_e32 v140, s6, v152
	ds_read2_b64 v[158:161], v140 offset1:16
	ds_read2_b64 v[162:165], v140 offset0:32 offset1:48
	ds_read2_b64 v[166:169], v140 offset0:64 offset1:80
	;; [unrolled: 1-line block ×7, first 2 shown]
	v_add_u32_e32 v140, 0x800, v140
	ds_read2_b64 v[190:193], v140 offset1:16
	ds_read2_b64 v[194:197], v140 offset0:32 offset1:48
	ds_read2_b64 v[198:201], v140 offset0:64 offset1:80
	ds_read2_b64 v[202:205], v140 offset0:96 offset1:112
	ds_read2_b64 v[206:209], v140 offset0:128 offset1:144
	ds_read2_b64 v[210:213], v140 offset0:160 offset1:176
	ds_read2_b64 v[214:217], v140 offset0:192 offset1:208
	ds_read2_b64 v[218:221], v140 offset0:224 offset1:240
	v_add_u32_e32 v140, s6, v153
	ds_read2st64_b64 v[222:225], v140 offset1:4
	s_waitcnt lgkmcnt(14)
	v_max_f64 v[158:159], v[158:159], v[158:159]
	v_max_f64 v[160:161], v[160:161], v[160:161]
	v_max_f64 v[162:163], v[162:163], v[162:163]
	v_max_f64 v[164:165], v[164:165], v[164:165]
	s_waitcnt lgkmcnt(0)
	v_max_f64 v[222:223], v[222:223], v[222:223]
	v_min_f64 v[226:227], v[158:159], v[222:223]
	v_add_f64 v[132:133], v[132:133], v[226:227]
	v_min_f64 v[226:227], v[160:161], v[222:223]
	v_add_f64 v[130:131], v[130:131], v[226:227]
	;; [unrolled: 2-line block ×3, first 2 shown]
	v_min_f64 v[226:227], v[164:165], v[222:223]
	v_max_f64 v[166:167], v[166:167], v[166:167]
	v_add_f64 v[126:127], v[126:127], v[226:227]
	v_min_f64 v[226:227], v[166:167], v[222:223]
	v_max_f64 v[168:169], v[168:169], v[168:169]
	v_add_f64 v[124:125], v[124:125], v[226:227]
	;; [unrolled: 3-line block ×26, first 2 shown]
	v_min_f64 v[226:227], v[216:217], v[222:223]
	v_max_f64 v[218:219], v[218:219], v[218:219]
	v_max_f64 v[220:221], v[220:221], v[220:221]
	v_add_f64 v[74:75], v[74:75], v[226:227]
	v_min_f64 v[226:227], v[218:219], v[222:223]
	v_min_f64 v[222:223], v[220:221], v[222:223]
	v_add_f64 v[70:71], v[70:71], v[222:223]
	v_max_f64 v[222:223], v[224:225], v[224:225]
	v_min_f64 v[158:159], v[158:159], v[222:223]
	v_add_f64 v[68:69], v[68:69], v[158:159]
	v_min_f64 v[158:159], v[160:161], v[222:223]
	v_add_f64 v[66:67], v[66:67], v[158:159]
	;; [unrolled: 2-line block ×31, first 2 shown]
	v_min_f64 v[158:159], v[220:221], v[222:223]
	s_add_i32 s6, s6, 8
	v_add_f64 v[72:73], v[72:73], v[226:227]
	v_add_f64 v[6:7], v[6:7], v[158:159]
	s_cmp_eq_u32 s6, 32
	s_cbranch_scc0 .LBB182_35
; %bb.36:                               ;   in Loop: Header=BB182_22 Depth=1
	s_add_i32 s22, s22, 8
	s_add_i32 s25, s25, 8
	s_cmp_ge_i32 s25, s24
	ds_write2st64_b64 v154, v[0:1], v[142:143] offset1:4
	ds_write2st64_b64 v155, v[2:3], v[4:5] offset1:4
	s_waitcnt lgkmcnt(0)
	s_barrier
	s_cbranch_scc0 .LBB182_22
	s_branch .LBB182_43
.LBB182_37:                             ;   in Loop: Header=BB182_22 Depth=1
	v_mov_b32_e32 v0, s23
	v_mov_b32_e32 v1, s23
	v_mov_b64_e32 v[142:143], 0
	s_cbranch_execnz .LBB182_24
.LBB182_38:                             ;   in Loop: Header=BB182_22 Depth=1
	v_add_u32_e32 v3, s22, v146
	v_mad_u64_u32 v[0:1], s[6:7], v3, s13, 0
	v_mov_b32_e32 v2, v1
	v_mad_u64_u32 v[2:3], s[6:7], v3, s26, v[2:3]
	v_mov_b32_e32 v1, v2
	v_lshl_add_u64 v[0:1], v[0:1], 3, v[138:139]
	global_load_dwordx2 v[2:3], v[0:1], off
	global_load_dwordx2 v[4:5], v[0:1], off offset:512
	s_waitcnt vmcnt(1)
	v_mul_f64 v[0:1], s[16:17], v[2:3]
	s_waitcnt vmcnt(0)
	v_mul_f64 v[142:143], s[16:17], v[4:5]
	s_mov_b64 s[6:7], -1
	s_mov_b64 vcc, s[4:5]
                                        ; implicit-def: $vgpr2_vgpr3_vgpr4_vgpr5
	s_cbranch_vccz .LBB182_25
.LBB182_39:                             ;   in Loop: Header=BB182_22 Depth=1
	v_mov_b32_e32 v2, s23
	v_mov_b32_e32 v3, s23
	v_mov_b64_e32 v[4:5], 0
	s_cbranch_execz .LBB182_26
	s_branch .LBB182_27
.LBB182_40:                             ;   in Loop: Header=BB182_22 Depth=1
	v_mov_b32_e32 v0, s23
	v_mov_b32_e32 v1, s23
	v_mov_b64_e32 v[142:143], 0
	s_cbranch_execnz .LBB182_31
.LBB182_41:                             ;   in Loop: Header=BB182_22 Depth=1
	v_add_u32_e32 v3, s22, v149
	v_mad_u64_u32 v[0:1], s[6:7], v3, s13, 0
	v_mov_b32_e32 v2, v1
	v_mad_u64_u32 v[2:3], s[6:7], v3, s26, v[2:3]
	v_mov_b32_e32 v1, v2
	v_lshl_add_u64 v[0:1], v[0:1], 3, v[138:139]
	global_load_dwordx2 v[2:3], v[0:1], off
	global_load_dwordx2 v[4:5], v[0:1], off offset:512
	s_waitcnt vmcnt(1)
	v_mul_f64 v[0:1], s[16:17], v[2:3]
	s_waitcnt vmcnt(0)
	v_mul_f64 v[142:143], s[16:17], v[4:5]
	s_mov_b64 s[6:7], -1
	s_mov_b64 vcc, s[4:5]
                                        ; implicit-def: $vgpr2_vgpr3_vgpr4_vgpr5
	s_cbranch_vccz .LBB182_32
.LBB182_42:                             ;   in Loop: Header=BB182_22 Depth=1
	v_mov_b32_e32 v2, s23
	v_mov_b32_e32 v3, s23
	v_mov_b64_e32 v[4:5], 0
	s_cbranch_execz .LBB182_33
	s_branch .LBB182_34
.LBB182_43:
	v_mov_b32_e32 v0, 0x1000
	v_lshl_add_u32 v0, v144, 5, v0
	s_mov_b32 s4, 0
.LBB182_44:                             ; =>This Inner Loop Header: Depth=1
	v_add_u32_e32 v1, s4, v0
	v_add_u32_e32 v142, s4, v148
	ds_read2_b64 v[2:5], v1 offset1:16
	ds_read2_b64 v[134:137], v1 offset0:32 offset1:48
	ds_read2_b64 v[138:141], v1 offset0:64 offset1:80
	ds_read2_b64 v[150:153], v1 offset0:96 offset1:112
	ds_read2_b64 v[154:157], v1 offset0:128 offset1:144
	ds_read2_b64 v[158:161], v1 offset0:160 offset1:176
	ds_read2_b64 v[162:165], v1 offset0:192 offset1:208
	ds_read2_b64 v[166:169], v1 offset0:224 offset1:240
	v_add_u32_e32 v1, 0x800, v1
	ds_read2st64_b64 v[170:173], v142 offset1:4
	ds_read2_b64 v[174:177], v1 offset1:16
	ds_read2_b64 v[178:181], v1 offset0:32 offset1:48
	ds_read2_b64 v[182:185], v1 offset0:64 offset1:80
	;; [unrolled: 1-line block ×7, first 2 shown]
	s_waitcnt lgkmcnt(14)
	v_max_f64 v[2:3], v[2:3], v[2:3]
	v_max_f64 v[4:5], v[4:5], v[4:5]
	;; [unrolled: 1-line block ×3, first 2 shown]
	s_waitcnt lgkmcnt(8)
	v_max_f64 v[142:143], v[170:171], v[170:171]
	v_max_f64 v[136:137], v[136:137], v[136:137]
	;; [unrolled: 1-line block ×15, first 2 shown]
	v_min_f64 v[170:171], v[2:3], v[142:143]
	v_min_f64 v[172:173], v[4:5], v[142:143]
	;; [unrolled: 1-line block ×16, first 2 shown]
	s_waitcnt lgkmcnt(7)
	v_max_f64 v[174:175], v[174:175], v[174:175]
	v_max_f64 v[176:177], v[176:177], v[176:177]
	s_waitcnt lgkmcnt(6)
	v_max_f64 v[178:179], v[178:179], v[178:179]
	v_max_f64 v[180:181], v[180:181], v[180:181]
	s_waitcnt lgkmcnt(5)
	v_max_f64 v[182:183], v[182:183], v[182:183]
	v_max_f64 v[184:185], v[184:185], v[184:185]
	s_waitcnt lgkmcnt(4)
	v_max_f64 v[186:187], v[186:187], v[186:187]
	v_max_f64 v[188:189], v[188:189], v[188:189]
	s_waitcnt lgkmcnt(3)
	v_max_f64 v[190:191], v[190:191], v[190:191]
	v_max_f64 v[192:193], v[192:193], v[192:193]
	s_waitcnt lgkmcnt(2)
	v_max_f64 v[194:195], v[194:195], v[194:195]
	v_max_f64 v[196:197], v[196:197], v[196:197]
	s_waitcnt lgkmcnt(1)
	v_max_f64 v[198:199], v[198:199], v[198:199]
	v_max_f64 v[200:201], v[200:201], v[200:201]
	s_waitcnt lgkmcnt(0)
	v_max_f64 v[202:203], v[202:203], v[202:203]
	v_max_f64 v[204:205], v[204:205], v[204:205]
	v_min_f64 v[2:3], v[2:3], v[168:169]
	v_min_f64 v[4:5], v[4:5], v[168:169]
	;; [unrolled: 1-line block ×16, first 2 shown]
	s_add_i32 s4, s4, 8
	v_add_f64 v[132:133], v[132:133], v[170:171]
	v_add_f64 v[130:131], v[130:131], v[172:173]
	;; [unrolled: 1-line block ×15, first 2 shown]
	v_min_f64 v[170:171], v[174:175], v[142:143]
	v_min_f64 v[172:173], v[176:177], v[142:143]
	;; [unrolled: 1-line block ×16, first 2 shown]
	v_add_f64 v[68:69], v[68:69], v[2:3]
	v_add_f64 v[66:67], v[66:67], v[4:5]
	;; [unrolled: 1-line block ×16, first 2 shown]
	v_min_f64 v[2:3], v[174:175], v[168:169]
	v_min_f64 v[4:5], v[176:177], v[168:169]
	;; [unrolled: 1-line block ×16, first 2 shown]
	s_cmp_eq_u32 s4, 32
	v_add_f64 v[102:103], v[102:103], v[232:233]
	v_add_f64 v[100:101], v[100:101], v[170:171]
	;; [unrolled: 1-line block ×33, first 2 shown]
	s_cbranch_scc0 .LBB182_44
; %bb.45:
	s_load_dwordx2 s[6:7], s[0:1], 0x78
	s_load_dword s4, s[0:1], 0x58
	s_load_dword s5, s[0:1], 0x70
	v_add_u32_e32 v170, s12, v145
	v_add_u32_e32 v134, s2, v144
	s_waitcnt lgkmcnt(0)
	s_mul_i32 s1, s7, s3
	s_mul_hi_u32 s7, s6, s3
	s_mul_i32 s0, s6, s3
	s_add_i32 s1, s7, s1
	s_lshl_b64 s[0:1], s[0:1], 3
	s_add_u32 s0, s14, s0
	s_addc_u32 s1, s15, s1
	v_mad_i64_i32 v[2:3], s[2:3], v170, s5, 0
	v_add_u32_e32 v0, 4, v134
	v_lshl_add_u64 v[138:139], v[2:3], 3, s[0:1]
	v_mad_i64_i32 v[2:3], s[2:3], v170, s4, 0
	v_ashrrev_i32_e32 v135, 31, v134
	v_ashrrev_i32_e32 v1, 31, v0
	s_mov_b64 s[2:3], -1
	s_mov_b64 vcc, s[8:9]
	s_cbranch_vccz .LBB182_47
; %bb.46:
	v_add_f64 v[4:5], v[132:133], 0
	v_lshl_add_u64 v[136:137], v[134:135], 3, v[138:139]
	s_mov_b64 s[2:3], 0
	global_store_dwordx2 v[136:137], v[4:5], off
.LBB182_47:
	v_lshl_add_u64 v[146:147], v[2:3], 3, s[18:19]
	v_mov_b64_e32 v[4:5], 0
	s_andn2_b64 vcc, exec, s[2:3]
	v_lshlrev_b64 v[136:137], 3, v[134:135]
	s_cbranch_vccnz .LBB182_49
; %bb.48:
	v_lshl_add_u64 v[2:3], v[146:147], 0, v[136:137]
	global_load_dwordx2 v[2:3], v[2:3], off
	v_lshl_add_u64 v[4:5], v[138:139], 0, v[136:137]
	s_waitcnt vmcnt(0)
	v_fmac_f64_e32 v[132:133], s[10:11], v[2:3]
	global_store_dwordx2 v[4:5], v[132:133], off
	v_lshl_add_u64 v[2:3], v[0:1], 3, v[146:147]
	global_load_dwordx2 v[2:3], v[2:3], off
	s_waitcnt vmcnt(0)
	v_mul_f64 v[4:5], s[10:11], v[2:3]
.LBB182_49:
	v_add_u32_e32 v132, 8, v134
	v_add_u32_e32 v2, 12, v134
	v_ashrrev_i32_e32 v133, 31, v132
	v_ashrrev_i32_e32 v3, 31, v2
	v_add_f64 v[4:5], v[130:131], v[4:5]
	v_lshl_add_u64 v[130:131], v[0:1], 3, v[138:139]
	s_mov_b64 s[2:3], -1
	s_mov_b64 vcc, s[8:9]
	global_store_dwordx2 v[130:131], v[4:5], off
	s_cbranch_vccz .LBB182_51
; %bb.50:
	v_add_f64 v[4:5], v[128:129], 0
	v_lshl_add_u64 v[130:131], v[132:133], 3, v[138:139]
	s_mov_b64 s[2:3], 0
	global_store_dwordx2 v[130:131], v[4:5], off
.LBB182_51:
	v_mov_b64_e32 v[140:141], 0
	s_andn2_b64 vcc, exec, s[2:3]
	v_lshlrev_b64 v[130:131], 3, v[132:133]
	s_cbranch_vccnz .LBB182_53
; %bb.52:
	v_lshl_add_u64 v[4:5], v[146:147], 0, v[130:131]
	global_load_dwordx2 v[4:5], v[4:5], off
	v_lshl_add_u64 v[140:141], v[138:139], 0, v[130:131]
	s_waitcnt vmcnt(0)
	v_fmac_f64_e32 v[128:129], s[10:11], v[4:5]
	global_store_dwordx2 v[140:141], v[128:129], off
	v_lshl_add_u64 v[4:5], v[2:3], 3, v[146:147]
	global_load_dwordx2 v[4:5], v[4:5], off
	s_waitcnt vmcnt(0)
	v_mul_f64 v[140:141], s[10:11], v[4:5]
.LBB182_53:
	v_add_u32_e32 v128, 16, v134
	v_add_u32_e32 v4, 20, v134
	v_ashrrev_i32_e32 v129, 31, v128
	v_ashrrev_i32_e32 v5, 31, v4
	v_add_f64 v[126:127], v[126:127], v[140:141]
	v_lshl_add_u64 v[140:141], v[2:3], 3, v[138:139]
	s_mov_b64 s[2:3], -1
	s_mov_b64 vcc, s[8:9]
	global_store_dwordx2 v[140:141], v[126:127], off
	s_cbranch_vccz .LBB182_55
; %bb.54:
	v_add_f64 v[126:127], v[124:125], 0
	v_lshl_add_u64 v[140:141], v[128:129], 3, v[138:139]
	s_mov_b64 s[2:3], 0
	global_store_dwordx2 v[140:141], v[126:127], off
.LBB182_55:
	;; [unrolled: 32-line block ×15, first 2 shown]
	v_mov_b64_e32 v[168:169], 0
	s_andn2_b64 vcc, exec, s[2:3]
	v_lshlrev_b64 v[74:75], 3, v[78:79]
	s_cbranch_vccnz .LBB182_109
; %bb.108:
	v_lshl_add_u64 v[168:169], v[146:147], 0, v[74:75]
	global_load_dwordx2 v[168:169], v[168:169], off
	v_lshl_add_u64 v[172:173], v[138:139], 0, v[74:75]
	s_waitcnt vmcnt(0)
	v_fmac_f64_e32 v[72:73], s[10:11], v[168:169]
	global_store_dwordx2 v[172:173], v[72:73], off
	v_lshl_add_u64 v[72:73], v[76:77], 3, v[146:147]
	global_load_dwordx2 v[72:73], v[72:73], off
	s_waitcnt vmcnt(0)
	v_mul_f64 v[168:169], s[10:11], v[72:73]
.LBB182_109:
	v_add_f64 v[70:71], v[70:71], v[168:169]
	v_lshl_add_u64 v[72:73], v[76:77], 3, v[138:139]
	global_store_dwordx2 v[72:73], v[70:71], off
	v_add_u32_e32 v72, 64, v170
	v_mad_i64_i32 v[70:71], s[2:3], v72, s5, 0
	v_lshl_add_u64 v[70:71], v[70:71], 3, s[0:1]
	v_mad_i64_i32 v[72:73], s[0:1], v72, s4, 0
	s_mov_b64 s[0:1], -1
	s_mov_b64 vcc, s[8:9]
	s_cbranch_vccz .LBB182_111
; %bb.110:
	v_add_f64 v[138:139], v[68:69], 0
	v_lshl_add_u64 v[134:135], v[134:135], 3, v[70:71]
	s_mov_b64 s[0:1], 0
	global_store_dwordx2 v[134:135], v[138:139], off
.LBB182_111:
	v_lshl_add_u64 v[72:73], v[72:73], 3, s[18:19]
	s_andn2_b64 vcc, exec, s[0:1]
	v_mov_b64_e32 v[134:135], 0
	s_cbranch_vccnz .LBB182_113
; %bb.112:
	v_lshl_add_u64 v[134:135], v[72:73], 0, v[136:137]
	global_load_dwordx2 v[134:135], v[134:135], off
	v_lshl_add_u64 v[136:137], v[70:71], 0, v[136:137]
	s_waitcnt vmcnt(0)
	v_fmac_f64_e32 v[68:69], s[10:11], v[134:135]
	global_store_dwordx2 v[136:137], v[68:69], off
	v_lshl_add_u64 v[68:69], v[0:1], 3, v[72:73]
	global_load_dwordx2 v[68:69], v[68:69], off
	s_waitcnt vmcnt(0)
	v_mul_f64 v[134:135], s[10:11], v[68:69]
.LBB182_113:
	v_add_f64 v[66:67], v[66:67], v[134:135]
	v_lshl_add_u64 v[0:1], v[0:1], 3, v[70:71]
	s_mov_b64 s[0:1], -1
	s_mov_b64 vcc, s[8:9]
	global_store_dwordx2 v[0:1], v[66:67], off
	s_cbranch_vccz .LBB182_115
; %bb.114:
	v_add_f64 v[0:1], v[64:65], 0
	v_lshl_add_u64 v[66:67], v[132:133], 3, v[70:71]
	s_mov_b64 s[0:1], 0
	global_store_dwordx2 v[66:67], v[0:1], off
.LBB182_115:
	s_andn2_b64 vcc, exec, s[0:1]
	v_mov_b64_e32 v[0:1], 0
	s_cbranch_vccnz .LBB182_117
; %bb.116:
	v_lshl_add_u64 v[0:1], v[72:73], 0, v[130:131]
	global_load_dwordx2 v[0:1], v[0:1], off
	v_lshl_add_u64 v[66:67], v[70:71], 0, v[130:131]
	s_waitcnt vmcnt(0)
	v_fmac_f64_e32 v[64:65], s[10:11], v[0:1]
	global_store_dwordx2 v[66:67], v[64:65], off
	v_lshl_add_u64 v[0:1], v[2:3], 3, v[72:73]
	global_load_dwordx2 v[0:1], v[0:1], off
	s_waitcnt vmcnt(0)
	v_mul_f64 v[0:1], s[10:11], v[0:1]
.LBB182_117:
	v_add_f64 v[0:1], v[62:63], v[0:1]
	v_lshl_add_u64 v[2:3], v[2:3], 3, v[70:71]
	s_mov_b64 s[0:1], -1
	s_mov_b64 vcc, s[8:9]
	global_store_dwordx2 v[2:3], v[0:1], off
	s_cbranch_vccz .LBB182_119
; %bb.118:
	v_add_f64 v[0:1], v[60:61], 0
	v_lshl_add_u64 v[2:3], v[128:129], 3, v[70:71]
	s_mov_b64 s[0:1], 0
	global_store_dwordx2 v[2:3], v[0:1], off
.LBB182_119:
	s_andn2_b64 vcc, exec, s[0:1]
	v_mov_b64_e32 v[0:1], 0
	s_cbranch_vccnz .LBB182_121
; %bb.120:
	v_lshl_add_u64 v[0:1], v[72:73], 0, v[140:141]
	global_load_dwordx2 v[0:1], v[0:1], off
	v_lshl_add_u64 v[2:3], v[70:71], 0, v[140:141]
	s_waitcnt vmcnt(0)
	v_fmac_f64_e32 v[60:61], s[10:11], v[0:1]
	global_store_dwordx2 v[2:3], v[60:61], off
	v_lshl_add_u64 v[0:1], v[4:5], 3, v[72:73]
	global_load_dwordx2 v[0:1], v[0:1], off
	s_waitcnt vmcnt(0)
	v_mul_f64 v[0:1], s[10:11], v[0:1]
.LBB182_121:
	v_add_f64 v[0:1], v[58:59], v[0:1]
	v_lshl_add_u64 v[2:3], v[4:5], 3, v[70:71]
	s_mov_b64 s[0:1], -1
	s_mov_b64 vcc, s[8:9]
	global_store_dwordx2 v[2:3], v[0:1], off
	s_cbranch_vccz .LBB182_123
; %bb.122:
	v_add_f64 v[0:1], v[56:57], 0
	v_lshl_add_u64 v[2:3], v[126:127], 3, v[70:71]
	s_mov_b64 s[0:1], 0
	global_store_dwordx2 v[2:3], v[0:1], off
.LBB182_123:
	s_andn2_b64 vcc, exec, s[0:1]
	v_mov_b64_e32 v[0:1], 0
	s_cbranch_vccnz .LBB182_125
; %bb.124:
	v_lshl_add_u64 v[0:1], v[72:73], 0, v[142:143]
	global_load_dwordx2 v[0:1], v[0:1], off
	v_lshl_add_u64 v[2:3], v[70:71], 0, v[142:143]
	s_waitcnt vmcnt(0)
	v_fmac_f64_e32 v[56:57], s[10:11], v[0:1]
	global_store_dwordx2 v[2:3], v[56:57], off
	v_lshl_add_u64 v[0:1], v[124:125], 3, v[72:73]
	global_load_dwordx2 v[0:1], v[0:1], off
	s_waitcnt vmcnt(0)
	v_mul_f64 v[0:1], s[10:11], v[0:1]
.LBB182_125:
	v_add_f64 v[0:1], v[54:55], v[0:1]
	v_lshl_add_u64 v[2:3], v[124:125], 3, v[70:71]
	s_mov_b64 s[0:1], -1
	s_mov_b64 vcc, s[8:9]
	global_store_dwordx2 v[2:3], v[0:1], off
	s_cbranch_vccz .LBB182_127
; %bb.126:
	v_add_f64 v[0:1], v[52:53], 0
	v_lshl_add_u64 v[2:3], v[122:123], 3, v[70:71]
	s_mov_b64 s[0:1], 0
	global_store_dwordx2 v[2:3], v[0:1], off
.LBB182_127:
	s_andn2_b64 vcc, exec, s[0:1]
	v_mov_b64_e32 v[0:1], 0
	s_cbranch_vccnz .LBB182_129
; %bb.128:
	v_lshl_add_u64 v[0:1], v[72:73], 0, v[144:145]
	global_load_dwordx2 v[0:1], v[0:1], off
	v_lshl_add_u64 v[2:3], v[70:71], 0, v[144:145]
	s_waitcnt vmcnt(0)
	v_fmac_f64_e32 v[52:53], s[10:11], v[0:1]
	global_store_dwordx2 v[2:3], v[52:53], off
	v_lshl_add_u64 v[0:1], v[120:121], 3, v[72:73]
	global_load_dwordx2 v[0:1], v[0:1], off
	s_waitcnt vmcnt(0)
	v_mul_f64 v[0:1], s[10:11], v[0:1]
.LBB182_129:
	v_add_f64 v[0:1], v[50:51], v[0:1]
	v_lshl_add_u64 v[2:3], v[120:121], 3, v[70:71]
	s_mov_b64 s[0:1], -1
	s_mov_b64 vcc, s[8:9]
	global_store_dwordx2 v[2:3], v[0:1], off
	s_cbranch_vccz .LBB182_131
; %bb.130:
	v_add_f64 v[0:1], v[48:49], 0
	v_lshl_add_u64 v[2:3], v[118:119], 3, v[70:71]
	s_mov_b64 s[0:1], 0
	global_store_dwordx2 v[2:3], v[0:1], off
.LBB182_131:
	s_andn2_b64 vcc, exec, s[0:1]
	v_mov_b64_e32 v[0:1], 0
	s_cbranch_vccnz .LBB182_133
; %bb.132:
	v_lshl_add_u64 v[0:1], v[72:73], 0, v[148:149]
	global_load_dwordx2 v[0:1], v[0:1], off
	v_lshl_add_u64 v[2:3], v[70:71], 0, v[148:149]
	s_waitcnt vmcnt(0)
	v_fmac_f64_e32 v[48:49], s[10:11], v[0:1]
	global_store_dwordx2 v[2:3], v[48:49], off
	v_lshl_add_u64 v[0:1], v[116:117], 3, v[72:73]
	global_load_dwordx2 v[0:1], v[0:1], off
	s_waitcnt vmcnt(0)
	v_mul_f64 v[0:1], s[10:11], v[0:1]
.LBB182_133:
	v_add_f64 v[0:1], v[46:47], v[0:1]
	v_lshl_add_u64 v[2:3], v[116:117], 3, v[70:71]
	s_mov_b64 s[0:1], -1
	s_mov_b64 vcc, s[8:9]
	global_store_dwordx2 v[2:3], v[0:1], off
	s_cbranch_vccz .LBB182_135
; %bb.134:
	v_add_f64 v[0:1], v[44:45], 0
	v_lshl_add_u64 v[2:3], v[114:115], 3, v[70:71]
	s_mov_b64 s[0:1], 0
	global_store_dwordx2 v[2:3], v[0:1], off
.LBB182_135:
	s_andn2_b64 vcc, exec, s[0:1]
	v_mov_b64_e32 v[0:1], 0
	s_cbranch_vccnz .LBB182_137
; %bb.136:
	v_lshl_add_u64 v[0:1], v[72:73], 0, v[150:151]
	global_load_dwordx2 v[0:1], v[0:1], off
	v_lshl_add_u64 v[2:3], v[70:71], 0, v[150:151]
	s_waitcnt vmcnt(0)
	v_fmac_f64_e32 v[44:45], s[10:11], v[0:1]
	global_store_dwordx2 v[2:3], v[44:45], off
	v_lshl_add_u64 v[0:1], v[112:113], 3, v[72:73]
	global_load_dwordx2 v[0:1], v[0:1], off
	s_waitcnt vmcnt(0)
	v_mul_f64 v[0:1], s[10:11], v[0:1]
.LBB182_137:
	v_add_f64 v[0:1], v[42:43], v[0:1]
	v_lshl_add_u64 v[2:3], v[112:113], 3, v[70:71]
	s_mov_b64 s[0:1], -1
	s_mov_b64 vcc, s[8:9]
	global_store_dwordx2 v[2:3], v[0:1], off
	s_cbranch_vccz .LBB182_139
; %bb.138:
	v_add_f64 v[0:1], v[40:41], 0
	v_lshl_add_u64 v[2:3], v[110:111], 3, v[70:71]
	s_mov_b64 s[0:1], 0
	global_store_dwordx2 v[2:3], v[0:1], off
.LBB182_139:
	s_andn2_b64 vcc, exec, s[0:1]
	v_mov_b64_e32 v[0:1], 0
	s_cbranch_vccnz .LBB182_141
; %bb.140:
	v_lshl_add_u64 v[0:1], v[72:73], 0, v[152:153]
	global_load_dwordx2 v[0:1], v[0:1], off
	v_lshl_add_u64 v[2:3], v[70:71], 0, v[152:153]
	s_waitcnt vmcnt(0)
	v_fmac_f64_e32 v[40:41], s[10:11], v[0:1]
	global_store_dwordx2 v[2:3], v[40:41], off
	v_lshl_add_u64 v[0:1], v[108:109], 3, v[72:73]
	global_load_dwordx2 v[0:1], v[0:1], off
	s_waitcnt vmcnt(0)
	v_mul_f64 v[0:1], s[10:11], v[0:1]
.LBB182_141:
	v_add_f64 v[0:1], v[38:39], v[0:1]
	v_lshl_add_u64 v[2:3], v[108:109], 3, v[70:71]
	s_mov_b64 s[0:1], -1
	s_mov_b64 vcc, s[8:9]
	global_store_dwordx2 v[2:3], v[0:1], off
	s_cbranch_vccz .LBB182_143
; %bb.142:
	v_add_f64 v[0:1], v[36:37], 0
	v_lshl_add_u64 v[2:3], v[106:107], 3, v[70:71]
	s_mov_b64 s[0:1], 0
	global_store_dwordx2 v[2:3], v[0:1], off
.LBB182_143:
	s_andn2_b64 vcc, exec, s[0:1]
	v_mov_b64_e32 v[0:1], 0
	s_cbranch_vccnz .LBB182_145
; %bb.144:
	v_lshl_add_u64 v[0:1], v[72:73], 0, v[154:155]
	global_load_dwordx2 v[0:1], v[0:1], off
	v_lshl_add_u64 v[2:3], v[70:71], 0, v[154:155]
	s_waitcnt vmcnt(0)
	v_fmac_f64_e32 v[36:37], s[10:11], v[0:1]
	global_store_dwordx2 v[2:3], v[36:37], off
	v_lshl_add_u64 v[0:1], v[104:105], 3, v[72:73]
	global_load_dwordx2 v[0:1], v[0:1], off
	s_waitcnt vmcnt(0)
	v_mul_f64 v[0:1], s[10:11], v[0:1]
.LBB182_145:
	v_add_f64 v[0:1], v[34:35], v[0:1]
	v_lshl_add_u64 v[2:3], v[104:105], 3, v[70:71]
	s_mov_b64 s[0:1], -1
	s_mov_b64 vcc, s[8:9]
	global_store_dwordx2 v[2:3], v[0:1], off
	s_cbranch_vccz .LBB182_147
; %bb.146:
	v_add_f64 v[0:1], v[32:33], 0
	v_lshl_add_u64 v[2:3], v[102:103], 3, v[70:71]
	s_mov_b64 s[0:1], 0
	global_store_dwordx2 v[2:3], v[0:1], off
.LBB182_147:
	s_andn2_b64 vcc, exec, s[0:1]
	v_mov_b64_e32 v[0:1], 0
	s_cbranch_vccnz .LBB182_149
; %bb.148:
	v_lshl_add_u64 v[0:1], v[72:73], 0, v[156:157]
	global_load_dwordx2 v[0:1], v[0:1], off
	v_lshl_add_u64 v[2:3], v[70:71], 0, v[156:157]
	s_waitcnt vmcnt(0)
	v_fmac_f64_e32 v[32:33], s[10:11], v[0:1]
	global_store_dwordx2 v[2:3], v[32:33], off
	v_lshl_add_u64 v[0:1], v[100:101], 3, v[72:73]
	global_load_dwordx2 v[0:1], v[0:1], off
	s_waitcnt vmcnt(0)
	v_mul_f64 v[0:1], s[10:11], v[0:1]
.LBB182_149:
	v_add_f64 v[0:1], v[30:31], v[0:1]
	v_lshl_add_u64 v[2:3], v[100:101], 3, v[70:71]
	s_mov_b64 s[0:1], -1
	s_mov_b64 vcc, s[8:9]
	global_store_dwordx2 v[2:3], v[0:1], off
	s_cbranch_vccz .LBB182_151
; %bb.150:
	v_add_f64 v[0:1], v[28:29], 0
	v_lshl_add_u64 v[2:3], v[98:99], 3, v[70:71]
	s_mov_b64 s[0:1], 0
	global_store_dwordx2 v[2:3], v[0:1], off
.LBB182_151:
	s_andn2_b64 vcc, exec, s[0:1]
	v_mov_b64_e32 v[0:1], 0
	s_cbranch_vccnz .LBB182_153
; %bb.152:
	v_lshl_add_u64 v[0:1], v[72:73], 0, v[158:159]
	global_load_dwordx2 v[0:1], v[0:1], off
	v_lshl_add_u64 v[2:3], v[70:71], 0, v[158:159]
	s_waitcnt vmcnt(0)
	v_fmac_f64_e32 v[28:29], s[10:11], v[0:1]
	global_store_dwordx2 v[2:3], v[28:29], off
	v_lshl_add_u64 v[0:1], v[96:97], 3, v[72:73]
	global_load_dwordx2 v[0:1], v[0:1], off
	s_waitcnt vmcnt(0)
	v_mul_f64 v[0:1], s[10:11], v[0:1]
.LBB182_153:
	v_add_f64 v[0:1], v[26:27], v[0:1]
	v_lshl_add_u64 v[2:3], v[96:97], 3, v[70:71]
	s_mov_b64 s[0:1], -1
	s_mov_b64 vcc, s[8:9]
	global_store_dwordx2 v[2:3], v[0:1], off
	s_cbranch_vccz .LBB182_155
; %bb.154:
	v_add_f64 v[0:1], v[24:25], 0
	v_lshl_add_u64 v[2:3], v[94:95], 3, v[70:71]
	s_mov_b64 s[0:1], 0
	global_store_dwordx2 v[2:3], v[0:1], off
.LBB182_155:
	s_andn2_b64 vcc, exec, s[0:1]
	v_mov_b64_e32 v[0:1], 0
	s_cbranch_vccnz .LBB182_157
; %bb.156:
	v_lshl_add_u64 v[0:1], v[72:73], 0, v[160:161]
	global_load_dwordx2 v[0:1], v[0:1], off
	v_lshl_add_u64 v[2:3], v[70:71], 0, v[160:161]
	s_waitcnt vmcnt(0)
	v_fmac_f64_e32 v[24:25], s[10:11], v[0:1]
	global_store_dwordx2 v[2:3], v[24:25], off
	v_lshl_add_u64 v[0:1], v[92:93], 3, v[72:73]
	global_load_dwordx2 v[0:1], v[0:1], off
	s_waitcnt vmcnt(0)
	v_mul_f64 v[0:1], s[10:11], v[0:1]
.LBB182_157:
	v_add_f64 v[0:1], v[22:23], v[0:1]
	v_lshl_add_u64 v[2:3], v[92:93], 3, v[70:71]
	s_mov_b64 s[0:1], -1
	s_mov_b64 vcc, s[8:9]
	global_store_dwordx2 v[2:3], v[0:1], off
	s_cbranch_vccz .LBB182_159
; %bb.158:
	v_add_f64 v[0:1], v[20:21], 0
	v_lshl_add_u64 v[2:3], v[90:91], 3, v[70:71]
	s_mov_b64 s[0:1], 0
	global_store_dwordx2 v[2:3], v[0:1], off
.LBB182_159:
	s_andn2_b64 vcc, exec, s[0:1]
	v_mov_b64_e32 v[0:1], 0
	s_cbranch_vccnz .LBB182_161
; %bb.160:
	v_lshl_add_u64 v[0:1], v[72:73], 0, v[162:163]
	global_load_dwordx2 v[0:1], v[0:1], off
	v_lshl_add_u64 v[2:3], v[70:71], 0, v[162:163]
	s_waitcnt vmcnt(0)
	v_fmac_f64_e32 v[20:21], s[10:11], v[0:1]
	global_store_dwordx2 v[2:3], v[20:21], off
	v_lshl_add_u64 v[0:1], v[88:89], 3, v[72:73]
	global_load_dwordx2 v[0:1], v[0:1], off
	s_waitcnt vmcnt(0)
	v_mul_f64 v[0:1], s[10:11], v[0:1]
.LBB182_161:
	v_add_f64 v[0:1], v[18:19], v[0:1]
	v_lshl_add_u64 v[2:3], v[88:89], 3, v[70:71]
	s_mov_b64 s[0:1], -1
	s_mov_b64 vcc, s[8:9]
	global_store_dwordx2 v[2:3], v[0:1], off
	s_cbranch_vccz .LBB182_163
; %bb.162:
	v_add_f64 v[0:1], v[16:17], 0
	v_lshl_add_u64 v[2:3], v[86:87], 3, v[70:71]
	s_mov_b64 s[0:1], 0
	global_store_dwordx2 v[2:3], v[0:1], off
.LBB182_163:
	s_andn2_b64 vcc, exec, s[0:1]
	v_mov_b64_e32 v[0:1], 0
	s_cbranch_vccnz .LBB182_165
; %bb.164:
	v_lshl_add_u64 v[0:1], v[72:73], 0, v[164:165]
	global_load_dwordx2 v[0:1], v[0:1], off
	v_lshl_add_u64 v[2:3], v[70:71], 0, v[164:165]
	s_waitcnt vmcnt(0)
	v_fmac_f64_e32 v[16:17], s[10:11], v[0:1]
	global_store_dwordx2 v[2:3], v[16:17], off
	v_lshl_add_u64 v[0:1], v[84:85], 3, v[72:73]
	global_load_dwordx2 v[0:1], v[0:1], off
	s_waitcnt vmcnt(0)
	v_mul_f64 v[0:1], s[10:11], v[0:1]
.LBB182_165:
	v_add_f64 v[0:1], v[14:15], v[0:1]
	v_lshl_add_u64 v[2:3], v[84:85], 3, v[70:71]
	s_mov_b64 s[0:1], -1
	s_mov_b64 vcc, s[8:9]
	global_store_dwordx2 v[2:3], v[0:1], off
	s_cbranch_vccz .LBB182_167
; %bb.166:
	v_add_f64 v[0:1], v[12:13], 0
	v_lshl_add_u64 v[2:3], v[82:83], 3, v[70:71]
	s_mov_b64 s[0:1], 0
	global_store_dwordx2 v[2:3], v[0:1], off
.LBB182_167:
	s_andn2_b64 vcc, exec, s[0:1]
	v_mov_b64_e32 v[0:1], 0
	s_cbranch_vccnz .LBB182_169
; %bb.168:
	v_lshl_add_u64 v[0:1], v[72:73], 0, v[166:167]
	global_load_dwordx2 v[0:1], v[0:1], off
	v_lshl_add_u64 v[2:3], v[70:71], 0, v[166:167]
	s_waitcnt vmcnt(0)
	v_fmac_f64_e32 v[12:13], s[10:11], v[0:1]
	global_store_dwordx2 v[2:3], v[12:13], off
	v_lshl_add_u64 v[0:1], v[80:81], 3, v[72:73]
	global_load_dwordx2 v[0:1], v[0:1], off
	s_waitcnt vmcnt(0)
	v_mul_f64 v[0:1], s[10:11], v[0:1]
.LBB182_169:
	v_add_f64 v[0:1], v[10:11], v[0:1]
	v_lshl_add_u64 v[2:3], v[80:81], 3, v[70:71]
	s_mov_b64 s[0:1], -1
	s_mov_b64 vcc, s[8:9]
	global_store_dwordx2 v[2:3], v[0:1], off
	s_cbranch_vccnz .LBB182_172
; %bb.170:
	s_andn2_b64 vcc, exec, s[0:1]
	v_mov_b64_e32 v[0:1], 0
	s_cbranch_vccz .LBB182_173
.LBB182_171:
	v_add_f64 v[0:1], v[6:7], v[0:1]
	v_lshl_add_u64 v[2:3], v[76:77], 3, v[70:71]
	global_store_dwordx2 v[2:3], v[0:1], off
	s_endpgm
.LBB182_172:
	v_add_f64 v[0:1], v[8:9], 0
	v_lshl_add_u64 v[2:3], v[78:79], 3, v[70:71]
	global_store_dwordx2 v[2:3], v[0:1], off
	v_mov_b64_e32 v[0:1], 0
	s_cbranch_execnz .LBB182_171
.LBB182_173:
	v_lshl_add_u64 v[0:1], v[72:73], 0, v[74:75]
	global_load_dwordx2 v[0:1], v[0:1], off
	v_lshl_add_u64 v[2:3], v[70:71], 0, v[74:75]
	s_waitcnt vmcnt(0)
	v_fmac_f64_e32 v[8:9], s[10:11], v[0:1]
	global_store_dwordx2 v[2:3], v[8:9], off
	v_lshl_add_u64 v[0:1], v[76:77], 3, v[72:73]
	global_load_dwordx2 v[0:1], v[0:1], off
	s_waitcnt vmcnt(0)
	v_mul_f64 v[0:1], s[10:11], v[0:1]
	v_add_f64 v[0:1], v[6:7], v[0:1]
	v_lshl_add_u64 v[2:3], v[76:77], 3, v[70:71]
	global_store_dwordx2 v[2:3], v[0:1], off
	s_endpgm
	.section	.rodata,"a",@progbits
	.p2align	6, 0x0
	.amdhsa_kernel _ZN12_GLOBAL__N_120geam_min_plus_kernelIdddLi4ELi64ELi128ELi128ELi4ELi64ELi4ELi4ELi64ELc78ELc78ELb0ELb0ELb0EdKddEEviiiT16_PT17_ilS4_ilS2_S4_ilPT18_ili26rocblas_geam_ex_operation_
		.amdhsa_group_segment_fixed_size 16384
		.amdhsa_private_segment_fixed_size 0
		.amdhsa_kernarg_size 136
		.amdhsa_user_sgpr_count 2
		.amdhsa_user_sgpr_dispatch_ptr 0
		.amdhsa_user_sgpr_queue_ptr 0
		.amdhsa_user_sgpr_kernarg_segment_ptr 1
		.amdhsa_user_sgpr_dispatch_id 0
		.amdhsa_user_sgpr_kernarg_preload_length 0
		.amdhsa_user_sgpr_kernarg_preload_offset 0
		.amdhsa_user_sgpr_private_segment_size 0
		.amdhsa_uses_dynamic_stack 0
		.amdhsa_enable_private_segment 0
		.amdhsa_system_sgpr_workgroup_id_x 1
		.amdhsa_system_sgpr_workgroup_id_y 0
		.amdhsa_system_sgpr_workgroup_id_z 1
		.amdhsa_system_sgpr_workgroup_info 0
		.amdhsa_system_vgpr_workitem_id 1
		.amdhsa_next_free_vgpr 254
		.amdhsa_next_free_sgpr 30
		.amdhsa_accum_offset 256
		.amdhsa_reserve_vcc 1
		.amdhsa_float_round_mode_32 0
		.amdhsa_float_round_mode_16_64 0
		.amdhsa_float_denorm_mode_32 3
		.amdhsa_float_denorm_mode_16_64 3
		.amdhsa_dx10_clamp 1
		.amdhsa_ieee_mode 1
		.amdhsa_fp16_overflow 0
		.amdhsa_tg_split 0
		.amdhsa_exception_fp_ieee_invalid_op 0
		.amdhsa_exception_fp_denorm_src 0
		.amdhsa_exception_fp_ieee_div_zero 0
		.amdhsa_exception_fp_ieee_overflow 0
		.amdhsa_exception_fp_ieee_underflow 0
		.amdhsa_exception_fp_ieee_inexact 0
		.amdhsa_exception_int_div_zero 0
	.end_amdhsa_kernel
	.section	.text._ZN12_GLOBAL__N_120geam_min_plus_kernelIdddLi4ELi64ELi128ELi128ELi4ELi64ELi4ELi4ELi64ELc78ELc78ELb0ELb0ELb0EdKddEEviiiT16_PT17_ilS4_ilS2_S4_ilPT18_ili26rocblas_geam_ex_operation_,"axG",@progbits,_ZN12_GLOBAL__N_120geam_min_plus_kernelIdddLi4ELi64ELi128ELi128ELi4ELi64ELi4ELi4ELi64ELc78ELc78ELb0ELb0ELb0EdKddEEviiiT16_PT17_ilS4_ilS2_S4_ilPT18_ili26rocblas_geam_ex_operation_,comdat
.Lfunc_end182:
	.size	_ZN12_GLOBAL__N_120geam_min_plus_kernelIdddLi4ELi64ELi128ELi128ELi4ELi64ELi4ELi4ELi64ELc78ELc78ELb0ELb0ELb0EdKddEEviiiT16_PT17_ilS4_ilS2_S4_ilPT18_ili26rocblas_geam_ex_operation_, .Lfunc_end182-_ZN12_GLOBAL__N_120geam_min_plus_kernelIdddLi4ELi64ELi128ELi128ELi4ELi64ELi4ELi4ELi64ELc78ELc78ELb0ELb0ELb0EdKddEEviiiT16_PT17_ilS4_ilS2_S4_ilPT18_ili26rocblas_geam_ex_operation_
                                        ; -- End function
	.set _ZN12_GLOBAL__N_120geam_min_plus_kernelIdddLi4ELi64ELi128ELi128ELi4ELi64ELi4ELi4ELi64ELc78ELc78ELb0ELb0ELb0EdKddEEviiiT16_PT17_ilS4_ilS2_S4_ilPT18_ili26rocblas_geam_ex_operation_.num_vgpr, 254
	.set _ZN12_GLOBAL__N_120geam_min_plus_kernelIdddLi4ELi64ELi128ELi128ELi4ELi64ELi4ELi4ELi64ELc78ELc78ELb0ELb0ELb0EdKddEEviiiT16_PT17_ilS4_ilS2_S4_ilPT18_ili26rocblas_geam_ex_operation_.num_agpr, 0
	.set _ZN12_GLOBAL__N_120geam_min_plus_kernelIdddLi4ELi64ELi128ELi128ELi4ELi64ELi4ELi4ELi64ELc78ELc78ELb0ELb0ELb0EdKddEEviiiT16_PT17_ilS4_ilS2_S4_ilPT18_ili26rocblas_geam_ex_operation_.numbered_sgpr, 30
	.set _ZN12_GLOBAL__N_120geam_min_plus_kernelIdddLi4ELi64ELi128ELi128ELi4ELi64ELi4ELi4ELi64ELc78ELc78ELb0ELb0ELb0EdKddEEviiiT16_PT17_ilS4_ilS2_S4_ilPT18_ili26rocblas_geam_ex_operation_.num_named_barrier, 0
	.set _ZN12_GLOBAL__N_120geam_min_plus_kernelIdddLi4ELi64ELi128ELi128ELi4ELi64ELi4ELi4ELi64ELc78ELc78ELb0ELb0ELb0EdKddEEviiiT16_PT17_ilS4_ilS2_S4_ilPT18_ili26rocblas_geam_ex_operation_.private_seg_size, 0
	.set _ZN12_GLOBAL__N_120geam_min_plus_kernelIdddLi4ELi64ELi128ELi128ELi4ELi64ELi4ELi4ELi64ELc78ELc78ELb0ELb0ELb0EdKddEEviiiT16_PT17_ilS4_ilS2_S4_ilPT18_ili26rocblas_geam_ex_operation_.uses_vcc, 1
	.set _ZN12_GLOBAL__N_120geam_min_plus_kernelIdddLi4ELi64ELi128ELi128ELi4ELi64ELi4ELi4ELi64ELc78ELc78ELb0ELb0ELb0EdKddEEviiiT16_PT17_ilS4_ilS2_S4_ilPT18_ili26rocblas_geam_ex_operation_.uses_flat_scratch, 0
	.set _ZN12_GLOBAL__N_120geam_min_plus_kernelIdddLi4ELi64ELi128ELi128ELi4ELi64ELi4ELi4ELi64ELc78ELc78ELb0ELb0ELb0EdKddEEviiiT16_PT17_ilS4_ilS2_S4_ilPT18_ili26rocblas_geam_ex_operation_.has_dyn_sized_stack, 0
	.set _ZN12_GLOBAL__N_120geam_min_plus_kernelIdddLi4ELi64ELi128ELi128ELi4ELi64ELi4ELi4ELi64ELc78ELc78ELb0ELb0ELb0EdKddEEviiiT16_PT17_ilS4_ilS2_S4_ilPT18_ili26rocblas_geam_ex_operation_.has_recursion, 0
	.set _ZN12_GLOBAL__N_120geam_min_plus_kernelIdddLi4ELi64ELi128ELi128ELi4ELi64ELi4ELi4ELi64ELc78ELc78ELb0ELb0ELb0EdKddEEviiiT16_PT17_ilS4_ilS2_S4_ilPT18_ili26rocblas_geam_ex_operation_.has_indirect_call, 0
	.section	.AMDGPU.csdata,"",@progbits
; Kernel info:
; codeLenInByte = 13060
; TotalNumSgprs: 36
; NumVgprs: 254
; NumAgprs: 0
; TotalNumVgprs: 254
; ScratchSize: 0
; MemoryBound: 0
; FloatMode: 240
; IeeeMode: 1
; LDSByteSize: 16384 bytes/workgroup (compile time only)
; SGPRBlocks: 4
; VGPRBlocks: 31
; NumSGPRsForWavesPerEU: 36
; NumVGPRsForWavesPerEU: 254
; AccumOffset: 256
; Occupancy: 2
; WaveLimiterHint : 1
; COMPUTE_PGM_RSRC2:SCRATCH_EN: 0
; COMPUTE_PGM_RSRC2:USER_SGPR: 2
; COMPUTE_PGM_RSRC2:TRAP_HANDLER: 0
; COMPUTE_PGM_RSRC2:TGID_X_EN: 1
; COMPUTE_PGM_RSRC2:TGID_Y_EN: 0
; COMPUTE_PGM_RSRC2:TGID_Z_EN: 1
; COMPUTE_PGM_RSRC2:TIDIG_COMP_CNT: 1
; COMPUTE_PGM_RSRC3_GFX90A:ACCUM_OFFSET: 63
; COMPUTE_PGM_RSRC3_GFX90A:TG_SPLIT: 0
	.section	.text._ZN12_GLOBAL__N_120geam_min_plus_kernelIdddLi4ELi64ELi128ELi128ELi4ELi64ELi4ELi4ELi64ELc78ELc78ELb0ELb1ELb0EPKdS1_dEEviiiT16_PT17_ilS5_ilS3_S5_ilPT18_ili26rocblas_geam_ex_operation_,"axG",@progbits,_ZN12_GLOBAL__N_120geam_min_plus_kernelIdddLi4ELi64ELi128ELi128ELi4ELi64ELi4ELi4ELi64ELc78ELc78ELb0ELb1ELb0EPKdS1_dEEviiiT16_PT17_ilS5_ilS3_S5_ilPT18_ili26rocblas_geam_ex_operation_,comdat
	.globl	_ZN12_GLOBAL__N_120geam_min_plus_kernelIdddLi4ELi64ELi128ELi128ELi4ELi64ELi4ELi4ELi64ELc78ELc78ELb0ELb1ELb0EPKdS1_dEEviiiT16_PT17_ilS5_ilS3_S5_ilPT18_ili26rocblas_geam_ex_operation_ ; -- Begin function _ZN12_GLOBAL__N_120geam_min_plus_kernelIdddLi4ELi64ELi128ELi128ELi4ELi64ELi4ELi4ELi64ELc78ELc78ELb0ELb1ELb0EPKdS1_dEEviiiT16_PT17_ilS5_ilS3_S5_ilPT18_ili26rocblas_geam_ex_operation_
	.p2align	8
	.type	_ZN12_GLOBAL__N_120geam_min_plus_kernelIdddLi4ELi64ELi128ELi128ELi4ELi64ELi4ELi4ELi64ELc78ELc78ELb0ELb1ELb0EPKdS1_dEEviiiT16_PT17_ilS5_ilS3_S5_ilPT18_ili26rocblas_geam_ex_operation_,@function
_ZN12_GLOBAL__N_120geam_min_plus_kernelIdddLi4ELi64ELi128ELi128ELi4ELi64ELi4ELi4ELi64ELc78ELc78ELb0ELb1ELb0EPKdS1_dEEviiiT16_PT17_ilS5_ilS3_S5_ilPT18_ili26rocblas_geam_ex_operation_: ; @_ZN12_GLOBAL__N_120geam_min_plus_kernelIdddLi4ELi64ELi128ELi128ELi4ELi64ELi4ELi4ELi64ELc78ELc78ELb0ELb1ELb0EPKdS1_dEEviiiT16_PT17_ilS5_ilS3_S5_ilPT18_ili26rocblas_geam_ex_operation_
; %bb.0:
	s_load_dwordx4 s[12:15], s[0:1], 0x10
	s_load_dwordx4 s[4:7], s[0:1], 0x28
	;; [unrolled: 1-line block ×3, first 2 shown]
	s_mov_b32 s16, s3
	s_mov_b32 s17, 0
	s_lshl_b64 s[20:21], s[16:17], 3
	s_waitcnt lgkmcnt(0)
	s_add_u32 s12, s12, s20
	s_addc_u32 s13, s13, s21
	s_load_dwordx2 s[18:19], s[12:13], 0x0
	s_load_dwordx2 s[24:25], s[0:1], 0x50
	s_add_u32 s10, s10, s20
	s_addc_u32 s11, s11, s21
	s_mov_b64 s[20:21], 0
	s_waitcnt lgkmcnt(0)
	v_cmp_eq_f64_e64 s[22:23], s[18:19], 0
	v_cmp_neq_f64_e64 s[12:13], s[18:19], 0
	s_and_b64 vcc, exec, s[22:23]
	s_mov_b64 s[22:23], 0
	s_cbranch_vccnz .LBB183_2
; %bb.1:
	s_mul_i32 s3, s5, s16
	s_mul_hi_u32 s5, s4, s16
	s_add_i32 s5, s5, s3
	s_mul_i32 s4, s4, s16
	s_lshl_b64 s[4:5], s[4:5], 3
	s_add_u32 s22, s14, s4
	s_addc_u32 s23, s15, s5
.LBB183_2:
	s_load_dwordx2 s[70:71], s[10:11], 0x0
	s_andn2_b64 vcc, exec, s[12:13]
	s_cbranch_vccnz .LBB183_4
; %bb.3:
	s_mul_i32 s3, s9, s16
	s_mul_hi_u32 s4, s8, s16
	s_add_i32 s5, s4, s3
	s_mul_i32 s4, s8, s16
	s_lshl_b64 s[4:5], s[4:5], 3
	s_add_u32 s20, s6, s4
	s_addc_u32 s21, s7, s5
.LBB183_4:
	s_load_dwordx4 s[8:11], s[0:1], 0x60
	s_waitcnt lgkmcnt(0)
	v_cmp_eq_f64_e64 s[4:5], s[70:71], 0
	s_mov_b64 s[76:77], 0
	v_cmp_neq_f64_e64 s[12:13], s[70:71], 0
	s_and_b64 vcc, exec, s[4:5]
	s_cbranch_vccnz .LBB183_6
; %bb.5:
	s_mul_i32 s3, s9, s16
	s_mul_hi_u32 s4, s8, s16
	s_add_i32 s5, s4, s3
	s_mul_i32 s4, s8, s16
	s_lshl_b64 s[4:5], s[4:5], 3
	s_add_u32 s76, s24, s4
	s_addc_u32 s77, s25, s5
.LBB183_6:
	s_load_dwordx4 s[72:75], s[0:1], 0x0
	s_load_dword s27, s[0:1], 0x20
	v_and_b32_e32 v144, 0x3ff, v0
	v_bfe_u32 v145, v0, 10, 10
	v_lshl_add_u32 v6, v145, 2, v144
	s_waitcnt lgkmcnt(0)
	s_add_i32 s3, s72, -1
	s_ashr_i32 s4, s3, 31
	s_lshr_b32 s4, s4, 25
	s_add_i32 s3, s3, s4
	s_ashr_i32 s3, s3, 7
	s_add_i32 s4, s3, 1
	v_cvt_f32_u32_e32 v1, s4
	s_not_b32 s3, s3
	v_lshrrev_b32_e32 v146, 6, v6
	v_and_b32_e32 v138, 63, v6
	v_rcp_iflag_f32_e32 v1, v1
	v_cmp_le_i32_e32 vcc, s74, v146
	v_cmp_eq_f64_e64 s[14:15], s[18:19], 0
	v_mul_f32_e32 v0, 0x4f7ffffe, v1
	v_cvt_u32_f32_e32 v0, v0
	s_nop 0
	v_readfirstlane_b32 s5, v0
	s_mul_i32 s3, s3, s5
	s_mul_hi_u32 s3, s5, s3
	s_add_i32 s5, s5, s3
	s_mul_hi_u32 s3, s2, s5
	s_mul_i32 s5, s3, s4
	s_sub_i32 s5, s2, s5
	s_add_i32 s6, s3, 1
	s_sub_i32 s7, s5, s4
	s_cmp_ge_u32 s5, s4
	s_cselect_b32 s3, s6, s3
	s_cselect_b32 s5, s7, s5
	s_add_i32 s6, s3, 1
	s_cmp_ge_u32 s5, s4
	s_cselect_b32 s8, s6, s3
	s_mul_i32 s3, s8, s4
	s_add_i32 s28, s74, -1
	s_sub_i32 s2, s2, s3
	v_min_i32_e32 v2, s28, v146
	s_lshl_b32 s17, s2, 7
	v_or_b32_e32 v128, s17, v138
	v_mad_i64_i32 v[2:3], s[2:3], s27, v2, 0
	v_cmp_le_i32_e64 s[2:3], s72, v128
	s_or_b64 s[4:5], s[2:3], vcc
	v_mov_b64_e32 v[0:1], 0
	v_lshl_add_u64 v[4:5], v[2:3], 3, s[22:23]
	s_nor_b64 s[6:7], s[14:15], s[4:5]
	v_ashrrev_i32_e32 v129, 31, v128
	v_mov_b64_e32 v[2:3], 0
	s_and_saveexec_b64 s[4:5], s[6:7]
	s_cbranch_execz .LBB183_8
; %bb.7:
	v_lshl_add_u64 v[2:3], v[128:129], 3, v[4:5]
	global_load_dwordx2 v[2:3], v[2:3], off
	s_waitcnt vmcnt(0)
	v_mul_f64 v[2:3], s[18:19], v[2:3]
.LBB183_8:
	s_or_b64 exec, exec, s[4:5]
	v_or_b32_e32 v7, 64, v128
	v_cmp_le_i32_e64 s[4:5], s72, v7
	s_or_b64 s[6:7], s[4:5], vcc
	s_nor_b64 s[24:25], s[14:15], s[6:7]
	s_and_saveexec_b64 s[6:7], s[24:25]
	s_cbranch_execz .LBB183_10
; %bb.9:
	v_lshl_add_u64 v[0:1], v[128:129], 3, v[4:5]
	global_load_dwordx2 v[0:1], v[0:1], off offset:512
	s_waitcnt vmcnt(0)
	v_mul_f64 v[0:1], s[18:19], v[0:1]
.LBB183_10:
	s_or_b64 exec, exec, s[6:7]
	s_load_dword s30, s[0:1], 0x38
	v_lshrrev_b32_e32 v10, 2, v6
	s_lshl_b32 s26, s8, 7
	v_and_b32_e32 v147, 3, v144
	v_add_u32_e32 v139, s26, v10
	v_cmp_le_i32_e32 vcc, s74, v147
	v_min_i32_e32 v4, s28, v147
	v_cmp_le_i32_e64 s[6:7], s73, v139
	v_ashrrev_i32_e32 v5, 31, v4
	s_or_b64 s[8:9], vcc, s[6:7]
	v_lshl_add_u64 v[8:9], v[4:5], 3, s[20:21]
	s_nor_b64 s[24:25], s[14:15], s[8:9]
	v_mov_b64_e32 v[4:5], 0
	v_mov_b64_e32 v[6:7], 0
	s_and_saveexec_b64 s[8:9], s[24:25]
	s_cbranch_execz .LBB183_12
; %bb.11:
	s_waitcnt lgkmcnt(0)
	v_mad_i64_i32 v[6:7], s[24:25], v139, s30, 0
	v_lshl_add_u64 v[6:7], v[6:7], 3, v[8:9]
	global_load_dwordx2 v[6:7], v[6:7], off
	s_waitcnt vmcnt(0)
	v_mul_f64 v[6:7], s[18:19], v[6:7]
.LBB183_12:
	s_or_b64 exec, exec, s[8:9]
	v_add_u32_e32 v140, 64, v139
	v_cmp_le_i32_e64 s[8:9], s73, v140
	s_or_b64 s[24:25], vcc, s[8:9]
	s_nor_b64 s[34:35], s[14:15], s[24:25]
	s_and_saveexec_b64 s[24:25], s[34:35]
	s_cbranch_execz .LBB183_14
; %bb.13:
	s_waitcnt lgkmcnt(0)
	v_mad_i64_i32 v[4:5], s[34:35], v140, s30, 0
	v_lshl_add_u64 v[4:5], v[4:5], 3, v[8:9]
	global_load_dwordx2 v[4:5], v[4:5], off
	s_waitcnt vmcnt(0)
	v_mul_f64 v[4:5], s[18:19], v[4:5]
.LBB183_14:
	s_or_b64 exec, exec, s[24:25]
	v_add_u32_e32 v8, 4, v146
	v_cmp_le_i32_e32 vcc, s74, v8
	v_min_i32_e32 v8, s28, v8
	v_mad_i64_i32 v[8:9], s[24:25], s27, v8, 0
	s_or_b64 s[24:25], s[2:3], vcc
	v_lshl_add_u64 v[8:9], v[8:9], 3, s[22:23]
	s_nor_b64 s[34:35], s[14:15], s[24:25]
	v_mov_b64_e32 v[130:131], 0
	v_mov_b64_e32 v[132:133], 0
	s_and_saveexec_b64 s[24:25], s[34:35]
	s_cbranch_execz .LBB183_16
; %bb.15:
	v_lshl_add_u64 v[12:13], v[128:129], 3, v[8:9]
	global_load_dwordx2 v[12:13], v[12:13], off
	s_waitcnt vmcnt(0)
	v_mul_f64 v[132:133], s[18:19], v[12:13]
.LBB183_16:
	s_or_b64 exec, exec, s[24:25]
	s_or_b64 s[24:25], s[4:5], vcc
	s_nor_b64 s[34:35], s[14:15], s[24:25]
	s_and_saveexec_b64 s[24:25], s[34:35]
	s_cbranch_execz .LBB183_18
; %bb.17:
	v_lshl_add_u64 v[8:9], v[128:129], 3, v[8:9]
	global_load_dwordx2 v[8:9], v[8:9], off offset:512
	s_waitcnt vmcnt(0)
	v_mul_f64 v[130:131], s[18:19], v[8:9]
.LBB183_18:
	s_or_b64 exec, exec, s[24:25]
	v_or_b32_e32 v8, 4, v147
	v_cmp_le_i32_e32 vcc, s74, v8
	v_min_i32_e32 v8, s28, v8
	v_ashrrev_i32_e32 v9, 31, v8
	s_or_b64 s[24:25], vcc, s[6:7]
	v_lshl_add_u64 v[8:9], v[8:9], 3, s[20:21]
	s_nor_b64 s[34:35], s[14:15], s[24:25]
	v_mov_b64_e32 v[134:135], 0
	v_mov_b64_e32 v[136:137], 0
	s_and_saveexec_b64 s[24:25], s[34:35]
	s_cbranch_execz .LBB183_20
; %bb.19:
	s_waitcnt lgkmcnt(0)
	v_mad_i64_i32 v[12:13], s[34:35], v139, s30, 0
	v_lshl_add_u64 v[12:13], v[12:13], 3, v[8:9]
	global_load_dwordx2 v[12:13], v[12:13], off
	s_waitcnt vmcnt(0)
	v_mul_f64 v[136:137], s[18:19], v[12:13]
.LBB183_20:
	s_or_b64 exec, exec, s[24:25]
	s_or_b64 s[24:25], vcc, s[8:9]
	s_nor_b64 s[34:35], s[14:15], s[24:25]
	s_and_saveexec_b64 s[24:25], s[34:35]
	s_cbranch_execz .LBB183_22
; %bb.21:
	s_waitcnt lgkmcnt(0)
	v_mad_i64_i32 v[12:13], s[34:35], v140, s30, 0
	v_lshl_add_u64 v[8:9], v[12:13], 3, v[8:9]
	global_load_dwordx2 v[8:9], v[8:9], off
	s_waitcnt vmcnt(0)
	v_mul_f64 v[134:135], s[18:19], v[8:9]
.LBB183_22:
	s_or_b64 exec, exec, s[24:25]
	v_lshlrev_b32_e32 v8, 5, v138
	v_lshl_add_u32 v149, v146, 3, v8
	ds_write2st64_b64 v149, v[2:3], v[0:1] offset1:4
	v_lshlrev_b32_e32 v0, 3, v147
	v_lshl_or_b32 v142, v10, 5, v0
	v_lshlrev_b32_e32 v141, 5, v145
	v_add_u32_e32 v150, 0x2000, v142
	ds_write2st64_b64 v142, v[6:7], v[4:5] offset0:16 offset1:20
	v_lshlrev_b32_e32 v151, 5, v144
	v_add_u32_e32 v152, 0x2000, v141
	v_mov_b64_e32 v[126:127], 0
	s_mov_b32 s24, 0
	v_mov_b64_e32 v[124:125], 0
	v_mov_b64_e32 v[122:123], 0
	;; [unrolled: 1-line block ×63, first 2 shown]
	s_waitcnt lgkmcnt(0)
	s_barrier
.LBB183_23:                             ; =>This Inner Loop Header: Depth=1
	v_add_u32_e32 v143, s24, v151
	v_add_u32_e32 v148, s24, v152
	ds_read2_b64 v[154:157], v143 offset1:16
	ds_read2_b64 v[158:161], v143 offset0:32 offset1:48
	ds_read2_b64 v[162:165], v143 offset0:64 offset1:80
	;; [unrolled: 1-line block ×7, first 2 shown]
	ds_read2st64_b64 v[186:189], v148 offset1:4
	v_add_u32_e32 v143, 0x800, v143
	ds_read2_b64 v[190:193], v143 offset1:16
	ds_read2_b64 v[194:197], v143 offset0:32 offset1:48
	ds_read2_b64 v[198:201], v143 offset0:64 offset1:80
	;; [unrolled: 1-line block ×7, first 2 shown]
	s_waitcnt lgkmcnt(14)
	v_max_f64 v[154:155], v[154:155], v[154:155]
	v_max_f64 v[156:157], v[156:157], v[156:157]
	;; [unrolled: 1-line block ×6, first 2 shown]
	s_waitcnt lgkmcnt(13)
	v_max_f64 v[166:167], v[166:167], v[166:167]
	v_max_f64 v[168:169], v[168:169], v[168:169]
	s_waitcnt lgkmcnt(12)
	v_max_f64 v[170:171], v[170:171], v[170:171]
	v_max_f64 v[172:173], v[172:173], v[172:173]
	;; [unrolled: 3-line block ×14, first 2 shown]
	v_min_f64 v[222:223], v[154:155], v[186:187]
	v_min_f64 v[224:225], v[156:157], v[186:187]
	;; [unrolled: 1-line block ×32, first 2 shown]
	s_add_i32 s24, s24, 8
	v_add_f64 v[62:63], v[62:63], v[154:155]
	v_add_f64 v[60:61], v[60:61], v[156:157]
	;; [unrolled: 1-line block ×16, first 2 shown]
	v_min_f64 v[154:155], v[190:191], v[186:187]
	v_min_f64 v[156:157], v[192:193], v[186:187]
	;; [unrolled: 1-line block ×32, first 2 shown]
	s_cmp_eq_u32 s24, 32
	v_add_f64 v[126:127], v[126:127], v[222:223]
	v_add_f64 v[124:125], v[124:125], v[224:225]
	;; [unrolled: 1-line block ×48, first 2 shown]
	s_cbranch_scc0 .LBB183_23
; %bb.24:
	v_lshlrev_b32_e32 v143, 3, v146
	v_lshl_add_u32 v138, v138, 5, v143
	s_cmp_gt_i32 s74, 8
	ds_write2st64_b64 v138, v[132:133], v[130:131] offset0:8 offset1:12
	ds_write2st64_b64 v142, v[136:137], v[134:135] offset0:24 offset1:28
	s_waitcnt lgkmcnt(0)
	s_barrier
	s_cbranch_scc1 .LBB183_26
; %bb.25:
	v_add_u32_e32 v148, 0x3000, v141
	s_cbranch_execz .LBB183_27
	s_branch .LBB183_49
.LBB183_26:
                                        ; implicit-def: $vgpr148
.LBB183_27:
	v_mov_b32_e32 v134, 0x1000
	v_or_b32_e32 v153, 0x1000, v138
	v_add_u32_e32 v154, 0x3000, v142
	s_add_i32 s29, s74, -8
	s_or_b64 s[6:7], s[6:7], s[14:15]
	s_or_b64 s[8:9], s[8:9], s[14:15]
	v_mad_i64_i32 v[130:131], s[24:25], v139, s30, 0
	v_mad_i64_i32 v[132:133], s[24:25], v140, s30, 0
	v_lshl_add_u32 v155, v144, 5, v134
	v_add_u32_e32 v148, 0x3000, v141
	s_mov_b32 s30, 8
	s_mov_b32 s31, 0
.LBB183_28:                             ; =>This Loop Header: Depth=1
                                        ;     Child Loop BB183_37 Depth 2
                                        ;     Child Loop BB183_47 Depth 2
	v_add_u32_e32 v134, s30, v146
	v_cmp_le_i32_e32 vcc, s74, v134
	v_min_i32_e32 v134, s28, v134
	v_mad_i64_i32 v[134:135], s[24:25], v134, s27, 0
	v_lshl_add_u64 v[136:137], v[134:135], 3, s[22:23]
	s_or_b64 s[24:25], s[2:3], vcc
	s_nor_b64 s[34:35], s[14:15], s[24:25]
	v_mov_b64_e32 v[134:135], 0
	v_lshl_add_u64 v[138:139], v[128:129], 3, v[136:137]
	v_mov_b64_e32 v[136:137], 0
	s_and_saveexec_b64 s[24:25], s[34:35]
	s_cbranch_execz .LBB183_30
; %bb.29:                               ;   in Loop: Header=BB183_28 Depth=1
	global_load_dwordx2 v[136:137], v[138:139], off
	s_waitcnt vmcnt(0)
	v_mul_f64 v[136:137], s[18:19], v[136:137]
.LBB183_30:                             ;   in Loop: Header=BB183_28 Depth=1
	s_or_b64 exec, exec, s[24:25]
	s_or_b64 s[24:25], s[4:5], vcc
	s_nor_b64 s[34:35], s[14:15], s[24:25]
	s_and_saveexec_b64 s[24:25], s[34:35]
	s_cbranch_execz .LBB183_32
; %bb.31:                               ;   in Loop: Header=BB183_28 Depth=1
	global_load_dwordx2 v[134:135], v[138:139], off offset:512
	s_waitcnt vmcnt(0)
	v_mul_f64 v[134:135], s[18:19], v[134:135]
.LBB183_32:                             ;   in Loop: Header=BB183_28 Depth=1
	s_or_b64 exec, exec, s[24:25]
	v_or_b32_e32 v156, s30, v147
	v_min_i32_e32 v138, s28, v156
	v_cmp_le_i32_e32 vcc, s74, v156
	v_ashrrev_i32_e32 v139, 31, v138
	v_lshl_add_u64 v[142:143], v[138:139], 3, s[20:21]
	s_nor_b64 s[34:35], vcc, s[6:7]
	v_mov_b64_e32 v[138:139], 0
	v_mov_b64_e32 v[140:141], 0
	s_and_saveexec_b64 s[24:25], s[34:35]
	s_cbranch_execz .LBB183_34
; %bb.33:                               ;   in Loop: Header=BB183_28 Depth=1
	v_lshl_add_u64 v[140:141], v[130:131], 3, v[142:143]
	global_load_dwordx2 v[140:141], v[140:141], off
	s_waitcnt vmcnt(0)
	v_mul_f64 v[140:141], s[18:19], v[140:141]
.LBB183_34:                             ;   in Loop: Header=BB183_28 Depth=1
	s_or_b64 exec, exec, s[24:25]
	s_nor_b64 s[34:35], vcc, s[8:9]
	s_and_saveexec_b64 s[24:25], s[34:35]
	s_cbranch_execz .LBB183_36
; %bb.35:                               ;   in Loop: Header=BB183_28 Depth=1
	v_lshl_add_u64 v[138:139], v[132:133], 3, v[142:143]
	global_load_dwordx2 v[138:139], v[138:139], off
	s_waitcnt vmcnt(0)
	v_mul_f64 v[138:139], s[18:19], v[138:139]
.LBB183_36:                             ;   in Loop: Header=BB183_28 Depth=1
	s_or_b64 exec, exec, s[24:25]
	s_mov_b32 s24, 0
.LBB183_37:                             ;   Parent Loop BB183_28 Depth=1
                                        ; =>  This Inner Loop Header: Depth=2
	v_add_u32_e32 v142, s24, v155
	ds_read2_b64 v[158:161], v142 offset1:16
	ds_read2_b64 v[162:165], v142 offset0:32 offset1:48
	ds_read2_b64 v[166:169], v142 offset0:64 offset1:80
	;; [unrolled: 1-line block ×7, first 2 shown]
	v_add_u32_e32 v142, 0x800, v142
	ds_read2_b64 v[190:193], v142 offset1:16
	ds_read2_b64 v[194:197], v142 offset0:32 offset1:48
	ds_read2_b64 v[198:201], v142 offset0:64 offset1:80
	;; [unrolled: 1-line block ×7, first 2 shown]
	v_add_u32_e32 v142, s24, v148
	ds_read2st64_b64 v[222:225], v142 offset1:4
	s_waitcnt lgkmcnt(14)
	v_max_f64 v[158:159], v[158:159], v[158:159]
	v_max_f64 v[160:161], v[160:161], v[160:161]
	;; [unrolled: 1-line block ×4, first 2 shown]
	s_waitcnt lgkmcnt(0)
	v_max_f64 v[142:143], v[222:223], v[222:223]
	v_min_f64 v[222:223], v[158:159], v[142:143]
	v_add_f64 v[126:127], v[126:127], v[222:223]
	v_min_f64 v[222:223], v[160:161], v[142:143]
	v_add_f64 v[124:125], v[124:125], v[222:223]
	;; [unrolled: 2-line block ×3, first 2 shown]
	v_min_f64 v[222:223], v[164:165], v[142:143]
	v_max_f64 v[166:167], v[166:167], v[166:167]
	v_add_f64 v[120:121], v[120:121], v[222:223]
	v_min_f64 v[222:223], v[166:167], v[142:143]
	v_max_f64 v[168:169], v[168:169], v[168:169]
	v_add_f64 v[118:119], v[118:119], v[222:223]
	v_min_f64 v[222:223], v[168:169], v[142:143]
	v_max_f64 v[170:171], v[170:171], v[170:171]
	v_add_f64 v[116:117], v[116:117], v[222:223]
	v_min_f64 v[222:223], v[170:171], v[142:143]
	v_max_f64 v[172:173], v[172:173], v[172:173]
	v_add_f64 v[114:115], v[114:115], v[222:223]
	v_min_f64 v[222:223], v[172:173], v[142:143]
	v_max_f64 v[174:175], v[174:175], v[174:175]
	v_add_f64 v[112:113], v[112:113], v[222:223]
	v_min_f64 v[222:223], v[174:175], v[142:143]
	v_max_f64 v[176:177], v[176:177], v[176:177]
	v_add_f64 v[110:111], v[110:111], v[222:223]
	v_min_f64 v[222:223], v[176:177], v[142:143]
	v_max_f64 v[178:179], v[178:179], v[178:179]
	v_add_f64 v[108:109], v[108:109], v[222:223]
	v_min_f64 v[222:223], v[178:179], v[142:143]
	v_max_f64 v[180:181], v[180:181], v[180:181]
	v_add_f64 v[106:107], v[106:107], v[222:223]
	v_min_f64 v[222:223], v[180:181], v[142:143]
	v_max_f64 v[182:183], v[182:183], v[182:183]
	v_add_f64 v[104:105], v[104:105], v[222:223]
	v_min_f64 v[222:223], v[182:183], v[142:143]
	v_max_f64 v[184:185], v[184:185], v[184:185]
	v_add_f64 v[102:103], v[102:103], v[222:223]
	v_min_f64 v[222:223], v[184:185], v[142:143]
	v_max_f64 v[186:187], v[186:187], v[186:187]
	v_add_f64 v[100:101], v[100:101], v[222:223]
	v_min_f64 v[222:223], v[186:187], v[142:143]
	v_max_f64 v[188:189], v[188:189], v[188:189]
	v_add_f64 v[98:99], v[98:99], v[222:223]
	v_min_f64 v[222:223], v[188:189], v[142:143]
	v_max_f64 v[190:191], v[190:191], v[190:191]
	v_add_f64 v[96:97], v[96:97], v[222:223]
	v_min_f64 v[222:223], v[190:191], v[142:143]
	v_max_f64 v[192:193], v[192:193], v[192:193]
	v_add_f64 v[94:95], v[94:95], v[222:223]
	v_min_f64 v[222:223], v[192:193], v[142:143]
	v_max_f64 v[194:195], v[194:195], v[194:195]
	v_add_f64 v[92:93], v[92:93], v[222:223]
	v_min_f64 v[222:223], v[194:195], v[142:143]
	v_max_f64 v[196:197], v[196:197], v[196:197]
	v_add_f64 v[90:91], v[90:91], v[222:223]
	v_min_f64 v[222:223], v[196:197], v[142:143]
	v_max_f64 v[198:199], v[198:199], v[198:199]
	v_add_f64 v[88:89], v[88:89], v[222:223]
	v_min_f64 v[222:223], v[198:199], v[142:143]
	v_max_f64 v[200:201], v[200:201], v[200:201]
	v_add_f64 v[86:87], v[86:87], v[222:223]
	v_min_f64 v[222:223], v[200:201], v[142:143]
	v_max_f64 v[202:203], v[202:203], v[202:203]
	v_add_f64 v[84:85], v[84:85], v[222:223]
	v_min_f64 v[222:223], v[202:203], v[142:143]
	v_max_f64 v[204:205], v[204:205], v[204:205]
	v_add_f64 v[82:83], v[82:83], v[222:223]
	v_min_f64 v[222:223], v[204:205], v[142:143]
	v_max_f64 v[206:207], v[206:207], v[206:207]
	v_add_f64 v[80:81], v[80:81], v[222:223]
	v_min_f64 v[222:223], v[206:207], v[142:143]
	v_max_f64 v[208:209], v[208:209], v[208:209]
	v_add_f64 v[78:79], v[78:79], v[222:223]
	v_min_f64 v[222:223], v[208:209], v[142:143]
	v_max_f64 v[210:211], v[210:211], v[210:211]
	v_add_f64 v[76:77], v[76:77], v[222:223]
	v_min_f64 v[222:223], v[210:211], v[142:143]
	v_max_f64 v[212:213], v[212:213], v[212:213]
	v_add_f64 v[74:75], v[74:75], v[222:223]
	v_min_f64 v[222:223], v[212:213], v[142:143]
	v_max_f64 v[214:215], v[214:215], v[214:215]
	v_add_f64 v[72:73], v[72:73], v[222:223]
	v_min_f64 v[222:223], v[214:215], v[142:143]
	v_max_f64 v[216:217], v[216:217], v[216:217]
	v_add_f64 v[70:71], v[70:71], v[222:223]
	v_min_f64 v[222:223], v[216:217], v[142:143]
	v_max_f64 v[218:219], v[218:219], v[218:219]
	v_max_f64 v[220:221], v[220:221], v[220:221]
	v_add_f64 v[68:69], v[68:69], v[222:223]
	v_min_f64 v[222:223], v[218:219], v[142:143]
	v_min_f64 v[142:143], v[220:221], v[142:143]
	v_add_f64 v[64:65], v[64:65], v[142:143]
	v_max_f64 v[142:143], v[224:225], v[224:225]
	v_min_f64 v[158:159], v[158:159], v[142:143]
	v_add_f64 v[62:63], v[62:63], v[158:159]
	v_min_f64 v[158:159], v[160:161], v[142:143]
	v_add_f64 v[60:61], v[60:61], v[158:159]
	;; [unrolled: 2-line block ×30, first 2 shown]
	v_min_f64 v[158:159], v[218:219], v[142:143]
	v_min_f64 v[142:143], v[220:221], v[142:143]
	s_add_i32 s24, s24, 8
	v_add_f64 v[66:67], v[66:67], v[222:223]
	v_add_f64 v[2:3], v[2:3], v[158:159]
	;; [unrolled: 1-line block ×3, first 2 shown]
	s_cmp_eq_u32 s24, 32
	s_cbranch_scc0 .LBB183_37
; %bb.38:                               ;   in Loop: Header=BB183_28 Depth=1
	ds_write2st64_b64 v149, v[136:137], v[134:135] offset1:4
	ds_write2st64_b64 v150, v[140:141], v[138:139] offset1:4
	v_add3_u32 v134, v146, s30, 4
	v_cmp_le_i32_e32 vcc, s74, v134
	v_min_i32_e32 v134, s28, v134
	v_mad_i64_i32 v[134:135], s[24:25], v134, s27, 0
	v_lshl_add_u64 v[136:137], v[134:135], 3, s[22:23]
	s_or_b64 s[24:25], s[2:3], vcc
	s_nor_b64 s[34:35], s[14:15], s[24:25]
	v_mov_b64_e32 v[134:135], 0
	v_lshl_add_u64 v[138:139], v[128:129], 3, v[136:137]
	v_mov_b64_e32 v[136:137], 0
	s_waitcnt lgkmcnt(0)
	s_barrier
	s_and_saveexec_b64 s[24:25], s[34:35]
	s_cbranch_execz .LBB183_40
; %bb.39:                               ;   in Loop: Header=BB183_28 Depth=1
	global_load_dwordx2 v[136:137], v[138:139], off
	s_waitcnt vmcnt(0)
	v_mul_f64 v[136:137], s[18:19], v[136:137]
.LBB183_40:                             ;   in Loop: Header=BB183_28 Depth=1
	s_or_b64 exec, exec, s[24:25]
	s_or_b64 s[24:25], s[4:5], vcc
	s_nor_b64 s[34:35], s[14:15], s[24:25]
	s_and_saveexec_b64 s[24:25], s[34:35]
	s_cbranch_execz .LBB183_42
; %bb.41:                               ;   in Loop: Header=BB183_28 Depth=1
	global_load_dwordx2 v[134:135], v[138:139], off offset:512
	s_waitcnt vmcnt(0)
	v_mul_f64 v[134:135], s[18:19], v[134:135]
.LBB183_42:                             ;   in Loop: Header=BB183_28 Depth=1
	s_or_b64 exec, exec, s[24:25]
	v_or_b32_e32 v138, 4, v156
	v_cmp_le_i32_e32 vcc, s74, v138
	v_min_i32_e32 v138, s28, v138
	v_ashrrev_i32_e32 v139, 31, v138
	v_lshl_add_u64 v[142:143], v[138:139], 3, s[20:21]
	s_nor_b64 s[34:35], vcc, s[6:7]
	v_mov_b64_e32 v[138:139], 0
	v_mov_b64_e32 v[140:141], 0
	s_and_saveexec_b64 s[24:25], s[34:35]
	s_cbranch_execz .LBB183_44
; %bb.43:                               ;   in Loop: Header=BB183_28 Depth=1
	v_lshl_add_u64 v[140:141], v[130:131], 3, v[142:143]
	global_load_dwordx2 v[140:141], v[140:141], off
	s_waitcnt vmcnt(0)
	v_mul_f64 v[140:141], s[18:19], v[140:141]
.LBB183_44:                             ;   in Loop: Header=BB183_28 Depth=1
	s_or_b64 exec, exec, s[24:25]
	s_nor_b64 s[34:35], vcc, s[8:9]
	s_and_saveexec_b64 s[24:25], s[34:35]
	s_cbranch_execz .LBB183_46
; %bb.45:                               ;   in Loop: Header=BB183_28 Depth=1
	v_lshl_add_u64 v[138:139], v[132:133], 3, v[142:143]
	global_load_dwordx2 v[138:139], v[138:139], off
	s_waitcnt vmcnt(0)
	v_mul_f64 v[138:139], s[18:19], v[138:139]
.LBB183_46:                             ;   in Loop: Header=BB183_28 Depth=1
	s_or_b64 exec, exec, s[24:25]
	s_mov_b32 s24, 0
.LBB183_47:                             ;   Parent Loop BB183_28 Depth=1
                                        ; =>  This Inner Loop Header: Depth=2
	v_add_u32_e32 v142, s24, v151
	v_add_u32_e32 v143, s24, v152
	ds_read2_b64 v[156:159], v142 offset1:16
	ds_read2_b64 v[160:163], v142 offset0:32 offset1:48
	ds_read2_b64 v[164:167], v142 offset0:64 offset1:80
	ds_read2_b64 v[168:171], v142 offset0:96 offset1:112
	ds_read2_b64 v[172:175], v142 offset0:128 offset1:144
	ds_read2_b64 v[176:179], v142 offset0:160 offset1:176
	ds_read2_b64 v[180:183], v142 offset0:192 offset1:208
	ds_read2_b64 v[184:187], v142 offset0:224 offset1:240
	v_add_u32_e32 v142, 0x800, v142
	ds_read2st64_b64 v[188:191], v143 offset1:4
	ds_read2_b64 v[192:195], v142 offset1:16
	ds_read2_b64 v[196:199], v142 offset0:32 offset1:48
	ds_read2_b64 v[200:203], v142 offset0:64 offset1:80
	ds_read2_b64 v[204:207], v142 offset0:96 offset1:112
	ds_read2_b64 v[208:211], v142 offset0:128 offset1:144
	ds_read2_b64 v[212:215], v142 offset0:160 offset1:176
	ds_read2_b64 v[216:219], v142 offset0:192 offset1:208
	ds_read2_b64 v[220:223], v142 offset0:224 offset1:240
	s_waitcnt lgkmcnt(14)
	v_max_f64 v[156:157], v[156:157], v[156:157]
	v_max_f64 v[158:159], v[158:159], v[158:159]
	;; [unrolled: 1-line block ×3, first 2 shown]
	s_waitcnt lgkmcnt(8)
	v_max_f64 v[142:143], v[188:189], v[188:189]
	v_max_f64 v[162:163], v[162:163], v[162:163]
	;; [unrolled: 1-line block ×15, first 2 shown]
	v_min_f64 v[190:191], v[156:157], v[142:143]
	v_min_f64 v[224:225], v[158:159], v[142:143]
	;; [unrolled: 1-line block ×16, first 2 shown]
	s_waitcnt lgkmcnt(7)
	v_max_f64 v[192:193], v[192:193], v[192:193]
	v_max_f64 v[194:195], v[194:195], v[194:195]
	s_waitcnt lgkmcnt(6)
	v_max_f64 v[196:197], v[196:197], v[196:197]
	v_max_f64 v[198:199], v[198:199], v[198:199]
	;; [unrolled: 3-line block ×8, first 2 shown]
	v_min_f64 v[156:157], v[156:157], v[188:189]
	v_min_f64 v[158:159], v[158:159], v[188:189]
	;; [unrolled: 1-line block ×16, first 2 shown]
	s_add_i32 s24, s24, 8
	v_add_f64 v[126:127], v[126:127], v[190:191]
	v_add_f64 v[124:125], v[124:125], v[224:225]
	;; [unrolled: 1-line block ×15, first 2 shown]
	v_min_f64 v[190:191], v[192:193], v[142:143]
	v_min_f64 v[224:225], v[194:195], v[142:143]
	;; [unrolled: 1-line block ×16, first 2 shown]
	v_add_f64 v[62:63], v[62:63], v[156:157]
	v_add_f64 v[60:61], v[60:61], v[158:159]
	;; [unrolled: 1-line block ×16, first 2 shown]
	v_min_f64 v[156:157], v[192:193], v[188:189]
	v_min_f64 v[158:159], v[194:195], v[188:189]
	v_min_f64 v[160:161], v[196:197], v[188:189]
	v_min_f64 v[162:163], v[198:199], v[188:189]
	v_min_f64 v[164:165], v[200:201], v[188:189]
	v_min_f64 v[166:167], v[202:203], v[188:189]
	v_min_f64 v[168:169], v[204:205], v[188:189]
	v_min_f64 v[170:171], v[206:207], v[188:189]
	v_min_f64 v[172:173], v[208:209], v[188:189]
	v_min_f64 v[174:175], v[210:211], v[188:189]
	v_min_f64 v[176:177], v[212:213], v[188:189]
	v_min_f64 v[178:179], v[214:215], v[188:189]
	v_min_f64 v[180:181], v[216:217], v[188:189]
	v_min_f64 v[182:183], v[218:219], v[188:189]
	v_min_f64 v[184:185], v[220:221], v[188:189]
	v_min_f64 v[186:187], v[222:223], v[188:189]
	s_cmp_eq_u32 s24, 32
	v_add_f64 v[96:97], v[96:97], v[252:253]
	v_add_f64 v[94:95], v[94:95], v[190:191]
	;; [unrolled: 1-line block ×33, first 2 shown]
	s_cbranch_scc0 .LBB183_47
; %bb.48:                               ;   in Loop: Header=BB183_28 Depth=1
	s_add_i32 s30, s30, 8
	s_add_i32 s31, s31, 8
	s_cmp_ge_i32 s31, s29
	ds_write2st64_b64 v153, v[136:137], v[134:135] offset1:4
	ds_write2st64_b64 v154, v[140:141], v[138:139] offset1:4
	s_waitcnt lgkmcnt(0)
	s_barrier
	s_cbranch_scc0 .LBB183_28
.LBB183_49:
	v_mov_b32_e32 v128, 0x1000
	v_lshl_add_u32 v128, v144, 5, v128
	s_mov_b32 s2, 0
.LBB183_50:                             ; =>This Inner Loop Header: Depth=1
	v_add_u32_e32 v129, s2, v128
	v_add_u32_e32 v142, s2, v148
	ds_read2_b64 v[130:133], v129 offset1:16
	ds_read2_b64 v[134:137], v129 offset0:32 offset1:48
	ds_read2_b64 v[138:141], v129 offset0:64 offset1:80
	;; [unrolled: 1-line block ×7, first 2 shown]
	v_add_u32_e32 v129, 0x800, v129
	ds_read2st64_b64 v[170:173], v142 offset1:4
	ds_read2_b64 v[174:177], v129 offset1:16
	ds_read2_b64 v[178:181], v129 offset0:32 offset1:48
	ds_read2_b64 v[182:185], v129 offset0:64 offset1:80
	;; [unrolled: 1-line block ×7, first 2 shown]
	s_waitcnt lgkmcnt(14)
	v_max_f64 v[130:131], v[130:131], v[130:131]
	v_max_f64 v[132:133], v[132:133], v[132:133]
	;; [unrolled: 1-line block ×3, first 2 shown]
	s_waitcnt lgkmcnt(8)
	v_max_f64 v[142:143], v[170:171], v[170:171]
	v_max_f64 v[136:137], v[136:137], v[136:137]
	;; [unrolled: 1-line block ×15, first 2 shown]
	v_min_f64 v[170:171], v[130:131], v[142:143]
	v_min_f64 v[172:173], v[132:133], v[142:143]
	;; [unrolled: 1-line block ×16, first 2 shown]
	s_waitcnt lgkmcnt(7)
	v_max_f64 v[174:175], v[174:175], v[174:175]
	v_max_f64 v[176:177], v[176:177], v[176:177]
	s_waitcnt lgkmcnt(6)
	v_max_f64 v[178:179], v[178:179], v[178:179]
	v_max_f64 v[180:181], v[180:181], v[180:181]
	;; [unrolled: 3-line block ×8, first 2 shown]
	v_min_f64 v[130:131], v[130:131], v[168:169]
	v_min_f64 v[132:133], v[132:133], v[168:169]
	;; [unrolled: 1-line block ×16, first 2 shown]
	s_add_i32 s2, s2, 8
	v_add_f64 v[126:127], v[126:127], v[170:171]
	v_add_f64 v[124:125], v[124:125], v[172:173]
	;; [unrolled: 1-line block ×15, first 2 shown]
	v_min_f64 v[170:171], v[174:175], v[142:143]
	v_min_f64 v[172:173], v[176:177], v[142:143]
	;; [unrolled: 1-line block ×16, first 2 shown]
	v_add_f64 v[62:63], v[62:63], v[130:131]
	v_add_f64 v[60:61], v[60:61], v[132:133]
	;; [unrolled: 1-line block ×16, first 2 shown]
	v_min_f64 v[130:131], v[174:175], v[168:169]
	v_min_f64 v[132:133], v[176:177], v[168:169]
	;; [unrolled: 1-line block ×16, first 2 shown]
	s_cmp_eq_u32 s2, 32
	v_add_f64 v[96:97], v[96:97], v[232:233]
	v_add_f64 v[94:95], v[94:95], v[170:171]
	;; [unrolled: 1-line block ×33, first 2 shown]
	s_cbranch_scc0 .LBB183_50
; %bb.51:
	s_load_dwordx2 s[2:3], s[0:1], 0x78
	s_load_dword s78, s[0:1], 0x58
	s_load_dword s33, s[0:1], 0x70
	v_add_u32_e32 v136, s26, v145
	v_add_u32_e32 v128, s17, v144
	s_waitcnt lgkmcnt(0)
	s_mul_i32 s1, s3, s16
	s_mul_hi_u32 s3, s2, s16
	s_mul_i32 s0, s2, s16
	s_add_i32 s1, s3, s1
	s_lshl_b64 s[0:1], s[0:1], 3
	s_add_u32 s74, s10, s0
	s_addc_u32 s75, s11, s1
	v_mad_i64_i32 v[130:131], s[0:1], v136, s78, 0
	v_cmp_gt_i32_e64 s[24:25], s73, v136
	v_lshl_add_u64 v[132:133], v[130:131], 3, s[76:77]
	v_mad_i64_i32 v[130:131], s[0:1], v136, s33, 0
	v_cmp_gt_i32_e64 s[2:3], s72, v128
	v_cndmask_b32_e64 v134, 0, 1, s[12:13]
	v_lshl_add_u64 v[130:131], v[130:131], 3, s[74:75]
	s_and_b64 s[6:7], s[24:25], s[2:3]
	v_ashrrev_i32_e32 v129, 31, v128
	v_cmp_ne_u32_e64 s[0:1], 1, v134
	s_and_saveexec_b64 s[4:5], s[6:7]
	s_cbranch_execz .LBB183_56
; %bb.52:
	s_and_b64 vcc, exec, s[0:1]
	s_cbranch_vccnz .LBB183_54
; %bb.53:
	v_lshl_add_u64 v[134:135], v[128:129], 3, v[132:133]
	global_load_dwordx2 v[134:135], v[134:135], off
	s_waitcnt vmcnt(0)
	v_mul_f64 v[134:135], s[70:71], v[134:135]
	s_branch .LBB183_55
.LBB183_54:
	v_mov_b64_e32 v[134:135], 0
.LBB183_55:
	v_add_f64 v[126:127], v[126:127], v[134:135]
	v_lshl_add_u64 v[134:135], v[128:129], 3, v[130:131]
	global_store_dwordx2 v[134:135], v[126:127], off
.LBB183_56:
	s_or_b64 exec, exec, s[4:5]
	v_add_u32_e32 v126, 4, v128
	v_cmp_gt_i32_e64 s[4:5], s72, v126
	s_and_b64 s[8:9], s[24:25], s[4:5]
	v_ashrrev_i32_e32 v127, 31, v126
	s_and_saveexec_b64 s[6:7], s[8:9]
	s_cbranch_execz .LBB183_61
; %bb.57:
	s_and_b64 vcc, exec, s[0:1]
	s_cbranch_vccnz .LBB183_59
; %bb.58:
	v_lshl_add_u64 v[134:135], v[126:127], 3, v[132:133]
	global_load_dwordx2 v[134:135], v[134:135], off
	s_waitcnt vmcnt(0)
	v_mul_f64 v[134:135], s[70:71], v[134:135]
	s_branch .LBB183_60
.LBB183_59:
	v_mov_b64_e32 v[134:135], 0
.LBB183_60:
	v_add_f64 v[124:125], v[124:125], v[134:135]
	v_lshl_add_u64 v[134:135], v[126:127], 3, v[130:131]
	global_store_dwordx2 v[134:135], v[124:125], off
.LBB183_61:
	s_or_b64 exec, exec, s[6:7]
	v_add_u32_e32 v124, 8, v128
	v_cmp_gt_i32_e64 s[6:7], s72, v124
	s_and_b64 s[10:11], s[24:25], s[6:7]
	v_ashrrev_i32_e32 v125, 31, v124
	;; [unrolled: 23-line block ×31, first 2 shown]
	s_and_saveexec_b64 s[24:25], s[80:81]
	s_cbranch_execz .LBB183_211
; %bb.207:
	s_and_b64 vcc, exec, s[0:1]
	s_cbranch_vccnz .LBB183_209
; %bb.208:
	v_lshl_add_u64 v[132:133], v[66:67], 3, v[132:133]
	global_load_dwordx2 v[132:133], v[132:133], off
	s_waitcnt vmcnt(0)
	v_mul_f64 v[132:133], s[70:71], v[132:133]
	s_branch .LBB183_210
.LBB183_209:
	v_mov_b64_e32 v[132:133], 0
.LBB183_210:
	v_add_f64 v[64:65], v[64:65], v[132:133]
	v_lshl_add_u64 v[130:131], v[66:67], 3, v[130:131]
	global_store_dwordx2 v[130:131], v[64:65], off
.LBB183_211:
	s_or_b64 exec, exec, s[24:25]
	v_add_u32_e32 v132, 64, v136
	v_cmp_gt_i32_e64 s[24:25], s73, v132
	v_mad_i64_i32 v[64:65], s[72:73], v132, s78, 0
	v_lshl_add_u64 v[130:131], v[64:65], 3, s[76:77]
	v_mad_i64_i32 v[64:65], s[72:73], v132, s33, 0
	v_lshl_add_u64 v[64:65], v[64:65], 3, s[74:75]
	s_and_b64 s[2:3], s[24:25], s[2:3]
	s_and_saveexec_b64 s[72:73], s[2:3]
	s_xor_b64 s[2:3], exec, s[72:73]
	s_cbranch_execnz .LBB183_244
; %bb.212:
	s_or_b64 exec, exec, s[2:3]
	s_and_b64 s[4:5], s[24:25], s[4:5]
	s_and_saveexec_b64 s[2:3], s[4:5]
	s_cbranch_execnz .LBB183_248
.LBB183_213:
	s_or_b64 exec, exec, s[2:3]
	s_and_b64 s[4:5], s[24:25], s[6:7]
	s_and_saveexec_b64 s[2:3], s[4:5]
	s_cbranch_execnz .LBB183_252
.LBB183_214:
	s_or_b64 exec, exec, s[2:3]
	s_and_b64 s[4:5], s[24:25], s[8:9]
	s_and_saveexec_b64 s[2:3], s[4:5]
	s_cbranch_execnz .LBB183_256
.LBB183_215:
	s_or_b64 exec, exec, s[2:3]
	s_and_b64 s[4:5], s[24:25], s[10:11]
	s_and_saveexec_b64 s[2:3], s[4:5]
	s_cbranch_execnz .LBB183_260
.LBB183_216:
	s_or_b64 exec, exec, s[2:3]
	s_and_b64 s[4:5], s[24:25], s[12:13]
	s_and_saveexec_b64 s[2:3], s[4:5]
	s_cbranch_execnz .LBB183_264
.LBB183_217:
	s_or_b64 exec, exec, s[2:3]
	s_and_b64 s[4:5], s[24:25], s[14:15]
	s_and_saveexec_b64 s[2:3], s[4:5]
	s_cbranch_execnz .LBB183_268
.LBB183_218:
	s_or_b64 exec, exec, s[2:3]
	s_and_b64 s[4:5], s[24:25], s[16:17]
	s_and_saveexec_b64 s[2:3], s[4:5]
	s_cbranch_execnz .LBB183_272
.LBB183_219:
	s_or_b64 exec, exec, s[2:3]
	s_and_b64 s[4:5], s[24:25], s[18:19]
	s_and_saveexec_b64 s[2:3], s[4:5]
	s_cbranch_execnz .LBB183_276
.LBB183_220:
	s_or_b64 exec, exec, s[2:3]
	s_and_b64 s[4:5], s[24:25], s[20:21]
	s_and_saveexec_b64 s[2:3], s[4:5]
	s_cbranch_execnz .LBB183_280
.LBB183_221:
	s_or_b64 exec, exec, s[2:3]
	s_and_b64 s[4:5], s[24:25], s[22:23]
	s_and_saveexec_b64 s[2:3], s[4:5]
	s_cbranch_execnz .LBB183_284
.LBB183_222:
	s_or_b64 exec, exec, s[2:3]
	s_and_b64 s[4:5], s[24:25], s[26:27]
	s_and_saveexec_b64 s[2:3], s[4:5]
	s_cbranch_execnz .LBB183_288
.LBB183_223:
	s_or_b64 exec, exec, s[2:3]
	s_and_b64 s[4:5], s[24:25], s[28:29]
	s_and_saveexec_b64 s[2:3], s[4:5]
	s_cbranch_execnz .LBB183_292
.LBB183_224:
	s_or_b64 exec, exec, s[2:3]
	s_and_b64 s[4:5], s[24:25], s[30:31]
	s_and_saveexec_b64 s[2:3], s[4:5]
	s_cbranch_execnz .LBB183_296
.LBB183_225:
	s_or_b64 exec, exec, s[2:3]
	s_and_b64 s[4:5], s[24:25], s[34:35]
	s_and_saveexec_b64 s[2:3], s[4:5]
	s_cbranch_execnz .LBB183_300
.LBB183_226:
	s_or_b64 exec, exec, s[2:3]
	s_and_b64 s[4:5], s[24:25], s[36:37]
	s_and_saveexec_b64 s[2:3], s[4:5]
	s_cbranch_execnz .LBB183_304
.LBB183_227:
	s_or_b64 exec, exec, s[2:3]
	s_and_b64 s[4:5], s[24:25], s[38:39]
	s_and_saveexec_b64 s[2:3], s[4:5]
	s_cbranch_execnz .LBB183_308
.LBB183_228:
	s_or_b64 exec, exec, s[2:3]
	s_and_b64 s[4:5], s[24:25], s[40:41]
	s_and_saveexec_b64 s[2:3], s[4:5]
	s_cbranch_execnz .LBB183_312
.LBB183_229:
	s_or_b64 exec, exec, s[2:3]
	s_and_b64 s[4:5], s[24:25], s[42:43]
	s_and_saveexec_b64 s[2:3], s[4:5]
	s_cbranch_execnz .LBB183_316
.LBB183_230:
	s_or_b64 exec, exec, s[2:3]
	s_and_b64 s[4:5], s[24:25], s[44:45]
	s_and_saveexec_b64 s[2:3], s[4:5]
	s_cbranch_execnz .LBB183_320
.LBB183_231:
	s_or_b64 exec, exec, s[2:3]
	s_and_b64 s[4:5], s[24:25], s[46:47]
	s_and_saveexec_b64 s[2:3], s[4:5]
	s_cbranch_execnz .LBB183_324
.LBB183_232:
	s_or_b64 exec, exec, s[2:3]
	s_and_b64 s[4:5], s[24:25], s[48:49]
	s_and_saveexec_b64 s[2:3], s[4:5]
	s_cbranch_execnz .LBB183_328
.LBB183_233:
	s_or_b64 exec, exec, s[2:3]
	s_and_b64 s[4:5], s[24:25], s[50:51]
	s_and_saveexec_b64 s[2:3], s[4:5]
	s_cbranch_execnz .LBB183_332
.LBB183_234:
	s_or_b64 exec, exec, s[2:3]
	s_and_b64 s[4:5], s[24:25], s[52:53]
	s_and_saveexec_b64 s[2:3], s[4:5]
	s_cbranch_execnz .LBB183_336
.LBB183_235:
	s_or_b64 exec, exec, s[2:3]
	s_and_b64 s[4:5], s[24:25], s[54:55]
	s_and_saveexec_b64 s[2:3], s[4:5]
	s_cbranch_execnz .LBB183_340
.LBB183_236:
	s_or_b64 exec, exec, s[2:3]
	s_and_b64 s[4:5], s[24:25], s[56:57]
	s_and_saveexec_b64 s[2:3], s[4:5]
	s_cbranch_execnz .LBB183_344
.LBB183_237:
	s_or_b64 exec, exec, s[2:3]
	s_and_b64 s[4:5], s[24:25], s[58:59]
	s_and_saveexec_b64 s[2:3], s[4:5]
	s_cbranch_execnz .LBB183_348
.LBB183_238:
	s_or_b64 exec, exec, s[2:3]
	s_and_b64 s[4:5], s[24:25], s[60:61]
	s_and_saveexec_b64 s[2:3], s[4:5]
	s_cbranch_execnz .LBB183_352
.LBB183_239:
	s_or_b64 exec, exec, s[2:3]
	s_and_b64 s[4:5], s[24:25], s[62:63]
	s_and_saveexec_b64 s[2:3], s[4:5]
	s_cbranch_execnz .LBB183_356
.LBB183_240:
	s_or_b64 exec, exec, s[2:3]
	s_and_b64 s[4:5], s[24:25], s[64:65]
	s_and_saveexec_b64 s[2:3], s[4:5]
	s_cbranch_execnz .LBB183_360
.LBB183_241:
	s_or_b64 exec, exec, s[2:3]
	s_and_b64 s[4:5], s[24:25], s[66:67]
	s_and_saveexec_b64 s[2:3], s[4:5]
	s_cbranch_execnz .LBB183_364
.LBB183_242:
	s_or_b64 exec, exec, s[2:3]
	s_and_b64 s[2:3], s[24:25], s[68:69]
	s_and_saveexec_b64 s[4:5], s[2:3]
	s_cbranch_execnz .LBB183_368
.LBB183_243:
	s_endpgm
.LBB183_244:
	s_and_b64 vcc, exec, s[0:1]
	s_cbranch_vccnz .LBB183_246
; %bb.245:
	v_lshl_add_u64 v[132:133], v[128:129], 3, v[130:131]
	global_load_dwordx2 v[132:133], v[132:133], off
	s_waitcnt vmcnt(0)
	v_mul_f64 v[132:133], s[70:71], v[132:133]
	s_branch .LBB183_247
.LBB183_246:
	v_mov_b64_e32 v[132:133], 0
.LBB183_247:
	v_add_f64 v[62:63], v[62:63], v[132:133]
	v_lshl_add_u64 v[128:129], v[128:129], 3, v[64:65]
	global_store_dwordx2 v[128:129], v[62:63], off
	s_or_b64 exec, exec, s[2:3]
	s_and_b64 s[4:5], s[24:25], s[4:5]
	s_and_saveexec_b64 s[2:3], s[4:5]
	s_cbranch_execz .LBB183_213
.LBB183_248:
	s_and_b64 vcc, exec, s[0:1]
	s_cbranch_vccnz .LBB183_250
; %bb.249:
	v_lshl_add_u64 v[62:63], v[126:127], 3, v[130:131]
	global_load_dwordx2 v[62:63], v[62:63], off
	s_waitcnt vmcnt(0)
	v_mul_f64 v[62:63], s[70:71], v[62:63]
	s_branch .LBB183_251
.LBB183_250:
	v_mov_b64_e32 v[62:63], 0
.LBB183_251:
	v_add_f64 v[60:61], v[60:61], v[62:63]
	v_lshl_add_u64 v[62:63], v[126:127], 3, v[64:65]
	global_store_dwordx2 v[62:63], v[60:61], off
	s_or_b64 exec, exec, s[2:3]
	s_and_b64 s[4:5], s[24:25], s[6:7]
	s_and_saveexec_b64 s[2:3], s[4:5]
	s_cbranch_execz .LBB183_214
.LBB183_252:
	s_and_b64 vcc, exec, s[0:1]
	s_cbranch_vccnz .LBB183_254
; %bb.253:
	v_lshl_add_u64 v[60:61], v[124:125], 3, v[130:131]
	global_load_dwordx2 v[60:61], v[60:61], off
	s_waitcnt vmcnt(0)
	v_mul_f64 v[60:61], s[70:71], v[60:61]
	s_branch .LBB183_255
.LBB183_254:
	v_mov_b64_e32 v[60:61], 0
.LBB183_255:
	v_add_f64 v[58:59], v[58:59], v[60:61]
	v_lshl_add_u64 v[60:61], v[124:125], 3, v[64:65]
	global_store_dwordx2 v[60:61], v[58:59], off
	s_or_b64 exec, exec, s[2:3]
	s_and_b64 s[4:5], s[24:25], s[8:9]
	s_and_saveexec_b64 s[2:3], s[4:5]
	s_cbranch_execz .LBB183_215
.LBB183_256:
	s_and_b64 vcc, exec, s[0:1]
	s_cbranch_vccnz .LBB183_258
; %bb.257:
	v_lshl_add_u64 v[58:59], v[122:123], 3, v[130:131]
	global_load_dwordx2 v[58:59], v[58:59], off
	s_waitcnt vmcnt(0)
	v_mul_f64 v[58:59], s[70:71], v[58:59]
	s_branch .LBB183_259
.LBB183_258:
	v_mov_b64_e32 v[58:59], 0
.LBB183_259:
	v_add_f64 v[56:57], v[56:57], v[58:59]
	v_lshl_add_u64 v[58:59], v[122:123], 3, v[64:65]
	global_store_dwordx2 v[58:59], v[56:57], off
	s_or_b64 exec, exec, s[2:3]
	s_and_b64 s[4:5], s[24:25], s[10:11]
	s_and_saveexec_b64 s[2:3], s[4:5]
	s_cbranch_execz .LBB183_216
.LBB183_260:
	s_and_b64 vcc, exec, s[0:1]
	s_cbranch_vccnz .LBB183_262
; %bb.261:
	v_lshl_add_u64 v[56:57], v[120:121], 3, v[130:131]
	global_load_dwordx2 v[56:57], v[56:57], off
	s_waitcnt vmcnt(0)
	v_mul_f64 v[56:57], s[70:71], v[56:57]
	s_branch .LBB183_263
.LBB183_262:
	v_mov_b64_e32 v[56:57], 0
.LBB183_263:
	v_add_f64 v[54:55], v[54:55], v[56:57]
	v_lshl_add_u64 v[56:57], v[120:121], 3, v[64:65]
	global_store_dwordx2 v[56:57], v[54:55], off
	s_or_b64 exec, exec, s[2:3]
	s_and_b64 s[4:5], s[24:25], s[12:13]
	s_and_saveexec_b64 s[2:3], s[4:5]
	s_cbranch_execz .LBB183_217
.LBB183_264:
	s_and_b64 vcc, exec, s[0:1]
	s_cbranch_vccnz .LBB183_266
; %bb.265:
	v_lshl_add_u64 v[54:55], v[118:119], 3, v[130:131]
	global_load_dwordx2 v[54:55], v[54:55], off
	s_waitcnt vmcnt(0)
	v_mul_f64 v[54:55], s[70:71], v[54:55]
	s_branch .LBB183_267
.LBB183_266:
	v_mov_b64_e32 v[54:55], 0
.LBB183_267:
	v_add_f64 v[52:53], v[52:53], v[54:55]
	v_lshl_add_u64 v[54:55], v[118:119], 3, v[64:65]
	global_store_dwordx2 v[54:55], v[52:53], off
	s_or_b64 exec, exec, s[2:3]
	s_and_b64 s[4:5], s[24:25], s[14:15]
	s_and_saveexec_b64 s[2:3], s[4:5]
	s_cbranch_execz .LBB183_218
.LBB183_268:
	s_and_b64 vcc, exec, s[0:1]
	s_cbranch_vccnz .LBB183_270
; %bb.269:
	v_lshl_add_u64 v[52:53], v[116:117], 3, v[130:131]
	global_load_dwordx2 v[52:53], v[52:53], off
	s_waitcnt vmcnt(0)
	v_mul_f64 v[52:53], s[70:71], v[52:53]
	s_branch .LBB183_271
.LBB183_270:
	v_mov_b64_e32 v[52:53], 0
.LBB183_271:
	v_add_f64 v[50:51], v[50:51], v[52:53]
	v_lshl_add_u64 v[52:53], v[116:117], 3, v[64:65]
	global_store_dwordx2 v[52:53], v[50:51], off
	s_or_b64 exec, exec, s[2:3]
	s_and_b64 s[4:5], s[24:25], s[16:17]
	s_and_saveexec_b64 s[2:3], s[4:5]
	s_cbranch_execz .LBB183_219
.LBB183_272:
	s_and_b64 vcc, exec, s[0:1]
	s_cbranch_vccnz .LBB183_274
; %bb.273:
	v_lshl_add_u64 v[50:51], v[114:115], 3, v[130:131]
	global_load_dwordx2 v[50:51], v[50:51], off
	s_waitcnt vmcnt(0)
	v_mul_f64 v[50:51], s[70:71], v[50:51]
	s_branch .LBB183_275
.LBB183_274:
	v_mov_b64_e32 v[50:51], 0
.LBB183_275:
	v_add_f64 v[48:49], v[48:49], v[50:51]
	v_lshl_add_u64 v[50:51], v[114:115], 3, v[64:65]
	global_store_dwordx2 v[50:51], v[48:49], off
	s_or_b64 exec, exec, s[2:3]
	s_and_b64 s[4:5], s[24:25], s[18:19]
	s_and_saveexec_b64 s[2:3], s[4:5]
	s_cbranch_execz .LBB183_220
.LBB183_276:
	s_and_b64 vcc, exec, s[0:1]
	s_cbranch_vccnz .LBB183_278
; %bb.277:
	v_lshl_add_u64 v[48:49], v[112:113], 3, v[130:131]
	global_load_dwordx2 v[48:49], v[48:49], off
	s_waitcnt vmcnt(0)
	v_mul_f64 v[48:49], s[70:71], v[48:49]
	s_branch .LBB183_279
.LBB183_278:
	v_mov_b64_e32 v[48:49], 0
.LBB183_279:
	v_add_f64 v[46:47], v[46:47], v[48:49]
	v_lshl_add_u64 v[48:49], v[112:113], 3, v[64:65]
	global_store_dwordx2 v[48:49], v[46:47], off
	s_or_b64 exec, exec, s[2:3]
	s_and_b64 s[4:5], s[24:25], s[20:21]
	s_and_saveexec_b64 s[2:3], s[4:5]
	s_cbranch_execz .LBB183_221
.LBB183_280:
	s_and_b64 vcc, exec, s[0:1]
	s_cbranch_vccnz .LBB183_282
; %bb.281:
	v_lshl_add_u64 v[46:47], v[110:111], 3, v[130:131]
	global_load_dwordx2 v[46:47], v[46:47], off
	s_waitcnt vmcnt(0)
	v_mul_f64 v[46:47], s[70:71], v[46:47]
	s_branch .LBB183_283
.LBB183_282:
	v_mov_b64_e32 v[46:47], 0
.LBB183_283:
	v_add_f64 v[44:45], v[44:45], v[46:47]
	v_lshl_add_u64 v[46:47], v[110:111], 3, v[64:65]
	global_store_dwordx2 v[46:47], v[44:45], off
	s_or_b64 exec, exec, s[2:3]
	s_and_b64 s[4:5], s[24:25], s[22:23]
	s_and_saveexec_b64 s[2:3], s[4:5]
	s_cbranch_execz .LBB183_222
.LBB183_284:
	s_and_b64 vcc, exec, s[0:1]
	s_cbranch_vccnz .LBB183_286
; %bb.285:
	v_lshl_add_u64 v[44:45], v[108:109], 3, v[130:131]
	global_load_dwordx2 v[44:45], v[44:45], off
	s_waitcnt vmcnt(0)
	v_mul_f64 v[44:45], s[70:71], v[44:45]
	s_branch .LBB183_287
.LBB183_286:
	v_mov_b64_e32 v[44:45], 0
.LBB183_287:
	v_add_f64 v[42:43], v[42:43], v[44:45]
	v_lshl_add_u64 v[44:45], v[108:109], 3, v[64:65]
	global_store_dwordx2 v[44:45], v[42:43], off
	s_or_b64 exec, exec, s[2:3]
	s_and_b64 s[4:5], s[24:25], s[26:27]
	s_and_saveexec_b64 s[2:3], s[4:5]
	s_cbranch_execz .LBB183_223
.LBB183_288:
	s_and_b64 vcc, exec, s[0:1]
	s_cbranch_vccnz .LBB183_290
; %bb.289:
	v_lshl_add_u64 v[42:43], v[106:107], 3, v[130:131]
	global_load_dwordx2 v[42:43], v[42:43], off
	s_waitcnt vmcnt(0)
	v_mul_f64 v[42:43], s[70:71], v[42:43]
	s_branch .LBB183_291
.LBB183_290:
	v_mov_b64_e32 v[42:43], 0
.LBB183_291:
	v_add_f64 v[40:41], v[40:41], v[42:43]
	v_lshl_add_u64 v[42:43], v[106:107], 3, v[64:65]
	global_store_dwordx2 v[42:43], v[40:41], off
	s_or_b64 exec, exec, s[2:3]
	s_and_b64 s[4:5], s[24:25], s[28:29]
	s_and_saveexec_b64 s[2:3], s[4:5]
	s_cbranch_execz .LBB183_224
.LBB183_292:
	s_and_b64 vcc, exec, s[0:1]
	s_cbranch_vccnz .LBB183_294
; %bb.293:
	v_lshl_add_u64 v[40:41], v[104:105], 3, v[130:131]
	global_load_dwordx2 v[40:41], v[40:41], off
	s_waitcnt vmcnt(0)
	v_mul_f64 v[40:41], s[70:71], v[40:41]
	s_branch .LBB183_295
.LBB183_294:
	v_mov_b64_e32 v[40:41], 0
.LBB183_295:
	v_add_f64 v[38:39], v[38:39], v[40:41]
	v_lshl_add_u64 v[40:41], v[104:105], 3, v[64:65]
	global_store_dwordx2 v[40:41], v[38:39], off
	s_or_b64 exec, exec, s[2:3]
	s_and_b64 s[4:5], s[24:25], s[30:31]
	s_and_saveexec_b64 s[2:3], s[4:5]
	s_cbranch_execz .LBB183_225
.LBB183_296:
	s_and_b64 vcc, exec, s[0:1]
	s_cbranch_vccnz .LBB183_298
; %bb.297:
	v_lshl_add_u64 v[38:39], v[102:103], 3, v[130:131]
	global_load_dwordx2 v[38:39], v[38:39], off
	s_waitcnt vmcnt(0)
	v_mul_f64 v[38:39], s[70:71], v[38:39]
	s_branch .LBB183_299
.LBB183_298:
	v_mov_b64_e32 v[38:39], 0
.LBB183_299:
	v_add_f64 v[36:37], v[36:37], v[38:39]
	v_lshl_add_u64 v[38:39], v[102:103], 3, v[64:65]
	global_store_dwordx2 v[38:39], v[36:37], off
	s_or_b64 exec, exec, s[2:3]
	s_and_b64 s[4:5], s[24:25], s[34:35]
	s_and_saveexec_b64 s[2:3], s[4:5]
	s_cbranch_execz .LBB183_226
.LBB183_300:
	s_and_b64 vcc, exec, s[0:1]
	s_cbranch_vccnz .LBB183_302
; %bb.301:
	v_lshl_add_u64 v[36:37], v[100:101], 3, v[130:131]
	global_load_dwordx2 v[36:37], v[36:37], off
	s_waitcnt vmcnt(0)
	v_mul_f64 v[36:37], s[70:71], v[36:37]
	s_branch .LBB183_303
.LBB183_302:
	v_mov_b64_e32 v[36:37], 0
.LBB183_303:
	v_add_f64 v[34:35], v[34:35], v[36:37]
	v_lshl_add_u64 v[36:37], v[100:101], 3, v[64:65]
	global_store_dwordx2 v[36:37], v[34:35], off
	s_or_b64 exec, exec, s[2:3]
	s_and_b64 s[4:5], s[24:25], s[36:37]
	s_and_saveexec_b64 s[2:3], s[4:5]
	s_cbranch_execz .LBB183_227
.LBB183_304:
	s_and_b64 vcc, exec, s[0:1]
	s_cbranch_vccnz .LBB183_306
; %bb.305:
	v_lshl_add_u64 v[34:35], v[98:99], 3, v[130:131]
	global_load_dwordx2 v[34:35], v[34:35], off
	s_waitcnt vmcnt(0)
	v_mul_f64 v[34:35], s[70:71], v[34:35]
	s_branch .LBB183_307
.LBB183_306:
	v_mov_b64_e32 v[34:35], 0
.LBB183_307:
	v_add_f64 v[32:33], v[32:33], v[34:35]
	v_lshl_add_u64 v[34:35], v[98:99], 3, v[64:65]
	global_store_dwordx2 v[34:35], v[32:33], off
	s_or_b64 exec, exec, s[2:3]
	s_and_b64 s[4:5], s[24:25], s[38:39]
	s_and_saveexec_b64 s[2:3], s[4:5]
	s_cbranch_execz .LBB183_228
.LBB183_308:
	s_and_b64 vcc, exec, s[0:1]
	s_cbranch_vccnz .LBB183_310
; %bb.309:
	v_lshl_add_u64 v[32:33], v[96:97], 3, v[130:131]
	global_load_dwordx2 v[32:33], v[32:33], off
	s_waitcnt vmcnt(0)
	v_mul_f64 v[32:33], s[70:71], v[32:33]
	s_branch .LBB183_311
.LBB183_310:
	v_mov_b64_e32 v[32:33], 0
.LBB183_311:
	v_add_f64 v[30:31], v[30:31], v[32:33]
	v_lshl_add_u64 v[32:33], v[96:97], 3, v[64:65]
	global_store_dwordx2 v[32:33], v[30:31], off
	s_or_b64 exec, exec, s[2:3]
	s_and_b64 s[4:5], s[24:25], s[40:41]
	s_and_saveexec_b64 s[2:3], s[4:5]
	s_cbranch_execz .LBB183_229
.LBB183_312:
	s_and_b64 vcc, exec, s[0:1]
	s_cbranch_vccnz .LBB183_314
; %bb.313:
	v_lshl_add_u64 v[30:31], v[94:95], 3, v[130:131]
	global_load_dwordx2 v[30:31], v[30:31], off
	s_waitcnt vmcnt(0)
	v_mul_f64 v[30:31], s[70:71], v[30:31]
	s_branch .LBB183_315
.LBB183_314:
	v_mov_b64_e32 v[30:31], 0
.LBB183_315:
	v_add_f64 v[28:29], v[28:29], v[30:31]
	v_lshl_add_u64 v[30:31], v[94:95], 3, v[64:65]
	global_store_dwordx2 v[30:31], v[28:29], off
	s_or_b64 exec, exec, s[2:3]
	s_and_b64 s[4:5], s[24:25], s[42:43]
	s_and_saveexec_b64 s[2:3], s[4:5]
	s_cbranch_execz .LBB183_230
.LBB183_316:
	s_and_b64 vcc, exec, s[0:1]
	s_cbranch_vccnz .LBB183_318
; %bb.317:
	v_lshl_add_u64 v[28:29], v[92:93], 3, v[130:131]
	global_load_dwordx2 v[28:29], v[28:29], off
	s_waitcnt vmcnt(0)
	v_mul_f64 v[28:29], s[70:71], v[28:29]
	s_branch .LBB183_319
.LBB183_318:
	v_mov_b64_e32 v[28:29], 0
.LBB183_319:
	v_add_f64 v[26:27], v[26:27], v[28:29]
	v_lshl_add_u64 v[28:29], v[92:93], 3, v[64:65]
	global_store_dwordx2 v[28:29], v[26:27], off
	s_or_b64 exec, exec, s[2:3]
	s_and_b64 s[4:5], s[24:25], s[44:45]
	s_and_saveexec_b64 s[2:3], s[4:5]
	s_cbranch_execz .LBB183_231
.LBB183_320:
	s_and_b64 vcc, exec, s[0:1]
	s_cbranch_vccnz .LBB183_322
; %bb.321:
	v_lshl_add_u64 v[26:27], v[90:91], 3, v[130:131]
	global_load_dwordx2 v[26:27], v[26:27], off
	s_waitcnt vmcnt(0)
	v_mul_f64 v[26:27], s[70:71], v[26:27]
	s_branch .LBB183_323
.LBB183_322:
	v_mov_b64_e32 v[26:27], 0
.LBB183_323:
	v_add_f64 v[24:25], v[24:25], v[26:27]
	v_lshl_add_u64 v[26:27], v[90:91], 3, v[64:65]
	global_store_dwordx2 v[26:27], v[24:25], off
	s_or_b64 exec, exec, s[2:3]
	s_and_b64 s[4:5], s[24:25], s[46:47]
	s_and_saveexec_b64 s[2:3], s[4:5]
	s_cbranch_execz .LBB183_232
.LBB183_324:
	s_and_b64 vcc, exec, s[0:1]
	s_cbranch_vccnz .LBB183_326
; %bb.325:
	v_lshl_add_u64 v[24:25], v[88:89], 3, v[130:131]
	global_load_dwordx2 v[24:25], v[24:25], off
	s_waitcnt vmcnt(0)
	v_mul_f64 v[24:25], s[70:71], v[24:25]
	s_branch .LBB183_327
.LBB183_326:
	v_mov_b64_e32 v[24:25], 0
.LBB183_327:
	v_add_f64 v[22:23], v[22:23], v[24:25]
	v_lshl_add_u64 v[24:25], v[88:89], 3, v[64:65]
	global_store_dwordx2 v[24:25], v[22:23], off
	s_or_b64 exec, exec, s[2:3]
	s_and_b64 s[4:5], s[24:25], s[48:49]
	s_and_saveexec_b64 s[2:3], s[4:5]
	s_cbranch_execz .LBB183_233
.LBB183_328:
	s_and_b64 vcc, exec, s[0:1]
	s_cbranch_vccnz .LBB183_330
; %bb.329:
	v_lshl_add_u64 v[22:23], v[86:87], 3, v[130:131]
	global_load_dwordx2 v[22:23], v[22:23], off
	s_waitcnt vmcnt(0)
	v_mul_f64 v[22:23], s[70:71], v[22:23]
	s_branch .LBB183_331
.LBB183_330:
	v_mov_b64_e32 v[22:23], 0
.LBB183_331:
	v_add_f64 v[20:21], v[20:21], v[22:23]
	v_lshl_add_u64 v[22:23], v[86:87], 3, v[64:65]
	global_store_dwordx2 v[22:23], v[20:21], off
	s_or_b64 exec, exec, s[2:3]
	s_and_b64 s[4:5], s[24:25], s[50:51]
	s_and_saveexec_b64 s[2:3], s[4:5]
	s_cbranch_execz .LBB183_234
.LBB183_332:
	s_and_b64 vcc, exec, s[0:1]
	s_cbranch_vccnz .LBB183_334
; %bb.333:
	v_lshl_add_u64 v[20:21], v[84:85], 3, v[130:131]
	global_load_dwordx2 v[20:21], v[20:21], off
	s_waitcnt vmcnt(0)
	v_mul_f64 v[20:21], s[70:71], v[20:21]
	s_branch .LBB183_335
.LBB183_334:
	v_mov_b64_e32 v[20:21], 0
.LBB183_335:
	v_add_f64 v[18:19], v[18:19], v[20:21]
	v_lshl_add_u64 v[20:21], v[84:85], 3, v[64:65]
	global_store_dwordx2 v[20:21], v[18:19], off
	s_or_b64 exec, exec, s[2:3]
	s_and_b64 s[4:5], s[24:25], s[52:53]
	s_and_saveexec_b64 s[2:3], s[4:5]
	s_cbranch_execz .LBB183_235
.LBB183_336:
	s_and_b64 vcc, exec, s[0:1]
	s_cbranch_vccnz .LBB183_338
; %bb.337:
	v_lshl_add_u64 v[18:19], v[82:83], 3, v[130:131]
	global_load_dwordx2 v[18:19], v[18:19], off
	s_waitcnt vmcnt(0)
	v_mul_f64 v[18:19], s[70:71], v[18:19]
	s_branch .LBB183_339
.LBB183_338:
	v_mov_b64_e32 v[18:19], 0
.LBB183_339:
	v_add_f64 v[16:17], v[16:17], v[18:19]
	v_lshl_add_u64 v[18:19], v[82:83], 3, v[64:65]
	global_store_dwordx2 v[18:19], v[16:17], off
	s_or_b64 exec, exec, s[2:3]
	s_and_b64 s[4:5], s[24:25], s[54:55]
	s_and_saveexec_b64 s[2:3], s[4:5]
	s_cbranch_execz .LBB183_236
.LBB183_340:
	s_and_b64 vcc, exec, s[0:1]
	s_cbranch_vccnz .LBB183_342
; %bb.341:
	v_lshl_add_u64 v[16:17], v[80:81], 3, v[130:131]
	global_load_dwordx2 v[16:17], v[16:17], off
	s_waitcnt vmcnt(0)
	v_mul_f64 v[16:17], s[70:71], v[16:17]
	s_branch .LBB183_343
.LBB183_342:
	v_mov_b64_e32 v[16:17], 0
.LBB183_343:
	v_add_f64 v[14:15], v[14:15], v[16:17]
	v_lshl_add_u64 v[16:17], v[80:81], 3, v[64:65]
	global_store_dwordx2 v[16:17], v[14:15], off
	s_or_b64 exec, exec, s[2:3]
	s_and_b64 s[4:5], s[24:25], s[56:57]
	s_and_saveexec_b64 s[2:3], s[4:5]
	s_cbranch_execz .LBB183_237
.LBB183_344:
	s_and_b64 vcc, exec, s[0:1]
	s_cbranch_vccnz .LBB183_346
; %bb.345:
	v_lshl_add_u64 v[14:15], v[78:79], 3, v[130:131]
	global_load_dwordx2 v[14:15], v[14:15], off
	s_waitcnt vmcnt(0)
	v_mul_f64 v[14:15], s[70:71], v[14:15]
	s_branch .LBB183_347
.LBB183_346:
	v_mov_b64_e32 v[14:15], 0
.LBB183_347:
	v_add_f64 v[12:13], v[12:13], v[14:15]
	v_lshl_add_u64 v[14:15], v[78:79], 3, v[64:65]
	global_store_dwordx2 v[14:15], v[12:13], off
	s_or_b64 exec, exec, s[2:3]
	s_and_b64 s[4:5], s[24:25], s[58:59]
	s_and_saveexec_b64 s[2:3], s[4:5]
	s_cbranch_execz .LBB183_238
.LBB183_348:
	s_and_b64 vcc, exec, s[0:1]
	s_cbranch_vccnz .LBB183_350
; %bb.349:
	v_lshl_add_u64 v[12:13], v[76:77], 3, v[130:131]
	global_load_dwordx2 v[12:13], v[12:13], off
	s_waitcnt vmcnt(0)
	v_mul_f64 v[12:13], s[70:71], v[12:13]
	s_branch .LBB183_351
.LBB183_350:
	v_mov_b64_e32 v[12:13], 0
.LBB183_351:
	v_add_f64 v[10:11], v[10:11], v[12:13]
	v_lshl_add_u64 v[12:13], v[76:77], 3, v[64:65]
	global_store_dwordx2 v[12:13], v[10:11], off
	s_or_b64 exec, exec, s[2:3]
	s_and_b64 s[4:5], s[24:25], s[60:61]
	s_and_saveexec_b64 s[2:3], s[4:5]
	s_cbranch_execz .LBB183_239
.LBB183_352:
	s_and_b64 vcc, exec, s[0:1]
	s_cbranch_vccnz .LBB183_354
; %bb.353:
	v_lshl_add_u64 v[10:11], v[74:75], 3, v[130:131]
	global_load_dwordx2 v[10:11], v[10:11], off
	s_waitcnt vmcnt(0)
	v_mul_f64 v[10:11], s[70:71], v[10:11]
	s_branch .LBB183_355
.LBB183_354:
	v_mov_b64_e32 v[10:11], 0
.LBB183_355:
	v_add_f64 v[8:9], v[8:9], v[10:11]
	v_lshl_add_u64 v[10:11], v[74:75], 3, v[64:65]
	global_store_dwordx2 v[10:11], v[8:9], off
	s_or_b64 exec, exec, s[2:3]
	s_and_b64 s[4:5], s[24:25], s[62:63]
	s_and_saveexec_b64 s[2:3], s[4:5]
	s_cbranch_execz .LBB183_240
.LBB183_356:
	s_and_b64 vcc, exec, s[0:1]
	s_cbranch_vccnz .LBB183_358
; %bb.357:
	v_lshl_add_u64 v[8:9], v[72:73], 3, v[130:131]
	global_load_dwordx2 v[8:9], v[8:9], off
	s_waitcnt vmcnt(0)
	v_mul_f64 v[8:9], s[70:71], v[8:9]
	s_branch .LBB183_359
.LBB183_358:
	v_mov_b64_e32 v[8:9], 0
.LBB183_359:
	v_add_f64 v[6:7], v[6:7], v[8:9]
	v_lshl_add_u64 v[8:9], v[72:73], 3, v[64:65]
	global_store_dwordx2 v[8:9], v[6:7], off
	s_or_b64 exec, exec, s[2:3]
	s_and_b64 s[4:5], s[24:25], s[64:65]
	s_and_saveexec_b64 s[2:3], s[4:5]
	s_cbranch_execz .LBB183_241
.LBB183_360:
	s_and_b64 vcc, exec, s[0:1]
	s_cbranch_vccnz .LBB183_362
; %bb.361:
	v_lshl_add_u64 v[6:7], v[70:71], 3, v[130:131]
	global_load_dwordx2 v[6:7], v[6:7], off
	s_waitcnt vmcnt(0)
	v_mul_f64 v[6:7], s[70:71], v[6:7]
	s_branch .LBB183_363
.LBB183_362:
	v_mov_b64_e32 v[6:7], 0
.LBB183_363:
	v_add_f64 v[4:5], v[4:5], v[6:7]
	v_lshl_add_u64 v[6:7], v[70:71], 3, v[64:65]
	global_store_dwordx2 v[6:7], v[4:5], off
	s_or_b64 exec, exec, s[2:3]
	s_and_b64 s[4:5], s[24:25], s[66:67]
	s_and_saveexec_b64 s[2:3], s[4:5]
	s_cbranch_execz .LBB183_242
.LBB183_364:
	s_and_b64 vcc, exec, s[0:1]
	s_cbranch_vccnz .LBB183_366
; %bb.365:
	v_lshl_add_u64 v[4:5], v[68:69], 3, v[130:131]
	global_load_dwordx2 v[4:5], v[4:5], off
	s_waitcnt vmcnt(0)
	v_mul_f64 v[4:5], s[70:71], v[4:5]
	s_branch .LBB183_367
.LBB183_366:
	v_mov_b64_e32 v[4:5], 0
.LBB183_367:
	v_add_f64 v[2:3], v[2:3], v[4:5]
	v_lshl_add_u64 v[4:5], v[68:69], 3, v[64:65]
	global_store_dwordx2 v[4:5], v[2:3], off
	s_or_b64 exec, exec, s[2:3]
	s_and_b64 s[2:3], s[24:25], s[68:69]
	s_and_saveexec_b64 s[4:5], s[2:3]
	s_cbranch_execz .LBB183_243
.LBB183_368:
	s_and_b64 vcc, exec, s[0:1]
	s_cbranch_vccnz .LBB183_370
; %bb.369:
	v_lshl_add_u64 v[2:3], v[66:67], 3, v[130:131]
	global_load_dwordx2 v[2:3], v[2:3], off
	s_waitcnt vmcnt(0)
	v_mul_f64 v[2:3], s[70:71], v[2:3]
	v_add_f64 v[0:1], v[0:1], v[2:3]
	v_lshl_add_u64 v[2:3], v[66:67], 3, v[64:65]
	global_store_dwordx2 v[2:3], v[0:1], off
	s_endpgm
.LBB183_370:
	v_mov_b64_e32 v[2:3], 0
	v_add_f64 v[0:1], v[0:1], v[2:3]
	v_lshl_add_u64 v[2:3], v[66:67], 3, v[64:65]
	global_store_dwordx2 v[2:3], v[0:1], off
	s_endpgm
	.section	.rodata,"a",@progbits
	.p2align	6, 0x0
	.amdhsa_kernel _ZN12_GLOBAL__N_120geam_min_plus_kernelIdddLi4ELi64ELi128ELi128ELi4ELi64ELi4ELi4ELi64ELc78ELc78ELb0ELb1ELb0EPKdS1_dEEviiiT16_PT17_ilS5_ilS3_S5_ilPT18_ili26rocblas_geam_ex_operation_
		.amdhsa_group_segment_fixed_size 16384
		.amdhsa_private_segment_fixed_size 0
		.amdhsa_kernarg_size 136
		.amdhsa_user_sgpr_count 2
		.amdhsa_user_sgpr_dispatch_ptr 0
		.amdhsa_user_sgpr_queue_ptr 0
		.amdhsa_user_sgpr_kernarg_segment_ptr 1
		.amdhsa_user_sgpr_dispatch_id 0
		.amdhsa_user_sgpr_kernarg_preload_length 0
		.amdhsa_user_sgpr_kernarg_preload_offset 0
		.amdhsa_user_sgpr_private_segment_size 0
		.amdhsa_uses_dynamic_stack 0
		.amdhsa_enable_private_segment 0
		.amdhsa_system_sgpr_workgroup_id_x 1
		.amdhsa_system_sgpr_workgroup_id_y 0
		.amdhsa_system_sgpr_workgroup_id_z 1
		.amdhsa_system_sgpr_workgroup_info 0
		.amdhsa_system_vgpr_workitem_id 1
		.amdhsa_next_free_vgpr 254
		.amdhsa_next_free_sgpr 82
		.amdhsa_accum_offset 256
		.amdhsa_reserve_vcc 1
		.amdhsa_float_round_mode_32 0
		.amdhsa_float_round_mode_16_64 0
		.amdhsa_float_denorm_mode_32 3
		.amdhsa_float_denorm_mode_16_64 3
		.amdhsa_dx10_clamp 1
		.amdhsa_ieee_mode 1
		.amdhsa_fp16_overflow 0
		.amdhsa_tg_split 0
		.amdhsa_exception_fp_ieee_invalid_op 0
		.amdhsa_exception_fp_denorm_src 0
		.amdhsa_exception_fp_ieee_div_zero 0
		.amdhsa_exception_fp_ieee_overflow 0
		.amdhsa_exception_fp_ieee_underflow 0
		.amdhsa_exception_fp_ieee_inexact 0
		.amdhsa_exception_int_div_zero 0
	.end_amdhsa_kernel
	.section	.text._ZN12_GLOBAL__N_120geam_min_plus_kernelIdddLi4ELi64ELi128ELi128ELi4ELi64ELi4ELi4ELi64ELc78ELc78ELb0ELb1ELb0EPKdS1_dEEviiiT16_PT17_ilS5_ilS3_S5_ilPT18_ili26rocblas_geam_ex_operation_,"axG",@progbits,_ZN12_GLOBAL__N_120geam_min_plus_kernelIdddLi4ELi64ELi128ELi128ELi4ELi64ELi4ELi4ELi64ELc78ELc78ELb0ELb1ELb0EPKdS1_dEEviiiT16_PT17_ilS5_ilS3_S5_ilPT18_ili26rocblas_geam_ex_operation_,comdat
.Lfunc_end183:
	.size	_ZN12_GLOBAL__N_120geam_min_plus_kernelIdddLi4ELi64ELi128ELi128ELi4ELi64ELi4ELi4ELi64ELc78ELc78ELb0ELb1ELb0EPKdS1_dEEviiiT16_PT17_ilS5_ilS3_S5_ilPT18_ili26rocblas_geam_ex_operation_, .Lfunc_end183-_ZN12_GLOBAL__N_120geam_min_plus_kernelIdddLi4ELi64ELi128ELi128ELi4ELi64ELi4ELi4ELi64ELc78ELc78ELb0ELb1ELb0EPKdS1_dEEviiiT16_PT17_ilS5_ilS3_S5_ilPT18_ili26rocblas_geam_ex_operation_
                                        ; -- End function
	.set _ZN12_GLOBAL__N_120geam_min_plus_kernelIdddLi4ELi64ELi128ELi128ELi4ELi64ELi4ELi4ELi64ELc78ELc78ELb0ELb1ELb0EPKdS1_dEEviiiT16_PT17_ilS5_ilS3_S5_ilPT18_ili26rocblas_geam_ex_operation_.num_vgpr, 254
	.set _ZN12_GLOBAL__N_120geam_min_plus_kernelIdddLi4ELi64ELi128ELi128ELi4ELi64ELi4ELi4ELi64ELc78ELc78ELb0ELb1ELb0EPKdS1_dEEviiiT16_PT17_ilS5_ilS3_S5_ilPT18_ili26rocblas_geam_ex_operation_.num_agpr, 0
	.set _ZN12_GLOBAL__N_120geam_min_plus_kernelIdddLi4ELi64ELi128ELi128ELi4ELi64ELi4ELi4ELi64ELc78ELc78ELb0ELb1ELb0EPKdS1_dEEviiiT16_PT17_ilS5_ilS3_S5_ilPT18_ili26rocblas_geam_ex_operation_.numbered_sgpr, 82
	.set _ZN12_GLOBAL__N_120geam_min_plus_kernelIdddLi4ELi64ELi128ELi128ELi4ELi64ELi4ELi4ELi64ELc78ELc78ELb0ELb1ELb0EPKdS1_dEEviiiT16_PT17_ilS5_ilS3_S5_ilPT18_ili26rocblas_geam_ex_operation_.num_named_barrier, 0
	.set _ZN12_GLOBAL__N_120geam_min_plus_kernelIdddLi4ELi64ELi128ELi128ELi4ELi64ELi4ELi4ELi64ELc78ELc78ELb0ELb1ELb0EPKdS1_dEEviiiT16_PT17_ilS5_ilS3_S5_ilPT18_ili26rocblas_geam_ex_operation_.private_seg_size, 0
	.set _ZN12_GLOBAL__N_120geam_min_plus_kernelIdddLi4ELi64ELi128ELi128ELi4ELi64ELi4ELi4ELi64ELc78ELc78ELb0ELb1ELb0EPKdS1_dEEviiiT16_PT17_ilS5_ilS3_S5_ilPT18_ili26rocblas_geam_ex_operation_.uses_vcc, 1
	.set _ZN12_GLOBAL__N_120geam_min_plus_kernelIdddLi4ELi64ELi128ELi128ELi4ELi64ELi4ELi4ELi64ELc78ELc78ELb0ELb1ELb0EPKdS1_dEEviiiT16_PT17_ilS5_ilS3_S5_ilPT18_ili26rocblas_geam_ex_operation_.uses_flat_scratch, 0
	.set _ZN12_GLOBAL__N_120geam_min_plus_kernelIdddLi4ELi64ELi128ELi128ELi4ELi64ELi4ELi4ELi64ELc78ELc78ELb0ELb1ELb0EPKdS1_dEEviiiT16_PT17_ilS5_ilS3_S5_ilPT18_ili26rocblas_geam_ex_operation_.has_dyn_sized_stack, 0
	.set _ZN12_GLOBAL__N_120geam_min_plus_kernelIdddLi4ELi64ELi128ELi128ELi4ELi64ELi4ELi4ELi64ELc78ELc78ELb0ELb1ELb0EPKdS1_dEEviiiT16_PT17_ilS5_ilS3_S5_ilPT18_ili26rocblas_geam_ex_operation_.has_recursion, 0
	.set _ZN12_GLOBAL__N_120geam_min_plus_kernelIdddLi4ELi64ELi128ELi128ELi4ELi64ELi4ELi4ELi64ELc78ELc78ELb0ELb1ELb0EPKdS1_dEEviiiT16_PT17_ilS5_ilS3_S5_ilPT18_ili26rocblas_geam_ex_operation_.has_indirect_call, 0
	.section	.AMDGPU.csdata,"",@progbits
; Kernel info:
; codeLenInByte = 14744
; TotalNumSgprs: 88
; NumVgprs: 254
; NumAgprs: 0
; TotalNumVgprs: 254
; ScratchSize: 0
; MemoryBound: 0
; FloatMode: 240
; IeeeMode: 1
; LDSByteSize: 16384 bytes/workgroup (compile time only)
; SGPRBlocks: 10
; VGPRBlocks: 31
; NumSGPRsForWavesPerEU: 88
; NumVGPRsForWavesPerEU: 254
; AccumOffset: 256
; Occupancy: 2
; WaveLimiterHint : 0
; COMPUTE_PGM_RSRC2:SCRATCH_EN: 0
; COMPUTE_PGM_RSRC2:USER_SGPR: 2
; COMPUTE_PGM_RSRC2:TRAP_HANDLER: 0
; COMPUTE_PGM_RSRC2:TGID_X_EN: 1
; COMPUTE_PGM_RSRC2:TGID_Y_EN: 0
; COMPUTE_PGM_RSRC2:TGID_Z_EN: 1
; COMPUTE_PGM_RSRC2:TIDIG_COMP_CNT: 1
; COMPUTE_PGM_RSRC3_GFX90A:ACCUM_OFFSET: 63
; COMPUTE_PGM_RSRC3_GFX90A:TG_SPLIT: 0
	.section	.text._ZN12_GLOBAL__N_120geam_min_plus_kernelIdddLi4ELi64ELi128ELi128ELi4ELi64ELi4ELi4ELi64ELc78ELc78ELb1ELb1ELb0EdKddEEviiiT16_PT17_ilS4_ilS2_S4_ilPT18_ili26rocblas_geam_ex_operation_,"axG",@progbits,_ZN12_GLOBAL__N_120geam_min_plus_kernelIdddLi4ELi64ELi128ELi128ELi4ELi64ELi4ELi4ELi64ELc78ELc78ELb1ELb1ELb0EdKddEEviiiT16_PT17_ilS4_ilS2_S4_ilPT18_ili26rocblas_geam_ex_operation_,comdat
	.globl	_ZN12_GLOBAL__N_120geam_min_plus_kernelIdddLi4ELi64ELi128ELi128ELi4ELi64ELi4ELi4ELi64ELc78ELc78ELb1ELb1ELb0EdKddEEviiiT16_PT17_ilS4_ilS2_S4_ilPT18_ili26rocblas_geam_ex_operation_ ; -- Begin function _ZN12_GLOBAL__N_120geam_min_plus_kernelIdddLi4ELi64ELi128ELi128ELi4ELi64ELi4ELi4ELi64ELc78ELc78ELb1ELb1ELb0EdKddEEviiiT16_PT17_ilS4_ilS2_S4_ilPT18_ili26rocblas_geam_ex_operation_
	.p2align	8
	.type	_ZN12_GLOBAL__N_120geam_min_plus_kernelIdddLi4ELi64ELi128ELi128ELi4ELi64ELi4ELi4ELi64ELc78ELc78ELb1ELb1ELb0EdKddEEviiiT16_PT17_ilS4_ilS2_S4_ilPT18_ili26rocblas_geam_ex_operation_,@function
_ZN12_GLOBAL__N_120geam_min_plus_kernelIdddLi4ELi64ELi128ELi128ELi4ELi64ELi4ELi4ELi64ELc78ELc78ELb1ELb1ELb0EdKddEEviiiT16_PT17_ilS4_ilS2_S4_ilPT18_ili26rocblas_geam_ex_operation_: ; @_ZN12_GLOBAL__N_120geam_min_plus_kernelIdddLi4ELi64ELi128ELi128ELi4ELi64ELi4ELi4ELi64ELc78ELc78ELb1ELb1ELb0EdKddEEviiiT16_PT17_ilS4_ilS2_S4_ilPT18_ili26rocblas_geam_ex_operation_
; %bb.0:
	s_load_dwordx4 s[8:11], s[0:1], 0x10
	s_load_dwordx4 s[4:7], s[0:1], 0x28
	s_mov_b64 s[18:19], 0
	s_waitcnt lgkmcnt(0)
	v_cmp_eq_f64_e64 s[8:9], s[8:9], 0
	s_and_b64 vcc, exec, s[8:9]
	s_cbranch_vccnz .LBB184_2
; %bb.1:
	s_mul_i32 s5, s5, s3
	s_mul_hi_u32 s12, s4, s3
	s_add_i32 s5, s12, s5
	s_mul_i32 s4, s4, s3
	s_lshl_b64 s[4:5], s[4:5], 3
	s_add_u32 s18, s10, s4
	s_addc_u32 s19, s11, s5
.LBB184_2:
	s_load_dwordx4 s[68:71], s[0:1], 0x40
	s_load_dwordx2 s[4:5], s[0:1], 0x50
	s_andn2_b64 vcc, exec, s[8:9]
	s_mov_b64 s[8:9], -1
	s_cbranch_vccnz .LBB184_4
; %bb.3:
	s_mov_b64 s[8:9], 0
.LBB184_4:
	s_mov_b64 s[76:77], 0
	s_andn2_b64 vcc, exec, s[8:9]
	s_mov_b64 s[20:21], 0
	s_cbranch_vccnz .LBB184_6
; %bb.5:
	s_waitcnt lgkmcnt(0)
	s_mul_i32 s8, s69, s3
	s_mul_hi_u32 s9, s68, s3
	s_add_i32 s9, s9, s8
	s_mul_i32 s8, s68, s3
	s_lshl_b64 s[8:9], s[8:9], 3
	s_add_u32 s20, s6, s8
	s_addc_u32 s21, s7, s9
.LBB184_6:
	s_load_dwordx4 s[12:15], s[0:1], 0x60
	s_waitcnt lgkmcnt(0)
	v_cmp_eq_f64_e64 s[6:7], s[70:71], 0
	v_cmp_neq_f64_e64 s[16:17], s[70:71], 0
	s_and_b64 vcc, exec, s[6:7]
	s_cbranch_vccnz .LBB184_8
; %bb.7:
	s_mul_i32 s6, s13, s3
	s_mul_hi_u32 s7, s12, s3
	s_add_i32 s7, s7, s6
	s_mul_i32 s6, s12, s3
	s_lshl_b64 s[6:7], s[6:7], 3
	s_add_u32 s76, s4, s6
	s_addc_u32 s77, s5, s7
.LBB184_8:
	s_load_dwordx4 s[72:75], s[0:1], 0x0
	s_load_dword s23, s[0:1], 0x20
	v_and_b32_e32 v148, 0x3ff, v0
	v_bfe_u32 v149, v0, 10, 10
	v_lshl_add_u32 v6, v149, 2, v148
	s_waitcnt lgkmcnt(0)
	s_add_i32 s4, s72, -1
	s_ashr_i32 s5, s4, 31
	s_lshr_b32 s5, s5, 25
	s_add_i32 s4, s4, s5
	s_ashr_i32 s6, s4, 7
	s_add_i32 s7, s6, 1
	v_cvt_f32_u32_e32 v1, s7
	v_lshrrev_b32_e32 v150, 6, v6
	v_and_b32_e32 v138, 63, v6
	v_cmp_le_i32_e32 vcc, s74, v150
	v_rcp_iflag_f32_e32 v0, v1
	s_nop 0
	v_mul_f32_e32 v0, 0x4f7ffffe, v0
	v_cvt_u32_f32_e32 v2, v0
	v_mad_i64_i32 v[0:1], s[4:5], s23, v150, 0
	s_not_b32 s4, s6
	v_readfirstlane_b32 s5, v2
	s_mul_i32 s4, s4, s5
	s_mul_hi_u32 s4, s5, s4
	s_add_i32 s5, s5, s4
	s_mul_hi_u32 s4, s2, s5
	s_mul_i32 s5, s4, s7
	s_sub_i32 s5, s2, s5
	s_add_i32 s6, s4, 1
	s_sub_i32 s8, s5, s7
	s_cmp_ge_u32 s5, s7
	s_cselect_b32 s4, s6, s4
	s_cselect_b32 s5, s8, s5
	s_add_i32 s6, s4, 1
	s_cmp_ge_u32 s5, s7
	s_cselect_b32 s8, s6, s4
	s_mul_i32 s4, s8, s7
	s_sub_i32 s2, s2, s4
	s_lshl_b32 s2, s2, 7
	v_or_b32_e32 v128, s2, v138
	v_cmp_le_i32_e64 s[10:11], s72, v128
	v_lshl_add_u64 v[4:5], v[0:1], 3, s[18:19]
	s_nor_b64 s[6:7], s[10:11], vcc
	v_mov_b64_e32 v[0:1], 0
	v_ashrrev_i32_e32 v129, 31, v128
	v_mov_b64_e32 v[2:3], 0
	s_and_saveexec_b64 s[4:5], s[6:7]
	s_cbranch_execz .LBB184_10
; %bb.9:
	v_lshl_add_u64 v[2:3], v[128:129], 3, v[4:5]
	global_load_dwordx2 v[2:3], v[2:3], off
.LBB184_10:
	s_or_b64 exec, exec, s[4:5]
	v_or_b32_e32 v7, 64, v128
	v_cmp_le_i32_e64 s[4:5], s72, v7
	s_ashr_i32 s24, s23, 31
	s_nor_b64 s[12:13], s[4:5], vcc
	s_and_saveexec_b64 s[6:7], s[12:13]
	s_cbranch_execz .LBB184_12
; %bb.11:
	v_lshl_add_u64 v[0:1], v[128:129], 3, v[4:5]
	global_load_dwordx2 v[0:1], v[0:1], off offset:512
.LBB184_12:
	s_or_b64 exec, exec, s[6:7]
	s_load_dword s26, s[0:1], 0x38
	v_lshrrev_b32_e32 v14, 2, v6
	s_lshl_b32 s22, s8, 7
	v_and_b32_e32 v151, 3, v148
	v_add_u32_e32 v139, s22, v14
	v_cmp_le_i32_e32 vcc, s74, v151
	v_lshlrev_b32_e32 v4, 3, v151
	v_mov_b32_e32 v5, 0
	v_cmp_le_i32_e64 s[6:7], s73, v139
	v_lshl_add_u64 v[10:11], s[20:21], 0, v[4:5]
	s_nor_b64 s[12:13], vcc, s[6:7]
	v_mov_b64_e32 v[6:7], 0
	v_mov_b64_e32 v[8:9], 0
	s_and_saveexec_b64 s[8:9], s[12:13]
	s_cbranch_execz .LBB184_14
; %bb.13:
	s_waitcnt lgkmcnt(0)
	v_mad_i64_i32 v[8:9], s[12:13], v139, s26, 0
	v_lshl_add_u64 v[8:9], v[8:9], 3, v[10:11]
	global_load_dwordx2 v[8:9], v[8:9], off
.LBB184_14:
	s_or_b64 exec, exec, s[8:9]
	v_add_u32_e32 v140, 64, v139
	v_cmp_le_i32_e64 s[8:9], s73, v140
	s_nor_b64 s[28:29], vcc, s[8:9]
	s_and_saveexec_b64 s[12:13], s[28:29]
	s_cbranch_execz .LBB184_16
; %bb.15:
	s_waitcnt lgkmcnt(0)
	v_mad_i64_i32 v[6:7], s[28:29], v140, s26, 0
	v_lshl_add_u64 v[6:7], v[6:7], 3, v[10:11]
	global_load_dwordx2 v[6:7], v[6:7], off
.LBB184_16:
	s_or_b64 exec, exec, s[12:13]
	v_add_u32_e32 v5, 4, v150
	v_cmp_le_i32_e32 vcc, s74, v5
	v_mad_i64_i32 v[12:13], s[12:13], s23, v5, 0
	v_lshl_add_u64 v[12:13], v[12:13], 3, s[18:19]
	s_nor_b64 s[28:29], s[10:11], vcc
	v_mov_b64_e32 v[130:131], 0
	v_mov_b64_e32 v[132:133], 0
	s_and_saveexec_b64 s[12:13], s[28:29]
	s_cbranch_execz .LBB184_18
; %bb.17:
	v_lshl_add_u64 v[16:17], v[128:129], 3, v[12:13]
	global_load_dwordx2 v[132:133], v[16:17], off
.LBB184_18:
	s_or_b64 exec, exec, s[12:13]
	s_nor_b64 s[28:29], s[4:5], vcc
	s_and_saveexec_b64 s[12:13], s[28:29]
	s_cbranch_execz .LBB184_20
; %bb.19:
	v_lshl_add_u64 v[12:13], v[128:129], 3, v[12:13]
	global_load_dwordx2 v[130:131], v[12:13], off offset:512
.LBB184_20:
	s_or_b64 exec, exec, s[12:13]
	v_or_b32_e32 v5, 4, v151
	v_cmp_le_i32_e32 vcc, s74, v5
	s_nor_b64 s[28:29], vcc, s[6:7]
	v_mov_b64_e32 v[134:135], 0
	v_mov_b64_e32 v[136:137], 0
	s_and_saveexec_b64 s[12:13], s[28:29]
	s_cbranch_execz .LBB184_22
; %bb.21:
	s_waitcnt lgkmcnt(0)
	v_mad_i64_i32 v[12:13], s[28:29], v139, s26, 0
	v_lshl_add_u64 v[12:13], v[12:13], 3, v[10:11]
	global_load_dwordx2 v[136:137], v[12:13], off offset:32
.LBB184_22:
	s_or_b64 exec, exec, s[12:13]
	s_nor_b64 s[28:29], vcc, s[8:9]
	s_and_saveexec_b64 s[12:13], s[28:29]
	s_cbranch_execz .LBB184_24
; %bb.23:
	s_waitcnt lgkmcnt(0)
	v_mad_i64_i32 v[12:13], s[28:29], v140, s26, 0
	v_lshl_add_u64 v[10:11], v[12:13], 3, v[10:11]
	global_load_dwordx2 v[134:135], v[10:11], off offset:32
.LBB184_24:
	s_or_b64 exec, exec, s[12:13]
	v_lshlrev_b32_e32 v5, 5, v138
	v_lshl_add_u32 v153, v150, 3, v5
	v_lshl_or_b32 v142, v14, 5, v4
	v_lshlrev_b32_e32 v141, 5, v149
	s_waitcnt vmcnt(0)
	ds_write2st64_b64 v153, v[2:3], v[0:1] offset1:4
	v_add_u32_e32 v154, 0x2000, v142
	ds_write2st64_b64 v142, v[8:9], v[6:7] offset0:16 offset1:20
	v_lshlrev_b32_e32 v155, 5, v148
	v_add_u32_e32 v156, 0x2000, v141
	v_mov_b64_e32 v[126:127], 0
	s_mov_b32 s12, 0
	v_mov_b64_e32 v[124:125], 0
	v_mov_b64_e32 v[122:123], 0
	;; [unrolled: 1-line block ×63, first 2 shown]
	s_waitcnt lgkmcnt(0)
	s_barrier
.LBB184_25:                             ; =>This Inner Loop Header: Depth=1
	v_add_u32_e32 v143, s12, v155
	v_add_u32_e32 v152, s12, v156
	ds_read2_b64 v[144:147], v143 offset1:16
	ds_read2_b64 v[158:161], v143 offset0:32 offset1:48
	ds_read2_b64 v[162:165], v143 offset0:64 offset1:80
	ds_read2_b64 v[166:169], v143 offset0:96 offset1:112
	ds_read2_b64 v[170:173], v143 offset0:128 offset1:144
	ds_read2_b64 v[174:177], v143 offset0:160 offset1:176
	ds_read2_b64 v[178:181], v143 offset0:192 offset1:208
	ds_read2_b64 v[182:185], v143 offset0:224 offset1:240
	ds_read2st64_b64 v[186:189], v152 offset1:4
	v_add_u32_e32 v143, 0x800, v143
	ds_read2_b64 v[190:193], v143 offset1:16
	ds_read2_b64 v[194:197], v143 offset0:32 offset1:48
	ds_read2_b64 v[198:201], v143 offset0:64 offset1:80
	;; [unrolled: 1-line block ×7, first 2 shown]
	s_waitcnt lgkmcnt(14)
	v_max_f64 v[144:145], v[144:145], v[144:145]
	v_max_f64 v[146:147], v[146:147], v[146:147]
	;; [unrolled: 1-line block ×6, first 2 shown]
	s_waitcnt lgkmcnt(13)
	v_max_f64 v[166:167], v[166:167], v[166:167]
	v_max_f64 v[168:169], v[168:169], v[168:169]
	s_waitcnt lgkmcnt(12)
	v_max_f64 v[170:171], v[170:171], v[170:171]
	v_max_f64 v[172:173], v[172:173], v[172:173]
	s_waitcnt lgkmcnt(11)
	v_max_f64 v[174:175], v[174:175], v[174:175]
	v_max_f64 v[176:177], v[176:177], v[176:177]
	s_waitcnt lgkmcnt(10)
	v_max_f64 v[178:179], v[178:179], v[178:179]
	v_max_f64 v[180:181], v[180:181], v[180:181]
	s_waitcnt lgkmcnt(9)
	v_max_f64 v[182:183], v[182:183], v[182:183]
	v_max_f64 v[184:185], v[184:185], v[184:185]
	s_waitcnt lgkmcnt(8)
	v_max_f64 v[186:187], v[186:187], v[186:187]
	v_max_f64 v[188:189], v[188:189], v[188:189]
	s_waitcnt lgkmcnt(7)
	v_max_f64 v[190:191], v[190:191], v[190:191]
	v_max_f64 v[192:193], v[192:193], v[192:193]
	s_waitcnt lgkmcnt(6)
	v_max_f64 v[194:195], v[194:195], v[194:195]
	v_max_f64 v[196:197], v[196:197], v[196:197]
	s_waitcnt lgkmcnt(5)
	v_max_f64 v[198:199], v[198:199], v[198:199]
	v_max_f64 v[200:201], v[200:201], v[200:201]
	s_waitcnt lgkmcnt(4)
	v_max_f64 v[202:203], v[202:203], v[202:203]
	v_max_f64 v[204:205], v[204:205], v[204:205]
	s_waitcnt lgkmcnt(3)
	v_max_f64 v[206:207], v[206:207], v[206:207]
	v_max_f64 v[208:209], v[208:209], v[208:209]
	s_waitcnt lgkmcnt(2)
	v_max_f64 v[210:211], v[210:211], v[210:211]
	v_max_f64 v[212:213], v[212:213], v[212:213]
	s_waitcnt lgkmcnt(1)
	v_max_f64 v[214:215], v[214:215], v[214:215]
	v_max_f64 v[216:217], v[216:217], v[216:217]
	s_waitcnt lgkmcnt(0)
	v_max_f64 v[218:219], v[218:219], v[218:219]
	v_max_f64 v[220:221], v[220:221], v[220:221]
	v_min_f64 v[222:223], v[144:145], v[186:187]
	v_min_f64 v[224:225], v[146:147], v[186:187]
	;; [unrolled: 1-line block ×32, first 2 shown]
	s_add_i32 s12, s12, 8
	v_add_f64 v[62:63], v[62:63], v[144:145]
	v_add_f64 v[60:61], v[60:61], v[146:147]
	;; [unrolled: 1-line block ×16, first 2 shown]
	v_min_f64 v[144:145], v[190:191], v[186:187]
	v_min_f64 v[146:147], v[192:193], v[186:187]
	;; [unrolled: 1-line block ×32, first 2 shown]
	s_cmp_eq_u32 s12, 32
	v_add_f64 v[126:127], v[126:127], v[222:223]
	v_add_f64 v[124:125], v[124:125], v[224:225]
	;; [unrolled: 1-line block ×48, first 2 shown]
	s_cbranch_scc0 .LBB184_25
; %bb.26:
	v_lshlrev_b32_e32 v143, 3, v150
	v_lshl_add_u32 v138, v138, 5, v143
	s_cmp_gt_i32 s74, 8
	ds_write2st64_b64 v138, v[132:133], v[130:131] offset0:8 offset1:12
	ds_write2st64_b64 v142, v[136:137], v[134:135] offset0:24 offset1:28
	s_waitcnt lgkmcnt(0)
	s_barrier
	s_cbranch_scc1 .LBB184_28
; %bb.27:
	v_add_u32_e32 v152, 0x3000, v141
	s_cbranch_execz .LBB184_29
	s_branch .LBB184_51
.LBB184_28:
                                        ; implicit-def: $vgpr152
.LBB184_29:
	v_mov_b32_e32 v134, 0x1000
	v_or_b32_e32 v157, 0x1000, v138
	v_add_u32_e32 v158, 0x3000, v142
	s_add_i32 s25, s74, -8
	v_mad_i64_i32 v[130:131], s[12:13], v139, s26, 0
	v_mad_i64_i32 v[132:133], s[12:13], v140, s26, 0
	v_lshl_add_u32 v159, v148, 5, v134
	v_add_u32_e32 v152, 0x3000, v141
	s_mov_b32 s26, 8
	s_mov_b32 s27, 0
	v_mov_b32_e32 v135, 0
.LBB184_30:                             ; =>This Loop Header: Depth=1
                                        ;     Child Loop BB184_39 Depth 2
                                        ;     Child Loop BB184_49 Depth 2
	v_add_u32_e32 v138, s26, v150
	v_mad_u64_u32 v[136:137], s[12:13], v138, s23, 0
	v_mov_b32_e32 v134, v137
	v_cmp_le_i32_e32 vcc, s74, v138
	v_mad_u64_u32 v[138:139], s[12:13], v138, s24, v[134:135]
	v_mov_b32_e32 v137, v138
	v_lshl_add_u64 v[136:137], v[136:137], 3, s[18:19]
	s_nor_b64 s[28:29], s[10:11], vcc
	v_mov_b64_e32 v[140:141], 0
	v_lshl_add_u64 v[136:137], v[128:129], 3, v[136:137]
	v_mov_b64_e32 v[142:143], 0
	s_and_saveexec_b64 s[12:13], s[28:29]
	s_cbranch_execz .LBB184_32
; %bb.31:                               ;   in Loop: Header=BB184_30 Depth=1
	global_load_dwordx2 v[142:143], v[136:137], off
.LBB184_32:                             ;   in Loop: Header=BB184_30 Depth=1
	s_or_b64 exec, exec, s[12:13]
	s_nor_b64 s[28:29], s[4:5], vcc
	s_and_saveexec_b64 s[12:13], s[28:29]
	s_cbranch_execz .LBB184_34
; %bb.33:                               ;   in Loop: Header=BB184_30 Depth=1
	global_load_dwordx2 v[140:141], v[136:137], off offset:512
.LBB184_34:                             ;   in Loop: Header=BB184_30 Depth=1
	s_or_b64 exec, exec, s[12:13]
	v_or_b32_e32 v134, s26, v151
	v_cmp_le_i32_e32 vcc, s74, v134
	v_lshl_add_u64 v[138:139], v[134:135], 3, s[20:21]
	s_nor_b64 s[28:29], s[6:7], vcc
	v_mov_b64_e32 v[144:145], 0
	v_lshl_add_u64 v[136:137], v[130:131], 3, v[138:139]
	v_mov_b64_e32 v[146:147], 0
	s_and_saveexec_b64 s[12:13], s[28:29]
	s_cbranch_execz .LBB184_36
; %bb.35:                               ;   in Loop: Header=BB184_30 Depth=1
	global_load_dwordx2 v[146:147], v[136:137], off
.LBB184_36:                             ;   in Loop: Header=BB184_30 Depth=1
	s_or_b64 exec, exec, s[12:13]
	s_nor_b64 s[28:29], s[8:9], vcc
	v_lshl_add_u64 v[138:139], v[132:133], 3, v[138:139]
	s_and_saveexec_b64 s[12:13], s[28:29]
	s_cbranch_execz .LBB184_38
; %bb.37:                               ;   in Loop: Header=BB184_30 Depth=1
	global_load_dwordx2 v[144:145], v[138:139], off
.LBB184_38:                             ;   in Loop: Header=BB184_30 Depth=1
	s_or_b64 exec, exec, s[12:13]
	s_mov_b32 s12, 0
.LBB184_39:                             ;   Parent Loop BB184_30 Depth=1
                                        ; =>  This Inner Loop Header: Depth=2
	v_add_u32_e32 v192, s12, v159
	v_add_u32_e32 v220, 0x800, v192
	;; [unrolled: 1-line block ×3, first 2 shown]
	ds_read2_b64 v[160:163], v192 offset1:16
	ds_read2_b64 v[164:167], v192 offset0:32 offset1:48
	ds_read2_b64 v[168:171], v192 offset0:64 offset1:80
	;; [unrolled: 1-line block ×7, first 2 shown]
	ds_read2_b64 v[192:195], v220 offset1:16
	ds_read2_b64 v[196:199], v220 offset0:32 offset1:48
	ds_read2_b64 v[200:203], v220 offset0:64 offset1:80
	;; [unrolled: 1-line block ×7, first 2 shown]
	ds_read2st64_b64 v[224:227], v224 offset1:4
	s_waitcnt lgkmcnt(14)
	v_max_f64 v[160:161], v[160:161], v[160:161]
	v_max_f64 v[162:163], v[162:163], v[162:163]
	;; [unrolled: 1-line block ×4, first 2 shown]
	s_waitcnt lgkmcnt(0)
	v_max_f64 v[224:225], v[224:225], v[224:225]
	v_min_f64 v[228:229], v[160:161], v[224:225]
	v_add_f64 v[126:127], v[126:127], v[228:229]
	v_min_f64 v[228:229], v[162:163], v[224:225]
	v_add_f64 v[124:125], v[124:125], v[228:229]
	;; [unrolled: 2-line block ×3, first 2 shown]
	v_min_f64 v[228:229], v[166:167], v[224:225]
	v_max_f64 v[168:169], v[168:169], v[168:169]
	v_add_f64 v[120:121], v[120:121], v[228:229]
	v_min_f64 v[228:229], v[168:169], v[224:225]
	v_max_f64 v[170:171], v[170:171], v[170:171]
	v_add_f64 v[118:119], v[118:119], v[228:229]
	;; [unrolled: 3-line block ×26, first 2 shown]
	v_min_f64 v[228:229], v[218:219], v[224:225]
	v_max_f64 v[220:221], v[220:221], v[220:221]
	v_max_f64 v[222:223], v[222:223], v[222:223]
	v_add_f64 v[68:69], v[68:69], v[228:229]
	v_min_f64 v[228:229], v[220:221], v[224:225]
	v_min_f64 v[224:225], v[222:223], v[224:225]
	v_add_f64 v[64:65], v[64:65], v[224:225]
	v_max_f64 v[224:225], v[226:227], v[226:227]
	v_min_f64 v[160:161], v[160:161], v[224:225]
	v_add_f64 v[62:63], v[62:63], v[160:161]
	v_min_f64 v[160:161], v[162:163], v[224:225]
	v_add_f64 v[60:61], v[60:61], v[160:161]
	;; [unrolled: 2-line block ×31, first 2 shown]
	v_min_f64 v[160:161], v[222:223], v[224:225]
	s_add_i32 s12, s12, 8
	v_add_f64 v[66:67], v[66:67], v[228:229]
	v_add_f64 v[0:1], v[0:1], v[160:161]
	s_cmp_eq_u32 s12, 32
	s_cbranch_scc0 .LBB184_39
; %bb.40:                               ;   in Loop: Header=BB184_30 Depth=1
	s_waitcnt vmcnt(0)
	ds_write2st64_b64 v153, v[142:143], v[140:141] offset1:4
	ds_write2st64_b64 v154, v[146:147], v[144:145] offset1:4
	v_add3_u32 v143, v150, s26, 4
	v_mad_u64_u32 v[140:141], s[12:13], v143, s23, 0
	v_mov_b32_e32 v142, v141
	v_cmp_le_i32_e32 vcc, s74, v143
	v_mad_u64_u32 v[142:143], s[12:13], v143, s24, v[142:143]
	v_mov_b32_e32 v141, v142
	v_lshl_add_u64 v[142:143], v[140:141], 3, s[18:19]
	s_nor_b64 s[28:29], s[10:11], vcc
	v_mov_b64_e32 v[140:141], 0
	v_lshl_add_u64 v[144:145], v[128:129], 3, v[142:143]
	v_mov_b64_e32 v[142:143], 0
	s_waitcnt lgkmcnt(0)
	s_barrier
	s_and_saveexec_b64 s[12:13], s[28:29]
	s_cbranch_execz .LBB184_42
; %bb.41:                               ;   in Loop: Header=BB184_30 Depth=1
	global_load_dwordx2 v[142:143], v[144:145], off
.LBB184_42:                             ;   in Loop: Header=BB184_30 Depth=1
	s_or_b64 exec, exec, s[12:13]
	s_nor_b64 s[28:29], s[4:5], vcc
	s_and_saveexec_b64 s[12:13], s[28:29]
	s_cbranch_execz .LBB184_44
; %bb.43:                               ;   in Loop: Header=BB184_30 Depth=1
	global_load_dwordx2 v[140:141], v[144:145], off offset:512
.LBB184_44:                             ;   in Loop: Header=BB184_30 Depth=1
	s_or_b64 exec, exec, s[12:13]
	v_or_b32_e32 v134, 4, v134
	v_cmp_le_i32_e32 vcc, s74, v134
	s_nor_b64 s[28:29], s[6:7], vcc
	v_mov_b64_e32 v[144:145], 0
	v_mov_b64_e32 v[146:147], 0
	s_and_saveexec_b64 s[12:13], s[28:29]
	s_cbranch_execz .LBB184_46
; %bb.45:                               ;   in Loop: Header=BB184_30 Depth=1
	global_load_dwordx2 v[146:147], v[136:137], off offset:32
.LBB184_46:                             ;   in Loop: Header=BB184_30 Depth=1
	s_or_b64 exec, exec, s[12:13]
	s_nor_b64 s[28:29], s[8:9], vcc
	s_and_saveexec_b64 s[12:13], s[28:29]
	s_cbranch_execz .LBB184_48
; %bb.47:                               ;   in Loop: Header=BB184_30 Depth=1
	global_load_dwordx2 v[144:145], v[138:139], off offset:32
.LBB184_48:                             ;   in Loop: Header=BB184_30 Depth=1
	s_or_b64 exec, exec, s[12:13]
	s_mov_b32 s12, 0
.LBB184_49:                             ;   Parent Loop BB184_30 Depth=1
                                        ; =>  This Inner Loop Header: Depth=2
	v_add_u32_e32 v134, s12, v155
	ds_read2_b64 v[136:139], v134 offset1:16
	ds_read2_b64 v[160:163], v134 offset0:32 offset1:48
	ds_read2_b64 v[164:167], v134 offset0:64 offset1:80
	;; [unrolled: 1-line block ×7, first 2 shown]
	v_add_u32_e32 v134, 0x800, v134
	ds_read2_b64 v[188:191], v134 offset1:16
	ds_read2_b64 v[192:195], v134 offset0:32 offset1:48
	ds_read2_b64 v[196:199], v134 offset0:64 offset1:80
	;; [unrolled: 1-line block ×7, first 2 shown]
	v_add_u32_e32 v134, s12, v156
	ds_read2st64_b64 v[220:223], v134 offset1:4
	s_waitcnt lgkmcnt(14)
	v_max_f64 v[136:137], v[136:137], v[136:137]
	v_max_f64 v[138:139], v[138:139], v[138:139]
	;; [unrolled: 1-line block ×4, first 2 shown]
	s_waitcnt lgkmcnt(0)
	v_max_f64 v[220:221], v[220:221], v[220:221]
	v_min_f64 v[224:225], v[136:137], v[220:221]
	v_add_f64 v[126:127], v[126:127], v[224:225]
	v_min_f64 v[224:225], v[138:139], v[220:221]
	v_add_f64 v[124:125], v[124:125], v[224:225]
	;; [unrolled: 2-line block ×3, first 2 shown]
	v_min_f64 v[224:225], v[162:163], v[220:221]
	v_max_f64 v[164:165], v[164:165], v[164:165]
	v_add_f64 v[120:121], v[120:121], v[224:225]
	v_min_f64 v[224:225], v[164:165], v[220:221]
	v_max_f64 v[166:167], v[166:167], v[166:167]
	v_add_f64 v[118:119], v[118:119], v[224:225]
	v_min_f64 v[224:225], v[166:167], v[220:221]
	v_max_f64 v[168:169], v[168:169], v[168:169]
	v_add_f64 v[116:117], v[116:117], v[224:225]
	v_min_f64 v[224:225], v[168:169], v[220:221]
	v_max_f64 v[170:171], v[170:171], v[170:171]
	v_add_f64 v[114:115], v[114:115], v[224:225]
	v_min_f64 v[224:225], v[170:171], v[220:221]
	v_max_f64 v[172:173], v[172:173], v[172:173]
	v_add_f64 v[112:113], v[112:113], v[224:225]
	v_min_f64 v[224:225], v[172:173], v[220:221]
	v_max_f64 v[174:175], v[174:175], v[174:175]
	v_add_f64 v[110:111], v[110:111], v[224:225]
	v_min_f64 v[224:225], v[174:175], v[220:221]
	v_max_f64 v[176:177], v[176:177], v[176:177]
	v_add_f64 v[108:109], v[108:109], v[224:225]
	v_min_f64 v[224:225], v[176:177], v[220:221]
	v_max_f64 v[178:179], v[178:179], v[178:179]
	v_add_f64 v[106:107], v[106:107], v[224:225]
	v_min_f64 v[224:225], v[178:179], v[220:221]
	v_max_f64 v[180:181], v[180:181], v[180:181]
	v_add_f64 v[104:105], v[104:105], v[224:225]
	v_min_f64 v[224:225], v[180:181], v[220:221]
	v_max_f64 v[182:183], v[182:183], v[182:183]
	v_add_f64 v[102:103], v[102:103], v[224:225]
	v_min_f64 v[224:225], v[182:183], v[220:221]
	v_max_f64 v[184:185], v[184:185], v[184:185]
	v_add_f64 v[100:101], v[100:101], v[224:225]
	v_min_f64 v[224:225], v[184:185], v[220:221]
	v_max_f64 v[186:187], v[186:187], v[186:187]
	v_add_f64 v[98:99], v[98:99], v[224:225]
	v_min_f64 v[224:225], v[186:187], v[220:221]
	v_max_f64 v[188:189], v[188:189], v[188:189]
	v_add_f64 v[96:97], v[96:97], v[224:225]
	v_min_f64 v[224:225], v[188:189], v[220:221]
	v_max_f64 v[190:191], v[190:191], v[190:191]
	v_add_f64 v[94:95], v[94:95], v[224:225]
	v_min_f64 v[224:225], v[190:191], v[220:221]
	v_max_f64 v[192:193], v[192:193], v[192:193]
	v_add_f64 v[92:93], v[92:93], v[224:225]
	v_min_f64 v[224:225], v[192:193], v[220:221]
	v_max_f64 v[194:195], v[194:195], v[194:195]
	v_add_f64 v[90:91], v[90:91], v[224:225]
	v_min_f64 v[224:225], v[194:195], v[220:221]
	v_max_f64 v[196:197], v[196:197], v[196:197]
	v_add_f64 v[88:89], v[88:89], v[224:225]
	v_min_f64 v[224:225], v[196:197], v[220:221]
	v_max_f64 v[198:199], v[198:199], v[198:199]
	v_add_f64 v[86:87], v[86:87], v[224:225]
	v_min_f64 v[224:225], v[198:199], v[220:221]
	v_max_f64 v[200:201], v[200:201], v[200:201]
	v_add_f64 v[84:85], v[84:85], v[224:225]
	v_min_f64 v[224:225], v[200:201], v[220:221]
	v_max_f64 v[202:203], v[202:203], v[202:203]
	v_add_f64 v[82:83], v[82:83], v[224:225]
	v_min_f64 v[224:225], v[202:203], v[220:221]
	v_max_f64 v[204:205], v[204:205], v[204:205]
	v_add_f64 v[80:81], v[80:81], v[224:225]
	v_min_f64 v[224:225], v[204:205], v[220:221]
	v_max_f64 v[206:207], v[206:207], v[206:207]
	v_add_f64 v[78:79], v[78:79], v[224:225]
	v_min_f64 v[224:225], v[206:207], v[220:221]
	v_max_f64 v[208:209], v[208:209], v[208:209]
	v_add_f64 v[76:77], v[76:77], v[224:225]
	v_min_f64 v[224:225], v[208:209], v[220:221]
	v_max_f64 v[210:211], v[210:211], v[210:211]
	v_add_f64 v[74:75], v[74:75], v[224:225]
	v_min_f64 v[224:225], v[210:211], v[220:221]
	v_max_f64 v[212:213], v[212:213], v[212:213]
	v_add_f64 v[72:73], v[72:73], v[224:225]
	v_min_f64 v[224:225], v[212:213], v[220:221]
	v_max_f64 v[214:215], v[214:215], v[214:215]
	v_add_f64 v[70:71], v[70:71], v[224:225]
	v_min_f64 v[224:225], v[214:215], v[220:221]
	v_max_f64 v[216:217], v[216:217], v[216:217]
	v_max_f64 v[218:219], v[218:219], v[218:219]
	v_add_f64 v[68:69], v[68:69], v[224:225]
	v_min_f64 v[224:225], v[216:217], v[220:221]
	v_min_f64 v[220:221], v[218:219], v[220:221]
	v_add_f64 v[64:65], v[64:65], v[220:221]
	v_max_f64 v[220:221], v[222:223], v[222:223]
	v_min_f64 v[136:137], v[136:137], v[220:221]
	v_add_f64 v[62:63], v[62:63], v[136:137]
	v_min_f64 v[136:137], v[138:139], v[220:221]
	v_add_f64 v[60:61], v[60:61], v[136:137]
	;; [unrolled: 2-line block ×31, first 2 shown]
	v_min_f64 v[136:137], v[218:219], v[220:221]
	s_add_i32 s12, s12, 8
	v_add_f64 v[66:67], v[66:67], v[224:225]
	v_add_f64 v[0:1], v[0:1], v[136:137]
	s_cmp_eq_u32 s12, 32
	s_cbranch_scc0 .LBB184_49
; %bb.50:                               ;   in Loop: Header=BB184_30 Depth=1
	s_add_i32 s26, s26, 8
	s_add_i32 s27, s27, 8
	s_cmp_ge_i32 s27, s25
	s_waitcnt vmcnt(0)
	ds_write2st64_b64 v157, v[142:143], v[140:141] offset1:4
	ds_write2st64_b64 v158, v[146:147], v[144:145] offset1:4
	s_waitcnt lgkmcnt(0)
	s_barrier
	s_cbranch_scc0 .LBB184_30
.LBB184_51:
	v_mov_b32_e32 v128, 0x1000
	v_lshl_add_u32 v128, v148, 5, v128
	s_mov_b32 s4, 0
.LBB184_52:                             ; =>This Inner Loop Header: Depth=1
	v_add_u32_e32 v129, s4, v128
	v_add_u32_e32 v146, s4, v152
	ds_read2_b64 v[130:133], v129 offset1:16
	ds_read2_b64 v[134:137], v129 offset0:32 offset1:48
	ds_read2_b64 v[138:141], v129 offset0:64 offset1:80
	;; [unrolled: 1-line block ×7, first 2 shown]
	v_add_u32_e32 v129, 0x800, v129
	ds_read2st64_b64 v[170:173], v146 offset1:4
	ds_read2_b64 v[174:177], v129 offset1:16
	ds_read2_b64 v[178:181], v129 offset0:32 offset1:48
	ds_read2_b64 v[182:185], v129 offset0:64 offset1:80
	;; [unrolled: 1-line block ×7, first 2 shown]
	s_waitcnt lgkmcnt(14)
	v_max_f64 v[130:131], v[130:131], v[130:131]
	v_max_f64 v[132:133], v[132:133], v[132:133]
	v_max_f64 v[134:135], v[134:135], v[134:135]
	s_waitcnt lgkmcnt(8)
	v_max_f64 v[146:147], v[170:171], v[170:171]
	v_max_f64 v[136:137], v[136:137], v[136:137]
	v_max_f64 v[138:139], v[138:139], v[138:139]
	v_max_f64 v[140:141], v[140:141], v[140:141]
	v_max_f64 v[142:143], v[142:143], v[142:143]
	v_max_f64 v[144:145], v[144:145], v[144:145]
	v_max_f64 v[150:151], v[154:155], v[154:155]
	v_max_f64 v[154:155], v[156:157], v[156:157]
	v_max_f64 v[156:157], v[158:159], v[158:159]
	v_max_f64 v[158:159], v[160:161], v[160:161]
	v_max_f64 v[160:161], v[162:163], v[162:163]
	v_max_f64 v[162:163], v[164:165], v[164:165]
	v_max_f64 v[164:165], v[166:167], v[166:167]
	v_max_f64 v[166:167], v[168:169], v[168:169]
	v_max_f64 v[168:169], v[172:173], v[172:173]
	v_min_f64 v[170:171], v[130:131], v[146:147]
	v_min_f64 v[172:173], v[132:133], v[146:147]
	;; [unrolled: 1-line block ×16, first 2 shown]
	s_waitcnt lgkmcnt(7)
	v_max_f64 v[174:175], v[174:175], v[174:175]
	v_max_f64 v[176:177], v[176:177], v[176:177]
	s_waitcnt lgkmcnt(6)
	v_max_f64 v[178:179], v[178:179], v[178:179]
	v_max_f64 v[180:181], v[180:181], v[180:181]
	;; [unrolled: 3-line block ×8, first 2 shown]
	v_min_f64 v[130:131], v[130:131], v[168:169]
	v_min_f64 v[132:133], v[132:133], v[168:169]
	;; [unrolled: 1-line block ×16, first 2 shown]
	s_add_i32 s4, s4, 8
	v_add_f64 v[126:127], v[126:127], v[170:171]
	v_add_f64 v[124:125], v[124:125], v[172:173]
	;; [unrolled: 1-line block ×15, first 2 shown]
	v_min_f64 v[170:171], v[174:175], v[146:147]
	v_min_f64 v[172:173], v[176:177], v[146:147]
	;; [unrolled: 1-line block ×16, first 2 shown]
	v_add_f64 v[62:63], v[62:63], v[130:131]
	v_add_f64 v[60:61], v[60:61], v[132:133]
	;; [unrolled: 1-line block ×16, first 2 shown]
	v_min_f64 v[130:131], v[174:175], v[168:169]
	v_min_f64 v[132:133], v[176:177], v[168:169]
	;; [unrolled: 1-line block ×16, first 2 shown]
	s_cmp_eq_u32 s4, 32
	v_add_f64 v[96:97], v[96:97], v[232:233]
	v_add_f64 v[94:95], v[94:95], v[170:171]
	;; [unrolled: 1-line block ×33, first 2 shown]
	s_cbranch_scc0 .LBB184_52
; %bb.53:
	s_load_dwordx2 s[4:5], s[0:1], 0x78
	s_load_dword s78, s[0:1], 0x58
	s_load_dword s33, s[0:1], 0x70
	v_add_u32_e32 v136, s22, v149
	v_add_u32_e32 v128, s2, v148
	s_waitcnt lgkmcnt(0)
	s_mul_i32 s1, s5, s3
	s_mul_hi_u32 s5, s4, s3
	s_mul_i32 s0, s4, s3
	s_add_i32 s1, s5, s1
	s_lshl_b64 s[0:1], s[0:1], 3
	s_add_u32 s74, s14, s0
	s_addc_u32 s75, s15, s1
	v_mad_i64_i32 v[130:131], s[0:1], v136, s78, 0
	v_cmp_gt_i32_e64 s[24:25], s73, v136
	v_lshl_add_u64 v[132:133], v[130:131], 3, s[76:77]
	v_mad_i64_i32 v[130:131], s[0:1], v136, s33, 0
	v_cmp_gt_i32_e64 s[2:3], s72, v128
	v_cndmask_b32_e64 v134, 0, 1, s[16:17]
	v_lshl_add_u64 v[130:131], v[130:131], 3, s[74:75]
	s_and_b64 s[6:7], s[24:25], s[2:3]
	v_ashrrev_i32_e32 v129, 31, v128
	v_cmp_ne_u32_e64 s[0:1], 1, v134
	s_and_saveexec_b64 s[4:5], s[6:7]
	s_cbranch_execz .LBB184_58
; %bb.54:
	s_and_b64 vcc, exec, s[0:1]
	s_cbranch_vccnz .LBB184_56
; %bb.55:
	v_lshl_add_u64 v[134:135], v[128:129], 3, v[132:133]
	global_load_dwordx2 v[134:135], v[134:135], off
	s_waitcnt vmcnt(0)
	v_mul_f64 v[134:135], s[70:71], v[134:135]
	s_branch .LBB184_57
.LBB184_56:
	v_mov_b64_e32 v[134:135], 0
.LBB184_57:
	v_add_f64 v[126:127], v[126:127], v[134:135]
	v_lshl_add_u64 v[134:135], v[128:129], 3, v[130:131]
	global_store_dwordx2 v[134:135], v[126:127], off
.LBB184_58:
	s_or_b64 exec, exec, s[4:5]
	v_add_u32_e32 v126, 4, v128
	v_cmp_gt_i32_e64 s[4:5], s72, v126
	s_and_b64 s[8:9], s[24:25], s[4:5]
	v_ashrrev_i32_e32 v127, 31, v126
	s_and_saveexec_b64 s[6:7], s[8:9]
	s_cbranch_execz .LBB184_63
; %bb.59:
	s_and_b64 vcc, exec, s[0:1]
	s_cbranch_vccnz .LBB184_61
; %bb.60:
	v_lshl_add_u64 v[134:135], v[126:127], 3, v[132:133]
	global_load_dwordx2 v[134:135], v[134:135], off
	s_waitcnt vmcnt(0)
	v_mul_f64 v[134:135], s[70:71], v[134:135]
	s_branch .LBB184_62
.LBB184_61:
	v_mov_b64_e32 v[134:135], 0
.LBB184_62:
	v_add_f64 v[124:125], v[124:125], v[134:135]
	v_lshl_add_u64 v[134:135], v[126:127], 3, v[130:131]
	global_store_dwordx2 v[134:135], v[124:125], off
.LBB184_63:
	s_or_b64 exec, exec, s[6:7]
	v_add_u32_e32 v124, 8, v128
	v_cmp_gt_i32_e64 s[6:7], s72, v124
	s_and_b64 s[10:11], s[24:25], s[6:7]
	v_ashrrev_i32_e32 v125, 31, v124
	;; [unrolled: 23-line block ×31, first 2 shown]
	s_and_saveexec_b64 s[24:25], s[80:81]
	s_cbranch_execz .LBB184_213
; %bb.209:
	s_and_b64 vcc, exec, s[0:1]
	s_cbranch_vccnz .LBB184_211
; %bb.210:
	v_lshl_add_u64 v[132:133], v[66:67], 3, v[132:133]
	global_load_dwordx2 v[132:133], v[132:133], off
	s_waitcnt vmcnt(0)
	v_mul_f64 v[132:133], s[70:71], v[132:133]
	s_branch .LBB184_212
.LBB184_211:
	v_mov_b64_e32 v[132:133], 0
.LBB184_212:
	v_add_f64 v[64:65], v[64:65], v[132:133]
	v_lshl_add_u64 v[130:131], v[66:67], 3, v[130:131]
	global_store_dwordx2 v[130:131], v[64:65], off
.LBB184_213:
	s_or_b64 exec, exec, s[24:25]
	v_add_u32_e32 v132, 64, v136
	v_cmp_gt_i32_e64 s[24:25], s73, v132
	v_mad_i64_i32 v[64:65], s[72:73], v132, s78, 0
	v_lshl_add_u64 v[130:131], v[64:65], 3, s[76:77]
	v_mad_i64_i32 v[64:65], s[72:73], v132, s33, 0
	v_lshl_add_u64 v[64:65], v[64:65], 3, s[74:75]
	s_and_b64 s[2:3], s[24:25], s[2:3]
	s_and_saveexec_b64 s[72:73], s[2:3]
	s_xor_b64 s[2:3], exec, s[72:73]
	s_cbranch_execnz .LBB184_246
; %bb.214:
	s_or_b64 exec, exec, s[2:3]
	s_and_b64 s[4:5], s[24:25], s[4:5]
	s_and_saveexec_b64 s[2:3], s[4:5]
	s_cbranch_execnz .LBB184_250
.LBB184_215:
	s_or_b64 exec, exec, s[2:3]
	s_and_b64 s[4:5], s[24:25], s[6:7]
	s_and_saveexec_b64 s[2:3], s[4:5]
	s_cbranch_execnz .LBB184_254
.LBB184_216:
	s_or_b64 exec, exec, s[2:3]
	s_and_b64 s[4:5], s[24:25], s[8:9]
	s_and_saveexec_b64 s[2:3], s[4:5]
	s_cbranch_execnz .LBB184_258
.LBB184_217:
	s_or_b64 exec, exec, s[2:3]
	s_and_b64 s[4:5], s[24:25], s[10:11]
	s_and_saveexec_b64 s[2:3], s[4:5]
	s_cbranch_execnz .LBB184_262
.LBB184_218:
	s_or_b64 exec, exec, s[2:3]
	s_and_b64 s[4:5], s[24:25], s[12:13]
	s_and_saveexec_b64 s[2:3], s[4:5]
	s_cbranch_execnz .LBB184_266
.LBB184_219:
	s_or_b64 exec, exec, s[2:3]
	s_and_b64 s[4:5], s[24:25], s[14:15]
	s_and_saveexec_b64 s[2:3], s[4:5]
	s_cbranch_execnz .LBB184_270
.LBB184_220:
	s_or_b64 exec, exec, s[2:3]
	s_and_b64 s[4:5], s[24:25], s[16:17]
	s_and_saveexec_b64 s[2:3], s[4:5]
	s_cbranch_execnz .LBB184_274
.LBB184_221:
	s_or_b64 exec, exec, s[2:3]
	s_and_b64 s[4:5], s[24:25], s[18:19]
	s_and_saveexec_b64 s[2:3], s[4:5]
	s_cbranch_execnz .LBB184_278
.LBB184_222:
	s_or_b64 exec, exec, s[2:3]
	s_and_b64 s[4:5], s[24:25], s[20:21]
	s_and_saveexec_b64 s[2:3], s[4:5]
	s_cbranch_execnz .LBB184_282
.LBB184_223:
	s_or_b64 exec, exec, s[2:3]
	s_and_b64 s[4:5], s[24:25], s[22:23]
	s_and_saveexec_b64 s[2:3], s[4:5]
	s_cbranch_execnz .LBB184_286
.LBB184_224:
	s_or_b64 exec, exec, s[2:3]
	s_and_b64 s[4:5], s[24:25], s[26:27]
	s_and_saveexec_b64 s[2:3], s[4:5]
	s_cbranch_execnz .LBB184_290
.LBB184_225:
	s_or_b64 exec, exec, s[2:3]
	s_and_b64 s[4:5], s[24:25], s[28:29]
	s_and_saveexec_b64 s[2:3], s[4:5]
	s_cbranch_execnz .LBB184_294
.LBB184_226:
	s_or_b64 exec, exec, s[2:3]
	s_and_b64 s[4:5], s[24:25], s[30:31]
	s_and_saveexec_b64 s[2:3], s[4:5]
	s_cbranch_execnz .LBB184_298
.LBB184_227:
	s_or_b64 exec, exec, s[2:3]
	s_and_b64 s[4:5], s[24:25], s[34:35]
	s_and_saveexec_b64 s[2:3], s[4:5]
	s_cbranch_execnz .LBB184_302
.LBB184_228:
	s_or_b64 exec, exec, s[2:3]
	s_and_b64 s[4:5], s[24:25], s[36:37]
	s_and_saveexec_b64 s[2:3], s[4:5]
	s_cbranch_execnz .LBB184_306
.LBB184_229:
	s_or_b64 exec, exec, s[2:3]
	s_and_b64 s[4:5], s[24:25], s[38:39]
	s_and_saveexec_b64 s[2:3], s[4:5]
	s_cbranch_execnz .LBB184_310
.LBB184_230:
	s_or_b64 exec, exec, s[2:3]
	s_and_b64 s[4:5], s[24:25], s[40:41]
	s_and_saveexec_b64 s[2:3], s[4:5]
	s_cbranch_execnz .LBB184_314
.LBB184_231:
	s_or_b64 exec, exec, s[2:3]
	s_and_b64 s[4:5], s[24:25], s[42:43]
	s_and_saveexec_b64 s[2:3], s[4:5]
	s_cbranch_execnz .LBB184_318
.LBB184_232:
	s_or_b64 exec, exec, s[2:3]
	s_and_b64 s[4:5], s[24:25], s[44:45]
	s_and_saveexec_b64 s[2:3], s[4:5]
	s_cbranch_execnz .LBB184_322
.LBB184_233:
	s_or_b64 exec, exec, s[2:3]
	s_and_b64 s[4:5], s[24:25], s[46:47]
	s_and_saveexec_b64 s[2:3], s[4:5]
	s_cbranch_execnz .LBB184_326
.LBB184_234:
	s_or_b64 exec, exec, s[2:3]
	s_and_b64 s[4:5], s[24:25], s[48:49]
	s_and_saveexec_b64 s[2:3], s[4:5]
	s_cbranch_execnz .LBB184_330
.LBB184_235:
	s_or_b64 exec, exec, s[2:3]
	s_and_b64 s[4:5], s[24:25], s[50:51]
	s_and_saveexec_b64 s[2:3], s[4:5]
	s_cbranch_execnz .LBB184_334
.LBB184_236:
	s_or_b64 exec, exec, s[2:3]
	s_and_b64 s[4:5], s[24:25], s[52:53]
	s_and_saveexec_b64 s[2:3], s[4:5]
	s_cbranch_execnz .LBB184_338
.LBB184_237:
	s_or_b64 exec, exec, s[2:3]
	s_and_b64 s[4:5], s[24:25], s[54:55]
	s_and_saveexec_b64 s[2:3], s[4:5]
	s_cbranch_execnz .LBB184_342
.LBB184_238:
	s_or_b64 exec, exec, s[2:3]
	s_and_b64 s[4:5], s[24:25], s[56:57]
	s_and_saveexec_b64 s[2:3], s[4:5]
	s_cbranch_execnz .LBB184_346
.LBB184_239:
	s_or_b64 exec, exec, s[2:3]
	s_and_b64 s[4:5], s[24:25], s[58:59]
	s_and_saveexec_b64 s[2:3], s[4:5]
	s_cbranch_execnz .LBB184_350
.LBB184_240:
	s_or_b64 exec, exec, s[2:3]
	s_and_b64 s[4:5], s[24:25], s[60:61]
	s_and_saveexec_b64 s[2:3], s[4:5]
	s_cbranch_execnz .LBB184_354
.LBB184_241:
	s_or_b64 exec, exec, s[2:3]
	s_and_b64 s[4:5], s[24:25], s[62:63]
	s_and_saveexec_b64 s[2:3], s[4:5]
	s_cbranch_execnz .LBB184_358
.LBB184_242:
	s_or_b64 exec, exec, s[2:3]
	s_and_b64 s[4:5], s[24:25], s[64:65]
	s_and_saveexec_b64 s[2:3], s[4:5]
	s_cbranch_execnz .LBB184_362
.LBB184_243:
	s_or_b64 exec, exec, s[2:3]
	s_and_b64 s[4:5], s[24:25], s[66:67]
	s_and_saveexec_b64 s[2:3], s[4:5]
	s_cbranch_execnz .LBB184_366
.LBB184_244:
	s_or_b64 exec, exec, s[2:3]
	s_and_b64 s[2:3], s[24:25], s[68:69]
	s_and_saveexec_b64 s[4:5], s[2:3]
	s_cbranch_execnz .LBB184_370
.LBB184_245:
	s_endpgm
.LBB184_246:
	s_and_b64 vcc, exec, s[0:1]
	s_cbranch_vccnz .LBB184_248
; %bb.247:
	v_lshl_add_u64 v[132:133], v[128:129], 3, v[130:131]
	global_load_dwordx2 v[132:133], v[132:133], off
	s_waitcnt vmcnt(0)
	v_mul_f64 v[132:133], s[70:71], v[132:133]
	s_branch .LBB184_249
.LBB184_248:
	v_mov_b64_e32 v[132:133], 0
.LBB184_249:
	v_add_f64 v[62:63], v[62:63], v[132:133]
	v_lshl_add_u64 v[128:129], v[128:129], 3, v[64:65]
	global_store_dwordx2 v[128:129], v[62:63], off
	s_or_b64 exec, exec, s[2:3]
	s_and_b64 s[4:5], s[24:25], s[4:5]
	s_and_saveexec_b64 s[2:3], s[4:5]
	s_cbranch_execz .LBB184_215
.LBB184_250:
	s_and_b64 vcc, exec, s[0:1]
	s_cbranch_vccnz .LBB184_252
; %bb.251:
	v_lshl_add_u64 v[62:63], v[126:127], 3, v[130:131]
	global_load_dwordx2 v[62:63], v[62:63], off
	s_waitcnt vmcnt(0)
	v_mul_f64 v[62:63], s[70:71], v[62:63]
	s_branch .LBB184_253
.LBB184_252:
	v_mov_b64_e32 v[62:63], 0
.LBB184_253:
	v_add_f64 v[60:61], v[60:61], v[62:63]
	v_lshl_add_u64 v[62:63], v[126:127], 3, v[64:65]
	global_store_dwordx2 v[62:63], v[60:61], off
	s_or_b64 exec, exec, s[2:3]
	s_and_b64 s[4:5], s[24:25], s[6:7]
	s_and_saveexec_b64 s[2:3], s[4:5]
	s_cbranch_execz .LBB184_216
.LBB184_254:
	s_and_b64 vcc, exec, s[0:1]
	s_cbranch_vccnz .LBB184_256
; %bb.255:
	v_lshl_add_u64 v[60:61], v[124:125], 3, v[130:131]
	global_load_dwordx2 v[60:61], v[60:61], off
	s_waitcnt vmcnt(0)
	v_mul_f64 v[60:61], s[70:71], v[60:61]
	s_branch .LBB184_257
.LBB184_256:
	v_mov_b64_e32 v[60:61], 0
.LBB184_257:
	v_add_f64 v[58:59], v[58:59], v[60:61]
	v_lshl_add_u64 v[60:61], v[124:125], 3, v[64:65]
	global_store_dwordx2 v[60:61], v[58:59], off
	s_or_b64 exec, exec, s[2:3]
	s_and_b64 s[4:5], s[24:25], s[8:9]
	s_and_saveexec_b64 s[2:3], s[4:5]
	s_cbranch_execz .LBB184_217
.LBB184_258:
	s_and_b64 vcc, exec, s[0:1]
	s_cbranch_vccnz .LBB184_260
; %bb.259:
	v_lshl_add_u64 v[58:59], v[122:123], 3, v[130:131]
	global_load_dwordx2 v[58:59], v[58:59], off
	s_waitcnt vmcnt(0)
	v_mul_f64 v[58:59], s[70:71], v[58:59]
	s_branch .LBB184_261
.LBB184_260:
	v_mov_b64_e32 v[58:59], 0
.LBB184_261:
	v_add_f64 v[56:57], v[56:57], v[58:59]
	v_lshl_add_u64 v[58:59], v[122:123], 3, v[64:65]
	global_store_dwordx2 v[58:59], v[56:57], off
	s_or_b64 exec, exec, s[2:3]
	s_and_b64 s[4:5], s[24:25], s[10:11]
	s_and_saveexec_b64 s[2:3], s[4:5]
	s_cbranch_execz .LBB184_218
.LBB184_262:
	s_and_b64 vcc, exec, s[0:1]
	s_cbranch_vccnz .LBB184_264
; %bb.263:
	v_lshl_add_u64 v[56:57], v[120:121], 3, v[130:131]
	global_load_dwordx2 v[56:57], v[56:57], off
	s_waitcnt vmcnt(0)
	v_mul_f64 v[56:57], s[70:71], v[56:57]
	s_branch .LBB184_265
.LBB184_264:
	v_mov_b64_e32 v[56:57], 0
.LBB184_265:
	v_add_f64 v[54:55], v[54:55], v[56:57]
	v_lshl_add_u64 v[56:57], v[120:121], 3, v[64:65]
	global_store_dwordx2 v[56:57], v[54:55], off
	s_or_b64 exec, exec, s[2:3]
	s_and_b64 s[4:5], s[24:25], s[12:13]
	s_and_saveexec_b64 s[2:3], s[4:5]
	s_cbranch_execz .LBB184_219
.LBB184_266:
	s_and_b64 vcc, exec, s[0:1]
	s_cbranch_vccnz .LBB184_268
; %bb.267:
	v_lshl_add_u64 v[54:55], v[118:119], 3, v[130:131]
	global_load_dwordx2 v[54:55], v[54:55], off
	s_waitcnt vmcnt(0)
	v_mul_f64 v[54:55], s[70:71], v[54:55]
	s_branch .LBB184_269
.LBB184_268:
	v_mov_b64_e32 v[54:55], 0
.LBB184_269:
	v_add_f64 v[52:53], v[52:53], v[54:55]
	v_lshl_add_u64 v[54:55], v[118:119], 3, v[64:65]
	global_store_dwordx2 v[54:55], v[52:53], off
	s_or_b64 exec, exec, s[2:3]
	s_and_b64 s[4:5], s[24:25], s[14:15]
	s_and_saveexec_b64 s[2:3], s[4:5]
	s_cbranch_execz .LBB184_220
.LBB184_270:
	s_and_b64 vcc, exec, s[0:1]
	s_cbranch_vccnz .LBB184_272
; %bb.271:
	v_lshl_add_u64 v[52:53], v[116:117], 3, v[130:131]
	global_load_dwordx2 v[52:53], v[52:53], off
	s_waitcnt vmcnt(0)
	v_mul_f64 v[52:53], s[70:71], v[52:53]
	s_branch .LBB184_273
.LBB184_272:
	v_mov_b64_e32 v[52:53], 0
.LBB184_273:
	v_add_f64 v[50:51], v[50:51], v[52:53]
	v_lshl_add_u64 v[52:53], v[116:117], 3, v[64:65]
	global_store_dwordx2 v[52:53], v[50:51], off
	s_or_b64 exec, exec, s[2:3]
	s_and_b64 s[4:5], s[24:25], s[16:17]
	s_and_saveexec_b64 s[2:3], s[4:5]
	s_cbranch_execz .LBB184_221
.LBB184_274:
	s_and_b64 vcc, exec, s[0:1]
	s_cbranch_vccnz .LBB184_276
; %bb.275:
	v_lshl_add_u64 v[50:51], v[114:115], 3, v[130:131]
	global_load_dwordx2 v[50:51], v[50:51], off
	s_waitcnt vmcnt(0)
	v_mul_f64 v[50:51], s[70:71], v[50:51]
	s_branch .LBB184_277
.LBB184_276:
	v_mov_b64_e32 v[50:51], 0
.LBB184_277:
	v_add_f64 v[48:49], v[48:49], v[50:51]
	v_lshl_add_u64 v[50:51], v[114:115], 3, v[64:65]
	global_store_dwordx2 v[50:51], v[48:49], off
	s_or_b64 exec, exec, s[2:3]
	s_and_b64 s[4:5], s[24:25], s[18:19]
	s_and_saveexec_b64 s[2:3], s[4:5]
	s_cbranch_execz .LBB184_222
.LBB184_278:
	s_and_b64 vcc, exec, s[0:1]
	s_cbranch_vccnz .LBB184_280
; %bb.279:
	v_lshl_add_u64 v[48:49], v[112:113], 3, v[130:131]
	global_load_dwordx2 v[48:49], v[48:49], off
	s_waitcnt vmcnt(0)
	v_mul_f64 v[48:49], s[70:71], v[48:49]
	s_branch .LBB184_281
.LBB184_280:
	v_mov_b64_e32 v[48:49], 0
.LBB184_281:
	v_add_f64 v[46:47], v[46:47], v[48:49]
	v_lshl_add_u64 v[48:49], v[112:113], 3, v[64:65]
	global_store_dwordx2 v[48:49], v[46:47], off
	s_or_b64 exec, exec, s[2:3]
	s_and_b64 s[4:5], s[24:25], s[20:21]
	s_and_saveexec_b64 s[2:3], s[4:5]
	s_cbranch_execz .LBB184_223
.LBB184_282:
	s_and_b64 vcc, exec, s[0:1]
	s_cbranch_vccnz .LBB184_284
; %bb.283:
	v_lshl_add_u64 v[46:47], v[110:111], 3, v[130:131]
	global_load_dwordx2 v[46:47], v[46:47], off
	s_waitcnt vmcnt(0)
	v_mul_f64 v[46:47], s[70:71], v[46:47]
	s_branch .LBB184_285
.LBB184_284:
	v_mov_b64_e32 v[46:47], 0
.LBB184_285:
	v_add_f64 v[44:45], v[44:45], v[46:47]
	v_lshl_add_u64 v[46:47], v[110:111], 3, v[64:65]
	global_store_dwordx2 v[46:47], v[44:45], off
	s_or_b64 exec, exec, s[2:3]
	s_and_b64 s[4:5], s[24:25], s[22:23]
	s_and_saveexec_b64 s[2:3], s[4:5]
	s_cbranch_execz .LBB184_224
.LBB184_286:
	s_and_b64 vcc, exec, s[0:1]
	s_cbranch_vccnz .LBB184_288
; %bb.287:
	v_lshl_add_u64 v[44:45], v[108:109], 3, v[130:131]
	global_load_dwordx2 v[44:45], v[44:45], off
	s_waitcnt vmcnt(0)
	v_mul_f64 v[44:45], s[70:71], v[44:45]
	s_branch .LBB184_289
.LBB184_288:
	v_mov_b64_e32 v[44:45], 0
.LBB184_289:
	v_add_f64 v[42:43], v[42:43], v[44:45]
	v_lshl_add_u64 v[44:45], v[108:109], 3, v[64:65]
	global_store_dwordx2 v[44:45], v[42:43], off
	s_or_b64 exec, exec, s[2:3]
	s_and_b64 s[4:5], s[24:25], s[26:27]
	s_and_saveexec_b64 s[2:3], s[4:5]
	s_cbranch_execz .LBB184_225
.LBB184_290:
	s_and_b64 vcc, exec, s[0:1]
	s_cbranch_vccnz .LBB184_292
; %bb.291:
	v_lshl_add_u64 v[42:43], v[106:107], 3, v[130:131]
	global_load_dwordx2 v[42:43], v[42:43], off
	s_waitcnt vmcnt(0)
	v_mul_f64 v[42:43], s[70:71], v[42:43]
	s_branch .LBB184_293
.LBB184_292:
	v_mov_b64_e32 v[42:43], 0
.LBB184_293:
	v_add_f64 v[40:41], v[40:41], v[42:43]
	v_lshl_add_u64 v[42:43], v[106:107], 3, v[64:65]
	global_store_dwordx2 v[42:43], v[40:41], off
	s_or_b64 exec, exec, s[2:3]
	s_and_b64 s[4:5], s[24:25], s[28:29]
	s_and_saveexec_b64 s[2:3], s[4:5]
	s_cbranch_execz .LBB184_226
.LBB184_294:
	s_and_b64 vcc, exec, s[0:1]
	s_cbranch_vccnz .LBB184_296
; %bb.295:
	v_lshl_add_u64 v[40:41], v[104:105], 3, v[130:131]
	global_load_dwordx2 v[40:41], v[40:41], off
	s_waitcnt vmcnt(0)
	v_mul_f64 v[40:41], s[70:71], v[40:41]
	s_branch .LBB184_297
.LBB184_296:
	v_mov_b64_e32 v[40:41], 0
.LBB184_297:
	v_add_f64 v[38:39], v[38:39], v[40:41]
	v_lshl_add_u64 v[40:41], v[104:105], 3, v[64:65]
	global_store_dwordx2 v[40:41], v[38:39], off
	s_or_b64 exec, exec, s[2:3]
	s_and_b64 s[4:5], s[24:25], s[30:31]
	s_and_saveexec_b64 s[2:3], s[4:5]
	s_cbranch_execz .LBB184_227
.LBB184_298:
	s_and_b64 vcc, exec, s[0:1]
	s_cbranch_vccnz .LBB184_300
; %bb.299:
	v_lshl_add_u64 v[38:39], v[102:103], 3, v[130:131]
	global_load_dwordx2 v[38:39], v[38:39], off
	s_waitcnt vmcnt(0)
	v_mul_f64 v[38:39], s[70:71], v[38:39]
	s_branch .LBB184_301
.LBB184_300:
	v_mov_b64_e32 v[38:39], 0
.LBB184_301:
	v_add_f64 v[36:37], v[36:37], v[38:39]
	v_lshl_add_u64 v[38:39], v[102:103], 3, v[64:65]
	global_store_dwordx2 v[38:39], v[36:37], off
	s_or_b64 exec, exec, s[2:3]
	s_and_b64 s[4:5], s[24:25], s[34:35]
	s_and_saveexec_b64 s[2:3], s[4:5]
	s_cbranch_execz .LBB184_228
.LBB184_302:
	s_and_b64 vcc, exec, s[0:1]
	s_cbranch_vccnz .LBB184_304
; %bb.303:
	v_lshl_add_u64 v[36:37], v[100:101], 3, v[130:131]
	global_load_dwordx2 v[36:37], v[36:37], off
	s_waitcnt vmcnt(0)
	v_mul_f64 v[36:37], s[70:71], v[36:37]
	s_branch .LBB184_305
.LBB184_304:
	v_mov_b64_e32 v[36:37], 0
.LBB184_305:
	v_add_f64 v[34:35], v[34:35], v[36:37]
	v_lshl_add_u64 v[36:37], v[100:101], 3, v[64:65]
	global_store_dwordx2 v[36:37], v[34:35], off
	s_or_b64 exec, exec, s[2:3]
	s_and_b64 s[4:5], s[24:25], s[36:37]
	s_and_saveexec_b64 s[2:3], s[4:5]
	s_cbranch_execz .LBB184_229
.LBB184_306:
	s_and_b64 vcc, exec, s[0:1]
	s_cbranch_vccnz .LBB184_308
; %bb.307:
	v_lshl_add_u64 v[34:35], v[98:99], 3, v[130:131]
	global_load_dwordx2 v[34:35], v[34:35], off
	s_waitcnt vmcnt(0)
	v_mul_f64 v[34:35], s[70:71], v[34:35]
	s_branch .LBB184_309
.LBB184_308:
	v_mov_b64_e32 v[34:35], 0
.LBB184_309:
	v_add_f64 v[32:33], v[32:33], v[34:35]
	v_lshl_add_u64 v[34:35], v[98:99], 3, v[64:65]
	global_store_dwordx2 v[34:35], v[32:33], off
	s_or_b64 exec, exec, s[2:3]
	s_and_b64 s[4:5], s[24:25], s[38:39]
	s_and_saveexec_b64 s[2:3], s[4:5]
	s_cbranch_execz .LBB184_230
.LBB184_310:
	s_and_b64 vcc, exec, s[0:1]
	s_cbranch_vccnz .LBB184_312
; %bb.311:
	v_lshl_add_u64 v[32:33], v[96:97], 3, v[130:131]
	global_load_dwordx2 v[32:33], v[32:33], off
	s_waitcnt vmcnt(0)
	v_mul_f64 v[32:33], s[70:71], v[32:33]
	s_branch .LBB184_313
.LBB184_312:
	v_mov_b64_e32 v[32:33], 0
.LBB184_313:
	v_add_f64 v[30:31], v[30:31], v[32:33]
	v_lshl_add_u64 v[32:33], v[96:97], 3, v[64:65]
	global_store_dwordx2 v[32:33], v[30:31], off
	s_or_b64 exec, exec, s[2:3]
	s_and_b64 s[4:5], s[24:25], s[40:41]
	s_and_saveexec_b64 s[2:3], s[4:5]
	s_cbranch_execz .LBB184_231
.LBB184_314:
	s_and_b64 vcc, exec, s[0:1]
	s_cbranch_vccnz .LBB184_316
; %bb.315:
	v_lshl_add_u64 v[30:31], v[94:95], 3, v[130:131]
	global_load_dwordx2 v[30:31], v[30:31], off
	s_waitcnt vmcnt(0)
	v_mul_f64 v[30:31], s[70:71], v[30:31]
	s_branch .LBB184_317
.LBB184_316:
	v_mov_b64_e32 v[30:31], 0
.LBB184_317:
	v_add_f64 v[28:29], v[28:29], v[30:31]
	v_lshl_add_u64 v[30:31], v[94:95], 3, v[64:65]
	global_store_dwordx2 v[30:31], v[28:29], off
	s_or_b64 exec, exec, s[2:3]
	s_and_b64 s[4:5], s[24:25], s[42:43]
	s_and_saveexec_b64 s[2:3], s[4:5]
	s_cbranch_execz .LBB184_232
.LBB184_318:
	s_and_b64 vcc, exec, s[0:1]
	s_cbranch_vccnz .LBB184_320
; %bb.319:
	v_lshl_add_u64 v[28:29], v[92:93], 3, v[130:131]
	global_load_dwordx2 v[28:29], v[28:29], off
	s_waitcnt vmcnt(0)
	v_mul_f64 v[28:29], s[70:71], v[28:29]
	s_branch .LBB184_321
.LBB184_320:
	v_mov_b64_e32 v[28:29], 0
.LBB184_321:
	v_add_f64 v[26:27], v[26:27], v[28:29]
	v_lshl_add_u64 v[28:29], v[92:93], 3, v[64:65]
	global_store_dwordx2 v[28:29], v[26:27], off
	s_or_b64 exec, exec, s[2:3]
	s_and_b64 s[4:5], s[24:25], s[44:45]
	s_and_saveexec_b64 s[2:3], s[4:5]
	s_cbranch_execz .LBB184_233
.LBB184_322:
	s_and_b64 vcc, exec, s[0:1]
	s_cbranch_vccnz .LBB184_324
; %bb.323:
	v_lshl_add_u64 v[26:27], v[90:91], 3, v[130:131]
	global_load_dwordx2 v[26:27], v[26:27], off
	s_waitcnt vmcnt(0)
	v_mul_f64 v[26:27], s[70:71], v[26:27]
	s_branch .LBB184_325
.LBB184_324:
	v_mov_b64_e32 v[26:27], 0
.LBB184_325:
	v_add_f64 v[24:25], v[24:25], v[26:27]
	v_lshl_add_u64 v[26:27], v[90:91], 3, v[64:65]
	global_store_dwordx2 v[26:27], v[24:25], off
	s_or_b64 exec, exec, s[2:3]
	s_and_b64 s[4:5], s[24:25], s[46:47]
	s_and_saveexec_b64 s[2:3], s[4:5]
	s_cbranch_execz .LBB184_234
.LBB184_326:
	s_and_b64 vcc, exec, s[0:1]
	s_cbranch_vccnz .LBB184_328
; %bb.327:
	v_lshl_add_u64 v[24:25], v[88:89], 3, v[130:131]
	global_load_dwordx2 v[24:25], v[24:25], off
	s_waitcnt vmcnt(0)
	v_mul_f64 v[24:25], s[70:71], v[24:25]
	s_branch .LBB184_329
.LBB184_328:
	v_mov_b64_e32 v[24:25], 0
.LBB184_329:
	v_add_f64 v[22:23], v[22:23], v[24:25]
	v_lshl_add_u64 v[24:25], v[88:89], 3, v[64:65]
	global_store_dwordx2 v[24:25], v[22:23], off
	s_or_b64 exec, exec, s[2:3]
	s_and_b64 s[4:5], s[24:25], s[48:49]
	s_and_saveexec_b64 s[2:3], s[4:5]
	s_cbranch_execz .LBB184_235
.LBB184_330:
	s_and_b64 vcc, exec, s[0:1]
	s_cbranch_vccnz .LBB184_332
; %bb.331:
	v_lshl_add_u64 v[22:23], v[86:87], 3, v[130:131]
	global_load_dwordx2 v[22:23], v[22:23], off
	s_waitcnt vmcnt(0)
	v_mul_f64 v[22:23], s[70:71], v[22:23]
	s_branch .LBB184_333
.LBB184_332:
	v_mov_b64_e32 v[22:23], 0
.LBB184_333:
	v_add_f64 v[20:21], v[20:21], v[22:23]
	v_lshl_add_u64 v[22:23], v[86:87], 3, v[64:65]
	global_store_dwordx2 v[22:23], v[20:21], off
	s_or_b64 exec, exec, s[2:3]
	s_and_b64 s[4:5], s[24:25], s[50:51]
	s_and_saveexec_b64 s[2:3], s[4:5]
	s_cbranch_execz .LBB184_236
.LBB184_334:
	s_and_b64 vcc, exec, s[0:1]
	s_cbranch_vccnz .LBB184_336
; %bb.335:
	v_lshl_add_u64 v[20:21], v[84:85], 3, v[130:131]
	global_load_dwordx2 v[20:21], v[20:21], off
	s_waitcnt vmcnt(0)
	v_mul_f64 v[20:21], s[70:71], v[20:21]
	s_branch .LBB184_337
.LBB184_336:
	v_mov_b64_e32 v[20:21], 0
.LBB184_337:
	v_add_f64 v[18:19], v[18:19], v[20:21]
	v_lshl_add_u64 v[20:21], v[84:85], 3, v[64:65]
	global_store_dwordx2 v[20:21], v[18:19], off
	s_or_b64 exec, exec, s[2:3]
	s_and_b64 s[4:5], s[24:25], s[52:53]
	s_and_saveexec_b64 s[2:3], s[4:5]
	s_cbranch_execz .LBB184_237
.LBB184_338:
	s_and_b64 vcc, exec, s[0:1]
	s_cbranch_vccnz .LBB184_340
; %bb.339:
	v_lshl_add_u64 v[18:19], v[82:83], 3, v[130:131]
	global_load_dwordx2 v[18:19], v[18:19], off
	s_waitcnt vmcnt(0)
	v_mul_f64 v[18:19], s[70:71], v[18:19]
	s_branch .LBB184_341
.LBB184_340:
	v_mov_b64_e32 v[18:19], 0
.LBB184_341:
	v_add_f64 v[16:17], v[16:17], v[18:19]
	v_lshl_add_u64 v[18:19], v[82:83], 3, v[64:65]
	global_store_dwordx2 v[18:19], v[16:17], off
	s_or_b64 exec, exec, s[2:3]
	s_and_b64 s[4:5], s[24:25], s[54:55]
	s_and_saveexec_b64 s[2:3], s[4:5]
	s_cbranch_execz .LBB184_238
.LBB184_342:
	s_and_b64 vcc, exec, s[0:1]
	s_cbranch_vccnz .LBB184_344
; %bb.343:
	v_lshl_add_u64 v[16:17], v[80:81], 3, v[130:131]
	global_load_dwordx2 v[16:17], v[16:17], off
	s_waitcnt vmcnt(0)
	v_mul_f64 v[16:17], s[70:71], v[16:17]
	s_branch .LBB184_345
.LBB184_344:
	v_mov_b64_e32 v[16:17], 0
.LBB184_345:
	v_add_f64 v[14:15], v[14:15], v[16:17]
	v_lshl_add_u64 v[16:17], v[80:81], 3, v[64:65]
	global_store_dwordx2 v[16:17], v[14:15], off
	s_or_b64 exec, exec, s[2:3]
	s_and_b64 s[4:5], s[24:25], s[56:57]
	s_and_saveexec_b64 s[2:3], s[4:5]
	s_cbranch_execz .LBB184_239
.LBB184_346:
	s_and_b64 vcc, exec, s[0:1]
	s_cbranch_vccnz .LBB184_348
; %bb.347:
	v_lshl_add_u64 v[14:15], v[78:79], 3, v[130:131]
	global_load_dwordx2 v[14:15], v[14:15], off
	s_waitcnt vmcnt(0)
	v_mul_f64 v[14:15], s[70:71], v[14:15]
	s_branch .LBB184_349
.LBB184_348:
	v_mov_b64_e32 v[14:15], 0
.LBB184_349:
	v_add_f64 v[12:13], v[12:13], v[14:15]
	v_lshl_add_u64 v[14:15], v[78:79], 3, v[64:65]
	global_store_dwordx2 v[14:15], v[12:13], off
	s_or_b64 exec, exec, s[2:3]
	s_and_b64 s[4:5], s[24:25], s[58:59]
	s_and_saveexec_b64 s[2:3], s[4:5]
	s_cbranch_execz .LBB184_240
.LBB184_350:
	s_and_b64 vcc, exec, s[0:1]
	s_cbranch_vccnz .LBB184_352
; %bb.351:
	v_lshl_add_u64 v[12:13], v[76:77], 3, v[130:131]
	global_load_dwordx2 v[12:13], v[12:13], off
	s_waitcnt vmcnt(0)
	v_mul_f64 v[12:13], s[70:71], v[12:13]
	s_branch .LBB184_353
.LBB184_352:
	v_mov_b64_e32 v[12:13], 0
.LBB184_353:
	v_add_f64 v[10:11], v[10:11], v[12:13]
	v_lshl_add_u64 v[12:13], v[76:77], 3, v[64:65]
	global_store_dwordx2 v[12:13], v[10:11], off
	s_or_b64 exec, exec, s[2:3]
	s_and_b64 s[4:5], s[24:25], s[60:61]
	s_and_saveexec_b64 s[2:3], s[4:5]
	s_cbranch_execz .LBB184_241
.LBB184_354:
	s_and_b64 vcc, exec, s[0:1]
	s_cbranch_vccnz .LBB184_356
; %bb.355:
	v_lshl_add_u64 v[10:11], v[74:75], 3, v[130:131]
	global_load_dwordx2 v[10:11], v[10:11], off
	s_waitcnt vmcnt(0)
	v_mul_f64 v[10:11], s[70:71], v[10:11]
	s_branch .LBB184_357
.LBB184_356:
	v_mov_b64_e32 v[10:11], 0
.LBB184_357:
	v_add_f64 v[8:9], v[8:9], v[10:11]
	v_lshl_add_u64 v[10:11], v[74:75], 3, v[64:65]
	global_store_dwordx2 v[10:11], v[8:9], off
	s_or_b64 exec, exec, s[2:3]
	s_and_b64 s[4:5], s[24:25], s[62:63]
	s_and_saveexec_b64 s[2:3], s[4:5]
	s_cbranch_execz .LBB184_242
.LBB184_358:
	s_and_b64 vcc, exec, s[0:1]
	s_cbranch_vccnz .LBB184_360
; %bb.359:
	v_lshl_add_u64 v[8:9], v[72:73], 3, v[130:131]
	global_load_dwordx2 v[8:9], v[8:9], off
	s_waitcnt vmcnt(0)
	v_mul_f64 v[8:9], s[70:71], v[8:9]
	s_branch .LBB184_361
.LBB184_360:
	v_mov_b64_e32 v[8:9], 0
.LBB184_361:
	v_add_f64 v[6:7], v[6:7], v[8:9]
	v_lshl_add_u64 v[8:9], v[72:73], 3, v[64:65]
	global_store_dwordx2 v[8:9], v[6:7], off
	s_or_b64 exec, exec, s[2:3]
	s_and_b64 s[4:5], s[24:25], s[64:65]
	s_and_saveexec_b64 s[2:3], s[4:5]
	s_cbranch_execz .LBB184_243
.LBB184_362:
	s_and_b64 vcc, exec, s[0:1]
	s_cbranch_vccnz .LBB184_364
; %bb.363:
	v_lshl_add_u64 v[6:7], v[70:71], 3, v[130:131]
	global_load_dwordx2 v[6:7], v[6:7], off
	s_waitcnt vmcnt(0)
	v_mul_f64 v[6:7], s[70:71], v[6:7]
	s_branch .LBB184_365
.LBB184_364:
	v_mov_b64_e32 v[6:7], 0
.LBB184_365:
	v_add_f64 v[4:5], v[4:5], v[6:7]
	v_lshl_add_u64 v[6:7], v[70:71], 3, v[64:65]
	global_store_dwordx2 v[6:7], v[4:5], off
	s_or_b64 exec, exec, s[2:3]
	s_and_b64 s[4:5], s[24:25], s[66:67]
	s_and_saveexec_b64 s[2:3], s[4:5]
	s_cbranch_execz .LBB184_244
.LBB184_366:
	s_and_b64 vcc, exec, s[0:1]
	s_cbranch_vccnz .LBB184_368
; %bb.367:
	v_lshl_add_u64 v[4:5], v[68:69], 3, v[130:131]
	global_load_dwordx2 v[4:5], v[4:5], off
	s_waitcnt vmcnt(0)
	v_mul_f64 v[4:5], s[70:71], v[4:5]
	s_branch .LBB184_369
.LBB184_368:
	v_mov_b64_e32 v[4:5], 0
.LBB184_369:
	v_add_f64 v[2:3], v[2:3], v[4:5]
	v_lshl_add_u64 v[4:5], v[68:69], 3, v[64:65]
	global_store_dwordx2 v[4:5], v[2:3], off
	s_or_b64 exec, exec, s[2:3]
	s_and_b64 s[2:3], s[24:25], s[68:69]
	s_and_saveexec_b64 s[4:5], s[2:3]
	s_cbranch_execz .LBB184_245
.LBB184_370:
	s_and_b64 vcc, exec, s[0:1]
	s_cbranch_vccnz .LBB184_372
; %bb.371:
	v_lshl_add_u64 v[2:3], v[66:67], 3, v[130:131]
	global_load_dwordx2 v[2:3], v[2:3], off
	s_waitcnt vmcnt(0)
	v_mul_f64 v[2:3], s[70:71], v[2:3]
	v_add_f64 v[0:1], v[0:1], v[2:3]
	v_lshl_add_u64 v[2:3], v[66:67], 3, v[64:65]
	global_store_dwordx2 v[2:3], v[0:1], off
	s_endpgm
.LBB184_372:
	v_mov_b64_e32 v[2:3], 0
	v_add_f64 v[0:1], v[0:1], v[2:3]
	v_lshl_add_u64 v[2:3], v[66:67], 3, v[64:65]
	global_store_dwordx2 v[2:3], v[0:1], off
	s_endpgm
	.section	.rodata,"a",@progbits
	.p2align	6, 0x0
	.amdhsa_kernel _ZN12_GLOBAL__N_120geam_min_plus_kernelIdddLi4ELi64ELi128ELi128ELi4ELi64ELi4ELi4ELi64ELc78ELc78ELb1ELb1ELb0EdKddEEviiiT16_PT17_ilS4_ilS2_S4_ilPT18_ili26rocblas_geam_ex_operation_
		.amdhsa_group_segment_fixed_size 16384
		.amdhsa_private_segment_fixed_size 0
		.amdhsa_kernarg_size 136
		.amdhsa_user_sgpr_count 2
		.amdhsa_user_sgpr_dispatch_ptr 0
		.amdhsa_user_sgpr_queue_ptr 0
		.amdhsa_user_sgpr_kernarg_segment_ptr 1
		.amdhsa_user_sgpr_dispatch_id 0
		.amdhsa_user_sgpr_kernarg_preload_length 0
		.amdhsa_user_sgpr_kernarg_preload_offset 0
		.amdhsa_user_sgpr_private_segment_size 0
		.amdhsa_uses_dynamic_stack 0
		.amdhsa_enable_private_segment 0
		.amdhsa_system_sgpr_workgroup_id_x 1
		.amdhsa_system_sgpr_workgroup_id_y 0
		.amdhsa_system_sgpr_workgroup_id_z 1
		.amdhsa_system_sgpr_workgroup_info 0
		.amdhsa_system_vgpr_workitem_id 1
		.amdhsa_next_free_vgpr 254
		.amdhsa_next_free_sgpr 82
		.amdhsa_accum_offset 256
		.amdhsa_reserve_vcc 1
		.amdhsa_float_round_mode_32 0
		.amdhsa_float_round_mode_16_64 0
		.amdhsa_float_denorm_mode_32 3
		.amdhsa_float_denorm_mode_16_64 3
		.amdhsa_dx10_clamp 1
		.amdhsa_ieee_mode 1
		.amdhsa_fp16_overflow 0
		.amdhsa_tg_split 0
		.amdhsa_exception_fp_ieee_invalid_op 0
		.amdhsa_exception_fp_denorm_src 0
		.amdhsa_exception_fp_ieee_div_zero 0
		.amdhsa_exception_fp_ieee_overflow 0
		.amdhsa_exception_fp_ieee_underflow 0
		.amdhsa_exception_fp_ieee_inexact 0
		.amdhsa_exception_int_div_zero 0
	.end_amdhsa_kernel
	.section	.text._ZN12_GLOBAL__N_120geam_min_plus_kernelIdddLi4ELi64ELi128ELi128ELi4ELi64ELi4ELi4ELi64ELc78ELc78ELb1ELb1ELb0EdKddEEviiiT16_PT17_ilS4_ilS2_S4_ilPT18_ili26rocblas_geam_ex_operation_,"axG",@progbits,_ZN12_GLOBAL__N_120geam_min_plus_kernelIdddLi4ELi64ELi128ELi128ELi4ELi64ELi4ELi4ELi64ELc78ELc78ELb1ELb1ELb0EdKddEEviiiT16_PT17_ilS4_ilS2_S4_ilPT18_ili26rocblas_geam_ex_operation_,comdat
.Lfunc_end184:
	.size	_ZN12_GLOBAL__N_120geam_min_plus_kernelIdddLi4ELi64ELi128ELi128ELi4ELi64ELi4ELi4ELi64ELc78ELc78ELb1ELb1ELb0EdKddEEviiiT16_PT17_ilS4_ilS2_S4_ilPT18_ili26rocblas_geam_ex_operation_, .Lfunc_end184-_ZN12_GLOBAL__N_120geam_min_plus_kernelIdddLi4ELi64ELi128ELi128ELi4ELi64ELi4ELi4ELi64ELc78ELc78ELb1ELb1ELb0EdKddEEviiiT16_PT17_ilS4_ilS2_S4_ilPT18_ili26rocblas_geam_ex_operation_
                                        ; -- End function
	.set _ZN12_GLOBAL__N_120geam_min_plus_kernelIdddLi4ELi64ELi128ELi128ELi4ELi64ELi4ELi4ELi64ELc78ELc78ELb1ELb1ELb0EdKddEEviiiT16_PT17_ilS4_ilS2_S4_ilPT18_ili26rocblas_geam_ex_operation_.num_vgpr, 254
	.set _ZN12_GLOBAL__N_120geam_min_plus_kernelIdddLi4ELi64ELi128ELi128ELi4ELi64ELi4ELi4ELi64ELc78ELc78ELb1ELb1ELb0EdKddEEviiiT16_PT17_ilS4_ilS2_S4_ilPT18_ili26rocblas_geam_ex_operation_.num_agpr, 0
	.set _ZN12_GLOBAL__N_120geam_min_plus_kernelIdddLi4ELi64ELi128ELi128ELi4ELi64ELi4ELi4ELi64ELc78ELc78ELb1ELb1ELb0EdKddEEviiiT16_PT17_ilS4_ilS2_S4_ilPT18_ili26rocblas_geam_ex_operation_.numbered_sgpr, 82
	.set _ZN12_GLOBAL__N_120geam_min_plus_kernelIdddLi4ELi64ELi128ELi128ELi4ELi64ELi4ELi4ELi64ELc78ELc78ELb1ELb1ELb0EdKddEEviiiT16_PT17_ilS4_ilS2_S4_ilPT18_ili26rocblas_geam_ex_operation_.num_named_barrier, 0
	.set _ZN12_GLOBAL__N_120geam_min_plus_kernelIdddLi4ELi64ELi128ELi128ELi4ELi64ELi4ELi4ELi64ELc78ELc78ELb1ELb1ELb0EdKddEEviiiT16_PT17_ilS4_ilS2_S4_ilPT18_ili26rocblas_geam_ex_operation_.private_seg_size, 0
	.set _ZN12_GLOBAL__N_120geam_min_plus_kernelIdddLi4ELi64ELi128ELi128ELi4ELi64ELi4ELi4ELi64ELc78ELc78ELb1ELb1ELb0EdKddEEviiiT16_PT17_ilS4_ilS2_S4_ilPT18_ili26rocblas_geam_ex_operation_.uses_vcc, 1
	.set _ZN12_GLOBAL__N_120geam_min_plus_kernelIdddLi4ELi64ELi128ELi128ELi4ELi64ELi4ELi4ELi64ELc78ELc78ELb1ELb1ELb0EdKddEEviiiT16_PT17_ilS4_ilS2_S4_ilPT18_ili26rocblas_geam_ex_operation_.uses_flat_scratch, 0
	.set _ZN12_GLOBAL__N_120geam_min_plus_kernelIdddLi4ELi64ELi128ELi128ELi4ELi64ELi4ELi4ELi64ELc78ELc78ELb1ELb1ELb0EdKddEEviiiT16_PT17_ilS4_ilS2_S4_ilPT18_ili26rocblas_geam_ex_operation_.has_dyn_sized_stack, 0
	.set _ZN12_GLOBAL__N_120geam_min_plus_kernelIdddLi4ELi64ELi128ELi128ELi4ELi64ELi4ELi4ELi64ELc78ELc78ELb1ELb1ELb0EdKddEEviiiT16_PT17_ilS4_ilS2_S4_ilPT18_ili26rocblas_geam_ex_operation_.has_recursion, 0
	.set _ZN12_GLOBAL__N_120geam_min_plus_kernelIdddLi4ELi64ELi128ELi128ELi4ELi64ELi4ELi4ELi64ELc78ELc78ELb1ELb1ELb0EdKddEEviiiT16_PT17_ilS4_ilS2_S4_ilPT18_ili26rocblas_geam_ex_operation_.has_indirect_call, 0
	.section	.AMDGPU.csdata,"",@progbits
; Kernel info:
; codeLenInByte = 14392
; TotalNumSgprs: 88
; NumVgprs: 254
; NumAgprs: 0
; TotalNumVgprs: 254
; ScratchSize: 0
; MemoryBound: 0
; FloatMode: 240
; IeeeMode: 1
; LDSByteSize: 16384 bytes/workgroup (compile time only)
; SGPRBlocks: 10
; VGPRBlocks: 31
; NumSGPRsForWavesPerEU: 88
; NumVGPRsForWavesPerEU: 254
; AccumOffset: 256
; Occupancy: 2
; WaveLimiterHint : 0
; COMPUTE_PGM_RSRC2:SCRATCH_EN: 0
; COMPUTE_PGM_RSRC2:USER_SGPR: 2
; COMPUTE_PGM_RSRC2:TRAP_HANDLER: 0
; COMPUTE_PGM_RSRC2:TGID_X_EN: 1
; COMPUTE_PGM_RSRC2:TGID_Y_EN: 0
; COMPUTE_PGM_RSRC2:TGID_Z_EN: 1
; COMPUTE_PGM_RSRC2:TIDIG_COMP_CNT: 1
; COMPUTE_PGM_RSRC3_GFX90A:ACCUM_OFFSET: 63
; COMPUTE_PGM_RSRC3_GFX90A:TG_SPLIT: 0
	.section	.text._ZN12_GLOBAL__N_120geam_min_plus_kernelIdddLi4ELi64ELi128ELi128ELi4ELi64ELi4ELi4ELi64ELc78ELc78ELb0ELb1ELb0EdKddEEviiiT16_PT17_ilS4_ilS2_S4_ilPT18_ili26rocblas_geam_ex_operation_,"axG",@progbits,_ZN12_GLOBAL__N_120geam_min_plus_kernelIdddLi4ELi64ELi128ELi128ELi4ELi64ELi4ELi4ELi64ELc78ELc78ELb0ELb1ELb0EdKddEEviiiT16_PT17_ilS4_ilS2_S4_ilPT18_ili26rocblas_geam_ex_operation_,comdat
	.globl	_ZN12_GLOBAL__N_120geam_min_plus_kernelIdddLi4ELi64ELi128ELi128ELi4ELi64ELi4ELi4ELi64ELc78ELc78ELb0ELb1ELb0EdKddEEviiiT16_PT17_ilS4_ilS2_S4_ilPT18_ili26rocblas_geam_ex_operation_ ; -- Begin function _ZN12_GLOBAL__N_120geam_min_plus_kernelIdddLi4ELi64ELi128ELi128ELi4ELi64ELi4ELi4ELi64ELc78ELc78ELb0ELb1ELb0EdKddEEviiiT16_PT17_ilS4_ilS2_S4_ilPT18_ili26rocblas_geam_ex_operation_
	.p2align	8
	.type	_ZN12_GLOBAL__N_120geam_min_plus_kernelIdddLi4ELi64ELi128ELi128ELi4ELi64ELi4ELi4ELi64ELc78ELc78ELb0ELb1ELb0EdKddEEviiiT16_PT17_ilS4_ilS2_S4_ilPT18_ili26rocblas_geam_ex_operation_,@function
_ZN12_GLOBAL__N_120geam_min_plus_kernelIdddLi4ELi64ELi128ELi128ELi4ELi64ELi4ELi4ELi64ELc78ELc78ELb0ELb1ELb0EdKddEEviiiT16_PT17_ilS4_ilS2_S4_ilPT18_ili26rocblas_geam_ex_operation_: ; @_ZN12_GLOBAL__N_120geam_min_plus_kernelIdddLi4ELi64ELi128ELi128ELi4ELi64ELi4ELi4ELi64ELc78ELc78ELb0ELb1ELb0EdKddEEviiiT16_PT17_ilS4_ilS2_S4_ilPT18_ili26rocblas_geam_ex_operation_
; %bb.0:
	s_load_dwordx4 s[16:19], s[0:1], 0x10
	s_load_dwordx4 s[4:7], s[0:1], 0x28
	s_mov_b64 s[20:21], 0
	s_waitcnt lgkmcnt(0)
	v_cmp_eq_f64_e64 s[8:9], s[16:17], 0
	s_and_b64 vcc, exec, s[8:9]
	s_cbranch_vccnz .LBB185_2
; %bb.1:
	s_mul_i32 s5, s5, s3
	s_mul_hi_u32 s10, s4, s3
	s_add_i32 s5, s10, s5
	s_mul_i32 s4, s4, s3
	s_lshl_b64 s[4:5], s[4:5], 3
	s_add_u32 s20, s18, s4
	s_addc_u32 s21, s19, s5
.LBB185_2:
	s_load_dwordx4 s[68:71], s[0:1], 0x40
	s_load_dwordx2 s[4:5], s[0:1], 0x50
	s_andn2_b64 vcc, exec, s[8:9]
	s_mov_b64 s[8:9], -1
	s_cbranch_vccnz .LBB185_4
; %bb.3:
	s_mov_b64 s[8:9], 0
.LBB185_4:
	s_mov_b64 s[76:77], 0
	s_andn2_b64 vcc, exec, s[8:9]
	s_mov_b64 s[22:23], 0
	s_cbranch_vccnz .LBB185_6
; %bb.5:
	s_waitcnt lgkmcnt(0)
	s_mul_i32 s8, s69, s3
	s_mul_hi_u32 s9, s68, s3
	s_add_i32 s9, s9, s8
	s_mul_i32 s8, s68, s3
	s_lshl_b64 s[8:9], s[8:9], 3
	s_add_u32 s22, s6, s8
	s_addc_u32 s23, s7, s9
.LBB185_6:
	s_load_dwordx4 s[12:15], s[0:1], 0x60
	s_waitcnt lgkmcnt(0)
	v_cmp_eq_f64_e64 s[6:7], s[70:71], 0
	v_cmp_neq_f64_e64 s[18:19], s[70:71], 0
	s_and_b64 vcc, exec, s[6:7]
	s_cbranch_vccnz .LBB185_8
; %bb.7:
	s_mul_i32 s6, s13, s3
	s_mul_hi_u32 s7, s12, s3
	s_add_i32 s7, s7, s6
	s_mul_i32 s6, s12, s3
	s_lshl_b64 s[6:7], s[6:7], 3
	s_add_u32 s76, s4, s6
	s_addc_u32 s77, s5, s7
.LBB185_8:
	s_load_dwordx4 s[72:75], s[0:1], 0x0
	s_load_dword s27, s[0:1], 0x20
	v_and_b32_e32 v144, 0x3ff, v0
	v_bfe_u32 v145, v0, 10, 10
	v_lshl_add_u32 v6, v145, 2, v144
	s_waitcnt lgkmcnt(0)
	s_add_i32 s4, s72, -1
	s_ashr_i32 s5, s4, 31
	s_lshr_b32 s5, s5, 25
	s_add_i32 s4, s4, s5
	s_ashr_i32 s4, s4, 7
	s_add_i32 s5, s4, 1
	v_cvt_f32_u32_e32 v1, s5
	s_not_b32 s4, s4
	v_and_b32_e32 v138, 63, v6
	v_lshrrev_b32_e32 v146, 6, v6
	v_rcp_iflag_f32_e32 v1, v1
	v_cmp_le_i32_e32 vcc, s74, v146
	v_cmp_eq_f64_e64 s[12:13], s[16:17], 0
	v_mul_f32_e32 v0, 0x4f7ffffe, v1
	v_cvt_u32_f32_e32 v0, v0
	s_nop 0
	v_readfirstlane_b32 s6, v0
	s_mul_i32 s4, s4, s6
	s_mul_hi_u32 s4, s6, s4
	s_add_i32 s6, s6, s4
	s_mul_hi_u32 s4, s2, s6
	s_mul_i32 s6, s4, s5
	s_sub_i32 s6, s2, s6
	s_add_i32 s7, s4, 1
	s_sub_i32 s8, s6, s5
	s_cmp_ge_u32 s6, s5
	s_cselect_b32 s4, s7, s4
	s_cselect_b32 s6, s8, s6
	s_add_i32 s7, s4, 1
	s_cmp_ge_u32 s6, s5
	s_cselect_b32 s8, s7, s4
	s_mul_i32 s4, s8, s5
	s_sub_i32 s2, s2, s4
	s_add_i32 s28, s74, -1
	s_lshl_b32 s2, s2, 7
	v_min_i32_e32 v2, s28, v146
	v_or_b32_e32 v128, s2, v138
	v_mad_i64_i32 v[2:3], s[4:5], s27, v2, 0
	v_cmp_le_i32_e64 s[10:11], s72, v128
	s_or_b64 s[4:5], s[10:11], vcc
	v_mov_b64_e32 v[0:1], 0
	v_lshl_add_u64 v[4:5], v[2:3], 3, s[20:21]
	s_nor_b64 s[6:7], s[12:13], s[4:5]
	v_ashrrev_i32_e32 v129, 31, v128
	v_mov_b64_e32 v[2:3], 0
	s_and_saveexec_b64 s[4:5], s[6:7]
	s_cbranch_execz .LBB185_10
; %bb.9:
	v_lshl_add_u64 v[2:3], v[128:129], 3, v[4:5]
	global_load_dwordx2 v[2:3], v[2:3], off
	s_waitcnt vmcnt(0)
	v_mul_f64 v[2:3], s[16:17], v[2:3]
.LBB185_10:
	s_or_b64 exec, exec, s[4:5]
	v_or_b32_e32 v7, 64, v128
	v_cmp_le_i32_e64 s[4:5], s72, v7
	s_or_b64 s[6:7], s[4:5], vcc
	s_nor_b64 s[24:25], s[12:13], s[6:7]
	s_and_saveexec_b64 s[6:7], s[24:25]
	s_cbranch_execz .LBB185_12
; %bb.11:
	v_lshl_add_u64 v[0:1], v[128:129], 3, v[4:5]
	global_load_dwordx2 v[0:1], v[0:1], off offset:512
	s_waitcnt vmcnt(0)
	v_mul_f64 v[0:1], s[16:17], v[0:1]
.LBB185_12:
	s_or_b64 exec, exec, s[6:7]
	s_load_dword s30, s[0:1], 0x38
	v_lshrrev_b32_e32 v10, 2, v6
	s_lshl_b32 s26, s8, 7
	v_and_b32_e32 v147, 3, v144
	v_add_u32_e32 v139, s26, v10
	v_cmp_le_i32_e32 vcc, s74, v147
	v_min_i32_e32 v4, s28, v147
	v_cmp_le_i32_e64 s[6:7], s73, v139
	v_ashrrev_i32_e32 v5, 31, v4
	s_or_b64 s[8:9], vcc, s[6:7]
	v_lshl_add_u64 v[8:9], v[4:5], 3, s[22:23]
	s_nor_b64 s[24:25], s[12:13], s[8:9]
	v_mov_b64_e32 v[4:5], 0
	v_mov_b64_e32 v[6:7], 0
	s_and_saveexec_b64 s[8:9], s[24:25]
	s_cbranch_execz .LBB185_14
; %bb.13:
	s_waitcnt lgkmcnt(0)
	v_mad_i64_i32 v[6:7], s[24:25], v139, s30, 0
	v_lshl_add_u64 v[6:7], v[6:7], 3, v[8:9]
	global_load_dwordx2 v[6:7], v[6:7], off
	s_waitcnt vmcnt(0)
	v_mul_f64 v[6:7], s[16:17], v[6:7]
.LBB185_14:
	s_or_b64 exec, exec, s[8:9]
	v_add_u32_e32 v140, 64, v139
	v_cmp_le_i32_e64 s[8:9], s73, v140
	s_or_b64 s[24:25], vcc, s[8:9]
	s_nor_b64 s[34:35], s[12:13], s[24:25]
	s_and_saveexec_b64 s[24:25], s[34:35]
	s_cbranch_execz .LBB185_16
; %bb.15:
	s_waitcnt lgkmcnt(0)
	v_mad_i64_i32 v[4:5], s[34:35], v140, s30, 0
	v_lshl_add_u64 v[4:5], v[4:5], 3, v[8:9]
	global_load_dwordx2 v[4:5], v[4:5], off
	s_waitcnt vmcnt(0)
	v_mul_f64 v[4:5], s[16:17], v[4:5]
.LBB185_16:
	s_or_b64 exec, exec, s[24:25]
	v_add_u32_e32 v8, 4, v146
	v_cmp_le_i32_e32 vcc, s74, v8
	v_min_i32_e32 v8, s28, v8
	v_mad_i64_i32 v[8:9], s[24:25], s27, v8, 0
	s_or_b64 s[24:25], s[10:11], vcc
	v_lshl_add_u64 v[8:9], v[8:9], 3, s[20:21]
	s_nor_b64 s[34:35], s[12:13], s[24:25]
	v_mov_b64_e32 v[130:131], 0
	v_mov_b64_e32 v[132:133], 0
	s_and_saveexec_b64 s[24:25], s[34:35]
	s_cbranch_execz .LBB185_18
; %bb.17:
	v_lshl_add_u64 v[12:13], v[128:129], 3, v[8:9]
	global_load_dwordx2 v[12:13], v[12:13], off
	s_waitcnt vmcnt(0)
	v_mul_f64 v[132:133], s[16:17], v[12:13]
.LBB185_18:
	s_or_b64 exec, exec, s[24:25]
	s_or_b64 s[24:25], s[4:5], vcc
	s_nor_b64 s[34:35], s[12:13], s[24:25]
	s_and_saveexec_b64 s[24:25], s[34:35]
	s_cbranch_execz .LBB185_20
; %bb.19:
	v_lshl_add_u64 v[8:9], v[128:129], 3, v[8:9]
	global_load_dwordx2 v[8:9], v[8:9], off offset:512
	s_waitcnt vmcnt(0)
	v_mul_f64 v[130:131], s[16:17], v[8:9]
.LBB185_20:
	s_or_b64 exec, exec, s[24:25]
	v_or_b32_e32 v8, 4, v147
	v_cmp_le_i32_e32 vcc, s74, v8
	v_min_i32_e32 v8, s28, v8
	v_ashrrev_i32_e32 v9, 31, v8
	s_or_b64 s[24:25], vcc, s[6:7]
	v_lshl_add_u64 v[8:9], v[8:9], 3, s[22:23]
	s_nor_b64 s[34:35], s[12:13], s[24:25]
	v_mov_b64_e32 v[134:135], 0
	v_mov_b64_e32 v[136:137], 0
	s_and_saveexec_b64 s[24:25], s[34:35]
	s_cbranch_execz .LBB185_22
; %bb.21:
	s_waitcnt lgkmcnt(0)
	v_mad_i64_i32 v[12:13], s[34:35], v139, s30, 0
	v_lshl_add_u64 v[12:13], v[12:13], 3, v[8:9]
	global_load_dwordx2 v[12:13], v[12:13], off
	s_waitcnt vmcnt(0)
	v_mul_f64 v[136:137], s[16:17], v[12:13]
.LBB185_22:
	s_or_b64 exec, exec, s[24:25]
	s_or_b64 s[24:25], vcc, s[8:9]
	s_nor_b64 s[34:35], s[12:13], s[24:25]
	s_and_saveexec_b64 s[24:25], s[34:35]
	s_cbranch_execz .LBB185_24
; %bb.23:
	s_waitcnt lgkmcnt(0)
	v_mad_i64_i32 v[12:13], s[34:35], v140, s30, 0
	v_lshl_add_u64 v[8:9], v[12:13], 3, v[8:9]
	global_load_dwordx2 v[8:9], v[8:9], off
	s_waitcnt vmcnt(0)
	v_mul_f64 v[134:135], s[16:17], v[8:9]
.LBB185_24:
	s_or_b64 exec, exec, s[24:25]
	v_lshlrev_b32_e32 v8, 5, v138
	v_lshl_add_u32 v149, v146, 3, v8
	ds_write2st64_b64 v149, v[2:3], v[0:1] offset1:4
	v_lshlrev_b32_e32 v0, 3, v147
	v_lshl_or_b32 v142, v10, 5, v0
	v_lshlrev_b32_e32 v141, 5, v145
	v_add_u32_e32 v150, 0x2000, v142
	ds_write2st64_b64 v142, v[6:7], v[4:5] offset0:16 offset1:20
	v_lshlrev_b32_e32 v151, 5, v144
	v_add_u32_e32 v152, 0x2000, v141
	v_mov_b64_e32 v[126:127], 0
	s_mov_b32 s24, 0
	v_mov_b64_e32 v[124:125], 0
	v_mov_b64_e32 v[122:123], 0
	;; [unrolled: 1-line block ×63, first 2 shown]
	s_waitcnt lgkmcnt(0)
	s_barrier
.LBB185_25:                             ; =>This Inner Loop Header: Depth=1
	v_add_u32_e32 v143, s24, v151
	v_add_u32_e32 v148, s24, v152
	ds_read2_b64 v[154:157], v143 offset1:16
	ds_read2_b64 v[158:161], v143 offset0:32 offset1:48
	ds_read2_b64 v[162:165], v143 offset0:64 offset1:80
	;; [unrolled: 1-line block ×7, first 2 shown]
	ds_read2st64_b64 v[186:189], v148 offset1:4
	v_add_u32_e32 v143, 0x800, v143
	ds_read2_b64 v[190:193], v143 offset1:16
	ds_read2_b64 v[194:197], v143 offset0:32 offset1:48
	ds_read2_b64 v[198:201], v143 offset0:64 offset1:80
	;; [unrolled: 1-line block ×7, first 2 shown]
	s_waitcnt lgkmcnt(14)
	v_max_f64 v[154:155], v[154:155], v[154:155]
	v_max_f64 v[156:157], v[156:157], v[156:157]
	;; [unrolled: 1-line block ×6, first 2 shown]
	s_waitcnt lgkmcnt(13)
	v_max_f64 v[166:167], v[166:167], v[166:167]
	v_max_f64 v[168:169], v[168:169], v[168:169]
	s_waitcnt lgkmcnt(12)
	v_max_f64 v[170:171], v[170:171], v[170:171]
	v_max_f64 v[172:173], v[172:173], v[172:173]
	;; [unrolled: 3-line block ×14, first 2 shown]
	v_min_f64 v[222:223], v[154:155], v[186:187]
	v_min_f64 v[224:225], v[156:157], v[186:187]
	;; [unrolled: 1-line block ×32, first 2 shown]
	s_add_i32 s24, s24, 8
	v_add_f64 v[62:63], v[62:63], v[154:155]
	v_add_f64 v[60:61], v[60:61], v[156:157]
	;; [unrolled: 1-line block ×16, first 2 shown]
	v_min_f64 v[154:155], v[190:191], v[186:187]
	v_min_f64 v[156:157], v[192:193], v[186:187]
	;; [unrolled: 1-line block ×32, first 2 shown]
	s_cmp_eq_u32 s24, 32
	v_add_f64 v[126:127], v[126:127], v[222:223]
	v_add_f64 v[124:125], v[124:125], v[224:225]
	;; [unrolled: 1-line block ×48, first 2 shown]
	s_cbranch_scc0 .LBB185_25
; %bb.26:
	v_lshlrev_b32_e32 v143, 3, v146
	v_lshl_add_u32 v138, v138, 5, v143
	s_cmp_gt_i32 s74, 8
	ds_write2st64_b64 v138, v[132:133], v[130:131] offset0:8 offset1:12
	ds_write2st64_b64 v142, v[136:137], v[134:135] offset0:24 offset1:28
	s_waitcnt lgkmcnt(0)
	s_barrier
	s_cbranch_scc1 .LBB185_28
; %bb.27:
	v_add_u32_e32 v148, 0x3000, v141
	s_cbranch_execz .LBB185_29
	s_branch .LBB185_51
.LBB185_28:
                                        ; implicit-def: $vgpr148
.LBB185_29:
	v_mov_b32_e32 v134, 0x1000
	v_or_b32_e32 v153, 0x1000, v138
	v_add_u32_e32 v154, 0x3000, v142
	s_add_i32 s29, s74, -8
	s_or_b64 s[6:7], s[6:7], s[12:13]
	s_or_b64 s[8:9], s[8:9], s[12:13]
	v_mad_i64_i32 v[130:131], s[24:25], v139, s30, 0
	v_mad_i64_i32 v[132:133], s[24:25], v140, s30, 0
	v_lshl_add_u32 v155, v144, 5, v134
	v_add_u32_e32 v148, 0x3000, v141
	s_mov_b32 s30, 8
	s_mov_b32 s31, 0
.LBB185_30:                             ; =>This Loop Header: Depth=1
                                        ;     Child Loop BB185_39 Depth 2
                                        ;     Child Loop BB185_49 Depth 2
	v_add_u32_e32 v134, s30, v146
	v_cmp_le_i32_e32 vcc, s74, v134
	v_min_i32_e32 v134, s28, v134
	v_mad_i64_i32 v[134:135], s[24:25], v134, s27, 0
	v_lshl_add_u64 v[136:137], v[134:135], 3, s[20:21]
	s_or_b64 s[24:25], s[10:11], vcc
	s_nor_b64 s[34:35], s[12:13], s[24:25]
	v_mov_b64_e32 v[134:135], 0
	v_lshl_add_u64 v[138:139], v[128:129], 3, v[136:137]
	v_mov_b64_e32 v[136:137], 0
	s_and_saveexec_b64 s[24:25], s[34:35]
	s_cbranch_execz .LBB185_32
; %bb.31:                               ;   in Loop: Header=BB185_30 Depth=1
	global_load_dwordx2 v[136:137], v[138:139], off
	s_waitcnt vmcnt(0)
	v_mul_f64 v[136:137], s[16:17], v[136:137]
.LBB185_32:                             ;   in Loop: Header=BB185_30 Depth=1
	s_or_b64 exec, exec, s[24:25]
	s_or_b64 s[24:25], s[4:5], vcc
	s_nor_b64 s[34:35], s[12:13], s[24:25]
	s_and_saveexec_b64 s[24:25], s[34:35]
	s_cbranch_execz .LBB185_34
; %bb.33:                               ;   in Loop: Header=BB185_30 Depth=1
	global_load_dwordx2 v[134:135], v[138:139], off offset:512
	s_waitcnt vmcnt(0)
	v_mul_f64 v[134:135], s[16:17], v[134:135]
.LBB185_34:                             ;   in Loop: Header=BB185_30 Depth=1
	s_or_b64 exec, exec, s[24:25]
	v_or_b32_e32 v156, s30, v147
	v_min_i32_e32 v138, s28, v156
	v_cmp_le_i32_e32 vcc, s74, v156
	v_ashrrev_i32_e32 v139, 31, v138
	v_lshl_add_u64 v[142:143], v[138:139], 3, s[22:23]
	s_nor_b64 s[34:35], vcc, s[6:7]
	v_mov_b64_e32 v[138:139], 0
	v_mov_b64_e32 v[140:141], 0
	s_and_saveexec_b64 s[24:25], s[34:35]
	s_cbranch_execz .LBB185_36
; %bb.35:                               ;   in Loop: Header=BB185_30 Depth=1
	v_lshl_add_u64 v[140:141], v[130:131], 3, v[142:143]
	global_load_dwordx2 v[140:141], v[140:141], off
	s_waitcnt vmcnt(0)
	v_mul_f64 v[140:141], s[16:17], v[140:141]
.LBB185_36:                             ;   in Loop: Header=BB185_30 Depth=1
	s_or_b64 exec, exec, s[24:25]
	s_nor_b64 s[34:35], vcc, s[8:9]
	s_and_saveexec_b64 s[24:25], s[34:35]
	s_cbranch_execz .LBB185_38
; %bb.37:                               ;   in Loop: Header=BB185_30 Depth=1
	v_lshl_add_u64 v[138:139], v[132:133], 3, v[142:143]
	global_load_dwordx2 v[138:139], v[138:139], off
	s_waitcnt vmcnt(0)
	v_mul_f64 v[138:139], s[16:17], v[138:139]
.LBB185_38:                             ;   in Loop: Header=BB185_30 Depth=1
	s_or_b64 exec, exec, s[24:25]
	s_mov_b32 s24, 0
.LBB185_39:                             ;   Parent Loop BB185_30 Depth=1
                                        ; =>  This Inner Loop Header: Depth=2
	v_add_u32_e32 v142, s24, v155
	ds_read2_b64 v[158:161], v142 offset1:16
	ds_read2_b64 v[162:165], v142 offset0:32 offset1:48
	ds_read2_b64 v[166:169], v142 offset0:64 offset1:80
	;; [unrolled: 1-line block ×7, first 2 shown]
	v_add_u32_e32 v142, 0x800, v142
	ds_read2_b64 v[190:193], v142 offset1:16
	ds_read2_b64 v[194:197], v142 offset0:32 offset1:48
	ds_read2_b64 v[198:201], v142 offset0:64 offset1:80
	;; [unrolled: 1-line block ×7, first 2 shown]
	v_add_u32_e32 v142, s24, v148
	ds_read2st64_b64 v[222:225], v142 offset1:4
	s_waitcnt lgkmcnt(14)
	v_max_f64 v[158:159], v[158:159], v[158:159]
	v_max_f64 v[160:161], v[160:161], v[160:161]
	;; [unrolled: 1-line block ×4, first 2 shown]
	s_waitcnt lgkmcnt(0)
	v_max_f64 v[142:143], v[222:223], v[222:223]
	v_min_f64 v[222:223], v[158:159], v[142:143]
	v_add_f64 v[126:127], v[126:127], v[222:223]
	v_min_f64 v[222:223], v[160:161], v[142:143]
	v_add_f64 v[124:125], v[124:125], v[222:223]
	;; [unrolled: 2-line block ×3, first 2 shown]
	v_min_f64 v[222:223], v[164:165], v[142:143]
	v_max_f64 v[166:167], v[166:167], v[166:167]
	v_add_f64 v[120:121], v[120:121], v[222:223]
	v_min_f64 v[222:223], v[166:167], v[142:143]
	v_max_f64 v[168:169], v[168:169], v[168:169]
	v_add_f64 v[118:119], v[118:119], v[222:223]
	;; [unrolled: 3-line block ×26, first 2 shown]
	v_min_f64 v[222:223], v[216:217], v[142:143]
	v_max_f64 v[218:219], v[218:219], v[218:219]
	v_max_f64 v[220:221], v[220:221], v[220:221]
	v_add_f64 v[68:69], v[68:69], v[222:223]
	v_min_f64 v[222:223], v[218:219], v[142:143]
	v_min_f64 v[142:143], v[220:221], v[142:143]
	v_add_f64 v[64:65], v[64:65], v[142:143]
	v_max_f64 v[142:143], v[224:225], v[224:225]
	v_min_f64 v[158:159], v[158:159], v[142:143]
	v_add_f64 v[62:63], v[62:63], v[158:159]
	v_min_f64 v[158:159], v[160:161], v[142:143]
	v_add_f64 v[60:61], v[60:61], v[158:159]
	;; [unrolled: 2-line block ×30, first 2 shown]
	v_min_f64 v[158:159], v[218:219], v[142:143]
	v_min_f64 v[142:143], v[220:221], v[142:143]
	s_add_i32 s24, s24, 8
	v_add_f64 v[66:67], v[66:67], v[222:223]
	v_add_f64 v[2:3], v[2:3], v[158:159]
	;; [unrolled: 1-line block ×3, first 2 shown]
	s_cmp_eq_u32 s24, 32
	s_cbranch_scc0 .LBB185_39
; %bb.40:                               ;   in Loop: Header=BB185_30 Depth=1
	ds_write2st64_b64 v149, v[136:137], v[134:135] offset1:4
	ds_write2st64_b64 v150, v[140:141], v[138:139] offset1:4
	v_add3_u32 v134, v146, s30, 4
	v_cmp_le_i32_e32 vcc, s74, v134
	v_min_i32_e32 v134, s28, v134
	v_mad_i64_i32 v[134:135], s[24:25], v134, s27, 0
	v_lshl_add_u64 v[136:137], v[134:135], 3, s[20:21]
	s_or_b64 s[24:25], s[10:11], vcc
	s_nor_b64 s[34:35], s[12:13], s[24:25]
	v_mov_b64_e32 v[134:135], 0
	v_lshl_add_u64 v[138:139], v[128:129], 3, v[136:137]
	v_mov_b64_e32 v[136:137], 0
	s_waitcnt lgkmcnt(0)
	s_barrier
	s_and_saveexec_b64 s[24:25], s[34:35]
	s_cbranch_execz .LBB185_42
; %bb.41:                               ;   in Loop: Header=BB185_30 Depth=1
	global_load_dwordx2 v[136:137], v[138:139], off
	s_waitcnt vmcnt(0)
	v_mul_f64 v[136:137], s[16:17], v[136:137]
.LBB185_42:                             ;   in Loop: Header=BB185_30 Depth=1
	s_or_b64 exec, exec, s[24:25]
	s_or_b64 s[24:25], s[4:5], vcc
	s_nor_b64 s[34:35], s[12:13], s[24:25]
	s_and_saveexec_b64 s[24:25], s[34:35]
	s_cbranch_execz .LBB185_44
; %bb.43:                               ;   in Loop: Header=BB185_30 Depth=1
	global_load_dwordx2 v[134:135], v[138:139], off offset:512
	s_waitcnt vmcnt(0)
	v_mul_f64 v[134:135], s[16:17], v[134:135]
.LBB185_44:                             ;   in Loop: Header=BB185_30 Depth=1
	s_or_b64 exec, exec, s[24:25]
	v_or_b32_e32 v138, 4, v156
	v_cmp_le_i32_e32 vcc, s74, v138
	v_min_i32_e32 v138, s28, v138
	v_ashrrev_i32_e32 v139, 31, v138
	v_lshl_add_u64 v[142:143], v[138:139], 3, s[22:23]
	s_nor_b64 s[34:35], vcc, s[6:7]
	v_mov_b64_e32 v[138:139], 0
	v_mov_b64_e32 v[140:141], 0
	s_and_saveexec_b64 s[24:25], s[34:35]
	s_cbranch_execz .LBB185_46
; %bb.45:                               ;   in Loop: Header=BB185_30 Depth=1
	v_lshl_add_u64 v[140:141], v[130:131], 3, v[142:143]
	global_load_dwordx2 v[140:141], v[140:141], off
	s_waitcnt vmcnt(0)
	v_mul_f64 v[140:141], s[16:17], v[140:141]
.LBB185_46:                             ;   in Loop: Header=BB185_30 Depth=1
	s_or_b64 exec, exec, s[24:25]
	s_nor_b64 s[34:35], vcc, s[8:9]
	s_and_saveexec_b64 s[24:25], s[34:35]
	s_cbranch_execz .LBB185_48
; %bb.47:                               ;   in Loop: Header=BB185_30 Depth=1
	v_lshl_add_u64 v[138:139], v[132:133], 3, v[142:143]
	global_load_dwordx2 v[138:139], v[138:139], off
	s_waitcnt vmcnt(0)
	v_mul_f64 v[138:139], s[16:17], v[138:139]
.LBB185_48:                             ;   in Loop: Header=BB185_30 Depth=1
	s_or_b64 exec, exec, s[24:25]
	s_mov_b32 s24, 0
.LBB185_49:                             ;   Parent Loop BB185_30 Depth=1
                                        ; =>  This Inner Loop Header: Depth=2
	v_add_u32_e32 v142, s24, v151
	v_add_u32_e32 v143, s24, v152
	ds_read2_b64 v[156:159], v142 offset1:16
	ds_read2_b64 v[160:163], v142 offset0:32 offset1:48
	ds_read2_b64 v[164:167], v142 offset0:64 offset1:80
	;; [unrolled: 1-line block ×7, first 2 shown]
	v_add_u32_e32 v142, 0x800, v142
	ds_read2st64_b64 v[188:191], v143 offset1:4
	ds_read2_b64 v[192:195], v142 offset1:16
	ds_read2_b64 v[196:199], v142 offset0:32 offset1:48
	ds_read2_b64 v[200:203], v142 offset0:64 offset1:80
	;; [unrolled: 1-line block ×7, first 2 shown]
	s_waitcnt lgkmcnt(14)
	v_max_f64 v[156:157], v[156:157], v[156:157]
	v_max_f64 v[158:159], v[158:159], v[158:159]
	;; [unrolled: 1-line block ×3, first 2 shown]
	s_waitcnt lgkmcnt(8)
	v_max_f64 v[142:143], v[188:189], v[188:189]
	v_max_f64 v[162:163], v[162:163], v[162:163]
	;; [unrolled: 1-line block ×15, first 2 shown]
	v_min_f64 v[190:191], v[156:157], v[142:143]
	v_min_f64 v[224:225], v[158:159], v[142:143]
	;; [unrolled: 1-line block ×16, first 2 shown]
	s_waitcnt lgkmcnt(7)
	v_max_f64 v[192:193], v[192:193], v[192:193]
	v_max_f64 v[194:195], v[194:195], v[194:195]
	s_waitcnt lgkmcnt(6)
	v_max_f64 v[196:197], v[196:197], v[196:197]
	v_max_f64 v[198:199], v[198:199], v[198:199]
	;; [unrolled: 3-line block ×8, first 2 shown]
	v_min_f64 v[156:157], v[156:157], v[188:189]
	v_min_f64 v[158:159], v[158:159], v[188:189]
	;; [unrolled: 1-line block ×16, first 2 shown]
	s_add_i32 s24, s24, 8
	v_add_f64 v[126:127], v[126:127], v[190:191]
	v_add_f64 v[124:125], v[124:125], v[224:225]
	;; [unrolled: 1-line block ×15, first 2 shown]
	v_min_f64 v[190:191], v[192:193], v[142:143]
	v_min_f64 v[224:225], v[194:195], v[142:143]
	;; [unrolled: 1-line block ×16, first 2 shown]
	v_add_f64 v[62:63], v[62:63], v[156:157]
	v_add_f64 v[60:61], v[60:61], v[158:159]
	;; [unrolled: 1-line block ×16, first 2 shown]
	v_min_f64 v[156:157], v[192:193], v[188:189]
	v_min_f64 v[158:159], v[194:195], v[188:189]
	;; [unrolled: 1-line block ×16, first 2 shown]
	s_cmp_eq_u32 s24, 32
	v_add_f64 v[96:97], v[96:97], v[252:253]
	v_add_f64 v[94:95], v[94:95], v[190:191]
	;; [unrolled: 1-line block ×33, first 2 shown]
	s_cbranch_scc0 .LBB185_49
; %bb.50:                               ;   in Loop: Header=BB185_30 Depth=1
	s_add_i32 s30, s30, 8
	s_add_i32 s31, s31, 8
	s_cmp_ge_i32 s31, s29
	ds_write2st64_b64 v153, v[136:137], v[134:135] offset1:4
	ds_write2st64_b64 v154, v[140:141], v[138:139] offset1:4
	s_waitcnt lgkmcnt(0)
	s_barrier
	s_cbranch_scc0 .LBB185_30
.LBB185_51:
	v_mov_b32_e32 v128, 0x1000
	v_lshl_add_u32 v128, v144, 5, v128
	s_mov_b32 s4, 0
.LBB185_52:                             ; =>This Inner Loop Header: Depth=1
	v_add_u32_e32 v129, s4, v128
	v_add_u32_e32 v142, s4, v148
	ds_read2_b64 v[130:133], v129 offset1:16
	ds_read2_b64 v[134:137], v129 offset0:32 offset1:48
	ds_read2_b64 v[138:141], v129 offset0:64 offset1:80
	ds_read2_b64 v[150:153], v129 offset0:96 offset1:112
	ds_read2_b64 v[154:157], v129 offset0:128 offset1:144
	ds_read2_b64 v[158:161], v129 offset0:160 offset1:176
	ds_read2_b64 v[162:165], v129 offset0:192 offset1:208
	ds_read2_b64 v[166:169], v129 offset0:224 offset1:240
	v_add_u32_e32 v129, 0x800, v129
	ds_read2st64_b64 v[170:173], v142 offset1:4
	ds_read2_b64 v[174:177], v129 offset1:16
	ds_read2_b64 v[178:181], v129 offset0:32 offset1:48
	ds_read2_b64 v[182:185], v129 offset0:64 offset1:80
	;; [unrolled: 1-line block ×7, first 2 shown]
	s_waitcnt lgkmcnt(14)
	v_max_f64 v[130:131], v[130:131], v[130:131]
	v_max_f64 v[132:133], v[132:133], v[132:133]
	;; [unrolled: 1-line block ×3, first 2 shown]
	s_waitcnt lgkmcnt(8)
	v_max_f64 v[142:143], v[170:171], v[170:171]
	v_max_f64 v[136:137], v[136:137], v[136:137]
	;; [unrolled: 1-line block ×15, first 2 shown]
	v_min_f64 v[170:171], v[130:131], v[142:143]
	v_min_f64 v[172:173], v[132:133], v[142:143]
	;; [unrolled: 1-line block ×16, first 2 shown]
	s_waitcnt lgkmcnt(7)
	v_max_f64 v[174:175], v[174:175], v[174:175]
	v_max_f64 v[176:177], v[176:177], v[176:177]
	s_waitcnt lgkmcnt(6)
	v_max_f64 v[178:179], v[178:179], v[178:179]
	v_max_f64 v[180:181], v[180:181], v[180:181]
	;; [unrolled: 3-line block ×8, first 2 shown]
	v_min_f64 v[130:131], v[130:131], v[168:169]
	v_min_f64 v[132:133], v[132:133], v[168:169]
	;; [unrolled: 1-line block ×16, first 2 shown]
	s_add_i32 s4, s4, 8
	v_add_f64 v[126:127], v[126:127], v[170:171]
	v_add_f64 v[124:125], v[124:125], v[172:173]
	;; [unrolled: 1-line block ×15, first 2 shown]
	v_min_f64 v[170:171], v[174:175], v[142:143]
	v_min_f64 v[172:173], v[176:177], v[142:143]
	;; [unrolled: 1-line block ×16, first 2 shown]
	v_add_f64 v[62:63], v[62:63], v[130:131]
	v_add_f64 v[60:61], v[60:61], v[132:133]
	;; [unrolled: 1-line block ×16, first 2 shown]
	v_min_f64 v[130:131], v[174:175], v[168:169]
	v_min_f64 v[132:133], v[176:177], v[168:169]
	;; [unrolled: 1-line block ×16, first 2 shown]
	s_cmp_eq_u32 s4, 32
	v_add_f64 v[96:97], v[96:97], v[232:233]
	v_add_f64 v[94:95], v[94:95], v[170:171]
	;; [unrolled: 1-line block ×33, first 2 shown]
	s_cbranch_scc0 .LBB185_52
; %bb.53:
	s_load_dwordx2 s[4:5], s[0:1], 0x78
	s_load_dword s78, s[0:1], 0x58
	s_load_dword s33, s[0:1], 0x70
	v_add_u32_e32 v136, s26, v145
	v_add_u32_e32 v128, s2, v144
	s_waitcnt lgkmcnt(0)
	s_mul_i32 s1, s5, s3
	s_mul_hi_u32 s5, s4, s3
	s_mul_i32 s0, s4, s3
	s_add_i32 s1, s5, s1
	s_lshl_b64 s[0:1], s[0:1], 3
	s_add_u32 s74, s14, s0
	s_addc_u32 s75, s15, s1
	v_mad_i64_i32 v[130:131], s[0:1], v136, s78, 0
	v_cmp_gt_i32_e64 s[24:25], s73, v136
	v_lshl_add_u64 v[132:133], v[130:131], 3, s[76:77]
	v_mad_i64_i32 v[130:131], s[0:1], v136, s33, 0
	v_cmp_gt_i32_e64 s[2:3], s72, v128
	v_cndmask_b32_e64 v134, 0, 1, s[18:19]
	v_lshl_add_u64 v[130:131], v[130:131], 3, s[74:75]
	s_and_b64 s[6:7], s[24:25], s[2:3]
	v_ashrrev_i32_e32 v129, 31, v128
	v_cmp_ne_u32_e64 s[0:1], 1, v134
	s_and_saveexec_b64 s[4:5], s[6:7]
	s_cbranch_execz .LBB185_58
; %bb.54:
	s_and_b64 vcc, exec, s[0:1]
	s_cbranch_vccnz .LBB185_56
; %bb.55:
	v_lshl_add_u64 v[134:135], v[128:129], 3, v[132:133]
	global_load_dwordx2 v[134:135], v[134:135], off
	s_waitcnt vmcnt(0)
	v_mul_f64 v[134:135], s[70:71], v[134:135]
	s_branch .LBB185_57
.LBB185_56:
	v_mov_b64_e32 v[134:135], 0
.LBB185_57:
	v_add_f64 v[126:127], v[126:127], v[134:135]
	v_lshl_add_u64 v[134:135], v[128:129], 3, v[130:131]
	global_store_dwordx2 v[134:135], v[126:127], off
.LBB185_58:
	s_or_b64 exec, exec, s[4:5]
	v_add_u32_e32 v126, 4, v128
	v_cmp_gt_i32_e64 s[4:5], s72, v126
	s_and_b64 s[8:9], s[24:25], s[4:5]
	v_ashrrev_i32_e32 v127, 31, v126
	s_and_saveexec_b64 s[6:7], s[8:9]
	s_cbranch_execz .LBB185_63
; %bb.59:
	s_and_b64 vcc, exec, s[0:1]
	s_cbranch_vccnz .LBB185_61
; %bb.60:
	v_lshl_add_u64 v[134:135], v[126:127], 3, v[132:133]
	global_load_dwordx2 v[134:135], v[134:135], off
	s_waitcnt vmcnt(0)
	v_mul_f64 v[134:135], s[70:71], v[134:135]
	s_branch .LBB185_62
.LBB185_61:
	v_mov_b64_e32 v[134:135], 0
.LBB185_62:
	v_add_f64 v[124:125], v[124:125], v[134:135]
	v_lshl_add_u64 v[134:135], v[126:127], 3, v[130:131]
	global_store_dwordx2 v[134:135], v[124:125], off
.LBB185_63:
	s_or_b64 exec, exec, s[6:7]
	v_add_u32_e32 v124, 8, v128
	v_cmp_gt_i32_e64 s[6:7], s72, v124
	s_and_b64 s[10:11], s[24:25], s[6:7]
	v_ashrrev_i32_e32 v125, 31, v124
	;; [unrolled: 23-line block ×31, first 2 shown]
	s_and_saveexec_b64 s[24:25], s[80:81]
	s_cbranch_execz .LBB185_213
; %bb.209:
	s_and_b64 vcc, exec, s[0:1]
	s_cbranch_vccnz .LBB185_211
; %bb.210:
	v_lshl_add_u64 v[132:133], v[66:67], 3, v[132:133]
	global_load_dwordx2 v[132:133], v[132:133], off
	s_waitcnt vmcnt(0)
	v_mul_f64 v[132:133], s[70:71], v[132:133]
	s_branch .LBB185_212
.LBB185_211:
	v_mov_b64_e32 v[132:133], 0
.LBB185_212:
	v_add_f64 v[64:65], v[64:65], v[132:133]
	v_lshl_add_u64 v[130:131], v[66:67], 3, v[130:131]
	global_store_dwordx2 v[130:131], v[64:65], off
.LBB185_213:
	s_or_b64 exec, exec, s[24:25]
	v_add_u32_e32 v132, 64, v136
	v_cmp_gt_i32_e64 s[24:25], s73, v132
	v_mad_i64_i32 v[64:65], s[72:73], v132, s78, 0
	v_lshl_add_u64 v[130:131], v[64:65], 3, s[76:77]
	v_mad_i64_i32 v[64:65], s[72:73], v132, s33, 0
	v_lshl_add_u64 v[64:65], v[64:65], 3, s[74:75]
	s_and_b64 s[2:3], s[24:25], s[2:3]
	s_and_saveexec_b64 s[72:73], s[2:3]
	s_xor_b64 s[2:3], exec, s[72:73]
	s_cbranch_execnz .LBB185_246
; %bb.214:
	s_or_b64 exec, exec, s[2:3]
	s_and_b64 s[4:5], s[24:25], s[4:5]
	s_and_saveexec_b64 s[2:3], s[4:5]
	s_cbranch_execnz .LBB185_250
.LBB185_215:
	s_or_b64 exec, exec, s[2:3]
	s_and_b64 s[4:5], s[24:25], s[6:7]
	s_and_saveexec_b64 s[2:3], s[4:5]
	s_cbranch_execnz .LBB185_254
.LBB185_216:
	s_or_b64 exec, exec, s[2:3]
	s_and_b64 s[4:5], s[24:25], s[8:9]
	s_and_saveexec_b64 s[2:3], s[4:5]
	s_cbranch_execnz .LBB185_258
.LBB185_217:
	s_or_b64 exec, exec, s[2:3]
	s_and_b64 s[4:5], s[24:25], s[10:11]
	s_and_saveexec_b64 s[2:3], s[4:5]
	s_cbranch_execnz .LBB185_262
.LBB185_218:
	s_or_b64 exec, exec, s[2:3]
	s_and_b64 s[4:5], s[24:25], s[12:13]
	s_and_saveexec_b64 s[2:3], s[4:5]
	s_cbranch_execnz .LBB185_266
.LBB185_219:
	s_or_b64 exec, exec, s[2:3]
	s_and_b64 s[4:5], s[24:25], s[14:15]
	s_and_saveexec_b64 s[2:3], s[4:5]
	s_cbranch_execnz .LBB185_270
.LBB185_220:
	s_or_b64 exec, exec, s[2:3]
	s_and_b64 s[4:5], s[24:25], s[16:17]
	s_and_saveexec_b64 s[2:3], s[4:5]
	s_cbranch_execnz .LBB185_274
.LBB185_221:
	s_or_b64 exec, exec, s[2:3]
	s_and_b64 s[4:5], s[24:25], s[18:19]
	s_and_saveexec_b64 s[2:3], s[4:5]
	s_cbranch_execnz .LBB185_278
.LBB185_222:
	s_or_b64 exec, exec, s[2:3]
	s_and_b64 s[4:5], s[24:25], s[20:21]
	s_and_saveexec_b64 s[2:3], s[4:5]
	s_cbranch_execnz .LBB185_282
.LBB185_223:
	s_or_b64 exec, exec, s[2:3]
	s_and_b64 s[4:5], s[24:25], s[22:23]
	s_and_saveexec_b64 s[2:3], s[4:5]
	s_cbranch_execnz .LBB185_286
.LBB185_224:
	s_or_b64 exec, exec, s[2:3]
	s_and_b64 s[4:5], s[24:25], s[26:27]
	s_and_saveexec_b64 s[2:3], s[4:5]
	s_cbranch_execnz .LBB185_290
.LBB185_225:
	s_or_b64 exec, exec, s[2:3]
	s_and_b64 s[4:5], s[24:25], s[28:29]
	s_and_saveexec_b64 s[2:3], s[4:5]
	s_cbranch_execnz .LBB185_294
.LBB185_226:
	s_or_b64 exec, exec, s[2:3]
	s_and_b64 s[4:5], s[24:25], s[30:31]
	s_and_saveexec_b64 s[2:3], s[4:5]
	s_cbranch_execnz .LBB185_298
.LBB185_227:
	s_or_b64 exec, exec, s[2:3]
	s_and_b64 s[4:5], s[24:25], s[34:35]
	s_and_saveexec_b64 s[2:3], s[4:5]
	s_cbranch_execnz .LBB185_302
.LBB185_228:
	s_or_b64 exec, exec, s[2:3]
	s_and_b64 s[4:5], s[24:25], s[36:37]
	s_and_saveexec_b64 s[2:3], s[4:5]
	s_cbranch_execnz .LBB185_306
.LBB185_229:
	s_or_b64 exec, exec, s[2:3]
	s_and_b64 s[4:5], s[24:25], s[38:39]
	s_and_saveexec_b64 s[2:3], s[4:5]
	s_cbranch_execnz .LBB185_310
.LBB185_230:
	s_or_b64 exec, exec, s[2:3]
	s_and_b64 s[4:5], s[24:25], s[40:41]
	s_and_saveexec_b64 s[2:3], s[4:5]
	s_cbranch_execnz .LBB185_314
.LBB185_231:
	s_or_b64 exec, exec, s[2:3]
	s_and_b64 s[4:5], s[24:25], s[42:43]
	s_and_saveexec_b64 s[2:3], s[4:5]
	s_cbranch_execnz .LBB185_318
.LBB185_232:
	s_or_b64 exec, exec, s[2:3]
	s_and_b64 s[4:5], s[24:25], s[44:45]
	s_and_saveexec_b64 s[2:3], s[4:5]
	s_cbranch_execnz .LBB185_322
.LBB185_233:
	s_or_b64 exec, exec, s[2:3]
	s_and_b64 s[4:5], s[24:25], s[46:47]
	s_and_saveexec_b64 s[2:3], s[4:5]
	s_cbranch_execnz .LBB185_326
.LBB185_234:
	s_or_b64 exec, exec, s[2:3]
	s_and_b64 s[4:5], s[24:25], s[48:49]
	s_and_saveexec_b64 s[2:3], s[4:5]
	s_cbranch_execnz .LBB185_330
.LBB185_235:
	s_or_b64 exec, exec, s[2:3]
	s_and_b64 s[4:5], s[24:25], s[50:51]
	s_and_saveexec_b64 s[2:3], s[4:5]
	s_cbranch_execnz .LBB185_334
.LBB185_236:
	s_or_b64 exec, exec, s[2:3]
	s_and_b64 s[4:5], s[24:25], s[52:53]
	s_and_saveexec_b64 s[2:3], s[4:5]
	s_cbranch_execnz .LBB185_338
.LBB185_237:
	s_or_b64 exec, exec, s[2:3]
	s_and_b64 s[4:5], s[24:25], s[54:55]
	s_and_saveexec_b64 s[2:3], s[4:5]
	s_cbranch_execnz .LBB185_342
.LBB185_238:
	s_or_b64 exec, exec, s[2:3]
	s_and_b64 s[4:5], s[24:25], s[56:57]
	s_and_saveexec_b64 s[2:3], s[4:5]
	s_cbranch_execnz .LBB185_346
.LBB185_239:
	s_or_b64 exec, exec, s[2:3]
	s_and_b64 s[4:5], s[24:25], s[58:59]
	s_and_saveexec_b64 s[2:3], s[4:5]
	s_cbranch_execnz .LBB185_350
.LBB185_240:
	s_or_b64 exec, exec, s[2:3]
	s_and_b64 s[4:5], s[24:25], s[60:61]
	s_and_saveexec_b64 s[2:3], s[4:5]
	s_cbranch_execnz .LBB185_354
.LBB185_241:
	s_or_b64 exec, exec, s[2:3]
	s_and_b64 s[4:5], s[24:25], s[62:63]
	s_and_saveexec_b64 s[2:3], s[4:5]
	s_cbranch_execnz .LBB185_358
.LBB185_242:
	s_or_b64 exec, exec, s[2:3]
	s_and_b64 s[4:5], s[24:25], s[64:65]
	s_and_saveexec_b64 s[2:3], s[4:5]
	s_cbranch_execnz .LBB185_362
.LBB185_243:
	s_or_b64 exec, exec, s[2:3]
	s_and_b64 s[4:5], s[24:25], s[66:67]
	s_and_saveexec_b64 s[2:3], s[4:5]
	s_cbranch_execnz .LBB185_366
.LBB185_244:
	s_or_b64 exec, exec, s[2:3]
	s_and_b64 s[2:3], s[24:25], s[68:69]
	s_and_saveexec_b64 s[4:5], s[2:3]
	s_cbranch_execnz .LBB185_370
.LBB185_245:
	s_endpgm
.LBB185_246:
	s_and_b64 vcc, exec, s[0:1]
	s_cbranch_vccnz .LBB185_248
; %bb.247:
	v_lshl_add_u64 v[132:133], v[128:129], 3, v[130:131]
	global_load_dwordx2 v[132:133], v[132:133], off
	s_waitcnt vmcnt(0)
	v_mul_f64 v[132:133], s[70:71], v[132:133]
	s_branch .LBB185_249
.LBB185_248:
	v_mov_b64_e32 v[132:133], 0
.LBB185_249:
	v_add_f64 v[62:63], v[62:63], v[132:133]
	v_lshl_add_u64 v[128:129], v[128:129], 3, v[64:65]
	global_store_dwordx2 v[128:129], v[62:63], off
	s_or_b64 exec, exec, s[2:3]
	s_and_b64 s[4:5], s[24:25], s[4:5]
	s_and_saveexec_b64 s[2:3], s[4:5]
	s_cbranch_execz .LBB185_215
.LBB185_250:
	s_and_b64 vcc, exec, s[0:1]
	s_cbranch_vccnz .LBB185_252
; %bb.251:
	v_lshl_add_u64 v[62:63], v[126:127], 3, v[130:131]
	global_load_dwordx2 v[62:63], v[62:63], off
	s_waitcnt vmcnt(0)
	v_mul_f64 v[62:63], s[70:71], v[62:63]
	s_branch .LBB185_253
.LBB185_252:
	v_mov_b64_e32 v[62:63], 0
.LBB185_253:
	v_add_f64 v[60:61], v[60:61], v[62:63]
	v_lshl_add_u64 v[62:63], v[126:127], 3, v[64:65]
	global_store_dwordx2 v[62:63], v[60:61], off
	s_or_b64 exec, exec, s[2:3]
	s_and_b64 s[4:5], s[24:25], s[6:7]
	s_and_saveexec_b64 s[2:3], s[4:5]
	s_cbranch_execz .LBB185_216
.LBB185_254:
	s_and_b64 vcc, exec, s[0:1]
	s_cbranch_vccnz .LBB185_256
; %bb.255:
	v_lshl_add_u64 v[60:61], v[124:125], 3, v[130:131]
	global_load_dwordx2 v[60:61], v[60:61], off
	s_waitcnt vmcnt(0)
	v_mul_f64 v[60:61], s[70:71], v[60:61]
	s_branch .LBB185_257
.LBB185_256:
	v_mov_b64_e32 v[60:61], 0
.LBB185_257:
	v_add_f64 v[58:59], v[58:59], v[60:61]
	v_lshl_add_u64 v[60:61], v[124:125], 3, v[64:65]
	global_store_dwordx2 v[60:61], v[58:59], off
	s_or_b64 exec, exec, s[2:3]
	s_and_b64 s[4:5], s[24:25], s[8:9]
	s_and_saveexec_b64 s[2:3], s[4:5]
	s_cbranch_execz .LBB185_217
.LBB185_258:
	s_and_b64 vcc, exec, s[0:1]
	s_cbranch_vccnz .LBB185_260
; %bb.259:
	v_lshl_add_u64 v[58:59], v[122:123], 3, v[130:131]
	global_load_dwordx2 v[58:59], v[58:59], off
	s_waitcnt vmcnt(0)
	v_mul_f64 v[58:59], s[70:71], v[58:59]
	s_branch .LBB185_261
.LBB185_260:
	v_mov_b64_e32 v[58:59], 0
.LBB185_261:
	v_add_f64 v[56:57], v[56:57], v[58:59]
	v_lshl_add_u64 v[58:59], v[122:123], 3, v[64:65]
	global_store_dwordx2 v[58:59], v[56:57], off
	s_or_b64 exec, exec, s[2:3]
	s_and_b64 s[4:5], s[24:25], s[10:11]
	s_and_saveexec_b64 s[2:3], s[4:5]
	s_cbranch_execz .LBB185_218
.LBB185_262:
	s_and_b64 vcc, exec, s[0:1]
	s_cbranch_vccnz .LBB185_264
; %bb.263:
	v_lshl_add_u64 v[56:57], v[120:121], 3, v[130:131]
	global_load_dwordx2 v[56:57], v[56:57], off
	s_waitcnt vmcnt(0)
	v_mul_f64 v[56:57], s[70:71], v[56:57]
	s_branch .LBB185_265
.LBB185_264:
	v_mov_b64_e32 v[56:57], 0
.LBB185_265:
	v_add_f64 v[54:55], v[54:55], v[56:57]
	v_lshl_add_u64 v[56:57], v[120:121], 3, v[64:65]
	global_store_dwordx2 v[56:57], v[54:55], off
	s_or_b64 exec, exec, s[2:3]
	s_and_b64 s[4:5], s[24:25], s[12:13]
	s_and_saveexec_b64 s[2:3], s[4:5]
	s_cbranch_execz .LBB185_219
.LBB185_266:
	s_and_b64 vcc, exec, s[0:1]
	s_cbranch_vccnz .LBB185_268
; %bb.267:
	v_lshl_add_u64 v[54:55], v[118:119], 3, v[130:131]
	global_load_dwordx2 v[54:55], v[54:55], off
	s_waitcnt vmcnt(0)
	v_mul_f64 v[54:55], s[70:71], v[54:55]
	s_branch .LBB185_269
.LBB185_268:
	v_mov_b64_e32 v[54:55], 0
.LBB185_269:
	v_add_f64 v[52:53], v[52:53], v[54:55]
	v_lshl_add_u64 v[54:55], v[118:119], 3, v[64:65]
	global_store_dwordx2 v[54:55], v[52:53], off
	s_or_b64 exec, exec, s[2:3]
	s_and_b64 s[4:5], s[24:25], s[14:15]
	s_and_saveexec_b64 s[2:3], s[4:5]
	s_cbranch_execz .LBB185_220
.LBB185_270:
	s_and_b64 vcc, exec, s[0:1]
	s_cbranch_vccnz .LBB185_272
; %bb.271:
	v_lshl_add_u64 v[52:53], v[116:117], 3, v[130:131]
	global_load_dwordx2 v[52:53], v[52:53], off
	s_waitcnt vmcnt(0)
	v_mul_f64 v[52:53], s[70:71], v[52:53]
	s_branch .LBB185_273
.LBB185_272:
	v_mov_b64_e32 v[52:53], 0
.LBB185_273:
	v_add_f64 v[50:51], v[50:51], v[52:53]
	v_lshl_add_u64 v[52:53], v[116:117], 3, v[64:65]
	global_store_dwordx2 v[52:53], v[50:51], off
	s_or_b64 exec, exec, s[2:3]
	s_and_b64 s[4:5], s[24:25], s[16:17]
	s_and_saveexec_b64 s[2:3], s[4:5]
	s_cbranch_execz .LBB185_221
.LBB185_274:
	s_and_b64 vcc, exec, s[0:1]
	s_cbranch_vccnz .LBB185_276
; %bb.275:
	v_lshl_add_u64 v[50:51], v[114:115], 3, v[130:131]
	global_load_dwordx2 v[50:51], v[50:51], off
	s_waitcnt vmcnt(0)
	v_mul_f64 v[50:51], s[70:71], v[50:51]
	s_branch .LBB185_277
.LBB185_276:
	v_mov_b64_e32 v[50:51], 0
.LBB185_277:
	v_add_f64 v[48:49], v[48:49], v[50:51]
	v_lshl_add_u64 v[50:51], v[114:115], 3, v[64:65]
	global_store_dwordx2 v[50:51], v[48:49], off
	s_or_b64 exec, exec, s[2:3]
	s_and_b64 s[4:5], s[24:25], s[18:19]
	s_and_saveexec_b64 s[2:3], s[4:5]
	s_cbranch_execz .LBB185_222
.LBB185_278:
	s_and_b64 vcc, exec, s[0:1]
	s_cbranch_vccnz .LBB185_280
; %bb.279:
	v_lshl_add_u64 v[48:49], v[112:113], 3, v[130:131]
	global_load_dwordx2 v[48:49], v[48:49], off
	s_waitcnt vmcnt(0)
	v_mul_f64 v[48:49], s[70:71], v[48:49]
	s_branch .LBB185_281
.LBB185_280:
	v_mov_b64_e32 v[48:49], 0
.LBB185_281:
	v_add_f64 v[46:47], v[46:47], v[48:49]
	v_lshl_add_u64 v[48:49], v[112:113], 3, v[64:65]
	global_store_dwordx2 v[48:49], v[46:47], off
	s_or_b64 exec, exec, s[2:3]
	s_and_b64 s[4:5], s[24:25], s[20:21]
	s_and_saveexec_b64 s[2:3], s[4:5]
	s_cbranch_execz .LBB185_223
.LBB185_282:
	s_and_b64 vcc, exec, s[0:1]
	s_cbranch_vccnz .LBB185_284
; %bb.283:
	v_lshl_add_u64 v[46:47], v[110:111], 3, v[130:131]
	global_load_dwordx2 v[46:47], v[46:47], off
	s_waitcnt vmcnt(0)
	v_mul_f64 v[46:47], s[70:71], v[46:47]
	s_branch .LBB185_285
.LBB185_284:
	v_mov_b64_e32 v[46:47], 0
.LBB185_285:
	v_add_f64 v[44:45], v[44:45], v[46:47]
	v_lshl_add_u64 v[46:47], v[110:111], 3, v[64:65]
	global_store_dwordx2 v[46:47], v[44:45], off
	s_or_b64 exec, exec, s[2:3]
	s_and_b64 s[4:5], s[24:25], s[22:23]
	s_and_saveexec_b64 s[2:3], s[4:5]
	s_cbranch_execz .LBB185_224
.LBB185_286:
	s_and_b64 vcc, exec, s[0:1]
	s_cbranch_vccnz .LBB185_288
; %bb.287:
	v_lshl_add_u64 v[44:45], v[108:109], 3, v[130:131]
	global_load_dwordx2 v[44:45], v[44:45], off
	s_waitcnt vmcnt(0)
	v_mul_f64 v[44:45], s[70:71], v[44:45]
	s_branch .LBB185_289
.LBB185_288:
	v_mov_b64_e32 v[44:45], 0
.LBB185_289:
	v_add_f64 v[42:43], v[42:43], v[44:45]
	v_lshl_add_u64 v[44:45], v[108:109], 3, v[64:65]
	global_store_dwordx2 v[44:45], v[42:43], off
	s_or_b64 exec, exec, s[2:3]
	s_and_b64 s[4:5], s[24:25], s[26:27]
	s_and_saveexec_b64 s[2:3], s[4:5]
	s_cbranch_execz .LBB185_225
.LBB185_290:
	s_and_b64 vcc, exec, s[0:1]
	s_cbranch_vccnz .LBB185_292
; %bb.291:
	v_lshl_add_u64 v[42:43], v[106:107], 3, v[130:131]
	global_load_dwordx2 v[42:43], v[42:43], off
	s_waitcnt vmcnt(0)
	v_mul_f64 v[42:43], s[70:71], v[42:43]
	s_branch .LBB185_293
.LBB185_292:
	v_mov_b64_e32 v[42:43], 0
.LBB185_293:
	v_add_f64 v[40:41], v[40:41], v[42:43]
	v_lshl_add_u64 v[42:43], v[106:107], 3, v[64:65]
	global_store_dwordx2 v[42:43], v[40:41], off
	s_or_b64 exec, exec, s[2:3]
	s_and_b64 s[4:5], s[24:25], s[28:29]
	s_and_saveexec_b64 s[2:3], s[4:5]
	s_cbranch_execz .LBB185_226
.LBB185_294:
	s_and_b64 vcc, exec, s[0:1]
	s_cbranch_vccnz .LBB185_296
; %bb.295:
	v_lshl_add_u64 v[40:41], v[104:105], 3, v[130:131]
	global_load_dwordx2 v[40:41], v[40:41], off
	s_waitcnt vmcnt(0)
	v_mul_f64 v[40:41], s[70:71], v[40:41]
	s_branch .LBB185_297
.LBB185_296:
	v_mov_b64_e32 v[40:41], 0
.LBB185_297:
	v_add_f64 v[38:39], v[38:39], v[40:41]
	v_lshl_add_u64 v[40:41], v[104:105], 3, v[64:65]
	global_store_dwordx2 v[40:41], v[38:39], off
	s_or_b64 exec, exec, s[2:3]
	s_and_b64 s[4:5], s[24:25], s[30:31]
	s_and_saveexec_b64 s[2:3], s[4:5]
	s_cbranch_execz .LBB185_227
.LBB185_298:
	s_and_b64 vcc, exec, s[0:1]
	s_cbranch_vccnz .LBB185_300
; %bb.299:
	v_lshl_add_u64 v[38:39], v[102:103], 3, v[130:131]
	global_load_dwordx2 v[38:39], v[38:39], off
	s_waitcnt vmcnt(0)
	v_mul_f64 v[38:39], s[70:71], v[38:39]
	s_branch .LBB185_301
.LBB185_300:
	v_mov_b64_e32 v[38:39], 0
.LBB185_301:
	v_add_f64 v[36:37], v[36:37], v[38:39]
	v_lshl_add_u64 v[38:39], v[102:103], 3, v[64:65]
	global_store_dwordx2 v[38:39], v[36:37], off
	s_or_b64 exec, exec, s[2:3]
	s_and_b64 s[4:5], s[24:25], s[34:35]
	s_and_saveexec_b64 s[2:3], s[4:5]
	s_cbranch_execz .LBB185_228
.LBB185_302:
	s_and_b64 vcc, exec, s[0:1]
	s_cbranch_vccnz .LBB185_304
; %bb.303:
	v_lshl_add_u64 v[36:37], v[100:101], 3, v[130:131]
	global_load_dwordx2 v[36:37], v[36:37], off
	s_waitcnt vmcnt(0)
	v_mul_f64 v[36:37], s[70:71], v[36:37]
	s_branch .LBB185_305
.LBB185_304:
	v_mov_b64_e32 v[36:37], 0
.LBB185_305:
	v_add_f64 v[34:35], v[34:35], v[36:37]
	v_lshl_add_u64 v[36:37], v[100:101], 3, v[64:65]
	global_store_dwordx2 v[36:37], v[34:35], off
	s_or_b64 exec, exec, s[2:3]
	s_and_b64 s[4:5], s[24:25], s[36:37]
	s_and_saveexec_b64 s[2:3], s[4:5]
	s_cbranch_execz .LBB185_229
.LBB185_306:
	s_and_b64 vcc, exec, s[0:1]
	s_cbranch_vccnz .LBB185_308
; %bb.307:
	v_lshl_add_u64 v[34:35], v[98:99], 3, v[130:131]
	global_load_dwordx2 v[34:35], v[34:35], off
	s_waitcnt vmcnt(0)
	v_mul_f64 v[34:35], s[70:71], v[34:35]
	s_branch .LBB185_309
.LBB185_308:
	v_mov_b64_e32 v[34:35], 0
.LBB185_309:
	v_add_f64 v[32:33], v[32:33], v[34:35]
	v_lshl_add_u64 v[34:35], v[98:99], 3, v[64:65]
	global_store_dwordx2 v[34:35], v[32:33], off
	s_or_b64 exec, exec, s[2:3]
	s_and_b64 s[4:5], s[24:25], s[38:39]
	s_and_saveexec_b64 s[2:3], s[4:5]
	s_cbranch_execz .LBB185_230
.LBB185_310:
	s_and_b64 vcc, exec, s[0:1]
	s_cbranch_vccnz .LBB185_312
; %bb.311:
	v_lshl_add_u64 v[32:33], v[96:97], 3, v[130:131]
	global_load_dwordx2 v[32:33], v[32:33], off
	s_waitcnt vmcnt(0)
	v_mul_f64 v[32:33], s[70:71], v[32:33]
	s_branch .LBB185_313
.LBB185_312:
	v_mov_b64_e32 v[32:33], 0
.LBB185_313:
	v_add_f64 v[30:31], v[30:31], v[32:33]
	v_lshl_add_u64 v[32:33], v[96:97], 3, v[64:65]
	global_store_dwordx2 v[32:33], v[30:31], off
	s_or_b64 exec, exec, s[2:3]
	s_and_b64 s[4:5], s[24:25], s[40:41]
	s_and_saveexec_b64 s[2:3], s[4:5]
	s_cbranch_execz .LBB185_231
.LBB185_314:
	s_and_b64 vcc, exec, s[0:1]
	s_cbranch_vccnz .LBB185_316
; %bb.315:
	v_lshl_add_u64 v[30:31], v[94:95], 3, v[130:131]
	global_load_dwordx2 v[30:31], v[30:31], off
	s_waitcnt vmcnt(0)
	v_mul_f64 v[30:31], s[70:71], v[30:31]
	s_branch .LBB185_317
.LBB185_316:
	v_mov_b64_e32 v[30:31], 0
.LBB185_317:
	v_add_f64 v[28:29], v[28:29], v[30:31]
	v_lshl_add_u64 v[30:31], v[94:95], 3, v[64:65]
	global_store_dwordx2 v[30:31], v[28:29], off
	s_or_b64 exec, exec, s[2:3]
	s_and_b64 s[4:5], s[24:25], s[42:43]
	s_and_saveexec_b64 s[2:3], s[4:5]
	s_cbranch_execz .LBB185_232
.LBB185_318:
	s_and_b64 vcc, exec, s[0:1]
	s_cbranch_vccnz .LBB185_320
; %bb.319:
	v_lshl_add_u64 v[28:29], v[92:93], 3, v[130:131]
	global_load_dwordx2 v[28:29], v[28:29], off
	s_waitcnt vmcnt(0)
	v_mul_f64 v[28:29], s[70:71], v[28:29]
	s_branch .LBB185_321
.LBB185_320:
	v_mov_b64_e32 v[28:29], 0
.LBB185_321:
	v_add_f64 v[26:27], v[26:27], v[28:29]
	v_lshl_add_u64 v[28:29], v[92:93], 3, v[64:65]
	global_store_dwordx2 v[28:29], v[26:27], off
	s_or_b64 exec, exec, s[2:3]
	s_and_b64 s[4:5], s[24:25], s[44:45]
	s_and_saveexec_b64 s[2:3], s[4:5]
	s_cbranch_execz .LBB185_233
.LBB185_322:
	s_and_b64 vcc, exec, s[0:1]
	s_cbranch_vccnz .LBB185_324
; %bb.323:
	v_lshl_add_u64 v[26:27], v[90:91], 3, v[130:131]
	global_load_dwordx2 v[26:27], v[26:27], off
	s_waitcnt vmcnt(0)
	v_mul_f64 v[26:27], s[70:71], v[26:27]
	s_branch .LBB185_325
.LBB185_324:
	v_mov_b64_e32 v[26:27], 0
.LBB185_325:
	v_add_f64 v[24:25], v[24:25], v[26:27]
	v_lshl_add_u64 v[26:27], v[90:91], 3, v[64:65]
	global_store_dwordx2 v[26:27], v[24:25], off
	s_or_b64 exec, exec, s[2:3]
	s_and_b64 s[4:5], s[24:25], s[46:47]
	s_and_saveexec_b64 s[2:3], s[4:5]
	s_cbranch_execz .LBB185_234
.LBB185_326:
	s_and_b64 vcc, exec, s[0:1]
	s_cbranch_vccnz .LBB185_328
; %bb.327:
	v_lshl_add_u64 v[24:25], v[88:89], 3, v[130:131]
	global_load_dwordx2 v[24:25], v[24:25], off
	s_waitcnt vmcnt(0)
	v_mul_f64 v[24:25], s[70:71], v[24:25]
	s_branch .LBB185_329
.LBB185_328:
	v_mov_b64_e32 v[24:25], 0
.LBB185_329:
	v_add_f64 v[22:23], v[22:23], v[24:25]
	v_lshl_add_u64 v[24:25], v[88:89], 3, v[64:65]
	global_store_dwordx2 v[24:25], v[22:23], off
	s_or_b64 exec, exec, s[2:3]
	s_and_b64 s[4:5], s[24:25], s[48:49]
	s_and_saveexec_b64 s[2:3], s[4:5]
	s_cbranch_execz .LBB185_235
.LBB185_330:
	s_and_b64 vcc, exec, s[0:1]
	s_cbranch_vccnz .LBB185_332
; %bb.331:
	v_lshl_add_u64 v[22:23], v[86:87], 3, v[130:131]
	global_load_dwordx2 v[22:23], v[22:23], off
	s_waitcnt vmcnt(0)
	v_mul_f64 v[22:23], s[70:71], v[22:23]
	s_branch .LBB185_333
.LBB185_332:
	v_mov_b64_e32 v[22:23], 0
.LBB185_333:
	v_add_f64 v[20:21], v[20:21], v[22:23]
	v_lshl_add_u64 v[22:23], v[86:87], 3, v[64:65]
	global_store_dwordx2 v[22:23], v[20:21], off
	s_or_b64 exec, exec, s[2:3]
	s_and_b64 s[4:5], s[24:25], s[50:51]
	s_and_saveexec_b64 s[2:3], s[4:5]
	s_cbranch_execz .LBB185_236
.LBB185_334:
	s_and_b64 vcc, exec, s[0:1]
	s_cbranch_vccnz .LBB185_336
; %bb.335:
	v_lshl_add_u64 v[20:21], v[84:85], 3, v[130:131]
	global_load_dwordx2 v[20:21], v[20:21], off
	s_waitcnt vmcnt(0)
	v_mul_f64 v[20:21], s[70:71], v[20:21]
	s_branch .LBB185_337
.LBB185_336:
	v_mov_b64_e32 v[20:21], 0
.LBB185_337:
	v_add_f64 v[18:19], v[18:19], v[20:21]
	v_lshl_add_u64 v[20:21], v[84:85], 3, v[64:65]
	global_store_dwordx2 v[20:21], v[18:19], off
	s_or_b64 exec, exec, s[2:3]
	s_and_b64 s[4:5], s[24:25], s[52:53]
	s_and_saveexec_b64 s[2:3], s[4:5]
	s_cbranch_execz .LBB185_237
.LBB185_338:
	s_and_b64 vcc, exec, s[0:1]
	s_cbranch_vccnz .LBB185_340
; %bb.339:
	v_lshl_add_u64 v[18:19], v[82:83], 3, v[130:131]
	global_load_dwordx2 v[18:19], v[18:19], off
	s_waitcnt vmcnt(0)
	v_mul_f64 v[18:19], s[70:71], v[18:19]
	s_branch .LBB185_341
.LBB185_340:
	v_mov_b64_e32 v[18:19], 0
.LBB185_341:
	v_add_f64 v[16:17], v[16:17], v[18:19]
	v_lshl_add_u64 v[18:19], v[82:83], 3, v[64:65]
	global_store_dwordx2 v[18:19], v[16:17], off
	s_or_b64 exec, exec, s[2:3]
	s_and_b64 s[4:5], s[24:25], s[54:55]
	s_and_saveexec_b64 s[2:3], s[4:5]
	s_cbranch_execz .LBB185_238
.LBB185_342:
	s_and_b64 vcc, exec, s[0:1]
	s_cbranch_vccnz .LBB185_344
; %bb.343:
	v_lshl_add_u64 v[16:17], v[80:81], 3, v[130:131]
	global_load_dwordx2 v[16:17], v[16:17], off
	s_waitcnt vmcnt(0)
	v_mul_f64 v[16:17], s[70:71], v[16:17]
	s_branch .LBB185_345
.LBB185_344:
	v_mov_b64_e32 v[16:17], 0
.LBB185_345:
	v_add_f64 v[14:15], v[14:15], v[16:17]
	v_lshl_add_u64 v[16:17], v[80:81], 3, v[64:65]
	global_store_dwordx2 v[16:17], v[14:15], off
	s_or_b64 exec, exec, s[2:3]
	s_and_b64 s[4:5], s[24:25], s[56:57]
	s_and_saveexec_b64 s[2:3], s[4:5]
	s_cbranch_execz .LBB185_239
.LBB185_346:
	s_and_b64 vcc, exec, s[0:1]
	s_cbranch_vccnz .LBB185_348
; %bb.347:
	v_lshl_add_u64 v[14:15], v[78:79], 3, v[130:131]
	global_load_dwordx2 v[14:15], v[14:15], off
	s_waitcnt vmcnt(0)
	v_mul_f64 v[14:15], s[70:71], v[14:15]
	s_branch .LBB185_349
.LBB185_348:
	v_mov_b64_e32 v[14:15], 0
.LBB185_349:
	v_add_f64 v[12:13], v[12:13], v[14:15]
	v_lshl_add_u64 v[14:15], v[78:79], 3, v[64:65]
	global_store_dwordx2 v[14:15], v[12:13], off
	s_or_b64 exec, exec, s[2:3]
	s_and_b64 s[4:5], s[24:25], s[58:59]
	s_and_saveexec_b64 s[2:3], s[4:5]
	s_cbranch_execz .LBB185_240
.LBB185_350:
	s_and_b64 vcc, exec, s[0:1]
	s_cbranch_vccnz .LBB185_352
; %bb.351:
	v_lshl_add_u64 v[12:13], v[76:77], 3, v[130:131]
	global_load_dwordx2 v[12:13], v[12:13], off
	s_waitcnt vmcnt(0)
	v_mul_f64 v[12:13], s[70:71], v[12:13]
	s_branch .LBB185_353
.LBB185_352:
	v_mov_b64_e32 v[12:13], 0
.LBB185_353:
	v_add_f64 v[10:11], v[10:11], v[12:13]
	v_lshl_add_u64 v[12:13], v[76:77], 3, v[64:65]
	global_store_dwordx2 v[12:13], v[10:11], off
	s_or_b64 exec, exec, s[2:3]
	s_and_b64 s[4:5], s[24:25], s[60:61]
	s_and_saveexec_b64 s[2:3], s[4:5]
	s_cbranch_execz .LBB185_241
.LBB185_354:
	s_and_b64 vcc, exec, s[0:1]
	s_cbranch_vccnz .LBB185_356
; %bb.355:
	v_lshl_add_u64 v[10:11], v[74:75], 3, v[130:131]
	global_load_dwordx2 v[10:11], v[10:11], off
	s_waitcnt vmcnt(0)
	v_mul_f64 v[10:11], s[70:71], v[10:11]
	s_branch .LBB185_357
.LBB185_356:
	v_mov_b64_e32 v[10:11], 0
.LBB185_357:
	v_add_f64 v[8:9], v[8:9], v[10:11]
	v_lshl_add_u64 v[10:11], v[74:75], 3, v[64:65]
	global_store_dwordx2 v[10:11], v[8:9], off
	s_or_b64 exec, exec, s[2:3]
	s_and_b64 s[4:5], s[24:25], s[62:63]
	s_and_saveexec_b64 s[2:3], s[4:5]
	s_cbranch_execz .LBB185_242
.LBB185_358:
	s_and_b64 vcc, exec, s[0:1]
	s_cbranch_vccnz .LBB185_360
; %bb.359:
	v_lshl_add_u64 v[8:9], v[72:73], 3, v[130:131]
	global_load_dwordx2 v[8:9], v[8:9], off
	s_waitcnt vmcnt(0)
	v_mul_f64 v[8:9], s[70:71], v[8:9]
	s_branch .LBB185_361
.LBB185_360:
	v_mov_b64_e32 v[8:9], 0
.LBB185_361:
	v_add_f64 v[6:7], v[6:7], v[8:9]
	v_lshl_add_u64 v[8:9], v[72:73], 3, v[64:65]
	global_store_dwordx2 v[8:9], v[6:7], off
	s_or_b64 exec, exec, s[2:3]
	s_and_b64 s[4:5], s[24:25], s[64:65]
	s_and_saveexec_b64 s[2:3], s[4:5]
	s_cbranch_execz .LBB185_243
.LBB185_362:
	s_and_b64 vcc, exec, s[0:1]
	s_cbranch_vccnz .LBB185_364
; %bb.363:
	v_lshl_add_u64 v[6:7], v[70:71], 3, v[130:131]
	global_load_dwordx2 v[6:7], v[6:7], off
	s_waitcnt vmcnt(0)
	v_mul_f64 v[6:7], s[70:71], v[6:7]
	s_branch .LBB185_365
.LBB185_364:
	v_mov_b64_e32 v[6:7], 0
.LBB185_365:
	v_add_f64 v[4:5], v[4:5], v[6:7]
	v_lshl_add_u64 v[6:7], v[70:71], 3, v[64:65]
	global_store_dwordx2 v[6:7], v[4:5], off
	s_or_b64 exec, exec, s[2:3]
	s_and_b64 s[4:5], s[24:25], s[66:67]
	s_and_saveexec_b64 s[2:3], s[4:5]
	s_cbranch_execz .LBB185_244
.LBB185_366:
	s_and_b64 vcc, exec, s[0:1]
	s_cbranch_vccnz .LBB185_368
; %bb.367:
	v_lshl_add_u64 v[4:5], v[68:69], 3, v[130:131]
	global_load_dwordx2 v[4:5], v[4:5], off
	s_waitcnt vmcnt(0)
	v_mul_f64 v[4:5], s[70:71], v[4:5]
	s_branch .LBB185_369
.LBB185_368:
	v_mov_b64_e32 v[4:5], 0
.LBB185_369:
	v_add_f64 v[2:3], v[2:3], v[4:5]
	v_lshl_add_u64 v[4:5], v[68:69], 3, v[64:65]
	global_store_dwordx2 v[4:5], v[2:3], off
	s_or_b64 exec, exec, s[2:3]
	s_and_b64 s[2:3], s[24:25], s[68:69]
	s_and_saveexec_b64 s[4:5], s[2:3]
	s_cbranch_execz .LBB185_245
.LBB185_370:
	s_and_b64 vcc, exec, s[0:1]
	s_cbranch_vccnz .LBB185_372
; %bb.371:
	v_lshl_add_u64 v[2:3], v[66:67], 3, v[130:131]
	global_load_dwordx2 v[2:3], v[2:3], off
	s_waitcnt vmcnt(0)
	v_mul_f64 v[2:3], s[70:71], v[2:3]
	v_add_f64 v[0:1], v[0:1], v[2:3]
	v_lshl_add_u64 v[2:3], v[66:67], 3, v[64:65]
	global_store_dwordx2 v[2:3], v[0:1], off
	s_endpgm
.LBB185_372:
	v_mov_b64_e32 v[2:3], 0
	v_add_f64 v[0:1], v[0:1], v[2:3]
	v_lshl_add_u64 v[2:3], v[66:67], 3, v[64:65]
	global_store_dwordx2 v[2:3], v[0:1], off
	s_endpgm
	.section	.rodata,"a",@progbits
	.p2align	6, 0x0
	.amdhsa_kernel _ZN12_GLOBAL__N_120geam_min_plus_kernelIdddLi4ELi64ELi128ELi128ELi4ELi64ELi4ELi4ELi64ELc78ELc78ELb0ELb1ELb0EdKddEEviiiT16_PT17_ilS4_ilS2_S4_ilPT18_ili26rocblas_geam_ex_operation_
		.amdhsa_group_segment_fixed_size 16384
		.amdhsa_private_segment_fixed_size 0
		.amdhsa_kernarg_size 136
		.amdhsa_user_sgpr_count 2
		.amdhsa_user_sgpr_dispatch_ptr 0
		.amdhsa_user_sgpr_queue_ptr 0
		.amdhsa_user_sgpr_kernarg_segment_ptr 1
		.amdhsa_user_sgpr_dispatch_id 0
		.amdhsa_user_sgpr_kernarg_preload_length 0
		.amdhsa_user_sgpr_kernarg_preload_offset 0
		.amdhsa_user_sgpr_private_segment_size 0
		.amdhsa_uses_dynamic_stack 0
		.amdhsa_enable_private_segment 0
		.amdhsa_system_sgpr_workgroup_id_x 1
		.amdhsa_system_sgpr_workgroup_id_y 0
		.amdhsa_system_sgpr_workgroup_id_z 1
		.amdhsa_system_sgpr_workgroup_info 0
		.amdhsa_system_vgpr_workitem_id 1
		.amdhsa_next_free_vgpr 254
		.amdhsa_next_free_sgpr 82
		.amdhsa_accum_offset 256
		.amdhsa_reserve_vcc 1
		.amdhsa_float_round_mode_32 0
		.amdhsa_float_round_mode_16_64 0
		.amdhsa_float_denorm_mode_32 3
		.amdhsa_float_denorm_mode_16_64 3
		.amdhsa_dx10_clamp 1
		.amdhsa_ieee_mode 1
		.amdhsa_fp16_overflow 0
		.amdhsa_tg_split 0
		.amdhsa_exception_fp_ieee_invalid_op 0
		.amdhsa_exception_fp_denorm_src 0
		.amdhsa_exception_fp_ieee_div_zero 0
		.amdhsa_exception_fp_ieee_overflow 0
		.amdhsa_exception_fp_ieee_underflow 0
		.amdhsa_exception_fp_ieee_inexact 0
		.amdhsa_exception_int_div_zero 0
	.end_amdhsa_kernel
	.section	.text._ZN12_GLOBAL__N_120geam_min_plus_kernelIdddLi4ELi64ELi128ELi128ELi4ELi64ELi4ELi4ELi64ELc78ELc78ELb0ELb1ELb0EdKddEEviiiT16_PT17_ilS4_ilS2_S4_ilPT18_ili26rocblas_geam_ex_operation_,"axG",@progbits,_ZN12_GLOBAL__N_120geam_min_plus_kernelIdddLi4ELi64ELi128ELi128ELi4ELi64ELi4ELi4ELi64ELc78ELc78ELb0ELb1ELb0EdKddEEviiiT16_PT17_ilS4_ilS2_S4_ilPT18_ili26rocblas_geam_ex_operation_,comdat
.Lfunc_end185:
	.size	_ZN12_GLOBAL__N_120geam_min_plus_kernelIdddLi4ELi64ELi128ELi128ELi4ELi64ELi4ELi4ELi64ELc78ELc78ELb0ELb1ELb0EdKddEEviiiT16_PT17_ilS4_ilS2_S4_ilPT18_ili26rocblas_geam_ex_operation_, .Lfunc_end185-_ZN12_GLOBAL__N_120geam_min_plus_kernelIdddLi4ELi64ELi128ELi128ELi4ELi64ELi4ELi4ELi64ELc78ELc78ELb0ELb1ELb0EdKddEEviiiT16_PT17_ilS4_ilS2_S4_ilPT18_ili26rocblas_geam_ex_operation_
                                        ; -- End function
	.set _ZN12_GLOBAL__N_120geam_min_plus_kernelIdddLi4ELi64ELi128ELi128ELi4ELi64ELi4ELi4ELi64ELc78ELc78ELb0ELb1ELb0EdKddEEviiiT16_PT17_ilS4_ilS2_S4_ilPT18_ili26rocblas_geam_ex_operation_.num_vgpr, 254
	.set _ZN12_GLOBAL__N_120geam_min_plus_kernelIdddLi4ELi64ELi128ELi128ELi4ELi64ELi4ELi4ELi64ELc78ELc78ELb0ELb1ELb0EdKddEEviiiT16_PT17_ilS4_ilS2_S4_ilPT18_ili26rocblas_geam_ex_operation_.num_agpr, 0
	.set _ZN12_GLOBAL__N_120geam_min_plus_kernelIdddLi4ELi64ELi128ELi128ELi4ELi64ELi4ELi4ELi64ELc78ELc78ELb0ELb1ELb0EdKddEEviiiT16_PT17_ilS4_ilS2_S4_ilPT18_ili26rocblas_geam_ex_operation_.numbered_sgpr, 82
	.set _ZN12_GLOBAL__N_120geam_min_plus_kernelIdddLi4ELi64ELi128ELi128ELi4ELi64ELi4ELi4ELi64ELc78ELc78ELb0ELb1ELb0EdKddEEviiiT16_PT17_ilS4_ilS2_S4_ilPT18_ili26rocblas_geam_ex_operation_.num_named_barrier, 0
	.set _ZN12_GLOBAL__N_120geam_min_plus_kernelIdddLi4ELi64ELi128ELi128ELi4ELi64ELi4ELi4ELi64ELc78ELc78ELb0ELb1ELb0EdKddEEviiiT16_PT17_ilS4_ilS2_S4_ilPT18_ili26rocblas_geam_ex_operation_.private_seg_size, 0
	.set _ZN12_GLOBAL__N_120geam_min_plus_kernelIdddLi4ELi64ELi128ELi128ELi4ELi64ELi4ELi4ELi64ELc78ELc78ELb0ELb1ELb0EdKddEEviiiT16_PT17_ilS4_ilS2_S4_ilPT18_ili26rocblas_geam_ex_operation_.uses_vcc, 1
	.set _ZN12_GLOBAL__N_120geam_min_plus_kernelIdddLi4ELi64ELi128ELi128ELi4ELi64ELi4ELi4ELi64ELc78ELc78ELb0ELb1ELb0EdKddEEviiiT16_PT17_ilS4_ilS2_S4_ilPT18_ili26rocblas_geam_ex_operation_.uses_flat_scratch, 0
	.set _ZN12_GLOBAL__N_120geam_min_plus_kernelIdddLi4ELi64ELi128ELi128ELi4ELi64ELi4ELi4ELi64ELc78ELc78ELb0ELb1ELb0EdKddEEviiiT16_PT17_ilS4_ilS2_S4_ilPT18_ili26rocblas_geam_ex_operation_.has_dyn_sized_stack, 0
	.set _ZN12_GLOBAL__N_120geam_min_plus_kernelIdddLi4ELi64ELi128ELi128ELi4ELi64ELi4ELi4ELi64ELc78ELc78ELb0ELb1ELb0EdKddEEviiiT16_PT17_ilS4_ilS2_S4_ilPT18_ili26rocblas_geam_ex_operation_.has_recursion, 0
	.set _ZN12_GLOBAL__N_120geam_min_plus_kernelIdddLi4ELi64ELi128ELi128ELi4ELi64ELi4ELi4ELi64ELc78ELc78ELb0ELb1ELb0EdKddEEviiiT16_PT17_ilS4_ilS2_S4_ilPT18_ili26rocblas_geam_ex_operation_.has_indirect_call, 0
	.section	.AMDGPU.csdata,"",@progbits
; Kernel info:
; codeLenInByte = 14708
; TotalNumSgprs: 88
; NumVgprs: 254
; NumAgprs: 0
; TotalNumVgprs: 254
; ScratchSize: 0
; MemoryBound: 0
; FloatMode: 240
; IeeeMode: 1
; LDSByteSize: 16384 bytes/workgroup (compile time only)
; SGPRBlocks: 10
; VGPRBlocks: 31
; NumSGPRsForWavesPerEU: 88
; NumVGPRsForWavesPerEU: 254
; AccumOffset: 256
; Occupancy: 2
; WaveLimiterHint : 0
; COMPUTE_PGM_RSRC2:SCRATCH_EN: 0
; COMPUTE_PGM_RSRC2:USER_SGPR: 2
; COMPUTE_PGM_RSRC2:TRAP_HANDLER: 0
; COMPUTE_PGM_RSRC2:TGID_X_EN: 1
; COMPUTE_PGM_RSRC2:TGID_Y_EN: 0
; COMPUTE_PGM_RSRC2:TGID_Z_EN: 1
; COMPUTE_PGM_RSRC2:TIDIG_COMP_CNT: 1
; COMPUTE_PGM_RSRC3_GFX90A:ACCUM_OFFSET: 63
; COMPUTE_PGM_RSRC3_GFX90A:TG_SPLIT: 0
	.section	.text._ZN12_GLOBAL__N_120geam_min_plus_kernelIdddLi4ELi64ELi128ELi128ELi4ELi4ELi64ELi4ELi64ELc84ELc78ELb0ELb0ELb0EPKdS1_dEEviiiT16_PT17_ilS5_ilS3_S5_ilPT18_ili26rocblas_geam_ex_operation_,"axG",@progbits,_ZN12_GLOBAL__N_120geam_min_plus_kernelIdddLi4ELi64ELi128ELi128ELi4ELi4ELi64ELi4ELi64ELc84ELc78ELb0ELb0ELb0EPKdS1_dEEviiiT16_PT17_ilS5_ilS3_S5_ilPT18_ili26rocblas_geam_ex_operation_,comdat
	.globl	_ZN12_GLOBAL__N_120geam_min_plus_kernelIdddLi4ELi64ELi128ELi128ELi4ELi4ELi64ELi4ELi64ELc84ELc78ELb0ELb0ELb0EPKdS1_dEEviiiT16_PT17_ilS5_ilS3_S5_ilPT18_ili26rocblas_geam_ex_operation_ ; -- Begin function _ZN12_GLOBAL__N_120geam_min_plus_kernelIdddLi4ELi64ELi128ELi128ELi4ELi4ELi64ELi4ELi64ELc84ELc78ELb0ELb0ELb0EPKdS1_dEEviiiT16_PT17_ilS5_ilS3_S5_ilPT18_ili26rocblas_geam_ex_operation_
	.p2align	8
	.type	_ZN12_GLOBAL__N_120geam_min_plus_kernelIdddLi4ELi64ELi128ELi128ELi4ELi4ELi64ELi4ELi64ELc84ELc78ELb0ELb0ELb0EPKdS1_dEEviiiT16_PT17_ilS5_ilS3_S5_ilPT18_ili26rocblas_geam_ex_operation_,@function
_ZN12_GLOBAL__N_120geam_min_plus_kernelIdddLi4ELi64ELi128ELi128ELi4ELi4ELi64ELi4ELi64ELc84ELc78ELb0ELb0ELb0EPKdS1_dEEviiiT16_PT17_ilS5_ilS3_S5_ilPT18_ili26rocblas_geam_ex_operation_: ; @_ZN12_GLOBAL__N_120geam_min_plus_kernelIdddLi4ELi64ELi128ELi128ELi4ELi4ELi64ELi4ELi64ELc84ELc78ELb0ELb0ELb0EPKdS1_dEEviiiT16_PT17_ilS5_ilS3_S5_ilPT18_ili26rocblas_geam_ex_operation_
; %bb.0:
	s_load_dwordx4 s[4:7], s[0:1], 0x10
	s_load_dwordx4 s[8:11], s[0:1], 0x28
	;; [unrolled: 1-line block ×3, first 2 shown]
	s_mov_b32 s18, s3
	s_mov_b32 s19, 0
	s_lshl_b64 s[16:17], s[18:19], 3
	s_waitcnt lgkmcnt(0)
	s_add_u32 s4, s4, s16
	s_addc_u32 s5, s5, s17
	s_load_dwordx2 s[20:21], s[4:5], 0x0
	s_load_dwordx2 s[26:27], s[0:1], 0x50
	s_add_u32 s14, s14, s16
	s_addc_u32 s15, s15, s17
	s_mov_b64 s[22:23], 0
	s_waitcnt lgkmcnt(0)
	v_cmp_eq_f64_e64 s[4:5], s[20:21], 0
	s_and_b64 s[4:5], exec, s[4:5]
	v_cmp_neq_f64_e64 s[28:29], s[20:21], 0
	s_mov_b64 s[24:25], 0
	s_mov_b64 vcc, s[4:5]
	s_cbranch_vccnz .LBB186_2
; %bb.1:
	s_mul_i32 s3, s9, s18
	s_mul_hi_u32 s9, s8, s18
	s_add_i32 s9, s9, s3
	s_mul_i32 s8, s8, s18
	s_lshl_b64 s[8:9], s[8:9], 3
	s_add_u32 s24, s6, s8
	s_addc_u32 s25, s7, s9
.LBB186_2:
	s_load_dwordx2 s[16:17], s[14:15], 0x0
	v_cndmask_b32_e64 v1, 0, 1, s[28:29]
	v_cmp_ne_u32_e64 s[6:7], 1, v1
	s_andn2_b64 vcc, exec, s[28:29]
	s_cbranch_vccnz .LBB186_4
; %bb.3:
	s_mul_i32 s3, s13, s18
	s_mul_hi_u32 s8, s12, s18
	s_add_i32 s9, s8, s3
	s_mul_i32 s8, s12, s18
	s_lshl_b64 s[8:9], s[8:9], 3
	s_add_u32 s22, s10, s8
	s_addc_u32 s23, s11, s9
.LBB186_4:
	s_load_dwordx4 s[12:15], s[0:1], 0x60
	s_waitcnt lgkmcnt(0)
	v_cmp_eq_f64_e64 s[8:9], s[16:17], 0
	s_and_b64 s[8:9], exec, s[8:9]
	s_mov_b64 s[10:11], 0
	s_mov_b64 vcc, s[8:9]
	s_cbranch_vccnz .LBB186_6
; %bb.5:
	s_mul_i32 s3, s13, s18
	s_mul_hi_u32 s10, s12, s18
	s_add_i32 s11, s10, s3
	s_mul_i32 s10, s12, s18
	s_lshl_b64 s[10:11], s[10:11], 3
	s_add_u32 s10, s26, s10
	s_addc_u32 s11, s27, s11
.LBB186_6:
	s_load_dword s3, s[0:1], 0x0
	s_load_dword s26, s[0:1], 0x20
	v_bfe_u32 v152, v0, 10, 10
	v_and_b32_e32 v154, 3, v0
	v_bfe_u32 v2, v0, 2, 8
	s_waitcnt lgkmcnt(0)
	s_add_i32 s3, s3, -1
	s_ashr_i32 s12, s3, 31
	s_lshr_b32 s12, s12, 25
	s_add_i32 s3, s3, s12
	s_ashr_i32 s3, s3, 7
	s_add_i32 s12, s3, 1
	v_cvt_f32_u32_e32 v1, s12
	s_not_b32 s3, s3
	v_mov_b32_e32 v3, 0
	v_add_u32_e32 v139, v2, v152
	v_rcp_iflag_f32_e32 v1, v1
	v_lshlrev_b32_e32 v2, 3, v154
	v_lshl_add_u64 v[6:7], s[24:25], 0, v[2:3]
	v_mul_f32_e32 v1, 0x4f7ffffe, v1
	v_cvt_u32_f32_e32 v1, v1
	s_nop 0
	v_readfirstlane_b32 s13, v1
	s_mul_i32 s3, s3, s13
	s_mul_hi_u32 s3, s13, s3
	s_add_i32 s13, s13, s3
	s_mul_hi_u32 s3, s2, s13
	s_mul_i32 s13, s3, s12
	s_sub_i32 s13, s2, s13
	s_add_i32 s19, s3, 1
	s_sub_i32 s27, s13, s12
	s_cmp_ge_u32 s13, s12
	s_cselect_b32 s3, s19, s3
	s_cselect_b32 s13, s27, s13
	s_add_i32 s19, s3, 1
	s_cmp_ge_u32 s13, s12
	s_cselect_b32 s3, s19, s3
	s_mul_i32 s12, s3, s12
	s_sub_i32 s2, s2, s12
	s_lshl_b32 s12, s2, 7
	s_and_b64 vcc, exec, s[6:7]
	v_add_u32_e32 v138, s12, v139
	s_cbranch_vccnz .LBB186_9
; %bb.7:
	v_mad_i64_i32 v[4:5], s[28:29], v138, s26, 0
	v_lshl_add_u64 v[4:5], v[4:5], 3, v[6:7]
	global_load_dwordx2 v[4:5], v[4:5], off
	s_waitcnt vmcnt(0)
	v_mul_f64 v[4:5], s[20:21], v[4:5]
	s_load_dword s27, s[0:1], 0x38
	s_lshl_b32 s13, s3, 7
	s_mov_b64 vcc, s[4:5]
	s_cbranch_vccz .LBB186_10
.LBB186_8:
	s_mov_b32 s2, 0
	v_mov_b32_e32 v8, s2
	v_mov_b32_e32 v9, s2
	s_mov_b64 s[2:3], 0
	s_branch .LBB186_11
.LBB186_9:
	v_mov_b64_e32 v[4:5], 0
	s_load_dword s27, s[0:1], 0x38
	s_lshl_b32 s13, s3, 7
	s_mov_b64 vcc, s[4:5]
	s_cbranch_vccnz .LBB186_8
.LBB186_10:
	s_mov_b64 s[2:3], -1
                                        ; implicit-def: $vgpr8_vgpr9
.LBB186_11:
	v_add_u32_e32 v141, s13, v139
	v_mov_b64_e32 v[132:133], 0
	s_andn2_b64 vcc, exec, s[2:3]
	v_add_u32_e32 v142, 64, v138
	v_add_u32_e32 v140, 64, v141
	v_mov_b64_e32 v[10:11], 0
	v_mov_b64_e32 v[12:13], 0
	s_cbranch_vccnz .LBB186_13
; %bb.12:
	v_mov_b32_e32 v3, 0
	v_mad_i64_i32 v[8:9], s[2:3], v142, s26, 0
	v_lshl_add_u64 v[10:11], s[22:23], 0, v[2:3]
	s_waitcnt lgkmcnt(0)
	v_mad_i64_i32 v[12:13], s[2:3], v141, s27, 0
	v_lshl_add_u64 v[8:9], v[8:9], 3, v[6:7]
	v_lshl_add_u64 v[12:13], v[12:13], 3, v[10:11]
	v_mad_i64_i32 v[14:15], s[2:3], v140, s27, 0
	global_load_dwordx2 v[8:9], v[8:9], off
	v_lshl_add_u64 v[10:11], v[14:15], 3, v[10:11]
	global_load_dwordx2 v[14:15], v[12:13], off
	global_load_dwordx2 v[16:17], v[10:11], off
	s_waitcnt vmcnt(2)
	v_mul_f64 v[8:9], s[20:21], v[8:9]
	s_waitcnt vmcnt(1)
	v_mul_f64 v[12:13], s[20:21], v[14:15]
	;; [unrolled: 2-line block ×3, first 2 shown]
.LBB186_13:
	s_and_b64 vcc, exec, s[6:7]
	s_cbranch_vccnz .LBB186_15
; %bb.14:
	v_mad_i64_i32 v[14:15], s[2:3], v138, s26, 0
	v_lshl_add_u64 v[14:15], v[14:15], 3, v[6:7]
	global_load_dwordx2 v[14:15], v[14:15], off offset:32
	s_waitcnt vmcnt(0)
	v_mul_f64 v[132:133], s[20:21], v[14:15]
.LBB186_15:
	s_mov_b64 vcc, s[4:5]
	s_cbranch_vccz .LBB186_17
; %bb.16:
	s_mov_b32 s2, 0
	v_mov_b32_e32 v134, s2
	v_mov_b32_e32 v135, s2
	s_mov_b64 s[2:3], 0
	s_branch .LBB186_18
.LBB186_17:
	s_mov_b64 s[2:3], -1
                                        ; implicit-def: $vgpr134_vgpr135
.LBB186_18:
	v_and_b32_e32 v153, 0x3ff, v0
	v_mov_b64_e32 v[124:125], 0
	s_andn2_b64 vcc, exec, s[2:3]
	v_mov_b64_e32 v[0:1], 0
	v_mov_b64_e32 v[136:137], 0
	s_cbranch_vccnz .LBB186_20
; %bb.19:
	v_mad_i64_i32 v[0:1], s[2:3], v142, s26, 0
	v_mov_b32_e32 v3, 0
	v_lshl_add_u64 v[0:1], v[0:1], 3, v[6:7]
	v_lshl_add_u64 v[6:7], s[22:23], 0, v[2:3]
	s_waitcnt lgkmcnt(0)
	v_mad_i64_i32 v[14:15], s[2:3], v141, s27, 0
	v_lshl_add_u64 v[14:15], v[14:15], 3, v[6:7]
	v_mad_i64_i32 v[16:17], s[2:3], v140, s27, 0
	global_load_dwordx2 v[0:1], v[0:1], off offset:32
	v_lshl_add_u64 v[6:7], v[16:17], 3, v[6:7]
	global_load_dwordx2 v[16:17], v[14:15], off offset:32
	global_load_dwordx2 v[18:19], v[6:7], off offset:32
	s_waitcnt vmcnt(2)
	v_mul_f64 v[134:135], s[20:21], v[0:1]
	s_waitcnt vmcnt(1)
	v_mul_f64 v[136:137], s[20:21], v[16:17]
	;; [unrolled: 2-line block ×3, first 2 shown]
.LBB186_20:
	v_lshlrev_b32_e32 v3, 5, v139
	v_lshl_or_b32 v156, v154, 3, v3
	v_lshlrev_b32_e32 v3, 5, v152
	ds_write2st64_b64 v156, v[4:5], v[8:9] offset1:4
	v_add_u32_e32 v157, 0x2000, v156
	ds_write2st64_b64 v156, v[12:13], v[10:11] offset0:16 offset1:20
	v_lshlrev_b32_e32 v158, 5, v153
	v_add_u32_e32 v159, 0x2000, v3
	s_mov_b32 s2, 0
	v_mov_b64_e32 v[130:131], 0
	v_mov_b64_e32 v[128:129], 0
	;; [unrolled: 1-line block ×63, first 2 shown]
	s_waitcnt lgkmcnt(0)
	s_barrier
.LBB186_21:                             ; =>This Inner Loop Header: Depth=1
	v_add_u32_e32 v143, s2, v158
	v_add_u32_e32 v155, s2, v159
	ds_read2_b64 v[144:147], v143 offset1:16
	ds_read2_b64 v[148:151], v143 offset0:32 offset1:48
	ds_read2_b64 v[160:163], v143 offset0:64 offset1:80
	;; [unrolled: 1-line block ×7, first 2 shown]
	ds_read2st64_b64 v[184:187], v155 offset1:4
	v_add_u32_e32 v143, 0x800, v143
	ds_read2_b64 v[188:191], v143 offset1:16
	ds_read2_b64 v[192:195], v143 offset0:32 offset1:48
	ds_read2_b64 v[196:199], v143 offset0:64 offset1:80
	;; [unrolled: 1-line block ×7, first 2 shown]
	s_waitcnt lgkmcnt(14)
	v_max_f64 v[144:145], v[144:145], v[144:145]
	v_max_f64 v[146:147], v[146:147], v[146:147]
	;; [unrolled: 1-line block ×6, first 2 shown]
	s_waitcnt lgkmcnt(13)
	v_max_f64 v[164:165], v[164:165], v[164:165]
	v_max_f64 v[166:167], v[166:167], v[166:167]
	s_waitcnt lgkmcnt(12)
	v_max_f64 v[168:169], v[168:169], v[168:169]
	v_max_f64 v[170:171], v[170:171], v[170:171]
	;; [unrolled: 3-line block ×14, first 2 shown]
	v_min_f64 v[220:221], v[144:145], v[184:185]
	v_min_f64 v[222:223], v[146:147], v[184:185]
	;; [unrolled: 1-line block ×32, first 2 shown]
	s_add_i32 s2, s2, 8
	v_add_f64 v[66:67], v[66:67], v[144:145]
	v_add_f64 v[64:65], v[64:65], v[146:147]
	;; [unrolled: 1-line block ×16, first 2 shown]
	v_min_f64 v[144:145], v[188:189], v[184:185]
	v_min_f64 v[146:147], v[190:191], v[184:185]
	v_min_f64 v[148:149], v[192:193], v[184:185]
	v_min_f64 v[150:151], v[194:195], v[184:185]
	v_min_f64 v[160:161], v[196:197], v[184:185]
	v_min_f64 v[162:163], v[198:199], v[184:185]
	v_min_f64 v[164:165], v[200:201], v[184:185]
	v_min_f64 v[166:167], v[202:203], v[184:185]
	v_min_f64 v[168:169], v[204:205], v[184:185]
	v_min_f64 v[170:171], v[206:207], v[184:185]
	v_min_f64 v[172:173], v[208:209], v[184:185]
	v_min_f64 v[174:175], v[210:211], v[184:185]
	v_min_f64 v[176:177], v[212:213], v[184:185]
	v_min_f64 v[178:179], v[214:215], v[184:185]
	v_min_f64 v[180:181], v[216:217], v[184:185]
	v_min_f64 v[182:183], v[218:219], v[184:185]
	v_min_f64 v[184:185], v[188:189], v[186:187]
	v_min_f64 v[188:189], v[190:191], v[186:187]
	v_min_f64 v[190:191], v[192:193], v[186:187]
	v_min_f64 v[192:193], v[194:195], v[186:187]
	v_min_f64 v[194:195], v[196:197], v[186:187]
	v_min_f64 v[196:197], v[198:199], v[186:187]
	v_min_f64 v[198:199], v[200:201], v[186:187]
	v_min_f64 v[200:201], v[202:203], v[186:187]
	v_min_f64 v[202:203], v[204:205], v[186:187]
	v_min_f64 v[204:205], v[206:207], v[186:187]
	v_min_f64 v[206:207], v[208:209], v[186:187]
	v_min_f64 v[208:209], v[210:211], v[186:187]
	v_min_f64 v[210:211], v[212:213], v[186:187]
	v_min_f64 v[212:213], v[214:215], v[186:187]
	v_min_f64 v[214:215], v[216:217], v[186:187]
	v_min_f64 v[186:187], v[218:219], v[186:187]
	s_cmp_eq_u32 s2, 32
	v_add_f64 v[124:125], v[124:125], v[220:221]
	v_add_f64 v[130:131], v[130:131], v[222:223]
	;; [unrolled: 1-line block ×48, first 2 shown]
	s_cbranch_scc0 .LBB186_21
; %bb.22:
	s_load_dword s19, s[0:1], 0x8
	v_lshl_or_b32 v2, v139, 5, v2
	ds_write2st64_b64 v2, v[132:133], v[134:135] offset0:8 offset1:12
	ds_write2st64_b64 v2, v[136:137], v[0:1] offset0:24 offset1:28
	s_waitcnt lgkmcnt(0)
	s_barrier
	s_cmp_gt_i32 s19, 8
	s_cbranch_scc1 .LBB186_24
; %bb.23:
	v_add_u32_e32 v155, 0x3000, v3
	s_cbranch_execz .LBB186_25
	s_branch .LBB186_43
.LBB186_24:
                                        ; implicit-def: $vgpr155
.LBB186_25:
	v_mov_b32_e32 v0, 0x1000
	v_add_u32_e32 v160, 0x1000, v2
	v_add_u32_e32 v161, 0x3000, v2
	s_add_i32 s19, s19, -8
	v_mad_i64_i32 v[132:133], s[2:3], v138, s26, 0
	v_mad_i64_i32 v[134:135], s[2:3], v142, s26, 0
	;; [unrolled: 1-line block ×4, first 2 shown]
	v_lshl_add_u32 v162, v153, 5, v0
	v_add_u32_e32 v155, 0x3000, v3
	s_mov_b32 s26, 8
	s_mov_b32 s27, 0
	v_mov_b32_e32 v141, 0
	s_mov_b32 s28, 0
.LBB186_26:                             ; =>This Loop Header: Depth=1
                                        ;     Child Loop BB186_32 Depth 2
                                        ;     Child Loop BB186_39 Depth 2
	v_or_b32_e32 v140, s26, v154
	v_lshl_add_u64 v[142:143], v[140:141], 3, s[24:25]
	s_and_b64 vcc, exec, s[6:7]
	v_lshl_add_u64 v[146:147], v[132:133], 3, v[142:143]
	s_cbranch_vccnz .LBB186_41
; %bb.27:                               ;   in Loop: Header=BB186_26 Depth=1
	global_load_dwordx2 v[0:1], v[146:147], off
	s_waitcnt vmcnt(0)
	v_mul_f64 v[148:149], s[20:21], v[0:1]
	s_mov_b64 s[2:3], -1
                                        ; implicit-def: $vgpr0_vgpr1_vgpr2_vgpr3
	s_mov_b64 vcc, s[4:5]
                                        ; implicit-def: $vgpr2_vgpr3
	s_cbranch_vccz .LBB186_29
.LBB186_28:                             ;   in Loop: Header=BB186_26 Depth=1
	v_mov_b32_e32 v2, s27
	v_mov_b32_e32 v3, s27
	;; [unrolled: 1-line block ×4, first 2 shown]
	s_mov_b64 s[2:3], 0
.LBB186_29:                             ;   in Loop: Header=BB186_26 Depth=1
	v_mov_b64_e32 v[150:151], 0
	s_andn2_b64 vcc, exec, s[2:3]
	v_lshl_add_u64 v[144:145], v[134:135], 3, v[142:143]
	v_lshl_add_u64 v[142:143], v[140:141], 3, s[22:23]
	s_cbranch_vccnz .LBB186_31
; %bb.30:                               ;   in Loop: Header=BB186_26 Depth=1
	v_lshl_add_u64 v[2:3], v[136:137], 3, v[142:143]
	v_lshl_add_u64 v[150:151], v[138:139], 3, v[142:143]
	global_load_dwordx2 v[0:1], v[144:145], off
	global_load_dwordx2 v[164:165], v[2:3], off
	s_nop 0
	global_load_dwordx2 v[150:151], v[150:151], off
	s_waitcnt vmcnt(2)
	v_mul_f64 v[2:3], s[20:21], v[0:1]
	s_waitcnt vmcnt(1)
	v_mul_f64 v[0:1], s[20:21], v[164:165]
	;; [unrolled: 2-line block ×3, first 2 shown]
.LBB186_31:                             ;   in Loop: Header=BB186_26 Depth=1
	s_mov_b32 s2, 0
.LBB186_32:                             ;   Parent Loop BB186_26 Depth=1
                                        ; =>  This Inner Loop Header: Depth=2
	v_add_u32_e32 v140, s2, v162
	ds_read2_b64 v[164:167], v140 offset1:16
	ds_read2_b64 v[168:171], v140 offset0:32 offset1:48
	ds_read2_b64 v[172:175], v140 offset0:64 offset1:80
	;; [unrolled: 1-line block ×7, first 2 shown]
	v_add_u32_e32 v140, 0x800, v140
	ds_read2_b64 v[196:199], v140 offset1:16
	ds_read2_b64 v[200:203], v140 offset0:32 offset1:48
	ds_read2_b64 v[204:207], v140 offset0:64 offset1:80
	;; [unrolled: 1-line block ×7, first 2 shown]
	v_add_u32_e32 v140, s2, v155
	ds_read2st64_b64 v[228:231], v140 offset1:4
	s_waitcnt lgkmcnt(14)
	v_max_f64 v[164:165], v[164:165], v[164:165]
	v_max_f64 v[166:167], v[166:167], v[166:167]
	;; [unrolled: 1-line block ×4, first 2 shown]
	s_waitcnt lgkmcnt(0)
	v_max_f64 v[228:229], v[228:229], v[228:229]
	v_min_f64 v[232:233], v[164:165], v[228:229]
	v_add_f64 v[124:125], v[124:125], v[232:233]
	v_min_f64 v[232:233], v[166:167], v[228:229]
	v_add_f64 v[130:131], v[130:131], v[232:233]
	;; [unrolled: 2-line block ×3, first 2 shown]
	v_min_f64 v[232:233], v[170:171], v[228:229]
	v_max_f64 v[172:173], v[172:173], v[172:173]
	v_add_f64 v[126:127], v[126:127], v[232:233]
	v_min_f64 v[232:233], v[172:173], v[228:229]
	v_max_f64 v[174:175], v[174:175], v[174:175]
	v_add_f64 v[122:123], v[122:123], v[232:233]
	;; [unrolled: 3-line block ×26, first 2 shown]
	v_min_f64 v[232:233], v[222:223], v[228:229]
	v_max_f64 v[224:225], v[224:225], v[224:225]
	v_max_f64 v[226:227], v[226:227], v[226:227]
	v_add_f64 v[72:73], v[72:73], v[232:233]
	v_min_f64 v[232:233], v[224:225], v[228:229]
	v_min_f64 v[228:229], v[226:227], v[228:229]
	v_add_f64 v[68:69], v[68:69], v[228:229]
	v_max_f64 v[228:229], v[230:231], v[230:231]
	v_min_f64 v[164:165], v[164:165], v[228:229]
	v_add_f64 v[66:67], v[66:67], v[164:165]
	v_min_f64 v[164:165], v[166:167], v[228:229]
	v_add_f64 v[64:65], v[64:65], v[164:165]
	v_min_f64 v[164:165], v[168:169], v[228:229]
	v_add_f64 v[62:63], v[62:63], v[164:165]
	v_min_f64 v[164:165], v[170:171], v[228:229]
	v_add_f64 v[60:61], v[60:61], v[164:165]
	v_min_f64 v[164:165], v[172:173], v[228:229]
	v_add_f64 v[58:59], v[58:59], v[164:165]
	v_min_f64 v[164:165], v[174:175], v[228:229]
	v_add_f64 v[56:57], v[56:57], v[164:165]
	v_min_f64 v[164:165], v[176:177], v[228:229]
	v_add_f64 v[54:55], v[54:55], v[164:165]
	v_min_f64 v[164:165], v[178:179], v[228:229]
	v_add_f64 v[52:53], v[52:53], v[164:165]
	v_min_f64 v[164:165], v[180:181], v[228:229]
	v_add_f64 v[50:51], v[50:51], v[164:165]
	v_min_f64 v[164:165], v[182:183], v[228:229]
	v_add_f64 v[48:49], v[48:49], v[164:165]
	v_min_f64 v[164:165], v[184:185], v[228:229]
	v_add_f64 v[46:47], v[46:47], v[164:165]
	v_min_f64 v[164:165], v[186:187], v[228:229]
	v_add_f64 v[44:45], v[44:45], v[164:165]
	v_min_f64 v[164:165], v[188:189], v[228:229]
	v_add_f64 v[42:43], v[42:43], v[164:165]
	v_min_f64 v[164:165], v[190:191], v[228:229]
	v_add_f64 v[40:41], v[40:41], v[164:165]
	v_min_f64 v[164:165], v[192:193], v[228:229]
	v_add_f64 v[38:39], v[38:39], v[164:165]
	v_min_f64 v[164:165], v[194:195], v[228:229]
	v_add_f64 v[36:37], v[36:37], v[164:165]
	v_min_f64 v[164:165], v[196:197], v[228:229]
	v_add_f64 v[34:35], v[34:35], v[164:165]
	v_min_f64 v[164:165], v[198:199], v[228:229]
	v_add_f64 v[32:33], v[32:33], v[164:165]
	v_min_f64 v[164:165], v[200:201], v[228:229]
	v_add_f64 v[30:31], v[30:31], v[164:165]
	v_min_f64 v[164:165], v[202:203], v[228:229]
	v_add_f64 v[28:29], v[28:29], v[164:165]
	v_min_f64 v[164:165], v[204:205], v[228:229]
	v_add_f64 v[26:27], v[26:27], v[164:165]
	v_min_f64 v[164:165], v[206:207], v[228:229]
	v_add_f64 v[24:25], v[24:25], v[164:165]
	v_min_f64 v[164:165], v[208:209], v[228:229]
	v_add_f64 v[22:23], v[22:23], v[164:165]
	v_min_f64 v[164:165], v[210:211], v[228:229]
	v_add_f64 v[20:21], v[20:21], v[164:165]
	v_min_f64 v[164:165], v[212:213], v[228:229]
	v_add_f64 v[18:19], v[18:19], v[164:165]
	v_min_f64 v[164:165], v[214:215], v[228:229]
	v_add_f64 v[16:17], v[16:17], v[164:165]
	v_min_f64 v[164:165], v[216:217], v[228:229]
	v_add_f64 v[14:15], v[14:15], v[164:165]
	v_min_f64 v[164:165], v[218:219], v[228:229]
	v_add_f64 v[12:13], v[12:13], v[164:165]
	v_min_f64 v[164:165], v[220:221], v[228:229]
	v_add_f64 v[10:11], v[10:11], v[164:165]
	v_min_f64 v[164:165], v[222:223], v[228:229]
	v_add_f64 v[8:9], v[8:9], v[164:165]
	v_min_f64 v[164:165], v[224:225], v[228:229]
	v_add_f64 v[6:7], v[6:7], v[164:165]
	v_min_f64 v[164:165], v[226:227], v[228:229]
	s_add_i32 s2, s2, 8
	v_add_f64 v[70:71], v[70:71], v[232:233]
	v_add_f64 v[4:5], v[4:5], v[164:165]
	s_cmp_eq_u32 s2, 32
	s_cbranch_scc0 .LBB186_32
; %bb.33:                               ;   in Loop: Header=BB186_26 Depth=1
	s_and_b64 vcc, exec, s[6:7]
	ds_write2st64_b64 v156, v[148:149], v[2:3] offset1:4
	ds_write2st64_b64 v157, v[0:1], v[150:151] offset1:4
	s_waitcnt lgkmcnt(0)
	s_barrier
	s_cbranch_vccnz .LBB186_42
; %bb.34:                               ;   in Loop: Header=BB186_26 Depth=1
	global_load_dwordx2 v[0:1], v[146:147], off offset:32
	s_waitcnt vmcnt(0)
	v_mul_f64 v[146:147], s[20:21], v[0:1]
	s_mov_b64 s[2:3], -1
                                        ; implicit-def: $vgpr0_vgpr1_vgpr2_vgpr3
	s_mov_b64 vcc, s[4:5]
                                        ; implicit-def: $vgpr2_vgpr3
	s_cbranch_vccz .LBB186_36
.LBB186_35:                             ;   in Loop: Header=BB186_26 Depth=1
	v_mov_b32_e32 v2, s27
	v_mov_b32_e32 v3, s27
	;; [unrolled: 1-line block ×4, first 2 shown]
	s_mov_b64 s[2:3], 0
.LBB186_36:                             ;   in Loop: Header=BB186_26 Depth=1
	s_andn2_b64 vcc, exec, s[2:3]
	v_mov_b64_e32 v[148:149], 0
	s_cbranch_vccnz .LBB186_38
; %bb.37:                               ;   in Loop: Header=BB186_26 Depth=1
	v_lshl_add_u64 v[2:3], v[136:137], 3, v[142:143]
	v_lshl_add_u64 v[142:143], v[138:139], 3, v[142:143]
	global_load_dwordx2 v[0:1], v[144:145], off offset:32
	s_nop 0
	global_load_dwordx2 v[144:145], v[2:3], off offset:32
	s_nop 0
	global_load_dwordx2 v[142:143], v[142:143], off offset:32
	s_waitcnt vmcnt(2)
	v_mul_f64 v[2:3], s[20:21], v[0:1]
	s_waitcnt vmcnt(1)
	v_mul_f64 v[0:1], s[20:21], v[144:145]
	;; [unrolled: 2-line block ×3, first 2 shown]
.LBB186_38:                             ;   in Loop: Header=BB186_26 Depth=1
	s_mov_b32 s2, 0
.LBB186_39:                             ;   Parent Loop BB186_26 Depth=1
                                        ; =>  This Inner Loop Header: Depth=2
	v_add_u32_e32 v140, s2, v158
	ds_read2_b64 v[142:145], v140 offset1:16
	ds_read2_b64 v[164:167], v140 offset0:32 offset1:48
	ds_read2_b64 v[168:171], v140 offset0:64 offset1:80
	;; [unrolled: 1-line block ×7, first 2 shown]
	v_add_u32_e32 v140, 0x800, v140
	ds_read2_b64 v[192:195], v140 offset1:16
	ds_read2_b64 v[196:199], v140 offset0:32 offset1:48
	ds_read2_b64 v[200:203], v140 offset0:64 offset1:80
	;; [unrolled: 1-line block ×7, first 2 shown]
	v_add_u32_e32 v140, s2, v159
	ds_read2st64_b64 v[224:227], v140 offset1:4
	s_waitcnt lgkmcnt(14)
	v_max_f64 v[142:143], v[142:143], v[142:143]
	v_max_f64 v[144:145], v[144:145], v[144:145]
	;; [unrolled: 1-line block ×4, first 2 shown]
	s_waitcnt lgkmcnt(0)
	v_max_f64 v[150:151], v[224:225], v[224:225]
	v_min_f64 v[224:225], v[142:143], v[150:151]
	v_add_f64 v[124:125], v[124:125], v[224:225]
	v_min_f64 v[224:225], v[144:145], v[150:151]
	v_add_f64 v[130:131], v[130:131], v[224:225]
	;; [unrolled: 2-line block ×3, first 2 shown]
	v_min_f64 v[224:225], v[166:167], v[150:151]
	v_max_f64 v[168:169], v[168:169], v[168:169]
	v_add_f64 v[126:127], v[126:127], v[224:225]
	v_min_f64 v[224:225], v[168:169], v[150:151]
	v_max_f64 v[170:171], v[170:171], v[170:171]
	v_add_f64 v[122:123], v[122:123], v[224:225]
	;; [unrolled: 3-line block ×26, first 2 shown]
	v_min_f64 v[224:225], v[218:219], v[150:151]
	v_max_f64 v[220:221], v[220:221], v[220:221]
	v_max_f64 v[222:223], v[222:223], v[222:223]
	v_add_f64 v[72:73], v[72:73], v[224:225]
	v_min_f64 v[224:225], v[220:221], v[150:151]
	v_min_f64 v[150:151], v[222:223], v[150:151]
	v_add_f64 v[68:69], v[68:69], v[150:151]
	v_max_f64 v[150:151], v[226:227], v[226:227]
	v_min_f64 v[142:143], v[142:143], v[150:151]
	v_add_f64 v[66:67], v[66:67], v[142:143]
	v_min_f64 v[142:143], v[144:145], v[150:151]
	v_add_f64 v[64:65], v[64:65], v[142:143]
	;; [unrolled: 2-line block ×31, first 2 shown]
	v_min_f64 v[142:143], v[222:223], v[150:151]
	s_add_i32 s2, s2, 8
	v_add_f64 v[70:71], v[70:71], v[224:225]
	v_add_f64 v[4:5], v[4:5], v[142:143]
	s_cmp_eq_u32 s2, 32
	s_cbranch_scc0 .LBB186_39
; %bb.40:                               ;   in Loop: Header=BB186_26 Depth=1
	s_add_i32 s26, s26, 8
	s_add_i32 s28, s28, 8
	s_cmp_ge_i32 s28, s19
	ds_write2st64_b64 v160, v[146:147], v[2:3] offset1:4
	ds_write2st64_b64 v161, v[0:1], v[148:149] offset1:4
	s_waitcnt lgkmcnt(0)
	s_barrier
	s_cbranch_scc0 .LBB186_26
	s_branch .LBB186_43
.LBB186_41:                             ;   in Loop: Header=BB186_26 Depth=1
	v_mov_b64_e32 v[148:149], 0
	s_mov_b64 s[2:3], -1
                                        ; implicit-def: $vgpr0_vgpr1_vgpr2_vgpr3
	s_mov_b64 vcc, s[4:5]
                                        ; implicit-def: $vgpr2_vgpr3
	s_cbranch_vccz .LBB186_29
	s_branch .LBB186_28
.LBB186_42:                             ;   in Loop: Header=BB186_26 Depth=1
	v_mov_b64_e32 v[146:147], 0
	s_mov_b64 s[2:3], -1
                                        ; implicit-def: $vgpr0_vgpr1_vgpr2_vgpr3
	s_mov_b64 vcc, s[4:5]
                                        ; implicit-def: $vgpr2_vgpr3
	s_cbranch_vccz .LBB186_36
	s_branch .LBB186_35
.LBB186_43:
	v_mov_b32_e32 v0, 0x1000
	v_lshl_add_u32 v0, v153, 5, v0
	s_mov_b32 s2, 0
.LBB186_44:                             ; =>This Inner Loop Header: Depth=1
	v_add_u32_e32 v1, s2, v0
	v_add_u32_e32 v2, s2, v155
	ds_read2_b64 v[132:135], v1 offset1:16
	ds_read2_b64 v[136:139], v1 offset0:32 offset1:48
	ds_read2_b64 v[140:143], v1 offset0:64 offset1:80
	ds_read2_b64 v[144:147], v1 offset0:96 offset1:112
	ds_read2_b64 v[148:151], v1 offset0:128 offset1:144
	ds_read2_b64 v[156:159], v1 offset0:160 offset1:176
	ds_read2_b64 v[160:163], v1 offset0:192 offset1:208
	ds_read2_b64 v[164:167], v1 offset0:224 offset1:240
	v_add_u32_e32 v1, 0x800, v1
	ds_read2st64_b64 v[168:171], v2 offset1:4
	ds_read2_b64 v[172:175], v1 offset1:16
	ds_read2_b64 v[176:179], v1 offset0:32 offset1:48
	ds_read2_b64 v[180:183], v1 offset0:64 offset1:80
	;; [unrolled: 1-line block ×7, first 2 shown]
	s_waitcnt lgkmcnt(14)
	v_max_f64 v[132:133], v[132:133], v[132:133]
	v_max_f64 v[134:135], v[134:135], v[134:135]
	;; [unrolled: 1-line block ×3, first 2 shown]
	s_waitcnt lgkmcnt(8)
	v_max_f64 v[2:3], v[168:169], v[168:169]
	v_max_f64 v[138:139], v[138:139], v[138:139]
	;; [unrolled: 1-line block ×15, first 2 shown]
	v_min_f64 v[170:171], v[132:133], v[2:3]
	v_min_f64 v[204:205], v[134:135], v[2:3]
	;; [unrolled: 1-line block ×16, first 2 shown]
	s_waitcnt lgkmcnt(7)
	v_max_f64 v[172:173], v[172:173], v[172:173]
	v_max_f64 v[174:175], v[174:175], v[174:175]
	s_waitcnt lgkmcnt(6)
	v_max_f64 v[176:177], v[176:177], v[176:177]
	v_max_f64 v[178:179], v[178:179], v[178:179]
	;; [unrolled: 3-line block ×8, first 2 shown]
	v_min_f64 v[132:133], v[132:133], v[168:169]
	v_min_f64 v[134:135], v[134:135], v[168:169]
	;; [unrolled: 1-line block ×16, first 2 shown]
	s_add_i32 s2, s2, 8
	v_add_f64 v[124:125], v[124:125], v[170:171]
	v_add_f64 v[130:131], v[130:131], v[204:205]
	;; [unrolled: 1-line block ×15, first 2 shown]
	v_min_f64 v[170:171], v[172:173], v[2:3]
	v_min_f64 v[204:205], v[174:175], v[2:3]
	;; [unrolled: 1-line block ×16, first 2 shown]
	v_add_f64 v[66:67], v[66:67], v[132:133]
	v_add_f64 v[64:65], v[64:65], v[134:135]
	;; [unrolled: 1-line block ×16, first 2 shown]
	v_min_f64 v[132:133], v[172:173], v[168:169]
	v_min_f64 v[134:135], v[174:175], v[168:169]
	;; [unrolled: 1-line block ×16, first 2 shown]
	s_cmp_eq_u32 s2, 32
	v_add_f64 v[100:101], v[100:101], v[232:233]
	v_add_f64 v[98:99], v[98:99], v[170:171]
	;; [unrolled: 1-line block ×33, first 2 shown]
	s_cbranch_scc0 .LBB186_44
; %bb.45:
	s_load_dwordx2 s[2:3], s[0:1], 0x78
	s_load_dword s4, s[0:1], 0x58
	s_load_dword s5, s[0:1], 0x70
	v_add_u32_e32 v170, s13, v152
	v_add_u32_e32 v132, s12, v153
	s_waitcnt lgkmcnt(0)
	s_mul_i32 s1, s3, s18
	s_mul_hi_u32 s3, s2, s18
	s_mul_i32 s0, s2, s18
	s_add_i32 s1, s3, s1
	s_lshl_b64 s[0:1], s[0:1], 3
	s_add_u32 s0, s14, s0
	s_addc_u32 s1, s15, s1
	v_mad_i64_i32 v[2:3], s[2:3], v170, s5, 0
	v_add_u32_e32 v0, 4, v132
	v_lshl_add_u64 v[138:139], v[2:3], 3, s[0:1]
	v_mad_i64_i32 v[2:3], s[2:3], v170, s4, 0
	v_ashrrev_i32_e32 v133, 31, v132
	v_ashrrev_i32_e32 v1, 31, v0
	s_mov_b64 s[2:3], -1
	s_mov_b64 vcc, s[8:9]
	s_cbranch_vccz .LBB186_47
; %bb.46:
	v_add_f64 v[134:135], v[124:125], 0
	v_lshl_add_u64 v[136:137], v[132:133], 3, v[138:139]
	s_mov_b64 s[2:3], 0
	global_store_dwordx2 v[136:137], v[134:135], off
.LBB186_47:
	v_lshl_add_u64 v[146:147], v[2:3], 3, s[10:11]
	v_mov_b64_e32 v[140:141], 0
	s_andn2_b64 vcc, exec, s[2:3]
	v_lshlrev_b64 v[136:137], 3, v[132:133]
	s_cbranch_vccnz .LBB186_49
; %bb.48:
	v_lshl_add_u64 v[2:3], v[146:147], 0, v[136:137]
	global_load_dwordx2 v[2:3], v[2:3], off
	v_lshl_add_u64 v[134:135], v[138:139], 0, v[136:137]
	s_waitcnt vmcnt(0)
	v_fmac_f64_e32 v[124:125], s[16:17], v[2:3]
	global_store_dwordx2 v[134:135], v[124:125], off
	v_lshl_add_u64 v[2:3], v[0:1], 3, v[146:147]
	global_load_dwordx2 v[2:3], v[2:3], off
	s_waitcnt vmcnt(0)
	v_mul_f64 v[140:141], s[16:17], v[2:3]
.LBB186_49:
	v_add_u32_e32 v134, 8, v132
	v_add_u32_e32 v2, 12, v132
	v_ashrrev_i32_e32 v135, 31, v134
	v_ashrrev_i32_e32 v3, 31, v2
	v_add_f64 v[124:125], v[130:131], v[140:141]
	v_lshl_add_u64 v[130:131], v[0:1], 3, v[138:139]
	s_mov_b64 s[2:3], -1
	s_mov_b64 vcc, s[8:9]
	global_store_dwordx2 v[130:131], v[124:125], off
	s_cbranch_vccz .LBB186_51
; %bb.50:
	v_add_f64 v[124:125], v[128:129], 0
	v_lshl_add_u64 v[130:131], v[134:135], 3, v[138:139]
	s_mov_b64 s[2:3], 0
	global_store_dwordx2 v[130:131], v[124:125], off
.LBB186_51:
	v_mov_b64_e32 v[140:141], 0
	s_andn2_b64 vcc, exec, s[2:3]
	v_lshlrev_b64 v[130:131], 3, v[134:135]
	s_cbranch_vccnz .LBB186_53
; %bb.52:
	v_lshl_add_u64 v[124:125], v[146:147], 0, v[130:131]
	global_load_dwordx2 v[124:125], v[124:125], off
	v_lshl_add_u64 v[140:141], v[138:139], 0, v[130:131]
	s_waitcnt vmcnt(0)
	v_fmac_f64_e32 v[128:129], s[16:17], v[124:125]
	global_store_dwordx2 v[140:141], v[128:129], off
	v_lshl_add_u64 v[124:125], v[2:3], 3, v[146:147]
	global_load_dwordx2 v[124:125], v[124:125], off
	s_waitcnt vmcnt(0)
	v_mul_f64 v[140:141], s[16:17], v[124:125]
.LBB186_53:
	v_add_u32_e32 v128, 16, v132
	v_add_u32_e32 v124, 20, v132
	v_ashrrev_i32_e32 v129, 31, v128
	v_ashrrev_i32_e32 v125, 31, v124
	v_add_f64 v[126:127], v[126:127], v[140:141]
	v_lshl_add_u64 v[140:141], v[2:3], 3, v[138:139]
	s_mov_b64 s[2:3], -1
	s_mov_b64 vcc, s[8:9]
	global_store_dwordx2 v[140:141], v[126:127], off
	s_cbranch_vccz .LBB186_55
; %bb.54:
	v_add_f64 v[126:127], v[122:123], 0
	v_lshl_add_u64 v[140:141], v[128:129], 3, v[138:139]
	s_mov_b64 s[2:3], 0
	global_store_dwordx2 v[140:141], v[126:127], off
.LBB186_55:
	;; [unrolled: 32-line block ×15, first 2 shown]
	v_mov_b64_e32 v[168:169], 0
	s_andn2_b64 vcc, exec, s[2:3]
	v_lshlrev_b64 v[72:73], 3, v[76:77]
	s_cbranch_vccnz .LBB186_109
; %bb.108:
	v_lshl_add_u64 v[168:169], v[146:147], 0, v[72:73]
	global_load_dwordx2 v[168:169], v[168:169], off
	v_lshl_add_u64 v[172:173], v[138:139], 0, v[72:73]
	s_waitcnt vmcnt(0)
	v_fmac_f64_e32 v[70:71], s[16:17], v[168:169]
	global_store_dwordx2 v[172:173], v[70:71], off
	v_lshl_add_u64 v[70:71], v[74:75], 3, v[146:147]
	global_load_dwordx2 v[70:71], v[70:71], off
	s_waitcnt vmcnt(0)
	v_mul_f64 v[168:169], s[16:17], v[70:71]
.LBB186_109:
	v_add_f64 v[68:69], v[68:69], v[168:169]
	v_lshl_add_u64 v[70:71], v[74:75], 3, v[138:139]
	global_store_dwordx2 v[70:71], v[68:69], off
	v_add_u32_e32 v70, 64, v170
	v_mad_i64_i32 v[68:69], s[2:3], v70, s5, 0
	v_lshl_add_u64 v[68:69], v[68:69], 3, s[0:1]
	v_mad_i64_i32 v[70:71], s[0:1], v70, s4, 0
	s_mov_b64 s[0:1], -1
	s_mov_b64 vcc, s[8:9]
	s_cbranch_vccz .LBB186_111
; %bb.110:
	v_add_f64 v[138:139], v[66:67], 0
	v_lshl_add_u64 v[132:133], v[132:133], 3, v[68:69]
	s_mov_b64 s[0:1], 0
	global_store_dwordx2 v[132:133], v[138:139], off
.LBB186_111:
	v_lshl_add_u64 v[70:71], v[70:71], 3, s[10:11]
	s_andn2_b64 vcc, exec, s[0:1]
	v_mov_b64_e32 v[132:133], 0
	s_cbranch_vccnz .LBB186_113
; %bb.112:
	v_lshl_add_u64 v[132:133], v[70:71], 0, v[136:137]
	global_load_dwordx2 v[132:133], v[132:133], off
	v_lshl_add_u64 v[136:137], v[68:69], 0, v[136:137]
	s_waitcnt vmcnt(0)
	v_fmac_f64_e32 v[66:67], s[16:17], v[132:133]
	global_store_dwordx2 v[136:137], v[66:67], off
	v_lshl_add_u64 v[66:67], v[0:1], 3, v[70:71]
	global_load_dwordx2 v[66:67], v[66:67], off
	s_waitcnt vmcnt(0)
	v_mul_f64 v[132:133], s[16:17], v[66:67]
.LBB186_113:
	v_add_f64 v[64:65], v[64:65], v[132:133]
	v_lshl_add_u64 v[0:1], v[0:1], 3, v[68:69]
	s_mov_b64 s[0:1], -1
	s_mov_b64 vcc, s[8:9]
	global_store_dwordx2 v[0:1], v[64:65], off
	s_cbranch_vccz .LBB186_115
; %bb.114:
	v_add_f64 v[0:1], v[62:63], 0
	v_lshl_add_u64 v[64:65], v[134:135], 3, v[68:69]
	s_mov_b64 s[0:1], 0
	global_store_dwordx2 v[64:65], v[0:1], off
.LBB186_115:
	s_andn2_b64 vcc, exec, s[0:1]
	v_mov_b64_e32 v[0:1], 0
	s_cbranch_vccnz .LBB186_117
; %bb.116:
	v_lshl_add_u64 v[0:1], v[70:71], 0, v[130:131]
	global_load_dwordx2 v[0:1], v[0:1], off
	v_lshl_add_u64 v[64:65], v[68:69], 0, v[130:131]
	s_waitcnt vmcnt(0)
	v_fmac_f64_e32 v[62:63], s[16:17], v[0:1]
	global_store_dwordx2 v[64:65], v[62:63], off
	v_lshl_add_u64 v[0:1], v[2:3], 3, v[70:71]
	global_load_dwordx2 v[0:1], v[0:1], off
	s_waitcnt vmcnt(0)
	v_mul_f64 v[0:1], s[16:17], v[0:1]
.LBB186_117:
	v_add_f64 v[0:1], v[60:61], v[0:1]
	v_lshl_add_u64 v[2:3], v[2:3], 3, v[68:69]
	s_mov_b64 s[0:1], -1
	s_mov_b64 vcc, s[8:9]
	global_store_dwordx2 v[2:3], v[0:1], off
	s_cbranch_vccz .LBB186_119
; %bb.118:
	v_add_f64 v[0:1], v[58:59], 0
	v_lshl_add_u64 v[2:3], v[128:129], 3, v[68:69]
	s_mov_b64 s[0:1], 0
	global_store_dwordx2 v[2:3], v[0:1], off
.LBB186_119:
	;; [unrolled: 27-line block ×14, first 2 shown]
	s_andn2_b64 vcc, exec, s[0:1]
	v_mov_b64_e32 v[0:1], 0
	s_cbranch_vccnz .LBB186_169
; %bb.168:
	v_lshl_add_u64 v[0:1], v[70:71], 0, v[166:167]
	global_load_dwordx2 v[0:1], v[0:1], off
	v_lshl_add_u64 v[2:3], v[68:69], 0, v[166:167]
	s_waitcnt vmcnt(0)
	v_fmac_f64_e32 v[10:11], s[16:17], v[0:1]
	global_store_dwordx2 v[2:3], v[10:11], off
	v_lshl_add_u64 v[0:1], v[78:79], 3, v[70:71]
	global_load_dwordx2 v[0:1], v[0:1], off
	s_waitcnt vmcnt(0)
	v_mul_f64 v[0:1], s[16:17], v[0:1]
.LBB186_169:
	v_add_f64 v[0:1], v[8:9], v[0:1]
	v_lshl_add_u64 v[2:3], v[78:79], 3, v[68:69]
	s_mov_b64 s[0:1], -1
	s_mov_b64 vcc, s[8:9]
	global_store_dwordx2 v[2:3], v[0:1], off
	s_cbranch_vccz .LBB186_172
; %bb.170:
	v_add_f64 v[0:1], v[6:7], 0
	v_lshl_add_u64 v[2:3], v[76:77], 3, v[68:69]
	global_store_dwordx2 v[2:3], v[0:1], off
	v_mov_b64_e32 v[0:1], 0
	s_cbranch_execz .LBB186_173
.LBB186_171:
	v_add_f64 v[0:1], v[4:5], v[0:1]
	v_lshl_add_u64 v[2:3], v[74:75], 3, v[68:69]
	global_store_dwordx2 v[2:3], v[0:1], off
	s_endpgm
.LBB186_172:
	s_andn2_b64 vcc, exec, s[0:1]
	v_mov_b64_e32 v[0:1], 0
	s_cbranch_vccnz .LBB186_171
.LBB186_173:
	v_lshl_add_u64 v[0:1], v[70:71], 0, v[72:73]
	global_load_dwordx2 v[0:1], v[0:1], off
	v_lshl_add_u64 v[2:3], v[68:69], 0, v[72:73]
	s_waitcnt vmcnt(0)
	v_fmac_f64_e32 v[6:7], s[16:17], v[0:1]
	global_store_dwordx2 v[2:3], v[6:7], off
	v_lshl_add_u64 v[0:1], v[74:75], 3, v[70:71]
	global_load_dwordx2 v[0:1], v[0:1], off
	s_waitcnt vmcnt(0)
	v_mul_f64 v[0:1], s[16:17], v[0:1]
	v_add_f64 v[0:1], v[4:5], v[0:1]
	v_lshl_add_u64 v[2:3], v[74:75], 3, v[68:69]
	global_store_dwordx2 v[2:3], v[0:1], off
	s_endpgm
	.section	.rodata,"a",@progbits
	.p2align	6, 0x0
	.amdhsa_kernel _ZN12_GLOBAL__N_120geam_min_plus_kernelIdddLi4ELi64ELi128ELi128ELi4ELi4ELi64ELi4ELi64ELc84ELc78ELb0ELb0ELb0EPKdS1_dEEviiiT16_PT17_ilS5_ilS3_S5_ilPT18_ili26rocblas_geam_ex_operation_
		.amdhsa_group_segment_fixed_size 16384
		.amdhsa_private_segment_fixed_size 0
		.amdhsa_kernarg_size 136
		.amdhsa_user_sgpr_count 2
		.amdhsa_user_sgpr_dispatch_ptr 0
		.amdhsa_user_sgpr_queue_ptr 0
		.amdhsa_user_sgpr_kernarg_segment_ptr 1
		.amdhsa_user_sgpr_dispatch_id 0
		.amdhsa_user_sgpr_kernarg_preload_length 0
		.amdhsa_user_sgpr_kernarg_preload_offset 0
		.amdhsa_user_sgpr_private_segment_size 0
		.amdhsa_uses_dynamic_stack 0
		.amdhsa_enable_private_segment 0
		.amdhsa_system_sgpr_workgroup_id_x 1
		.amdhsa_system_sgpr_workgroup_id_y 0
		.amdhsa_system_sgpr_workgroup_id_z 1
		.amdhsa_system_sgpr_workgroup_info 0
		.amdhsa_system_vgpr_workitem_id 1
		.amdhsa_next_free_vgpr 252
		.amdhsa_next_free_sgpr 30
		.amdhsa_accum_offset 252
		.amdhsa_reserve_vcc 1
		.amdhsa_float_round_mode_32 0
		.amdhsa_float_round_mode_16_64 0
		.amdhsa_float_denorm_mode_32 3
		.amdhsa_float_denorm_mode_16_64 3
		.amdhsa_dx10_clamp 1
		.amdhsa_ieee_mode 1
		.amdhsa_fp16_overflow 0
		.amdhsa_tg_split 0
		.amdhsa_exception_fp_ieee_invalid_op 0
		.amdhsa_exception_fp_denorm_src 0
		.amdhsa_exception_fp_ieee_div_zero 0
		.amdhsa_exception_fp_ieee_overflow 0
		.amdhsa_exception_fp_ieee_underflow 0
		.amdhsa_exception_fp_ieee_inexact 0
		.amdhsa_exception_int_div_zero 0
	.end_amdhsa_kernel
	.section	.text._ZN12_GLOBAL__N_120geam_min_plus_kernelIdddLi4ELi64ELi128ELi128ELi4ELi4ELi64ELi4ELi64ELc84ELc78ELb0ELb0ELb0EPKdS1_dEEviiiT16_PT17_ilS5_ilS3_S5_ilPT18_ili26rocblas_geam_ex_operation_,"axG",@progbits,_ZN12_GLOBAL__N_120geam_min_plus_kernelIdddLi4ELi64ELi128ELi128ELi4ELi4ELi64ELi4ELi64ELc84ELc78ELb0ELb0ELb0EPKdS1_dEEviiiT16_PT17_ilS5_ilS3_S5_ilPT18_ili26rocblas_geam_ex_operation_,comdat
.Lfunc_end186:
	.size	_ZN12_GLOBAL__N_120geam_min_plus_kernelIdddLi4ELi64ELi128ELi128ELi4ELi4ELi64ELi4ELi64ELc84ELc78ELb0ELb0ELb0EPKdS1_dEEviiiT16_PT17_ilS5_ilS3_S5_ilPT18_ili26rocblas_geam_ex_operation_, .Lfunc_end186-_ZN12_GLOBAL__N_120geam_min_plus_kernelIdddLi4ELi64ELi128ELi128ELi4ELi4ELi64ELi4ELi64ELc84ELc78ELb0ELb0ELb0EPKdS1_dEEviiiT16_PT17_ilS5_ilS3_S5_ilPT18_ili26rocblas_geam_ex_operation_
                                        ; -- End function
	.set _ZN12_GLOBAL__N_120geam_min_plus_kernelIdddLi4ELi64ELi128ELi128ELi4ELi4ELi64ELi4ELi64ELc84ELc78ELb0ELb0ELb0EPKdS1_dEEviiiT16_PT17_ilS5_ilS3_S5_ilPT18_ili26rocblas_geam_ex_operation_.num_vgpr, 252
	.set _ZN12_GLOBAL__N_120geam_min_plus_kernelIdddLi4ELi64ELi128ELi128ELi4ELi4ELi64ELi4ELi64ELc84ELc78ELb0ELb0ELb0EPKdS1_dEEviiiT16_PT17_ilS5_ilS3_S5_ilPT18_ili26rocblas_geam_ex_operation_.num_agpr, 0
	.set _ZN12_GLOBAL__N_120geam_min_plus_kernelIdddLi4ELi64ELi128ELi128ELi4ELi4ELi64ELi4ELi64ELc84ELc78ELb0ELb0ELb0EPKdS1_dEEviiiT16_PT17_ilS5_ilS3_S5_ilPT18_ili26rocblas_geam_ex_operation_.numbered_sgpr, 30
	.set _ZN12_GLOBAL__N_120geam_min_plus_kernelIdddLi4ELi64ELi128ELi128ELi4ELi4ELi64ELi4ELi64ELc84ELc78ELb0ELb0ELb0EPKdS1_dEEviiiT16_PT17_ilS5_ilS3_S5_ilPT18_ili26rocblas_geam_ex_operation_.num_named_barrier, 0
	.set _ZN12_GLOBAL__N_120geam_min_plus_kernelIdddLi4ELi64ELi128ELi128ELi4ELi4ELi64ELi4ELi64ELc84ELc78ELb0ELb0ELb0EPKdS1_dEEviiiT16_PT17_ilS5_ilS3_S5_ilPT18_ili26rocblas_geam_ex_operation_.private_seg_size, 0
	.set _ZN12_GLOBAL__N_120geam_min_plus_kernelIdddLi4ELi64ELi128ELi128ELi4ELi4ELi64ELi4ELi64ELc84ELc78ELb0ELb0ELb0EPKdS1_dEEviiiT16_PT17_ilS5_ilS3_S5_ilPT18_ili26rocblas_geam_ex_operation_.uses_vcc, 1
	.set _ZN12_GLOBAL__N_120geam_min_plus_kernelIdddLi4ELi64ELi128ELi128ELi4ELi4ELi64ELi4ELi64ELc84ELc78ELb0ELb0ELb0EPKdS1_dEEviiiT16_PT17_ilS5_ilS3_S5_ilPT18_ili26rocblas_geam_ex_operation_.uses_flat_scratch, 0
	.set _ZN12_GLOBAL__N_120geam_min_plus_kernelIdddLi4ELi64ELi128ELi128ELi4ELi4ELi64ELi4ELi64ELc84ELc78ELb0ELb0ELb0EPKdS1_dEEviiiT16_PT17_ilS5_ilS3_S5_ilPT18_ili26rocblas_geam_ex_operation_.has_dyn_sized_stack, 0
	.set _ZN12_GLOBAL__N_120geam_min_plus_kernelIdddLi4ELi64ELi128ELi128ELi4ELi4ELi64ELi4ELi64ELc84ELc78ELb0ELb0ELb0EPKdS1_dEEviiiT16_PT17_ilS5_ilS3_S5_ilPT18_ili26rocblas_geam_ex_operation_.has_recursion, 0
	.set _ZN12_GLOBAL__N_120geam_min_plus_kernelIdddLi4ELi64ELi128ELi128ELi4ELi4ELi64ELi4ELi64ELc84ELc78ELb0ELb0ELb0EPKdS1_dEEviiiT16_PT17_ilS5_ilS3_S5_ilPT18_ili26rocblas_geam_ex_operation_.has_indirect_call, 0
	.section	.AMDGPU.csdata,"",@progbits
; Kernel info:
; codeLenInByte = 13072
; TotalNumSgprs: 36
; NumVgprs: 252
; NumAgprs: 0
; TotalNumVgprs: 252
; ScratchSize: 0
; MemoryBound: 0
; FloatMode: 240
; IeeeMode: 1
; LDSByteSize: 16384 bytes/workgroup (compile time only)
; SGPRBlocks: 4
; VGPRBlocks: 31
; NumSGPRsForWavesPerEU: 36
; NumVGPRsForWavesPerEU: 252
; AccumOffset: 252
; Occupancy: 2
; WaveLimiterHint : 0
; COMPUTE_PGM_RSRC2:SCRATCH_EN: 0
; COMPUTE_PGM_RSRC2:USER_SGPR: 2
; COMPUTE_PGM_RSRC2:TRAP_HANDLER: 0
; COMPUTE_PGM_RSRC2:TGID_X_EN: 1
; COMPUTE_PGM_RSRC2:TGID_Y_EN: 0
; COMPUTE_PGM_RSRC2:TGID_Z_EN: 1
; COMPUTE_PGM_RSRC2:TIDIG_COMP_CNT: 1
; COMPUTE_PGM_RSRC3_GFX90A:ACCUM_OFFSET: 62
; COMPUTE_PGM_RSRC3_GFX90A:TG_SPLIT: 0
	.section	.text._ZN12_GLOBAL__N_120geam_min_plus_kernelIdddLi4ELi64ELi128ELi128ELi4ELi4ELi64ELi4ELi64ELc84ELc78ELb1ELb0ELb0EdKddEEviiiT16_PT17_ilS4_ilS2_S4_ilPT18_ili26rocblas_geam_ex_operation_,"axG",@progbits,_ZN12_GLOBAL__N_120geam_min_plus_kernelIdddLi4ELi64ELi128ELi128ELi4ELi4ELi64ELi4ELi64ELc84ELc78ELb1ELb0ELb0EdKddEEviiiT16_PT17_ilS4_ilS2_S4_ilPT18_ili26rocblas_geam_ex_operation_,comdat
	.globl	_ZN12_GLOBAL__N_120geam_min_plus_kernelIdddLi4ELi64ELi128ELi128ELi4ELi4ELi64ELi4ELi64ELc84ELc78ELb1ELb0ELb0EdKddEEviiiT16_PT17_ilS4_ilS2_S4_ilPT18_ili26rocblas_geam_ex_operation_ ; -- Begin function _ZN12_GLOBAL__N_120geam_min_plus_kernelIdddLi4ELi64ELi128ELi128ELi4ELi4ELi64ELi4ELi64ELc84ELc78ELb1ELb0ELb0EdKddEEviiiT16_PT17_ilS4_ilS2_S4_ilPT18_ili26rocblas_geam_ex_operation_
	.p2align	8
	.type	_ZN12_GLOBAL__N_120geam_min_plus_kernelIdddLi4ELi64ELi128ELi128ELi4ELi4ELi64ELi4ELi64ELc84ELc78ELb1ELb0ELb0EdKddEEviiiT16_PT17_ilS4_ilS2_S4_ilPT18_ili26rocblas_geam_ex_operation_,@function
_ZN12_GLOBAL__N_120geam_min_plus_kernelIdddLi4ELi64ELi128ELi128ELi4ELi4ELi64ELi4ELi64ELc84ELc78ELb1ELb0ELb0EdKddEEviiiT16_PT17_ilS4_ilS2_S4_ilPT18_ili26rocblas_geam_ex_operation_: ; @_ZN12_GLOBAL__N_120geam_min_plus_kernelIdddLi4ELi64ELi128ELi128ELi4ELi4ELi64ELi4ELi64ELc84ELc78ELb1ELb0ELb0EdKddEEviiiT16_PT17_ilS4_ilS2_S4_ilPT18_ili26rocblas_geam_ex_operation_
; %bb.0:
	s_load_dwordx4 s[4:7], s[0:1], 0x10
	s_load_dwordx4 s[8:11], s[0:1], 0x28
	s_mov_b64 s[14:15], 0
	s_waitcnt lgkmcnt(0)
	v_cmp_eq_f64_e64 s[12:13], s[4:5], 0
	s_and_b64 vcc, exec, s[12:13]
	s_cbranch_vccnz .LBB187_2
; %bb.1:
	s_mul_i32 s4, s9, s3
	s_mul_hi_u32 s5, s8, s3
	s_add_i32 s5, s5, s4
	s_mul_i32 s4, s8, s3
	s_lshl_b64 s[4:5], s[4:5], 3
	s_add_u32 s14, s6, s4
	s_addc_u32 s15, s7, s5
.LBB187_2:
	s_load_dwordx4 s[4:7], s[0:1], 0x40
	s_load_dwordx2 s[18:19], s[0:1], 0x50
	s_andn2_b64 vcc, exec, s[12:13]
	s_mov_b64 s[8:9], -1
	s_cbranch_vccnz .LBB187_4
; %bb.3:
	s_mov_b64 s[8:9], 0
.LBB187_4:
	s_mov_b64 s[12:13], 0
	s_andn2_b64 vcc, exec, s[8:9]
	s_mov_b64 s[16:17], 0
	s_cbranch_vccnz .LBB187_6
; %bb.5:
	s_waitcnt lgkmcnt(0)
	s_mul_i32 s5, s5, s3
	s_mul_hi_u32 s8, s4, s3
	s_add_i32 s5, s8, s5
	s_mul_i32 s4, s4, s3
	s_lshl_b64 s[4:5], s[4:5], 3
	s_add_u32 s16, s10, s4
	s_addc_u32 s17, s11, s5
.LBB187_6:
	s_load_dwordx4 s[8:11], s[0:1], 0x60
	s_waitcnt lgkmcnt(0)
	v_cmp_eq_f64_e64 s[4:5], s[6:7], 0
	s_and_b64 s[4:5], exec, s[4:5]
	s_mov_b64 vcc, s[4:5]
	s_cbranch_vccnz .LBB187_8
; %bb.7:
	s_mul_i32 s9, s9, s3
	s_mul_hi_u32 s12, s8, s3
	s_add_i32 s9, s12, s9
	s_mul_i32 s8, s8, s3
	s_lshl_b64 s[8:9], s[8:9], 3
	s_add_u32 s12, s18, s8
	s_addc_u32 s13, s19, s9
.LBB187_8:
	s_load_dword s8, s[0:1], 0x0
	s_load_dword s19, s[0:1], 0x20
	;; [unrolled: 1-line block ×3, first 2 shown]
	v_bfe_u32 v154, v0, 10, 10
	v_bfe_u32 v2, v0, 2, 8
	s_waitcnt lgkmcnt(0)
	s_add_i32 s8, s8, -1
	s_ashr_i32 s9, s8, 31
	s_lshr_b32 s9, s9, 25
	s_add_i32 s8, s8, s9
	s_ashr_i32 s8, s8, 7
	s_add_i32 s9, s8, 1
	v_cvt_f32_u32_e32 v1, s9
	s_not_b32 s8, s8
	v_and_b32_e32 v156, 3, v0
	v_add_u32_e32 v20, v2, v154
	v_rcp_iflag_f32_e32 v1, v1
	v_mov_b32_e32 v3, 0
	v_lshlrev_b32_e32 v2, 3, v156
	v_lshl_add_u64 v[4:5], s[14:15], 0, v[2:3]
	v_mul_f32_e32 v1, 0x4f7ffffe, v1
	v_cvt_u32_f32_e32 v1, v1
	v_lshl_add_u64 v[6:7], s[16:17], 0, v[2:3]
	v_and_b32_e32 v155, 0x3ff, v0
	v_lshlrev_b32_e32 v144, 5, v154
	v_readfirstlane_b32 s18, v1
	s_mul_i32 s8, s8, s18
	s_mul_hi_u32 s8, s18, s8
	s_add_i32 s18, s18, s8
	s_mul_hi_u32 s8, s2, s18
	s_mul_i32 s18, s8, s9
	s_sub_i32 s18, s2, s18
	s_add_i32 s21, s8, 1
	s_sub_i32 s22, s18, s9
	s_cmp_ge_u32 s18, s9
	s_cselect_b32 s8, s21, s8
	s_cselect_b32 s18, s22, s18
	s_add_i32 s21, s8, 1
	s_cmp_ge_u32 s18, s9
	s_cselect_b32 s8, s21, s8
	s_mul_i32 s9, s8, s9
	s_lshl_b32 s18, s8, 7
	s_sub_i32 s2, s2, s9
	s_lshl_b32 s2, s2, 7
	v_add_u32_e32 v10, s18, v20
	v_add_u32_e32 v1, s2, v20
	;; [unrolled: 1-line block ×3, first 2 shown]
	v_mad_i64_i32 v[128:129], s[8:9], v1, s19, 0
	v_mad_i64_i32 v[130:131], s[8:9], v10, s20, 0
	;; [unrolled: 1-line block ×3, first 2 shown]
	v_add_u32_e32 v1, 64, v1
	v_lshl_add_u64 v[8:9], v[130:131], 3, v[6:7]
	v_lshl_add_u64 v[6:7], v[132:133], 3, v[6:7]
	;; [unrolled: 1-line block ×3, first 2 shown]
	v_mad_i64_i32 v[134:135], s[8:9], v1, s19, 0
	global_load_dwordx2 v[10:11], v[8:9], off
	global_load_dwordx2 v[12:13], v[6:7], off
	v_lshl_add_u64 v[4:5], v[134:135], 3, v[4:5]
	global_load_dwordx2 v[16:17], v[14:15], off
	global_load_dwordx2 v[18:19], v[4:5], off
	global_load_dwordx2 v[136:137], v[6:7], off offset:32
	global_load_dwordx2 v[138:139], v[8:9], off offset:32
	;; [unrolled: 1-line block ×4, first 2 shown]
	v_lshl_or_b32 v159, v20, 5, v2
	v_mov_b64_e32 v[126:127], 0
	s_mov_b32 s8, 0
	v_mov_b64_e32 v[124:125], 0
	v_mov_b64_e32 v[122:123], 0
	;; [unrolled: 1-line block ×23, first 2 shown]
	v_lshlrev_b32_e32 v158, 5, v155
	v_add_u32_e32 v160, 0x2000, v144
	v_add_u32_e32 v161, 0x2000, v159
	v_mov_b64_e32 v[78:79], 0
	v_mov_b64_e32 v[76:77], 0
	;; [unrolled: 1-line block ×32, first 2 shown]
	s_waitcnt vmcnt(6)
	ds_write2st64_b64 v159, v[10:11], v[12:13] offset0:16 offset1:20
	s_waitcnt vmcnt(4)
	ds_write2st64_b64 v159, v[16:17], v[18:19] offset1:4
	v_mov_b64_e32 v[18:19], 0
	v_mov_b64_e32 v[16:17], 0
	;; [unrolled: 1-line block ×8, first 2 shown]
	s_waitcnt lgkmcnt(0)
	s_barrier
.LBB187_9:                              ; =>This Inner Loop Header: Depth=1
	v_add_u32_e32 v145, s8, v158
	v_add_u32_e32 v157, s8, v160
	ds_read2_b64 v[146:149], v145 offset1:16
	ds_read2_b64 v[150:153], v145 offset0:32 offset1:48
	ds_read2_b64 v[162:165], v145 offset0:64 offset1:80
	;; [unrolled: 1-line block ×7, first 2 shown]
	ds_read2st64_b64 v[186:189], v157 offset1:4
	v_add_u32_e32 v145, 0x800, v145
	ds_read2_b64 v[190:193], v145 offset1:16
	ds_read2_b64 v[194:197], v145 offset0:32 offset1:48
	ds_read2_b64 v[198:201], v145 offset0:64 offset1:80
	;; [unrolled: 1-line block ×7, first 2 shown]
	s_waitcnt lgkmcnt(14)
	v_max_f64 v[146:147], v[146:147], v[146:147]
	v_max_f64 v[148:149], v[148:149], v[148:149]
	;; [unrolled: 1-line block ×6, first 2 shown]
	s_waitcnt lgkmcnt(13)
	v_max_f64 v[166:167], v[166:167], v[166:167]
	v_max_f64 v[168:169], v[168:169], v[168:169]
	s_waitcnt lgkmcnt(12)
	v_max_f64 v[170:171], v[170:171], v[170:171]
	v_max_f64 v[172:173], v[172:173], v[172:173]
	;; [unrolled: 3-line block ×14, first 2 shown]
	v_min_f64 v[222:223], v[146:147], v[186:187]
	v_min_f64 v[224:225], v[148:149], v[186:187]
	;; [unrolled: 1-line block ×32, first 2 shown]
	s_add_i32 s8, s8, 8
	v_add_f64 v[62:63], v[62:63], v[146:147]
	v_add_f64 v[60:61], v[60:61], v[148:149]
	;; [unrolled: 1-line block ×16, first 2 shown]
	v_min_f64 v[146:147], v[190:191], v[186:187]
	v_min_f64 v[148:149], v[192:193], v[186:187]
	;; [unrolled: 1-line block ×32, first 2 shown]
	s_cmp_eq_u32 s8, 32
	v_add_f64 v[126:127], v[126:127], v[222:223]
	v_add_f64 v[124:125], v[124:125], v[224:225]
	;; [unrolled: 1-line block ×48, first 2 shown]
	s_cbranch_scc0 .LBB187_9
; %bb.10:
	s_load_dword s19, s[0:1], 0x8
	s_waitcnt vmcnt(0)
	ds_write2st64_b64 v159, v[142:143], v[140:141] offset0:8 offset1:12
	ds_write2st64_b64 v159, v[138:139], v[136:137] offset0:24 offset1:28
	s_waitcnt lgkmcnt(0)
	s_barrier
	s_cmp_gt_i32 s19, 8
	s_cbranch_scc1 .LBB187_12
; %bb.11:
	v_add_u32_e32 v157, 0x3000, v144
	s_cbranch_execz .LBB187_13
	s_branch .LBB187_19
.LBB187_12:
                                        ; implicit-def: $vgpr157
.LBB187_13:
	v_mov_b32_e32 v136, 0x1000
	v_add_u32_e32 v162, 0x1000, v159
	v_add_u32_e32 v163, 0x3000, v159
	s_add_i32 s8, s19, -8
	v_lshl_add_u32 v164, v155, 5, v136
	v_add_u32_e32 v157, 0x3000, v144
	s_mov_b32 s9, 8
	s_mov_b32 s19, 0
	v_mov_b32_e32 v137, 0
.LBB187_14:                             ; =>This Loop Header: Depth=1
                                        ;     Child Loop BB187_15 Depth 2
                                        ;     Child Loop BB187_17 Depth 2
	v_or_b32_e32 v136, s9, v156
	v_lshlrev_b64 v[142:143], 3, v[136:137]
	v_lshl_add_u64 v[140:141], s[14:15], 0, v[142:143]
	v_lshl_add_u64 v[144:145], s[16:17], 0, v[142:143]
	;; [unrolled: 1-line block ×5, first 2 shown]
	global_load_dwordx2 v[146:147], v[138:139], off
	global_load_dwordx2 v[148:149], v[140:141], off
	v_lshl_add_u64 v[144:145], v[132:133], 3, v[144:145]
	global_load_dwordx2 v[150:151], v[142:143], off
	global_load_dwordx2 v[152:153], v[144:145], off
	s_mov_b32 s20, 0
.LBB187_15:                             ;   Parent Loop BB187_14 Depth=1
                                        ; =>  This Inner Loop Header: Depth=2
	v_add_u32_e32 v136, s20, v164
	ds_read2_b64 v[166:169], v136 offset1:16
	ds_read2_b64 v[170:173], v136 offset0:32 offset1:48
	ds_read2_b64 v[174:177], v136 offset0:64 offset1:80
	;; [unrolled: 1-line block ×7, first 2 shown]
	v_add_u32_e32 v136, 0x800, v136
	ds_read2_b64 v[198:201], v136 offset1:16
	ds_read2_b64 v[202:205], v136 offset0:32 offset1:48
	ds_read2_b64 v[206:209], v136 offset0:64 offset1:80
	;; [unrolled: 1-line block ×7, first 2 shown]
	v_add_u32_e32 v136, s20, v157
	ds_read2st64_b64 v[230:233], v136 offset1:4
	s_waitcnt lgkmcnt(14)
	v_max_f64 v[166:167], v[166:167], v[166:167]
	v_max_f64 v[168:169], v[168:169], v[168:169]
	v_max_f64 v[170:171], v[170:171], v[170:171]
	v_max_f64 v[172:173], v[172:173], v[172:173]
	s_waitcnt lgkmcnt(0)
	v_max_f64 v[230:231], v[230:231], v[230:231]
	v_min_f64 v[234:235], v[166:167], v[230:231]
	v_add_f64 v[126:127], v[126:127], v[234:235]
	v_min_f64 v[234:235], v[168:169], v[230:231]
	v_add_f64 v[124:125], v[124:125], v[234:235]
	;; [unrolled: 2-line block ×3, first 2 shown]
	v_min_f64 v[234:235], v[172:173], v[230:231]
	v_max_f64 v[174:175], v[174:175], v[174:175]
	v_add_f64 v[120:121], v[120:121], v[234:235]
	v_min_f64 v[234:235], v[174:175], v[230:231]
	v_max_f64 v[176:177], v[176:177], v[176:177]
	v_add_f64 v[118:119], v[118:119], v[234:235]
	;; [unrolled: 3-line block ×26, first 2 shown]
	v_min_f64 v[234:235], v[224:225], v[230:231]
	v_max_f64 v[226:227], v[226:227], v[226:227]
	v_max_f64 v[228:229], v[228:229], v[228:229]
	v_add_f64 v[68:69], v[68:69], v[234:235]
	v_min_f64 v[234:235], v[226:227], v[230:231]
	v_min_f64 v[230:231], v[228:229], v[230:231]
	v_add_f64 v[64:65], v[64:65], v[230:231]
	v_max_f64 v[230:231], v[232:233], v[232:233]
	v_min_f64 v[166:167], v[166:167], v[230:231]
	v_add_f64 v[62:63], v[62:63], v[166:167]
	v_min_f64 v[166:167], v[168:169], v[230:231]
	v_add_f64 v[60:61], v[60:61], v[166:167]
	;; [unrolled: 2-line block ×31, first 2 shown]
	v_min_f64 v[166:167], v[228:229], v[230:231]
	s_add_i32 s20, s20, 8
	v_add_f64 v[66:67], v[66:67], v[234:235]
	v_add_f64 v[0:1], v[0:1], v[166:167]
	s_cmp_eq_u32 s20, 32
	s_cbranch_scc0 .LBB187_15
; %bb.16:                               ;   in Loop: Header=BB187_14 Depth=1
	s_waitcnt vmcnt(2)
	ds_write2st64_b64 v159, v[146:147], v[148:149] offset1:4
	s_waitcnt vmcnt(0)
	ds_write2st64_b64 v161, v[150:151], v[152:153] offset1:4
	s_waitcnt lgkmcnt(0)
	s_barrier
	global_load_dwordx2 v[138:139], v[138:139], off offset:32
	s_nop 0
	global_load_dwordx2 v[140:141], v[140:141], off offset:32
	s_nop 0
	;; [unrolled: 2-line block ×3, first 2 shown]
	global_load_dwordx2 v[144:145], v[144:145], off offset:32
	s_mov_b32 s20, 0
.LBB187_17:                             ;   Parent Loop BB187_14 Depth=1
                                        ; =>  This Inner Loop Header: Depth=2
	v_add_u32_e32 v136, s20, v158
	ds_read2_b64 v[146:149], v136 offset1:16
	ds_read2_b64 v[150:153], v136 offset0:32 offset1:48
	ds_read2_b64 v[166:169], v136 offset0:64 offset1:80
	;; [unrolled: 1-line block ×7, first 2 shown]
	v_add_u32_e32 v136, 0x800, v136
	ds_read2_b64 v[190:193], v136 offset1:16
	ds_read2_b64 v[194:197], v136 offset0:32 offset1:48
	ds_read2_b64 v[198:201], v136 offset0:64 offset1:80
	;; [unrolled: 1-line block ×7, first 2 shown]
	v_add_u32_e32 v136, s20, v160
	ds_read2st64_b64 v[222:225], v136 offset1:4
	s_waitcnt lgkmcnt(14)
	v_max_f64 v[146:147], v[146:147], v[146:147]
	v_max_f64 v[148:149], v[148:149], v[148:149]
	v_max_f64 v[150:151], v[150:151], v[150:151]
	v_max_f64 v[152:153], v[152:153], v[152:153]
	s_waitcnt lgkmcnt(0)
	v_max_f64 v[222:223], v[222:223], v[222:223]
	v_min_f64 v[226:227], v[146:147], v[222:223]
	v_add_f64 v[126:127], v[126:127], v[226:227]
	v_min_f64 v[226:227], v[148:149], v[222:223]
	v_add_f64 v[124:125], v[124:125], v[226:227]
	;; [unrolled: 2-line block ×3, first 2 shown]
	v_min_f64 v[226:227], v[152:153], v[222:223]
	v_max_f64 v[166:167], v[166:167], v[166:167]
	v_add_f64 v[120:121], v[120:121], v[226:227]
	v_min_f64 v[226:227], v[166:167], v[222:223]
	v_max_f64 v[168:169], v[168:169], v[168:169]
	v_add_f64 v[118:119], v[118:119], v[226:227]
	;; [unrolled: 3-line block ×26, first 2 shown]
	v_min_f64 v[226:227], v[216:217], v[222:223]
	v_max_f64 v[218:219], v[218:219], v[218:219]
	v_max_f64 v[220:221], v[220:221], v[220:221]
	v_add_f64 v[68:69], v[68:69], v[226:227]
	v_min_f64 v[226:227], v[218:219], v[222:223]
	v_min_f64 v[222:223], v[220:221], v[222:223]
	v_add_f64 v[64:65], v[64:65], v[222:223]
	v_max_f64 v[222:223], v[224:225], v[224:225]
	v_min_f64 v[146:147], v[146:147], v[222:223]
	v_add_f64 v[62:63], v[62:63], v[146:147]
	v_min_f64 v[146:147], v[148:149], v[222:223]
	v_add_f64 v[60:61], v[60:61], v[146:147]
	;; [unrolled: 2-line block ×31, first 2 shown]
	v_min_f64 v[146:147], v[220:221], v[222:223]
	s_add_i32 s20, s20, 8
	v_add_f64 v[66:67], v[66:67], v[226:227]
	v_add_f64 v[0:1], v[0:1], v[146:147]
	s_cmp_eq_u32 s20, 32
	s_cbranch_scc0 .LBB187_17
; %bb.18:                               ;   in Loop: Header=BB187_14 Depth=1
	s_add_i32 s9, s9, 8
	s_add_i32 s19, s19, 8
	s_cmp_ge_i32 s19, s8
	s_waitcnt vmcnt(2)
	ds_write2st64_b64 v162, v[138:139], v[140:141] offset1:4
	s_waitcnt vmcnt(0)
	ds_write2st64_b64 v163, v[142:143], v[144:145] offset1:4
	s_waitcnt lgkmcnt(0)
	s_barrier
	s_cbranch_scc0 .LBB187_14
.LBB187_19:
	v_mov_b32_e32 v128, 0x1000
	v_lshl_add_u32 v128, v155, 5, v128
	s_mov_b32 s8, 0
.LBB187_20:                             ; =>This Inner Loop Header: Depth=1
	v_add_u32_e32 v129, s8, v128
	v_add_u32_e32 v156, s8, v157
	ds_read2_b64 v[130:133], v129 offset1:16
	ds_read2_b64 v[134:137], v129 offset0:32 offset1:48
	ds_read2_b64 v[138:141], v129 offset0:64 offset1:80
	;; [unrolled: 1-line block ×7, first 2 shown]
	v_add_u32_e32 v129, 0x800, v129
	ds_read2st64_b64 v[166:169], v156 offset1:4
	ds_read2_b64 v[170:173], v129 offset1:16
	ds_read2_b64 v[174:177], v129 offset0:32 offset1:48
	ds_read2_b64 v[178:181], v129 offset0:64 offset1:80
	ds_read2_b64 v[182:185], v129 offset0:96 offset1:112
	ds_read2_b64 v[186:189], v129 offset0:128 offset1:144
	ds_read2_b64 v[190:193], v129 offset0:160 offset1:176
	ds_read2_b64 v[194:197], v129 offset0:192 offset1:208
	ds_read2_b64 v[198:201], v129 offset0:224 offset1:240
	s_waitcnt lgkmcnt(14)
	v_max_f64 v[130:131], v[130:131], v[130:131]
	v_max_f64 v[132:133], v[132:133], v[132:133]
	;; [unrolled: 1-line block ×3, first 2 shown]
	s_waitcnt lgkmcnt(8)
	v_max_f64 v[166:167], v[166:167], v[166:167]
	v_max_f64 v[136:137], v[136:137], v[136:137]
	;; [unrolled: 1-line block ×15, first 2 shown]
	v_min_f64 v[202:203], v[130:131], v[166:167]
	v_min_f64 v[204:205], v[132:133], v[166:167]
	;; [unrolled: 1-line block ×16, first 2 shown]
	s_waitcnt lgkmcnt(7)
	v_max_f64 v[170:171], v[170:171], v[170:171]
	v_max_f64 v[172:173], v[172:173], v[172:173]
	s_waitcnt lgkmcnt(6)
	v_max_f64 v[174:175], v[174:175], v[174:175]
	v_max_f64 v[176:177], v[176:177], v[176:177]
	s_waitcnt lgkmcnt(5)
	v_max_f64 v[178:179], v[178:179], v[178:179]
	v_max_f64 v[180:181], v[180:181], v[180:181]
	s_waitcnt lgkmcnt(4)
	v_max_f64 v[182:183], v[182:183], v[182:183]
	v_max_f64 v[184:185], v[184:185], v[184:185]
	s_waitcnt lgkmcnt(3)
	v_max_f64 v[186:187], v[186:187], v[186:187]
	v_max_f64 v[188:189], v[188:189], v[188:189]
	s_waitcnt lgkmcnt(2)
	v_max_f64 v[190:191], v[190:191], v[190:191]
	v_max_f64 v[192:193], v[192:193], v[192:193]
	s_waitcnt lgkmcnt(1)
	v_max_f64 v[194:195], v[194:195], v[194:195]
	v_max_f64 v[196:197], v[196:197], v[196:197]
	s_waitcnt lgkmcnt(0)
	v_max_f64 v[198:199], v[198:199], v[198:199]
	v_max_f64 v[200:201], v[200:201], v[200:201]
	v_min_f64 v[130:131], v[130:131], v[168:169]
	v_min_f64 v[132:133], v[132:133], v[168:169]
	;; [unrolled: 1-line block ×16, first 2 shown]
	s_add_i32 s8, s8, 8
	v_add_f64 v[126:127], v[126:127], v[202:203]
	v_add_f64 v[124:125], v[124:125], v[204:205]
	;; [unrolled: 1-line block ×15, first 2 shown]
	v_min_f64 v[202:203], v[170:171], v[166:167]
	v_min_f64 v[204:205], v[172:173], v[166:167]
	;; [unrolled: 1-line block ×16, first 2 shown]
	v_add_f64 v[62:63], v[62:63], v[130:131]
	v_add_f64 v[60:61], v[60:61], v[132:133]
	;; [unrolled: 1-line block ×16, first 2 shown]
	v_min_f64 v[130:131], v[170:171], v[168:169]
	v_min_f64 v[132:133], v[172:173], v[168:169]
	;; [unrolled: 1-line block ×16, first 2 shown]
	s_cmp_eq_u32 s8, 32
	v_add_f64 v[96:97], v[96:97], v[232:233]
	v_add_f64 v[94:95], v[94:95], v[202:203]
	;; [unrolled: 1-line block ×33, first 2 shown]
	s_cbranch_scc0 .LBB187_20
; %bb.21:
	s_load_dwordx2 s[14:15], s[0:1], 0x78
	s_load_dword s8, s[0:1], 0x58
	s_load_dword s9, s[0:1], 0x70
	v_add_u32_e32 v170, s18, v154
	v_add_u32_e32 v130, s2, v155
	s_waitcnt lgkmcnt(0)
	s_mul_i32 s1, s15, s3
	s_mul_hi_u32 s15, s14, s3
	s_mul_i32 s0, s14, s3
	s_add_i32 s1, s15, s1
	s_lshl_b64 s[0:1], s[0:1], 3
	s_add_u32 s0, s10, s0
	s_addc_u32 s1, s11, s1
	v_mad_i64_i32 v[132:133], s[2:3], v170, s9, 0
	v_add_u32_e32 v128, 4, v130
	v_lshl_add_u64 v[138:139], v[132:133], 3, s[0:1]
	v_mad_i64_i32 v[132:133], s[2:3], v170, s8, 0
	v_ashrrev_i32_e32 v131, 31, v130
	v_ashrrev_i32_e32 v129, 31, v128
	s_mov_b64 s[2:3], -1
	s_mov_b64 vcc, s[4:5]
	s_cbranch_vccz .LBB187_23
; %bb.22:
	v_add_f64 v[134:135], v[126:127], 0
	v_lshl_add_u64 v[136:137], v[130:131], 3, v[138:139]
	s_mov_b64 s[2:3], 0
	global_store_dwordx2 v[136:137], v[134:135], off
.LBB187_23:
	v_lshl_add_u64 v[146:147], v[132:133], 3, s[12:13]
	v_mov_b64_e32 v[136:137], 0
	s_andn2_b64 vcc, exec, s[2:3]
	v_lshlrev_b64 v[134:135], 3, v[130:131]
	s_cbranch_vccnz .LBB187_25
; %bb.24:
	v_lshl_add_u64 v[132:133], v[146:147], 0, v[134:135]
	global_load_dwordx2 v[132:133], v[132:133], off
	v_lshl_add_u64 v[136:137], v[138:139], 0, v[134:135]
	s_waitcnt vmcnt(0)
	v_fmac_f64_e32 v[126:127], s[6:7], v[132:133]
	global_store_dwordx2 v[136:137], v[126:127], off
	v_lshl_add_u64 v[126:127], v[128:129], 3, v[146:147]
	global_load_dwordx2 v[126:127], v[126:127], off
	s_waitcnt vmcnt(0)
	v_mul_f64 v[136:137], s[6:7], v[126:127]
.LBB187_25:
	v_add_u32_e32 v132, 8, v130
	v_add_u32_e32 v126, 12, v130
	v_ashrrev_i32_e32 v133, 31, v132
	v_ashrrev_i32_e32 v127, 31, v126
	v_add_f64 v[124:125], v[124:125], v[136:137]
	v_lshl_add_u64 v[136:137], v[128:129], 3, v[138:139]
	s_mov_b64 s[2:3], -1
	s_mov_b64 vcc, s[4:5]
	global_store_dwordx2 v[136:137], v[124:125], off
	s_cbranch_vccz .LBB187_27
; %bb.26:
	v_add_f64 v[124:125], v[122:123], 0
	v_lshl_add_u64 v[136:137], v[132:133], 3, v[138:139]
	s_mov_b64 s[2:3], 0
	global_store_dwordx2 v[136:137], v[124:125], off
.LBB187_27:
	v_mov_b64_e32 v[140:141], 0
	s_andn2_b64 vcc, exec, s[2:3]
	v_lshlrev_b64 v[136:137], 3, v[132:133]
	s_cbranch_vccnz .LBB187_29
; %bb.28:
	v_lshl_add_u64 v[124:125], v[146:147], 0, v[136:137]
	global_load_dwordx2 v[124:125], v[124:125], off
	v_lshl_add_u64 v[140:141], v[138:139], 0, v[136:137]
	s_waitcnt vmcnt(0)
	v_fmac_f64_e32 v[122:123], s[6:7], v[124:125]
	global_store_dwordx2 v[140:141], v[122:123], off
	v_lshl_add_u64 v[122:123], v[126:127], 3, v[146:147]
	global_load_dwordx2 v[122:123], v[122:123], off
	s_waitcnt vmcnt(0)
	v_mul_f64 v[140:141], s[6:7], v[122:123]
.LBB187_29:
	v_add_u32_e32 v124, 16, v130
	v_add_u32_e32 v122, 20, v130
	v_ashrrev_i32_e32 v125, 31, v124
	v_ashrrev_i32_e32 v123, 31, v122
	v_add_f64 v[120:121], v[120:121], v[140:141]
	v_lshl_add_u64 v[140:141], v[126:127], 3, v[138:139]
	s_mov_b64 s[2:3], -1
	s_mov_b64 vcc, s[4:5]
	global_store_dwordx2 v[140:141], v[120:121], off
	s_cbranch_vccz .LBB187_31
; %bb.30:
	v_add_f64 v[120:121], v[118:119], 0
	v_lshl_add_u64 v[140:141], v[124:125], 3, v[138:139]
	s_mov_b64 s[2:3], 0
	global_store_dwordx2 v[140:141], v[120:121], off
.LBB187_31:
	;; [unrolled: 32-line block ×15, first 2 shown]
	v_mov_b64_e32 v[168:169], 0
	s_andn2_b64 vcc, exec, s[2:3]
	v_lshlrev_b64 v[68:69], 3, v[72:73]
	s_cbranch_vccnz .LBB187_85
; %bb.84:
	v_lshl_add_u64 v[168:169], v[146:147], 0, v[68:69]
	global_load_dwordx2 v[168:169], v[168:169], off
	v_lshl_add_u64 v[172:173], v[138:139], 0, v[68:69]
	s_waitcnt vmcnt(0)
	v_fmac_f64_e32 v[66:67], s[6:7], v[168:169]
	global_store_dwordx2 v[172:173], v[66:67], off
	v_lshl_add_u64 v[66:67], v[70:71], 3, v[146:147]
	global_load_dwordx2 v[66:67], v[66:67], off
	s_waitcnt vmcnt(0)
	v_mul_f64 v[168:169], s[6:7], v[66:67]
.LBB187_85:
	v_add_f64 v[64:65], v[64:65], v[168:169]
	v_lshl_add_u64 v[66:67], v[70:71], 3, v[138:139]
	global_store_dwordx2 v[66:67], v[64:65], off
	v_add_u32_e32 v66, 64, v170
	v_mad_i64_i32 v[64:65], s[2:3], v66, s9, 0
	v_lshl_add_u64 v[64:65], v[64:65], 3, s[0:1]
	v_mad_i64_i32 v[66:67], s[0:1], v66, s8, 0
	s_mov_b64 s[0:1], -1
	s_mov_b64 vcc, s[4:5]
	s_cbranch_vccz .LBB187_87
; %bb.86:
	v_add_f64 v[138:139], v[62:63], 0
	v_lshl_add_u64 v[130:131], v[130:131], 3, v[64:65]
	s_mov_b64 s[0:1], 0
	global_store_dwordx2 v[130:131], v[138:139], off
.LBB187_87:
	v_lshl_add_u64 v[66:67], v[66:67], 3, s[12:13]
	s_andn2_b64 vcc, exec, s[0:1]
	v_mov_b64_e32 v[130:131], 0
	s_cbranch_vccnz .LBB187_89
; %bb.88:
	v_lshl_add_u64 v[130:131], v[66:67], 0, v[134:135]
	global_load_dwordx2 v[130:131], v[130:131], off
	v_lshl_add_u64 v[134:135], v[64:65], 0, v[134:135]
	s_waitcnt vmcnt(0)
	v_fmac_f64_e32 v[62:63], s[6:7], v[130:131]
	global_store_dwordx2 v[134:135], v[62:63], off
	v_lshl_add_u64 v[62:63], v[128:129], 3, v[66:67]
	global_load_dwordx2 v[62:63], v[62:63], off
	s_waitcnt vmcnt(0)
	v_mul_f64 v[130:131], s[6:7], v[62:63]
.LBB187_89:
	v_add_f64 v[60:61], v[60:61], v[130:131]
	v_lshl_add_u64 v[62:63], v[128:129], 3, v[64:65]
	s_mov_b64 s[0:1], -1
	s_mov_b64 vcc, s[4:5]
	global_store_dwordx2 v[62:63], v[60:61], off
	s_cbranch_vccz .LBB187_91
; %bb.90:
	v_add_f64 v[60:61], v[58:59], 0
	v_lshl_add_u64 v[62:63], v[132:133], 3, v[64:65]
	s_mov_b64 s[0:1], 0
	global_store_dwordx2 v[62:63], v[60:61], off
.LBB187_91:
	s_andn2_b64 vcc, exec, s[0:1]
	v_mov_b64_e32 v[60:61], 0
	s_cbranch_vccnz .LBB187_93
; %bb.92:
	v_lshl_add_u64 v[60:61], v[66:67], 0, v[136:137]
	global_load_dwordx2 v[60:61], v[60:61], off
	v_lshl_add_u64 v[62:63], v[64:65], 0, v[136:137]
	s_waitcnt vmcnt(0)
	v_fmac_f64_e32 v[58:59], s[6:7], v[60:61]
	global_store_dwordx2 v[62:63], v[58:59], off
	v_lshl_add_u64 v[58:59], v[126:127], 3, v[66:67]
	global_load_dwordx2 v[58:59], v[58:59], off
	s_waitcnt vmcnt(0)
	v_mul_f64 v[60:61], s[6:7], v[58:59]
.LBB187_93:
	v_add_f64 v[56:57], v[56:57], v[60:61]
	v_lshl_add_u64 v[58:59], v[126:127], 3, v[64:65]
	s_mov_b64 s[0:1], -1
	s_mov_b64 vcc, s[4:5]
	global_store_dwordx2 v[58:59], v[56:57], off
	s_cbranch_vccz .LBB187_95
; %bb.94:
	v_add_f64 v[56:57], v[54:55], 0
	v_lshl_add_u64 v[58:59], v[124:125], 3, v[64:65]
	s_mov_b64 s[0:1], 0
	global_store_dwordx2 v[58:59], v[56:57], off
.LBB187_95:
	;; [unrolled: 27-line block ×14, first 2 shown]
	s_andn2_b64 vcc, exec, s[0:1]
	v_mov_b64_e32 v[8:9], 0
	s_cbranch_vccnz .LBB187_145
; %bb.144:
	v_lshl_add_u64 v[8:9], v[66:67], 0, v[166:167]
	global_load_dwordx2 v[8:9], v[8:9], off
	v_lshl_add_u64 v[10:11], v[64:65], 0, v[166:167]
	s_waitcnt vmcnt(0)
	v_fmac_f64_e32 v[6:7], s[6:7], v[8:9]
	global_store_dwordx2 v[10:11], v[6:7], off
	v_lshl_add_u64 v[6:7], v[74:75], 3, v[66:67]
	global_load_dwordx2 v[6:7], v[6:7], off
	s_waitcnt vmcnt(0)
	v_mul_f64 v[8:9], s[6:7], v[6:7]
.LBB187_145:
	v_add_f64 v[4:5], v[4:5], v[8:9]
	v_lshl_add_u64 v[6:7], v[74:75], 3, v[64:65]
	s_mov_b64 s[0:1], -1
	s_mov_b64 vcc, s[4:5]
	global_store_dwordx2 v[6:7], v[4:5], off
	s_cbranch_vccnz .LBB187_148
; %bb.146:
	s_andn2_b64 vcc, exec, s[0:1]
	v_mov_b64_e32 v[4:5], 0
	s_cbranch_vccz .LBB187_149
.LBB187_147:
	v_add_f64 v[0:1], v[0:1], v[4:5]
	v_lshl_add_u64 v[2:3], v[70:71], 3, v[64:65]
	global_store_dwordx2 v[2:3], v[0:1], off
	s_endpgm
.LBB187_148:
	v_add_f64 v[4:5], v[2:3], 0
	v_lshl_add_u64 v[6:7], v[72:73], 3, v[64:65]
	global_store_dwordx2 v[6:7], v[4:5], off
	v_mov_b64_e32 v[4:5], 0
	s_cbranch_execnz .LBB187_147
.LBB187_149:
	v_lshl_add_u64 v[4:5], v[66:67], 0, v[68:69]
	global_load_dwordx2 v[4:5], v[4:5], off
	v_lshl_add_u64 v[6:7], v[64:65], 0, v[68:69]
	s_waitcnt vmcnt(0)
	v_fmac_f64_e32 v[2:3], s[6:7], v[4:5]
	global_store_dwordx2 v[6:7], v[2:3], off
	v_lshl_add_u64 v[2:3], v[70:71], 3, v[66:67]
	global_load_dwordx2 v[2:3], v[2:3], off
	s_waitcnt vmcnt(0)
	v_mul_f64 v[4:5], s[6:7], v[2:3]
	v_add_f64 v[0:1], v[0:1], v[4:5]
	v_lshl_add_u64 v[2:3], v[70:71], 3, v[64:65]
	global_store_dwordx2 v[2:3], v[0:1], off
	s_endpgm
	.section	.rodata,"a",@progbits
	.p2align	6, 0x0
	.amdhsa_kernel _ZN12_GLOBAL__N_120geam_min_plus_kernelIdddLi4ELi64ELi128ELi128ELi4ELi4ELi64ELi4ELi64ELc84ELc78ELb1ELb0ELb0EdKddEEviiiT16_PT17_ilS4_ilS2_S4_ilPT18_ili26rocblas_geam_ex_operation_
		.amdhsa_group_segment_fixed_size 16384
		.amdhsa_private_segment_fixed_size 0
		.amdhsa_kernarg_size 136
		.amdhsa_user_sgpr_count 2
		.amdhsa_user_sgpr_dispatch_ptr 0
		.amdhsa_user_sgpr_queue_ptr 0
		.amdhsa_user_sgpr_kernarg_segment_ptr 1
		.amdhsa_user_sgpr_dispatch_id 0
		.amdhsa_user_sgpr_kernarg_preload_length 0
		.amdhsa_user_sgpr_kernarg_preload_offset 0
		.amdhsa_user_sgpr_private_segment_size 0
		.amdhsa_uses_dynamic_stack 0
		.amdhsa_enable_private_segment 0
		.amdhsa_system_sgpr_workgroup_id_x 1
		.amdhsa_system_sgpr_workgroup_id_y 0
		.amdhsa_system_sgpr_workgroup_id_z 1
		.amdhsa_system_sgpr_workgroup_info 0
		.amdhsa_system_vgpr_workitem_id 1
		.amdhsa_next_free_vgpr 254
		.amdhsa_next_free_sgpr 23
		.amdhsa_accum_offset 256
		.amdhsa_reserve_vcc 1
		.amdhsa_float_round_mode_32 0
		.amdhsa_float_round_mode_16_64 0
		.amdhsa_float_denorm_mode_32 3
		.amdhsa_float_denorm_mode_16_64 3
		.amdhsa_dx10_clamp 1
		.amdhsa_ieee_mode 1
		.amdhsa_fp16_overflow 0
		.amdhsa_tg_split 0
		.amdhsa_exception_fp_ieee_invalid_op 0
		.amdhsa_exception_fp_denorm_src 0
		.amdhsa_exception_fp_ieee_div_zero 0
		.amdhsa_exception_fp_ieee_overflow 0
		.amdhsa_exception_fp_ieee_underflow 0
		.amdhsa_exception_fp_ieee_inexact 0
		.amdhsa_exception_int_div_zero 0
	.end_amdhsa_kernel
	.section	.text._ZN12_GLOBAL__N_120geam_min_plus_kernelIdddLi4ELi64ELi128ELi128ELi4ELi4ELi64ELi4ELi64ELc84ELc78ELb1ELb0ELb0EdKddEEviiiT16_PT17_ilS4_ilS2_S4_ilPT18_ili26rocblas_geam_ex_operation_,"axG",@progbits,_ZN12_GLOBAL__N_120geam_min_plus_kernelIdddLi4ELi64ELi128ELi128ELi4ELi4ELi64ELi4ELi64ELc84ELc78ELb1ELb0ELb0EdKddEEviiiT16_PT17_ilS4_ilS2_S4_ilPT18_ili26rocblas_geam_ex_operation_,comdat
.Lfunc_end187:
	.size	_ZN12_GLOBAL__N_120geam_min_plus_kernelIdddLi4ELi64ELi128ELi128ELi4ELi4ELi64ELi4ELi64ELc84ELc78ELb1ELb0ELb0EdKddEEviiiT16_PT17_ilS4_ilS2_S4_ilPT18_ili26rocblas_geam_ex_operation_, .Lfunc_end187-_ZN12_GLOBAL__N_120geam_min_plus_kernelIdddLi4ELi64ELi128ELi128ELi4ELi4ELi64ELi4ELi64ELc84ELc78ELb1ELb0ELb0EdKddEEviiiT16_PT17_ilS4_ilS2_S4_ilPT18_ili26rocblas_geam_ex_operation_
                                        ; -- End function
	.set _ZN12_GLOBAL__N_120geam_min_plus_kernelIdddLi4ELi64ELi128ELi128ELi4ELi4ELi64ELi4ELi64ELc84ELc78ELb1ELb0ELb0EdKddEEviiiT16_PT17_ilS4_ilS2_S4_ilPT18_ili26rocblas_geam_ex_operation_.num_vgpr, 254
	.set _ZN12_GLOBAL__N_120geam_min_plus_kernelIdddLi4ELi64ELi128ELi128ELi4ELi4ELi64ELi4ELi64ELc84ELc78ELb1ELb0ELb0EdKddEEviiiT16_PT17_ilS4_ilS2_S4_ilPT18_ili26rocblas_geam_ex_operation_.num_agpr, 0
	.set _ZN12_GLOBAL__N_120geam_min_plus_kernelIdddLi4ELi64ELi128ELi128ELi4ELi4ELi64ELi4ELi64ELc84ELc78ELb1ELb0ELb0EdKddEEviiiT16_PT17_ilS4_ilS2_S4_ilPT18_ili26rocblas_geam_ex_operation_.numbered_sgpr, 23
	.set _ZN12_GLOBAL__N_120geam_min_plus_kernelIdddLi4ELi64ELi128ELi128ELi4ELi4ELi64ELi4ELi64ELc84ELc78ELb1ELb0ELb0EdKddEEviiiT16_PT17_ilS4_ilS2_S4_ilPT18_ili26rocblas_geam_ex_operation_.num_named_barrier, 0
	.set _ZN12_GLOBAL__N_120geam_min_plus_kernelIdddLi4ELi64ELi128ELi128ELi4ELi4ELi64ELi4ELi64ELc84ELc78ELb1ELb0ELb0EdKddEEviiiT16_PT17_ilS4_ilS2_S4_ilPT18_ili26rocblas_geam_ex_operation_.private_seg_size, 0
	.set _ZN12_GLOBAL__N_120geam_min_plus_kernelIdddLi4ELi64ELi128ELi128ELi4ELi4ELi64ELi4ELi64ELc84ELc78ELb1ELb0ELb0EdKddEEviiiT16_PT17_ilS4_ilS2_S4_ilPT18_ili26rocblas_geam_ex_operation_.uses_vcc, 1
	.set _ZN12_GLOBAL__N_120geam_min_plus_kernelIdddLi4ELi64ELi128ELi128ELi4ELi4ELi64ELi4ELi64ELc84ELc78ELb1ELb0ELb0EdKddEEviiiT16_PT17_ilS4_ilS2_S4_ilPT18_ili26rocblas_geam_ex_operation_.uses_flat_scratch, 0
	.set _ZN12_GLOBAL__N_120geam_min_plus_kernelIdddLi4ELi64ELi128ELi128ELi4ELi4ELi64ELi4ELi64ELc84ELc78ELb1ELb0ELb0EdKddEEviiiT16_PT17_ilS4_ilS2_S4_ilPT18_ili26rocblas_geam_ex_operation_.has_dyn_sized_stack, 0
	.set _ZN12_GLOBAL__N_120geam_min_plus_kernelIdddLi4ELi64ELi128ELi128ELi4ELi4ELi64ELi4ELi64ELc84ELc78ELb1ELb0ELb0EdKddEEviiiT16_PT17_ilS4_ilS2_S4_ilPT18_ili26rocblas_geam_ex_operation_.has_recursion, 0
	.set _ZN12_GLOBAL__N_120geam_min_plus_kernelIdddLi4ELi64ELi128ELi128ELi4ELi4ELi64ELi4ELi64ELc84ELc78ELb1ELb0ELb0EdKddEEviiiT16_PT17_ilS4_ilS2_S4_ilPT18_ili26rocblas_geam_ex_operation_.has_indirect_call, 0
	.section	.AMDGPU.csdata,"",@progbits
; Kernel info:
; codeLenInByte = 12416
; TotalNumSgprs: 29
; NumVgprs: 254
; NumAgprs: 0
; TotalNumVgprs: 254
; ScratchSize: 0
; MemoryBound: 0
; FloatMode: 240
; IeeeMode: 1
; LDSByteSize: 16384 bytes/workgroup (compile time only)
; SGPRBlocks: 3
; VGPRBlocks: 31
; NumSGPRsForWavesPerEU: 29
; NumVGPRsForWavesPerEU: 254
; AccumOffset: 256
; Occupancy: 2
; WaveLimiterHint : 0
; COMPUTE_PGM_RSRC2:SCRATCH_EN: 0
; COMPUTE_PGM_RSRC2:USER_SGPR: 2
; COMPUTE_PGM_RSRC2:TRAP_HANDLER: 0
; COMPUTE_PGM_RSRC2:TGID_X_EN: 1
; COMPUTE_PGM_RSRC2:TGID_Y_EN: 0
; COMPUTE_PGM_RSRC2:TGID_Z_EN: 1
; COMPUTE_PGM_RSRC2:TIDIG_COMP_CNT: 1
; COMPUTE_PGM_RSRC3_GFX90A:ACCUM_OFFSET: 63
; COMPUTE_PGM_RSRC3_GFX90A:TG_SPLIT: 0
	.section	.text._ZN12_GLOBAL__N_120geam_min_plus_kernelIdddLi4ELi64ELi128ELi128ELi4ELi4ELi64ELi4ELi64ELc84ELc78ELb0ELb0ELb0EdKddEEviiiT16_PT17_ilS4_ilS2_S4_ilPT18_ili26rocblas_geam_ex_operation_,"axG",@progbits,_ZN12_GLOBAL__N_120geam_min_plus_kernelIdddLi4ELi64ELi128ELi128ELi4ELi4ELi64ELi4ELi64ELc84ELc78ELb0ELb0ELb0EdKddEEviiiT16_PT17_ilS4_ilS2_S4_ilPT18_ili26rocblas_geam_ex_operation_,comdat
	.globl	_ZN12_GLOBAL__N_120geam_min_plus_kernelIdddLi4ELi64ELi128ELi128ELi4ELi4ELi64ELi4ELi64ELc84ELc78ELb0ELb0ELb0EdKddEEviiiT16_PT17_ilS4_ilS2_S4_ilPT18_ili26rocblas_geam_ex_operation_ ; -- Begin function _ZN12_GLOBAL__N_120geam_min_plus_kernelIdddLi4ELi64ELi128ELi128ELi4ELi4ELi64ELi4ELi64ELc84ELc78ELb0ELb0ELb0EdKddEEviiiT16_PT17_ilS4_ilS2_S4_ilPT18_ili26rocblas_geam_ex_operation_
	.p2align	8
	.type	_ZN12_GLOBAL__N_120geam_min_plus_kernelIdddLi4ELi64ELi128ELi128ELi4ELi4ELi64ELi4ELi64ELc84ELc78ELb0ELb0ELb0EdKddEEviiiT16_PT17_ilS4_ilS2_S4_ilPT18_ili26rocblas_geam_ex_operation_,@function
_ZN12_GLOBAL__N_120geam_min_plus_kernelIdddLi4ELi64ELi128ELi128ELi4ELi4ELi64ELi4ELi64ELc84ELc78ELb0ELb0ELb0EdKddEEviiiT16_PT17_ilS4_ilS2_S4_ilPT18_ili26rocblas_geam_ex_operation_: ; @_ZN12_GLOBAL__N_120geam_min_plus_kernelIdddLi4ELi64ELi128ELi128ELi4ELi4ELi64ELi4ELi64ELc84ELc78ELb0ELb0ELb0EdKddEEviiiT16_PT17_ilS4_ilS2_S4_ilPT18_ili26rocblas_geam_ex_operation_
; %bb.0:
	s_load_dwordx4 s[16:19], s[0:1], 0x10
	s_load_dwordx4 s[12:15], s[0:1], 0x28
	s_mov_b64 s[20:21], 0
	s_waitcnt lgkmcnt(0)
	v_cmp_eq_f64_e64 s[22:23], s[16:17], 0
	s_and_b64 s[4:5], exec, s[22:23]
	s_mov_b64 vcc, s[4:5]
	s_cbranch_vccnz .LBB188_2
; %bb.1:
	s_mul_i32 s6, s13, s3
	s_mul_hi_u32 s7, s12, s3
	s_add_i32 s7, s7, s6
	s_mul_i32 s6, s12, s3
	s_lshl_b64 s[6:7], s[6:7], 3
	s_add_u32 s20, s18, s6
	s_addc_u32 s21, s19, s7
.LBB188_2:
	s_load_dwordx4 s[8:11], s[0:1], 0x40
	s_load_dwordx2 s[6:7], s[0:1], 0x50
	s_andn2_b64 vcc, exec, s[22:23]
	s_mov_b64 s[12:13], -1
	s_cbranch_vccnz .LBB188_4
; %bb.3:
	s_mov_b64 s[12:13], 0
.LBB188_4:
	s_mov_b64 s[18:19], 0
	s_andn2_b64 vcc, exec, s[12:13]
	s_mov_b64 s[22:23], 0
	s_cbranch_vccnz .LBB188_6
; %bb.5:
	s_waitcnt lgkmcnt(0)
	s_mul_i32 s9, s9, s3
	s_mul_hi_u32 s12, s8, s3
	s_add_i32 s9, s12, s9
	s_mul_i32 s8, s8, s3
	s_lshl_b64 s[8:9], s[8:9], 3
	s_add_u32 s22, s14, s8
	s_addc_u32 s23, s15, s9
.LBB188_6:
	s_load_dwordx4 s[12:15], s[0:1], 0x60
	s_waitcnt lgkmcnt(0)
	v_cmp_eq_f64_e64 s[8:9], s[10:11], 0
	s_and_b64 s[8:9], exec, s[8:9]
	v_cmp_neq_f64_e64 s[24:25], s[16:17], 0
	s_mov_b64 vcc, s[8:9]
	s_cbranch_vccnz .LBB188_8
; %bb.7:
	s_mul_i32 s13, s13, s3
	s_mul_hi_u32 s18, s12, s3
	s_add_i32 s13, s18, s13
	s_mul_i32 s12, s12, s3
	s_lshl_b64 s[12:13], s[12:13], 3
	s_add_u32 s18, s6, s12
	s_addc_u32 s19, s7, s13
.LBB188_8:
	s_load_dword s6, s[0:1], 0x0
	s_load_dword s26, s[0:1], 0x20
	v_bfe_u32 v152, v0, 10, 10
	v_and_b32_e32 v154, 3, v0
	v_bfe_u32 v2, v0, 2, 8
	s_waitcnt lgkmcnt(0)
	s_add_i32 s6, s6, -1
	s_ashr_i32 s7, s6, 31
	s_lshr_b32 s7, s7, 25
	s_add_i32 s6, s6, s7
	s_ashr_i32 s12, s6, 7
	s_add_i32 s13, s12, 1
	v_cvt_f32_u32_e32 v1, s13
	s_not_b32 s12, s12
	v_mov_b32_e32 v3, 0
	v_cndmask_b32_e64 v4, 0, 1, s[24:25]
	v_rcp_iflag_f32_e32 v1, v1
	v_add_u32_e32 v139, v2, v152
	v_lshlrev_b32_e32 v2, 3, v154
	v_cmp_ne_u32_e64 s[6:7], 1, v4
	v_mul_f32_e32 v1, 0x4f7ffffe, v1
	v_cvt_u32_f32_e32 v1, v1
	v_lshl_add_u64 v[6:7], s[20:21], 0, v[2:3]
	v_readfirstlane_b32 s27, v1
	s_mul_i32 s12, s12, s27
	s_mul_hi_u32 s12, s27, s12
	s_add_i32 s27, s27, s12
	s_mul_hi_u32 s12, s2, s27
	s_mul_i32 s27, s12, s13
	s_sub_i32 s27, s2, s27
	s_add_i32 s28, s12, 1
	s_sub_i32 s29, s27, s13
	s_cmp_ge_u32 s27, s13
	s_cselect_b32 s12, s28, s12
	s_cselect_b32 s27, s29, s27
	s_add_i32 s28, s12, 1
	s_cmp_ge_u32 s27, s13
	s_cselect_b32 s12, s28, s12
	s_mul_i32 s13, s12, s13
	s_sub_i32 s2, s2, s13
	s_lshl_b32 s2, s2, 7
	s_andn2_b64 vcc, exec, s[24:25]
	v_add_u32_e32 v138, s2, v139
	s_cbranch_vccnz .LBB188_11
; %bb.9:
	v_mad_i64_i32 v[4:5], s[24:25], v138, s26, 0
	v_lshl_add_u64 v[4:5], v[4:5], 3, v[6:7]
	global_load_dwordx2 v[4:5], v[4:5], off
	s_waitcnt vmcnt(0)
	v_mul_f64 v[4:5], s[16:17], v[4:5]
	s_load_dword s27, s[0:1], 0x38
	s_lshl_b32 s24, s12, 7
	s_mov_b64 vcc, s[4:5]
	s_cbranch_vccz .LBB188_12
.LBB188_10:
	s_mov_b32 s12, 0
	v_mov_b32_e32 v8, s12
	v_mov_b32_e32 v9, s12
	s_mov_b64 s[12:13], 0
	s_branch .LBB188_13
.LBB188_11:
	v_mov_b64_e32 v[4:5], 0
	s_load_dword s27, s[0:1], 0x38
	s_lshl_b32 s24, s12, 7
	s_mov_b64 vcc, s[4:5]
	s_cbranch_vccnz .LBB188_10
.LBB188_12:
	s_mov_b64 s[12:13], -1
                                        ; implicit-def: $vgpr8_vgpr9
.LBB188_13:
	v_add_u32_e32 v141, s24, v139
	v_mov_b64_e32 v[132:133], 0
	s_andn2_b64 vcc, exec, s[12:13]
	v_add_u32_e32 v142, 64, v138
	v_add_u32_e32 v140, 64, v141
	v_mov_b64_e32 v[10:11], 0
	v_mov_b64_e32 v[12:13], 0
	s_cbranch_vccnz .LBB188_15
; %bb.14:
	v_mov_b32_e32 v3, 0
	v_mad_i64_i32 v[8:9], s[12:13], v142, s26, 0
	v_lshl_add_u64 v[10:11], s[22:23], 0, v[2:3]
	s_waitcnt lgkmcnt(0)
	v_mad_i64_i32 v[12:13], s[12:13], v141, s27, 0
	v_lshl_add_u64 v[8:9], v[8:9], 3, v[6:7]
	v_lshl_add_u64 v[12:13], v[12:13], 3, v[10:11]
	v_mad_i64_i32 v[14:15], s[12:13], v140, s27, 0
	global_load_dwordx2 v[8:9], v[8:9], off
	v_lshl_add_u64 v[10:11], v[14:15], 3, v[10:11]
	global_load_dwordx2 v[14:15], v[12:13], off
	global_load_dwordx2 v[16:17], v[10:11], off
	s_waitcnt vmcnt(2)
	v_mul_f64 v[8:9], s[16:17], v[8:9]
	s_waitcnt vmcnt(1)
	v_mul_f64 v[12:13], s[16:17], v[14:15]
	;; [unrolled: 2-line block ×3, first 2 shown]
.LBB188_15:
	s_and_b64 vcc, exec, s[6:7]
	s_cbranch_vccnz .LBB188_17
; %bb.16:
	v_mad_i64_i32 v[14:15], s[12:13], v138, s26, 0
	v_lshl_add_u64 v[14:15], v[14:15], 3, v[6:7]
	global_load_dwordx2 v[14:15], v[14:15], off offset:32
	s_waitcnt vmcnt(0)
	v_mul_f64 v[132:133], s[16:17], v[14:15]
.LBB188_17:
	s_mov_b64 vcc, s[4:5]
	s_cbranch_vccz .LBB188_19
; %bb.18:
	s_mov_b32 s12, 0
	v_mov_b32_e32 v134, s12
	v_mov_b32_e32 v135, s12
	s_mov_b64 s[12:13], 0
	s_branch .LBB188_20
.LBB188_19:
	s_mov_b64 s[12:13], -1
                                        ; implicit-def: $vgpr134_vgpr135
.LBB188_20:
	v_and_b32_e32 v153, 0x3ff, v0
	v_mov_b64_e32 v[124:125], 0
	s_andn2_b64 vcc, exec, s[12:13]
	v_mov_b64_e32 v[0:1], 0
	v_mov_b64_e32 v[136:137], 0
	s_cbranch_vccnz .LBB188_22
; %bb.21:
	v_mad_i64_i32 v[0:1], s[12:13], v142, s26, 0
	v_mov_b32_e32 v3, 0
	v_lshl_add_u64 v[0:1], v[0:1], 3, v[6:7]
	v_lshl_add_u64 v[6:7], s[22:23], 0, v[2:3]
	s_waitcnt lgkmcnt(0)
	v_mad_i64_i32 v[14:15], s[12:13], v141, s27, 0
	v_lshl_add_u64 v[14:15], v[14:15], 3, v[6:7]
	v_mad_i64_i32 v[16:17], s[12:13], v140, s27, 0
	global_load_dwordx2 v[0:1], v[0:1], off offset:32
	v_lshl_add_u64 v[6:7], v[16:17], 3, v[6:7]
	global_load_dwordx2 v[16:17], v[14:15], off offset:32
	global_load_dwordx2 v[18:19], v[6:7], off offset:32
	s_waitcnt vmcnt(2)
	v_mul_f64 v[134:135], s[16:17], v[0:1]
	s_waitcnt vmcnt(1)
	v_mul_f64 v[136:137], s[16:17], v[16:17]
	;; [unrolled: 2-line block ×3, first 2 shown]
.LBB188_22:
	v_lshlrev_b32_e32 v3, 5, v139
	v_lshl_or_b32 v156, v154, 3, v3
	v_lshlrev_b32_e32 v3, 5, v152
	ds_write2st64_b64 v156, v[4:5], v[8:9] offset1:4
	v_add_u32_e32 v157, 0x2000, v156
	ds_write2st64_b64 v156, v[12:13], v[10:11] offset0:16 offset1:20
	v_lshlrev_b32_e32 v158, 5, v153
	v_add_u32_e32 v159, 0x2000, v3
	s_mov_b32 s12, 0
	v_mov_b64_e32 v[130:131], 0
	v_mov_b64_e32 v[128:129], 0
	v_mov_b64_e32 v[126:127], 0
	v_mov_b64_e32 v[122:123], 0
	v_mov_b64_e32 v[120:121], 0
	v_mov_b64_e32 v[118:119], 0
	v_mov_b64_e32 v[116:117], 0
	v_mov_b64_e32 v[114:115], 0
	v_mov_b64_e32 v[112:113], 0
	v_mov_b64_e32 v[110:111], 0
	v_mov_b64_e32 v[108:109], 0
	v_mov_b64_e32 v[106:107], 0
	v_mov_b64_e32 v[104:105], 0
	v_mov_b64_e32 v[102:103], 0
	v_mov_b64_e32 v[100:101], 0
	v_mov_b64_e32 v[98:99], 0
	v_mov_b64_e32 v[96:97], 0
	v_mov_b64_e32 v[94:95], 0
	v_mov_b64_e32 v[92:93], 0
	v_mov_b64_e32 v[90:91], 0
	v_mov_b64_e32 v[88:89], 0
	v_mov_b64_e32 v[86:87], 0
	v_mov_b64_e32 v[84:85], 0
	v_mov_b64_e32 v[82:83], 0
	v_mov_b64_e32 v[80:81], 0
	v_mov_b64_e32 v[78:79], 0
	v_mov_b64_e32 v[76:77], 0
	v_mov_b64_e32 v[74:75], 0
	v_mov_b64_e32 v[72:73], 0
	v_mov_b64_e32 v[70:71], 0
	v_mov_b64_e32 v[68:69], 0
	v_mov_b64_e32 v[66:67], 0
	v_mov_b64_e32 v[64:65], 0
	v_mov_b64_e32 v[62:63], 0
	v_mov_b64_e32 v[60:61], 0
	v_mov_b64_e32 v[58:59], 0
	v_mov_b64_e32 v[56:57], 0
	v_mov_b64_e32 v[54:55], 0
	v_mov_b64_e32 v[52:53], 0
	v_mov_b64_e32 v[50:51], 0
	v_mov_b64_e32 v[48:49], 0
	v_mov_b64_e32 v[46:47], 0
	v_mov_b64_e32 v[44:45], 0
	v_mov_b64_e32 v[42:43], 0
	v_mov_b64_e32 v[40:41], 0
	v_mov_b64_e32 v[38:39], 0
	v_mov_b64_e32 v[36:37], 0
	v_mov_b64_e32 v[34:35], 0
	v_mov_b64_e32 v[32:33], 0
	v_mov_b64_e32 v[30:31], 0
	v_mov_b64_e32 v[28:29], 0
	v_mov_b64_e32 v[26:27], 0
	v_mov_b64_e32 v[24:25], 0
	v_mov_b64_e32 v[22:23], 0
	v_mov_b64_e32 v[20:21], 0
	v_mov_b64_e32 v[18:19], 0
	v_mov_b64_e32 v[16:17], 0
	v_mov_b64_e32 v[14:15], 0
	v_mov_b64_e32 v[12:13], 0
	v_mov_b64_e32 v[10:11], 0
	v_mov_b64_e32 v[8:9], 0
	v_mov_b64_e32 v[6:7], 0
	v_mov_b64_e32 v[4:5], 0
	s_waitcnt lgkmcnt(0)
	s_barrier
.LBB188_23:                             ; =>This Inner Loop Header: Depth=1
	v_add_u32_e32 v143, s12, v158
	v_add_u32_e32 v155, s12, v159
	ds_read2_b64 v[144:147], v143 offset1:16
	ds_read2_b64 v[148:151], v143 offset0:32 offset1:48
	ds_read2_b64 v[160:163], v143 offset0:64 offset1:80
	;; [unrolled: 1-line block ×7, first 2 shown]
	ds_read2st64_b64 v[184:187], v155 offset1:4
	v_add_u32_e32 v143, 0x800, v143
	ds_read2_b64 v[188:191], v143 offset1:16
	ds_read2_b64 v[192:195], v143 offset0:32 offset1:48
	ds_read2_b64 v[196:199], v143 offset0:64 offset1:80
	;; [unrolled: 1-line block ×7, first 2 shown]
	s_waitcnt lgkmcnt(14)
	v_max_f64 v[144:145], v[144:145], v[144:145]
	v_max_f64 v[146:147], v[146:147], v[146:147]
	;; [unrolled: 1-line block ×6, first 2 shown]
	s_waitcnt lgkmcnt(13)
	v_max_f64 v[164:165], v[164:165], v[164:165]
	v_max_f64 v[166:167], v[166:167], v[166:167]
	s_waitcnt lgkmcnt(12)
	v_max_f64 v[168:169], v[168:169], v[168:169]
	v_max_f64 v[170:171], v[170:171], v[170:171]
	;; [unrolled: 3-line block ×14, first 2 shown]
	v_min_f64 v[220:221], v[144:145], v[184:185]
	v_min_f64 v[222:223], v[146:147], v[184:185]
	;; [unrolled: 1-line block ×32, first 2 shown]
	s_add_i32 s12, s12, 8
	v_add_f64 v[66:67], v[66:67], v[144:145]
	v_add_f64 v[64:65], v[64:65], v[146:147]
	;; [unrolled: 1-line block ×16, first 2 shown]
	v_min_f64 v[144:145], v[188:189], v[184:185]
	v_min_f64 v[146:147], v[190:191], v[184:185]
	;; [unrolled: 1-line block ×32, first 2 shown]
	s_cmp_eq_u32 s12, 32
	v_add_f64 v[124:125], v[124:125], v[220:221]
	v_add_f64 v[130:131], v[130:131], v[222:223]
	;; [unrolled: 1-line block ×48, first 2 shown]
	s_cbranch_scc0 .LBB188_23
; %bb.24:
	s_load_dword s25, s[0:1], 0x8
	v_lshl_or_b32 v2, v139, 5, v2
	ds_write2st64_b64 v2, v[132:133], v[134:135] offset0:8 offset1:12
	ds_write2st64_b64 v2, v[136:137], v[0:1] offset0:24 offset1:28
	s_waitcnt lgkmcnt(0)
	s_barrier
	s_cmp_gt_i32 s25, 8
	s_cbranch_scc1 .LBB188_26
; %bb.25:
	v_add_u32_e32 v155, 0x3000, v3
	s_cbranch_execz .LBB188_27
	s_branch .LBB188_45
.LBB188_26:
                                        ; implicit-def: $vgpr155
.LBB188_27:
	v_mov_b32_e32 v0, 0x1000
	v_add_u32_e32 v160, 0x1000, v2
	v_add_u32_e32 v161, 0x3000, v2
	s_add_i32 s25, s25, -8
	v_mad_i64_i32 v[132:133], s[12:13], v138, s26, 0
	v_mad_i64_i32 v[134:135], s[12:13], v142, s26, 0
	;; [unrolled: 1-line block ×4, first 2 shown]
	v_lshl_add_u32 v162, v153, 5, v0
	v_add_u32_e32 v155, 0x3000, v3
	s_mov_b32 s26, 8
	s_mov_b32 s27, 0
	v_mov_b32_e32 v141, 0
	s_mov_b32 s28, 0
.LBB188_28:                             ; =>This Loop Header: Depth=1
                                        ;     Child Loop BB188_34 Depth 2
                                        ;     Child Loop BB188_41 Depth 2
	v_or_b32_e32 v140, s26, v154
	v_lshl_add_u64 v[142:143], v[140:141], 3, s[20:21]
	s_and_b64 vcc, exec, s[6:7]
	v_lshl_add_u64 v[146:147], v[132:133], 3, v[142:143]
	s_cbranch_vccnz .LBB188_43
; %bb.29:                               ;   in Loop: Header=BB188_28 Depth=1
	global_load_dwordx2 v[0:1], v[146:147], off
	s_waitcnt vmcnt(0)
	v_mul_f64 v[148:149], s[16:17], v[0:1]
	s_mov_b64 s[12:13], -1
                                        ; implicit-def: $vgpr0_vgpr1_vgpr2_vgpr3
	s_mov_b64 vcc, s[4:5]
                                        ; implicit-def: $vgpr2_vgpr3
	s_cbranch_vccz .LBB188_31
.LBB188_30:                             ;   in Loop: Header=BB188_28 Depth=1
	v_mov_b32_e32 v2, s27
	v_mov_b32_e32 v3, s27
	;; [unrolled: 1-line block ×4, first 2 shown]
	s_mov_b64 s[12:13], 0
.LBB188_31:                             ;   in Loop: Header=BB188_28 Depth=1
	v_mov_b64_e32 v[150:151], 0
	s_andn2_b64 vcc, exec, s[12:13]
	v_lshl_add_u64 v[144:145], v[134:135], 3, v[142:143]
	v_lshl_add_u64 v[142:143], v[140:141], 3, s[22:23]
	s_cbranch_vccnz .LBB188_33
; %bb.32:                               ;   in Loop: Header=BB188_28 Depth=1
	v_lshl_add_u64 v[2:3], v[136:137], 3, v[142:143]
	v_lshl_add_u64 v[150:151], v[138:139], 3, v[142:143]
	global_load_dwordx2 v[0:1], v[144:145], off
	global_load_dwordx2 v[164:165], v[2:3], off
	s_nop 0
	global_load_dwordx2 v[150:151], v[150:151], off
	s_waitcnt vmcnt(2)
	v_mul_f64 v[2:3], s[16:17], v[0:1]
	s_waitcnt vmcnt(1)
	v_mul_f64 v[0:1], s[16:17], v[164:165]
	s_waitcnt vmcnt(0)
	v_mul_f64 v[150:151], s[16:17], v[150:151]
.LBB188_33:                             ;   in Loop: Header=BB188_28 Depth=1
	s_mov_b32 s12, 0
.LBB188_34:                             ;   Parent Loop BB188_28 Depth=1
                                        ; =>  This Inner Loop Header: Depth=2
	v_add_u32_e32 v140, s12, v162
	ds_read2_b64 v[164:167], v140 offset1:16
	ds_read2_b64 v[168:171], v140 offset0:32 offset1:48
	ds_read2_b64 v[172:175], v140 offset0:64 offset1:80
	;; [unrolled: 1-line block ×7, first 2 shown]
	v_add_u32_e32 v140, 0x800, v140
	ds_read2_b64 v[196:199], v140 offset1:16
	ds_read2_b64 v[200:203], v140 offset0:32 offset1:48
	ds_read2_b64 v[204:207], v140 offset0:64 offset1:80
	ds_read2_b64 v[208:211], v140 offset0:96 offset1:112
	ds_read2_b64 v[212:215], v140 offset0:128 offset1:144
	ds_read2_b64 v[216:219], v140 offset0:160 offset1:176
	ds_read2_b64 v[220:223], v140 offset0:192 offset1:208
	ds_read2_b64 v[224:227], v140 offset0:224 offset1:240
	v_add_u32_e32 v140, s12, v155
	ds_read2st64_b64 v[228:231], v140 offset1:4
	s_waitcnt lgkmcnt(14)
	v_max_f64 v[164:165], v[164:165], v[164:165]
	v_max_f64 v[166:167], v[166:167], v[166:167]
	v_max_f64 v[168:169], v[168:169], v[168:169]
	v_max_f64 v[170:171], v[170:171], v[170:171]
	s_waitcnt lgkmcnt(0)
	v_max_f64 v[228:229], v[228:229], v[228:229]
	v_min_f64 v[232:233], v[164:165], v[228:229]
	v_add_f64 v[124:125], v[124:125], v[232:233]
	v_min_f64 v[232:233], v[166:167], v[228:229]
	v_add_f64 v[130:131], v[130:131], v[232:233]
	;; [unrolled: 2-line block ×3, first 2 shown]
	v_min_f64 v[232:233], v[170:171], v[228:229]
	v_max_f64 v[172:173], v[172:173], v[172:173]
	v_add_f64 v[126:127], v[126:127], v[232:233]
	v_min_f64 v[232:233], v[172:173], v[228:229]
	v_max_f64 v[174:175], v[174:175], v[174:175]
	v_add_f64 v[122:123], v[122:123], v[232:233]
	;; [unrolled: 3-line block ×26, first 2 shown]
	v_min_f64 v[232:233], v[222:223], v[228:229]
	v_max_f64 v[224:225], v[224:225], v[224:225]
	v_max_f64 v[226:227], v[226:227], v[226:227]
	v_add_f64 v[72:73], v[72:73], v[232:233]
	v_min_f64 v[232:233], v[224:225], v[228:229]
	v_min_f64 v[228:229], v[226:227], v[228:229]
	v_add_f64 v[68:69], v[68:69], v[228:229]
	v_max_f64 v[228:229], v[230:231], v[230:231]
	v_min_f64 v[164:165], v[164:165], v[228:229]
	v_add_f64 v[66:67], v[66:67], v[164:165]
	v_min_f64 v[164:165], v[166:167], v[228:229]
	v_add_f64 v[64:65], v[64:65], v[164:165]
	v_min_f64 v[164:165], v[168:169], v[228:229]
	v_add_f64 v[62:63], v[62:63], v[164:165]
	v_min_f64 v[164:165], v[170:171], v[228:229]
	v_add_f64 v[60:61], v[60:61], v[164:165]
	v_min_f64 v[164:165], v[172:173], v[228:229]
	v_add_f64 v[58:59], v[58:59], v[164:165]
	v_min_f64 v[164:165], v[174:175], v[228:229]
	v_add_f64 v[56:57], v[56:57], v[164:165]
	v_min_f64 v[164:165], v[176:177], v[228:229]
	v_add_f64 v[54:55], v[54:55], v[164:165]
	v_min_f64 v[164:165], v[178:179], v[228:229]
	v_add_f64 v[52:53], v[52:53], v[164:165]
	v_min_f64 v[164:165], v[180:181], v[228:229]
	v_add_f64 v[50:51], v[50:51], v[164:165]
	v_min_f64 v[164:165], v[182:183], v[228:229]
	v_add_f64 v[48:49], v[48:49], v[164:165]
	v_min_f64 v[164:165], v[184:185], v[228:229]
	v_add_f64 v[46:47], v[46:47], v[164:165]
	v_min_f64 v[164:165], v[186:187], v[228:229]
	v_add_f64 v[44:45], v[44:45], v[164:165]
	v_min_f64 v[164:165], v[188:189], v[228:229]
	v_add_f64 v[42:43], v[42:43], v[164:165]
	v_min_f64 v[164:165], v[190:191], v[228:229]
	v_add_f64 v[40:41], v[40:41], v[164:165]
	v_min_f64 v[164:165], v[192:193], v[228:229]
	v_add_f64 v[38:39], v[38:39], v[164:165]
	v_min_f64 v[164:165], v[194:195], v[228:229]
	v_add_f64 v[36:37], v[36:37], v[164:165]
	v_min_f64 v[164:165], v[196:197], v[228:229]
	v_add_f64 v[34:35], v[34:35], v[164:165]
	v_min_f64 v[164:165], v[198:199], v[228:229]
	v_add_f64 v[32:33], v[32:33], v[164:165]
	v_min_f64 v[164:165], v[200:201], v[228:229]
	v_add_f64 v[30:31], v[30:31], v[164:165]
	v_min_f64 v[164:165], v[202:203], v[228:229]
	v_add_f64 v[28:29], v[28:29], v[164:165]
	v_min_f64 v[164:165], v[204:205], v[228:229]
	v_add_f64 v[26:27], v[26:27], v[164:165]
	v_min_f64 v[164:165], v[206:207], v[228:229]
	v_add_f64 v[24:25], v[24:25], v[164:165]
	v_min_f64 v[164:165], v[208:209], v[228:229]
	v_add_f64 v[22:23], v[22:23], v[164:165]
	v_min_f64 v[164:165], v[210:211], v[228:229]
	v_add_f64 v[20:21], v[20:21], v[164:165]
	v_min_f64 v[164:165], v[212:213], v[228:229]
	v_add_f64 v[18:19], v[18:19], v[164:165]
	v_min_f64 v[164:165], v[214:215], v[228:229]
	v_add_f64 v[16:17], v[16:17], v[164:165]
	v_min_f64 v[164:165], v[216:217], v[228:229]
	v_add_f64 v[14:15], v[14:15], v[164:165]
	v_min_f64 v[164:165], v[218:219], v[228:229]
	v_add_f64 v[12:13], v[12:13], v[164:165]
	v_min_f64 v[164:165], v[220:221], v[228:229]
	v_add_f64 v[10:11], v[10:11], v[164:165]
	v_min_f64 v[164:165], v[222:223], v[228:229]
	v_add_f64 v[8:9], v[8:9], v[164:165]
	v_min_f64 v[164:165], v[224:225], v[228:229]
	v_add_f64 v[6:7], v[6:7], v[164:165]
	v_min_f64 v[164:165], v[226:227], v[228:229]
	s_add_i32 s12, s12, 8
	v_add_f64 v[70:71], v[70:71], v[232:233]
	v_add_f64 v[4:5], v[4:5], v[164:165]
	s_cmp_eq_u32 s12, 32
	s_cbranch_scc0 .LBB188_34
; %bb.35:                               ;   in Loop: Header=BB188_28 Depth=1
	s_and_b64 vcc, exec, s[6:7]
	ds_write2st64_b64 v156, v[148:149], v[2:3] offset1:4
	ds_write2st64_b64 v157, v[0:1], v[150:151] offset1:4
	s_waitcnt lgkmcnt(0)
	s_barrier
	s_cbranch_vccnz .LBB188_44
; %bb.36:                               ;   in Loop: Header=BB188_28 Depth=1
	global_load_dwordx2 v[0:1], v[146:147], off offset:32
	s_waitcnt vmcnt(0)
	v_mul_f64 v[146:147], s[16:17], v[0:1]
	s_mov_b64 s[12:13], -1
                                        ; implicit-def: $vgpr0_vgpr1_vgpr2_vgpr3
	s_mov_b64 vcc, s[4:5]
                                        ; implicit-def: $vgpr2_vgpr3
	s_cbranch_vccz .LBB188_38
.LBB188_37:                             ;   in Loop: Header=BB188_28 Depth=1
	v_mov_b32_e32 v2, s27
	v_mov_b32_e32 v3, s27
	;; [unrolled: 1-line block ×4, first 2 shown]
	s_mov_b64 s[12:13], 0
.LBB188_38:                             ;   in Loop: Header=BB188_28 Depth=1
	s_andn2_b64 vcc, exec, s[12:13]
	v_mov_b64_e32 v[148:149], 0
	s_cbranch_vccnz .LBB188_40
; %bb.39:                               ;   in Loop: Header=BB188_28 Depth=1
	v_lshl_add_u64 v[2:3], v[136:137], 3, v[142:143]
	v_lshl_add_u64 v[142:143], v[138:139], 3, v[142:143]
	global_load_dwordx2 v[0:1], v[144:145], off offset:32
	s_nop 0
	global_load_dwordx2 v[144:145], v[2:3], off offset:32
	s_nop 0
	global_load_dwordx2 v[142:143], v[142:143], off offset:32
	s_waitcnt vmcnt(2)
	v_mul_f64 v[2:3], s[16:17], v[0:1]
	s_waitcnt vmcnt(1)
	v_mul_f64 v[0:1], s[16:17], v[144:145]
	;; [unrolled: 2-line block ×3, first 2 shown]
.LBB188_40:                             ;   in Loop: Header=BB188_28 Depth=1
	s_mov_b32 s12, 0
.LBB188_41:                             ;   Parent Loop BB188_28 Depth=1
                                        ; =>  This Inner Loop Header: Depth=2
	v_add_u32_e32 v140, s12, v158
	ds_read2_b64 v[142:145], v140 offset1:16
	ds_read2_b64 v[164:167], v140 offset0:32 offset1:48
	ds_read2_b64 v[168:171], v140 offset0:64 offset1:80
	;; [unrolled: 1-line block ×7, first 2 shown]
	v_add_u32_e32 v140, 0x800, v140
	ds_read2_b64 v[192:195], v140 offset1:16
	ds_read2_b64 v[196:199], v140 offset0:32 offset1:48
	ds_read2_b64 v[200:203], v140 offset0:64 offset1:80
	;; [unrolled: 1-line block ×7, first 2 shown]
	v_add_u32_e32 v140, s12, v159
	ds_read2st64_b64 v[224:227], v140 offset1:4
	s_waitcnt lgkmcnt(14)
	v_max_f64 v[142:143], v[142:143], v[142:143]
	v_max_f64 v[144:145], v[144:145], v[144:145]
	;; [unrolled: 1-line block ×4, first 2 shown]
	s_waitcnt lgkmcnt(0)
	v_max_f64 v[150:151], v[224:225], v[224:225]
	v_min_f64 v[224:225], v[142:143], v[150:151]
	v_add_f64 v[124:125], v[124:125], v[224:225]
	v_min_f64 v[224:225], v[144:145], v[150:151]
	v_add_f64 v[130:131], v[130:131], v[224:225]
	;; [unrolled: 2-line block ×3, first 2 shown]
	v_min_f64 v[224:225], v[166:167], v[150:151]
	v_max_f64 v[168:169], v[168:169], v[168:169]
	v_add_f64 v[126:127], v[126:127], v[224:225]
	v_min_f64 v[224:225], v[168:169], v[150:151]
	v_max_f64 v[170:171], v[170:171], v[170:171]
	v_add_f64 v[122:123], v[122:123], v[224:225]
	;; [unrolled: 3-line block ×26, first 2 shown]
	v_min_f64 v[224:225], v[218:219], v[150:151]
	v_max_f64 v[220:221], v[220:221], v[220:221]
	v_max_f64 v[222:223], v[222:223], v[222:223]
	v_add_f64 v[72:73], v[72:73], v[224:225]
	v_min_f64 v[224:225], v[220:221], v[150:151]
	v_min_f64 v[150:151], v[222:223], v[150:151]
	v_add_f64 v[68:69], v[68:69], v[150:151]
	v_max_f64 v[150:151], v[226:227], v[226:227]
	v_min_f64 v[142:143], v[142:143], v[150:151]
	v_add_f64 v[66:67], v[66:67], v[142:143]
	v_min_f64 v[142:143], v[144:145], v[150:151]
	v_add_f64 v[64:65], v[64:65], v[142:143]
	;; [unrolled: 2-line block ×31, first 2 shown]
	v_min_f64 v[142:143], v[222:223], v[150:151]
	s_add_i32 s12, s12, 8
	v_add_f64 v[70:71], v[70:71], v[224:225]
	v_add_f64 v[4:5], v[4:5], v[142:143]
	s_cmp_eq_u32 s12, 32
	s_cbranch_scc0 .LBB188_41
; %bb.42:                               ;   in Loop: Header=BB188_28 Depth=1
	s_add_i32 s26, s26, 8
	s_add_i32 s28, s28, 8
	s_cmp_ge_i32 s28, s25
	ds_write2st64_b64 v160, v[146:147], v[2:3] offset1:4
	ds_write2st64_b64 v161, v[0:1], v[148:149] offset1:4
	s_waitcnt lgkmcnt(0)
	s_barrier
	s_cbranch_scc0 .LBB188_28
	s_branch .LBB188_45
.LBB188_43:                             ;   in Loop: Header=BB188_28 Depth=1
	v_mov_b64_e32 v[148:149], 0
	s_mov_b64 s[12:13], -1
                                        ; implicit-def: $vgpr0_vgpr1_vgpr2_vgpr3
	s_mov_b64 vcc, s[4:5]
                                        ; implicit-def: $vgpr2_vgpr3
	s_cbranch_vccz .LBB188_31
	s_branch .LBB188_30
.LBB188_44:                             ;   in Loop: Header=BB188_28 Depth=1
	v_mov_b64_e32 v[146:147], 0
	s_mov_b64 s[12:13], -1
                                        ; implicit-def: $vgpr0_vgpr1_vgpr2_vgpr3
	s_mov_b64 vcc, s[4:5]
                                        ; implicit-def: $vgpr2_vgpr3
	s_cbranch_vccz .LBB188_38
	s_branch .LBB188_37
.LBB188_45:
	v_mov_b32_e32 v0, 0x1000
	v_lshl_add_u32 v0, v153, 5, v0
	s_mov_b32 s4, 0
.LBB188_46:                             ; =>This Inner Loop Header: Depth=1
	v_add_u32_e32 v1, s4, v0
	v_add_u32_e32 v2, s4, v155
	ds_read2_b64 v[132:135], v1 offset1:16
	ds_read2_b64 v[136:139], v1 offset0:32 offset1:48
	ds_read2_b64 v[140:143], v1 offset0:64 offset1:80
	;; [unrolled: 1-line block ×7, first 2 shown]
	v_add_u32_e32 v1, 0x800, v1
	ds_read2st64_b64 v[168:171], v2 offset1:4
	ds_read2_b64 v[172:175], v1 offset1:16
	ds_read2_b64 v[176:179], v1 offset0:32 offset1:48
	ds_read2_b64 v[180:183], v1 offset0:64 offset1:80
	;; [unrolled: 1-line block ×7, first 2 shown]
	s_waitcnt lgkmcnt(14)
	v_max_f64 v[132:133], v[132:133], v[132:133]
	v_max_f64 v[134:135], v[134:135], v[134:135]
	;; [unrolled: 1-line block ×3, first 2 shown]
	s_waitcnt lgkmcnt(8)
	v_max_f64 v[2:3], v[168:169], v[168:169]
	v_max_f64 v[138:139], v[138:139], v[138:139]
	v_max_f64 v[140:141], v[140:141], v[140:141]
	v_max_f64 v[142:143], v[142:143], v[142:143]
	v_max_f64 v[144:145], v[144:145], v[144:145]
	v_max_f64 v[146:147], v[146:147], v[146:147]
	v_max_f64 v[148:149], v[148:149], v[148:149]
	v_max_f64 v[150:151], v[150:151], v[150:151]
	v_max_f64 v[156:157], v[156:157], v[156:157]
	v_max_f64 v[158:159], v[158:159], v[158:159]
	v_max_f64 v[160:161], v[160:161], v[160:161]
	v_max_f64 v[162:163], v[162:163], v[162:163]
	v_max_f64 v[164:165], v[164:165], v[164:165]
	v_max_f64 v[166:167], v[166:167], v[166:167]
	v_max_f64 v[168:169], v[170:171], v[170:171]
	v_min_f64 v[170:171], v[132:133], v[2:3]
	v_min_f64 v[204:205], v[134:135], v[2:3]
	v_min_f64 v[206:207], v[136:137], v[2:3]
	v_min_f64 v[208:209], v[138:139], v[2:3]
	v_min_f64 v[210:211], v[140:141], v[2:3]
	v_min_f64 v[212:213], v[142:143], v[2:3]
	v_min_f64 v[214:215], v[144:145], v[2:3]
	v_min_f64 v[216:217], v[146:147], v[2:3]
	v_min_f64 v[218:219], v[148:149], v[2:3]
	v_min_f64 v[220:221], v[150:151], v[2:3]
	v_min_f64 v[222:223], v[156:157], v[2:3]
	v_min_f64 v[224:225], v[158:159], v[2:3]
	v_min_f64 v[226:227], v[160:161], v[2:3]
	v_min_f64 v[228:229], v[162:163], v[2:3]
	v_min_f64 v[230:231], v[164:165], v[2:3]
	v_min_f64 v[232:233], v[166:167], v[2:3]
	s_waitcnt lgkmcnt(7)
	v_max_f64 v[172:173], v[172:173], v[172:173]
	v_max_f64 v[174:175], v[174:175], v[174:175]
	s_waitcnt lgkmcnt(6)
	v_max_f64 v[176:177], v[176:177], v[176:177]
	v_max_f64 v[178:179], v[178:179], v[178:179]
	s_waitcnt lgkmcnt(5)
	v_max_f64 v[180:181], v[180:181], v[180:181]
	v_max_f64 v[182:183], v[182:183], v[182:183]
	s_waitcnt lgkmcnt(4)
	v_max_f64 v[184:185], v[184:185], v[184:185]
	v_max_f64 v[186:187], v[186:187], v[186:187]
	s_waitcnt lgkmcnt(3)
	v_max_f64 v[188:189], v[188:189], v[188:189]
	v_max_f64 v[190:191], v[190:191], v[190:191]
	s_waitcnt lgkmcnt(2)
	v_max_f64 v[192:193], v[192:193], v[192:193]
	v_max_f64 v[194:195], v[194:195], v[194:195]
	s_waitcnt lgkmcnt(1)
	v_max_f64 v[196:197], v[196:197], v[196:197]
	v_max_f64 v[198:199], v[198:199], v[198:199]
	s_waitcnt lgkmcnt(0)
	v_max_f64 v[200:201], v[200:201], v[200:201]
	v_max_f64 v[202:203], v[202:203], v[202:203]
	v_min_f64 v[132:133], v[132:133], v[168:169]
	v_min_f64 v[134:135], v[134:135], v[168:169]
	v_min_f64 v[136:137], v[136:137], v[168:169]
	v_min_f64 v[138:139], v[138:139], v[168:169]
	v_min_f64 v[140:141], v[140:141], v[168:169]
	v_min_f64 v[142:143], v[142:143], v[168:169]
	v_min_f64 v[144:145], v[144:145], v[168:169]
	v_min_f64 v[146:147], v[146:147], v[168:169]
	v_min_f64 v[148:149], v[148:149], v[168:169]
	v_min_f64 v[150:151], v[150:151], v[168:169]
	v_min_f64 v[156:157], v[156:157], v[168:169]
	v_min_f64 v[158:159], v[158:159], v[168:169]
	v_min_f64 v[160:161], v[160:161], v[168:169]
	v_min_f64 v[162:163], v[162:163], v[168:169]
	v_min_f64 v[164:165], v[164:165], v[168:169]
	v_min_f64 v[166:167], v[166:167], v[168:169]
	s_add_i32 s4, s4, 8
	v_add_f64 v[124:125], v[124:125], v[170:171]
	v_add_f64 v[130:131], v[130:131], v[204:205]
	;; [unrolled: 1-line block ×15, first 2 shown]
	v_min_f64 v[170:171], v[172:173], v[2:3]
	v_min_f64 v[204:205], v[174:175], v[2:3]
	;; [unrolled: 1-line block ×16, first 2 shown]
	v_add_f64 v[66:67], v[66:67], v[132:133]
	v_add_f64 v[64:65], v[64:65], v[134:135]
	;; [unrolled: 1-line block ×16, first 2 shown]
	v_min_f64 v[132:133], v[172:173], v[168:169]
	v_min_f64 v[134:135], v[174:175], v[168:169]
	;; [unrolled: 1-line block ×16, first 2 shown]
	s_cmp_eq_u32 s4, 32
	v_add_f64 v[100:101], v[100:101], v[232:233]
	v_add_f64 v[98:99], v[98:99], v[170:171]
	;; [unrolled: 1-line block ×33, first 2 shown]
	s_cbranch_scc0 .LBB188_46
; %bb.47:
	s_load_dwordx2 s[6:7], s[0:1], 0x78
	s_load_dword s4, s[0:1], 0x58
	s_load_dword s5, s[0:1], 0x70
	v_add_u32_e32 v170, s24, v152
	v_add_u32_e32 v132, s2, v153
	s_waitcnt lgkmcnt(0)
	s_mul_i32 s1, s7, s3
	s_mul_hi_u32 s7, s6, s3
	s_mul_i32 s0, s6, s3
	s_add_i32 s1, s7, s1
	s_lshl_b64 s[0:1], s[0:1], 3
	s_add_u32 s0, s14, s0
	s_addc_u32 s1, s15, s1
	v_mad_i64_i32 v[2:3], s[2:3], v170, s5, 0
	v_add_u32_e32 v0, 4, v132
	v_lshl_add_u64 v[138:139], v[2:3], 3, s[0:1]
	v_mad_i64_i32 v[2:3], s[2:3], v170, s4, 0
	v_ashrrev_i32_e32 v133, 31, v132
	v_ashrrev_i32_e32 v1, 31, v0
	s_mov_b64 s[2:3], -1
	s_mov_b64 vcc, s[8:9]
	s_cbranch_vccz .LBB188_49
; %bb.48:
	v_add_f64 v[134:135], v[124:125], 0
	v_lshl_add_u64 v[136:137], v[132:133], 3, v[138:139]
	s_mov_b64 s[2:3], 0
	global_store_dwordx2 v[136:137], v[134:135], off
.LBB188_49:
	v_lshl_add_u64 v[146:147], v[2:3], 3, s[18:19]
	v_mov_b64_e32 v[140:141], 0
	s_andn2_b64 vcc, exec, s[2:3]
	v_lshlrev_b64 v[136:137], 3, v[132:133]
	s_cbranch_vccnz .LBB188_51
; %bb.50:
	v_lshl_add_u64 v[2:3], v[146:147], 0, v[136:137]
	global_load_dwordx2 v[2:3], v[2:3], off
	v_lshl_add_u64 v[134:135], v[138:139], 0, v[136:137]
	s_waitcnt vmcnt(0)
	v_fmac_f64_e32 v[124:125], s[10:11], v[2:3]
	global_store_dwordx2 v[134:135], v[124:125], off
	v_lshl_add_u64 v[2:3], v[0:1], 3, v[146:147]
	global_load_dwordx2 v[2:3], v[2:3], off
	s_waitcnt vmcnt(0)
	v_mul_f64 v[140:141], s[10:11], v[2:3]
.LBB188_51:
	v_add_u32_e32 v134, 8, v132
	v_add_u32_e32 v2, 12, v132
	v_ashrrev_i32_e32 v135, 31, v134
	v_ashrrev_i32_e32 v3, 31, v2
	v_add_f64 v[124:125], v[130:131], v[140:141]
	v_lshl_add_u64 v[130:131], v[0:1], 3, v[138:139]
	s_mov_b64 s[2:3], -1
	s_mov_b64 vcc, s[8:9]
	global_store_dwordx2 v[130:131], v[124:125], off
	s_cbranch_vccz .LBB188_53
; %bb.52:
	v_add_f64 v[124:125], v[128:129], 0
	v_lshl_add_u64 v[130:131], v[134:135], 3, v[138:139]
	s_mov_b64 s[2:3], 0
	global_store_dwordx2 v[130:131], v[124:125], off
.LBB188_53:
	v_mov_b64_e32 v[140:141], 0
	s_andn2_b64 vcc, exec, s[2:3]
	v_lshlrev_b64 v[130:131], 3, v[134:135]
	s_cbranch_vccnz .LBB188_55
; %bb.54:
	v_lshl_add_u64 v[124:125], v[146:147], 0, v[130:131]
	global_load_dwordx2 v[124:125], v[124:125], off
	v_lshl_add_u64 v[140:141], v[138:139], 0, v[130:131]
	s_waitcnt vmcnt(0)
	v_fmac_f64_e32 v[128:129], s[10:11], v[124:125]
	global_store_dwordx2 v[140:141], v[128:129], off
	v_lshl_add_u64 v[124:125], v[2:3], 3, v[146:147]
	global_load_dwordx2 v[124:125], v[124:125], off
	s_waitcnt vmcnt(0)
	v_mul_f64 v[140:141], s[10:11], v[124:125]
.LBB188_55:
	v_add_u32_e32 v128, 16, v132
	v_add_u32_e32 v124, 20, v132
	v_ashrrev_i32_e32 v129, 31, v128
	v_ashrrev_i32_e32 v125, 31, v124
	v_add_f64 v[126:127], v[126:127], v[140:141]
	v_lshl_add_u64 v[140:141], v[2:3], 3, v[138:139]
	s_mov_b64 s[2:3], -1
	s_mov_b64 vcc, s[8:9]
	global_store_dwordx2 v[140:141], v[126:127], off
	s_cbranch_vccz .LBB188_57
; %bb.56:
	v_add_f64 v[126:127], v[122:123], 0
	v_lshl_add_u64 v[140:141], v[128:129], 3, v[138:139]
	s_mov_b64 s[2:3], 0
	global_store_dwordx2 v[140:141], v[126:127], off
.LBB188_57:
	v_mov_b64_e32 v[142:143], 0
	s_andn2_b64 vcc, exec, s[2:3]
	v_lshlrev_b64 v[140:141], 3, v[128:129]
	s_cbranch_vccnz .LBB188_59
; %bb.58:
	v_lshl_add_u64 v[126:127], v[146:147], 0, v[140:141]
	global_load_dwordx2 v[126:127], v[126:127], off
	v_lshl_add_u64 v[142:143], v[138:139], 0, v[140:141]
	s_waitcnt vmcnt(0)
	v_fmac_f64_e32 v[122:123], s[10:11], v[126:127]
	global_store_dwordx2 v[142:143], v[122:123], off
	v_lshl_add_u64 v[122:123], v[124:125], 3, v[146:147]
	global_load_dwordx2 v[122:123], v[122:123], off
	s_waitcnt vmcnt(0)
	v_mul_f64 v[142:143], s[10:11], v[122:123]
.LBB188_59:
	v_add_u32_e32 v126, 24, v132
	v_add_u32_e32 v122, 28, v132
	v_ashrrev_i32_e32 v127, 31, v126
	v_ashrrev_i32_e32 v123, 31, v122
	v_add_f64 v[120:121], v[120:121], v[142:143]
	v_lshl_add_u64 v[142:143], v[124:125], 3, v[138:139]
	s_mov_b64 s[2:3], -1
	s_mov_b64 vcc, s[8:9]
	global_store_dwordx2 v[142:143], v[120:121], off
	s_cbranch_vccz .LBB188_61
; %bb.60:
	v_add_f64 v[120:121], v[118:119], 0
	v_lshl_add_u64 v[142:143], v[126:127], 3, v[138:139]
	s_mov_b64 s[2:3], 0
	global_store_dwordx2 v[142:143], v[120:121], off
.LBB188_61:
	v_mov_b64_e32 v[144:145], 0
	s_andn2_b64 vcc, exec, s[2:3]
	v_lshlrev_b64 v[142:143], 3, v[126:127]
	s_cbranch_vccnz .LBB188_63
; %bb.62:
	v_lshl_add_u64 v[120:121], v[146:147], 0, v[142:143]
	global_load_dwordx2 v[120:121], v[120:121], off
	v_lshl_add_u64 v[144:145], v[138:139], 0, v[142:143]
	s_waitcnt vmcnt(0)
	v_fmac_f64_e32 v[118:119], s[10:11], v[120:121]
	global_store_dwordx2 v[144:145], v[118:119], off
	v_lshl_add_u64 v[118:119], v[122:123], 3, v[146:147]
	global_load_dwordx2 v[118:119], v[118:119], off
	s_waitcnt vmcnt(0)
	v_mul_f64 v[144:145], s[10:11], v[118:119]
.LBB188_63:
	v_add_u32_e32 v120, 32, v132
	v_add_u32_e32 v118, 36, v132
	v_ashrrev_i32_e32 v121, 31, v120
	v_ashrrev_i32_e32 v119, 31, v118
	v_add_f64 v[116:117], v[116:117], v[144:145]
	v_lshl_add_u64 v[144:145], v[122:123], 3, v[138:139]
	s_mov_b64 s[2:3], -1
	s_mov_b64 vcc, s[8:9]
	global_store_dwordx2 v[144:145], v[116:117], off
	s_cbranch_vccz .LBB188_65
; %bb.64:
	v_add_f64 v[116:117], v[114:115], 0
	v_lshl_add_u64 v[144:145], v[120:121], 3, v[138:139]
	s_mov_b64 s[2:3], 0
	global_store_dwordx2 v[144:145], v[116:117], off
.LBB188_65:
	v_mov_b64_e32 v[148:149], 0
	s_andn2_b64 vcc, exec, s[2:3]
	v_lshlrev_b64 v[144:145], 3, v[120:121]
	s_cbranch_vccnz .LBB188_67
; %bb.66:
	v_lshl_add_u64 v[116:117], v[146:147], 0, v[144:145]
	global_load_dwordx2 v[116:117], v[116:117], off
	v_lshl_add_u64 v[148:149], v[138:139], 0, v[144:145]
	s_waitcnt vmcnt(0)
	v_fmac_f64_e32 v[114:115], s[10:11], v[116:117]
	global_store_dwordx2 v[148:149], v[114:115], off
	v_lshl_add_u64 v[114:115], v[118:119], 3, v[146:147]
	global_load_dwordx2 v[114:115], v[114:115], off
	s_waitcnt vmcnt(0)
	v_mul_f64 v[148:149], s[10:11], v[114:115]
.LBB188_67:
	v_add_u32_e32 v116, 40, v132
	v_add_u32_e32 v114, 44, v132
	v_ashrrev_i32_e32 v117, 31, v116
	v_ashrrev_i32_e32 v115, 31, v114
	v_add_f64 v[112:113], v[112:113], v[148:149]
	v_lshl_add_u64 v[148:149], v[118:119], 3, v[138:139]
	s_mov_b64 s[2:3], -1
	s_mov_b64 vcc, s[8:9]
	global_store_dwordx2 v[148:149], v[112:113], off
	s_cbranch_vccz .LBB188_69
; %bb.68:
	v_add_f64 v[112:113], v[110:111], 0
	v_lshl_add_u64 v[148:149], v[116:117], 3, v[138:139]
	s_mov_b64 s[2:3], 0
	global_store_dwordx2 v[148:149], v[112:113], off
.LBB188_69:
	v_mov_b64_e32 v[150:151], 0
	s_andn2_b64 vcc, exec, s[2:3]
	v_lshlrev_b64 v[148:149], 3, v[116:117]
	s_cbranch_vccnz .LBB188_71
; %bb.70:
	v_lshl_add_u64 v[112:113], v[146:147], 0, v[148:149]
	global_load_dwordx2 v[112:113], v[112:113], off
	v_lshl_add_u64 v[150:151], v[138:139], 0, v[148:149]
	s_waitcnt vmcnt(0)
	v_fmac_f64_e32 v[110:111], s[10:11], v[112:113]
	global_store_dwordx2 v[150:151], v[110:111], off
	v_lshl_add_u64 v[110:111], v[114:115], 3, v[146:147]
	global_load_dwordx2 v[110:111], v[110:111], off
	s_waitcnt vmcnt(0)
	v_mul_f64 v[150:151], s[10:11], v[110:111]
.LBB188_71:
	v_add_u32_e32 v112, 48, v132
	v_add_u32_e32 v110, 52, v132
	v_ashrrev_i32_e32 v113, 31, v112
	v_ashrrev_i32_e32 v111, 31, v110
	v_add_f64 v[108:109], v[108:109], v[150:151]
	v_lshl_add_u64 v[150:151], v[114:115], 3, v[138:139]
	s_mov_b64 s[2:3], -1
	s_mov_b64 vcc, s[8:9]
	global_store_dwordx2 v[150:151], v[108:109], off
	s_cbranch_vccz .LBB188_73
; %bb.72:
	v_add_f64 v[108:109], v[106:107], 0
	v_lshl_add_u64 v[150:151], v[112:113], 3, v[138:139]
	s_mov_b64 s[2:3], 0
	global_store_dwordx2 v[150:151], v[108:109], off
.LBB188_73:
	v_mov_b64_e32 v[152:153], 0
	s_andn2_b64 vcc, exec, s[2:3]
	v_lshlrev_b64 v[150:151], 3, v[112:113]
	s_cbranch_vccnz .LBB188_75
; %bb.74:
	v_lshl_add_u64 v[108:109], v[146:147], 0, v[150:151]
	global_load_dwordx2 v[108:109], v[108:109], off
	v_lshl_add_u64 v[152:153], v[138:139], 0, v[150:151]
	s_waitcnt vmcnt(0)
	v_fmac_f64_e32 v[106:107], s[10:11], v[108:109]
	global_store_dwordx2 v[152:153], v[106:107], off
	v_lshl_add_u64 v[106:107], v[110:111], 3, v[146:147]
	global_load_dwordx2 v[106:107], v[106:107], off
	s_waitcnt vmcnt(0)
	v_mul_f64 v[152:153], s[10:11], v[106:107]
.LBB188_75:
	v_add_u32_e32 v108, 56, v132
	v_add_u32_e32 v106, 60, v132
	v_ashrrev_i32_e32 v109, 31, v108
	v_ashrrev_i32_e32 v107, 31, v106
	v_add_f64 v[104:105], v[104:105], v[152:153]
	v_lshl_add_u64 v[152:153], v[110:111], 3, v[138:139]
	s_mov_b64 s[2:3], -1
	s_mov_b64 vcc, s[8:9]
	global_store_dwordx2 v[152:153], v[104:105], off
	s_cbranch_vccz .LBB188_77
; %bb.76:
	v_add_f64 v[104:105], v[102:103], 0
	v_lshl_add_u64 v[152:153], v[108:109], 3, v[138:139]
	s_mov_b64 s[2:3], 0
	global_store_dwordx2 v[152:153], v[104:105], off
.LBB188_77:
	v_mov_b64_e32 v[154:155], 0
	s_andn2_b64 vcc, exec, s[2:3]
	v_lshlrev_b64 v[152:153], 3, v[108:109]
	s_cbranch_vccnz .LBB188_79
; %bb.78:
	v_lshl_add_u64 v[104:105], v[146:147], 0, v[152:153]
	global_load_dwordx2 v[104:105], v[104:105], off
	v_lshl_add_u64 v[154:155], v[138:139], 0, v[152:153]
	s_waitcnt vmcnt(0)
	v_fmac_f64_e32 v[102:103], s[10:11], v[104:105]
	global_store_dwordx2 v[154:155], v[102:103], off
	v_lshl_add_u64 v[102:103], v[106:107], 3, v[146:147]
	global_load_dwordx2 v[102:103], v[102:103], off
	s_waitcnt vmcnt(0)
	v_mul_f64 v[154:155], s[10:11], v[102:103]
.LBB188_79:
	v_add_u32_e32 v104, 64, v132
	v_add_u32_e32 v102, 0x44, v132
	v_ashrrev_i32_e32 v105, 31, v104
	v_ashrrev_i32_e32 v103, 31, v102
	v_add_f64 v[100:101], v[100:101], v[154:155]
	v_lshl_add_u64 v[154:155], v[106:107], 3, v[138:139]
	s_mov_b64 s[2:3], -1
	s_mov_b64 vcc, s[8:9]
	global_store_dwordx2 v[154:155], v[100:101], off
	s_cbranch_vccz .LBB188_81
; %bb.80:
	v_add_f64 v[100:101], v[98:99], 0
	v_lshl_add_u64 v[154:155], v[104:105], 3, v[138:139]
	s_mov_b64 s[2:3], 0
	global_store_dwordx2 v[154:155], v[100:101], off
.LBB188_81:
	v_mov_b64_e32 v[156:157], 0
	s_andn2_b64 vcc, exec, s[2:3]
	v_lshlrev_b64 v[154:155], 3, v[104:105]
	s_cbranch_vccnz .LBB188_83
; %bb.82:
	v_lshl_add_u64 v[100:101], v[146:147], 0, v[154:155]
	global_load_dwordx2 v[100:101], v[100:101], off
	v_lshl_add_u64 v[156:157], v[138:139], 0, v[154:155]
	s_waitcnt vmcnt(0)
	v_fmac_f64_e32 v[98:99], s[10:11], v[100:101]
	global_store_dwordx2 v[156:157], v[98:99], off
	v_lshl_add_u64 v[98:99], v[102:103], 3, v[146:147]
	global_load_dwordx2 v[98:99], v[98:99], off
	s_waitcnt vmcnt(0)
	v_mul_f64 v[156:157], s[10:11], v[98:99]
.LBB188_83:
	v_add_u32_e32 v100, 0x48, v132
	v_add_u32_e32 v98, 0x4c, v132
	v_ashrrev_i32_e32 v101, 31, v100
	v_ashrrev_i32_e32 v99, 31, v98
	v_add_f64 v[96:97], v[96:97], v[156:157]
	v_lshl_add_u64 v[156:157], v[102:103], 3, v[138:139]
	s_mov_b64 s[2:3], -1
	s_mov_b64 vcc, s[8:9]
	global_store_dwordx2 v[156:157], v[96:97], off
	s_cbranch_vccz .LBB188_85
; %bb.84:
	v_add_f64 v[96:97], v[94:95], 0
	v_lshl_add_u64 v[156:157], v[100:101], 3, v[138:139]
	s_mov_b64 s[2:3], 0
	global_store_dwordx2 v[156:157], v[96:97], off
.LBB188_85:
	v_mov_b64_e32 v[158:159], 0
	s_andn2_b64 vcc, exec, s[2:3]
	v_lshlrev_b64 v[156:157], 3, v[100:101]
	s_cbranch_vccnz .LBB188_87
; %bb.86:
	v_lshl_add_u64 v[96:97], v[146:147], 0, v[156:157]
	global_load_dwordx2 v[96:97], v[96:97], off
	v_lshl_add_u64 v[158:159], v[138:139], 0, v[156:157]
	s_waitcnt vmcnt(0)
	v_fmac_f64_e32 v[94:95], s[10:11], v[96:97]
	global_store_dwordx2 v[158:159], v[94:95], off
	v_lshl_add_u64 v[94:95], v[98:99], 3, v[146:147]
	global_load_dwordx2 v[94:95], v[94:95], off
	s_waitcnt vmcnt(0)
	v_mul_f64 v[158:159], s[10:11], v[94:95]
.LBB188_87:
	v_add_u32_e32 v96, 0x50, v132
	v_add_u32_e32 v94, 0x54, v132
	v_ashrrev_i32_e32 v97, 31, v96
	v_ashrrev_i32_e32 v95, 31, v94
	v_add_f64 v[92:93], v[92:93], v[158:159]
	v_lshl_add_u64 v[158:159], v[98:99], 3, v[138:139]
	s_mov_b64 s[2:3], -1
	s_mov_b64 vcc, s[8:9]
	global_store_dwordx2 v[158:159], v[92:93], off
	s_cbranch_vccz .LBB188_89
; %bb.88:
	v_add_f64 v[92:93], v[90:91], 0
	v_lshl_add_u64 v[158:159], v[96:97], 3, v[138:139]
	s_mov_b64 s[2:3], 0
	global_store_dwordx2 v[158:159], v[92:93], off
.LBB188_89:
	v_mov_b64_e32 v[160:161], 0
	s_andn2_b64 vcc, exec, s[2:3]
	v_lshlrev_b64 v[158:159], 3, v[96:97]
	s_cbranch_vccnz .LBB188_91
; %bb.90:
	v_lshl_add_u64 v[92:93], v[146:147], 0, v[158:159]
	global_load_dwordx2 v[92:93], v[92:93], off
	v_lshl_add_u64 v[160:161], v[138:139], 0, v[158:159]
	s_waitcnt vmcnt(0)
	v_fmac_f64_e32 v[90:91], s[10:11], v[92:93]
	global_store_dwordx2 v[160:161], v[90:91], off
	v_lshl_add_u64 v[90:91], v[94:95], 3, v[146:147]
	global_load_dwordx2 v[90:91], v[90:91], off
	s_waitcnt vmcnt(0)
	v_mul_f64 v[160:161], s[10:11], v[90:91]
.LBB188_91:
	v_add_u32_e32 v92, 0x58, v132
	v_add_u32_e32 v90, 0x5c, v132
	v_ashrrev_i32_e32 v93, 31, v92
	v_ashrrev_i32_e32 v91, 31, v90
	v_add_f64 v[88:89], v[88:89], v[160:161]
	v_lshl_add_u64 v[160:161], v[94:95], 3, v[138:139]
	s_mov_b64 s[2:3], -1
	s_mov_b64 vcc, s[8:9]
	global_store_dwordx2 v[160:161], v[88:89], off
	s_cbranch_vccz .LBB188_93
; %bb.92:
	v_add_f64 v[88:89], v[86:87], 0
	v_lshl_add_u64 v[160:161], v[92:93], 3, v[138:139]
	s_mov_b64 s[2:3], 0
	global_store_dwordx2 v[160:161], v[88:89], off
.LBB188_93:
	v_mov_b64_e32 v[162:163], 0
	s_andn2_b64 vcc, exec, s[2:3]
	v_lshlrev_b64 v[160:161], 3, v[92:93]
	s_cbranch_vccnz .LBB188_95
; %bb.94:
	v_lshl_add_u64 v[88:89], v[146:147], 0, v[160:161]
	global_load_dwordx2 v[88:89], v[88:89], off
	v_lshl_add_u64 v[162:163], v[138:139], 0, v[160:161]
	s_waitcnt vmcnt(0)
	v_fmac_f64_e32 v[86:87], s[10:11], v[88:89]
	global_store_dwordx2 v[162:163], v[86:87], off
	v_lshl_add_u64 v[86:87], v[90:91], 3, v[146:147]
	global_load_dwordx2 v[86:87], v[86:87], off
	s_waitcnt vmcnt(0)
	v_mul_f64 v[162:163], s[10:11], v[86:87]
.LBB188_95:
	v_add_u32_e32 v88, 0x60, v132
	v_add_u32_e32 v86, 0x64, v132
	v_ashrrev_i32_e32 v89, 31, v88
	v_ashrrev_i32_e32 v87, 31, v86
	v_add_f64 v[84:85], v[84:85], v[162:163]
	v_lshl_add_u64 v[162:163], v[90:91], 3, v[138:139]
	s_mov_b64 s[2:3], -1
	s_mov_b64 vcc, s[8:9]
	global_store_dwordx2 v[162:163], v[84:85], off
	s_cbranch_vccz .LBB188_97
; %bb.96:
	v_add_f64 v[84:85], v[82:83], 0
	v_lshl_add_u64 v[162:163], v[88:89], 3, v[138:139]
	s_mov_b64 s[2:3], 0
	global_store_dwordx2 v[162:163], v[84:85], off
.LBB188_97:
	v_mov_b64_e32 v[164:165], 0
	s_andn2_b64 vcc, exec, s[2:3]
	v_lshlrev_b64 v[162:163], 3, v[88:89]
	s_cbranch_vccnz .LBB188_99
; %bb.98:
	v_lshl_add_u64 v[84:85], v[146:147], 0, v[162:163]
	global_load_dwordx2 v[84:85], v[84:85], off
	v_lshl_add_u64 v[164:165], v[138:139], 0, v[162:163]
	s_waitcnt vmcnt(0)
	v_fmac_f64_e32 v[82:83], s[10:11], v[84:85]
	global_store_dwordx2 v[164:165], v[82:83], off
	v_lshl_add_u64 v[82:83], v[86:87], 3, v[146:147]
	global_load_dwordx2 v[82:83], v[82:83], off
	s_waitcnt vmcnt(0)
	v_mul_f64 v[164:165], s[10:11], v[82:83]
.LBB188_99:
	v_add_u32_e32 v84, 0x68, v132
	v_add_u32_e32 v82, 0x6c, v132
	v_ashrrev_i32_e32 v85, 31, v84
	v_ashrrev_i32_e32 v83, 31, v82
	v_add_f64 v[80:81], v[80:81], v[164:165]
	v_lshl_add_u64 v[164:165], v[86:87], 3, v[138:139]
	s_mov_b64 s[2:3], -1
	s_mov_b64 vcc, s[8:9]
	global_store_dwordx2 v[164:165], v[80:81], off
	s_cbranch_vccz .LBB188_101
; %bb.100:
	v_add_f64 v[80:81], v[78:79], 0
	v_lshl_add_u64 v[164:165], v[84:85], 3, v[138:139]
	s_mov_b64 s[2:3], 0
	global_store_dwordx2 v[164:165], v[80:81], off
.LBB188_101:
	v_mov_b64_e32 v[166:167], 0
	s_andn2_b64 vcc, exec, s[2:3]
	v_lshlrev_b64 v[164:165], 3, v[84:85]
	s_cbranch_vccnz .LBB188_103
; %bb.102:
	v_lshl_add_u64 v[80:81], v[146:147], 0, v[164:165]
	global_load_dwordx2 v[80:81], v[80:81], off
	v_lshl_add_u64 v[166:167], v[138:139], 0, v[164:165]
	s_waitcnt vmcnt(0)
	v_fmac_f64_e32 v[78:79], s[10:11], v[80:81]
	global_store_dwordx2 v[166:167], v[78:79], off
	v_lshl_add_u64 v[78:79], v[82:83], 3, v[146:147]
	global_load_dwordx2 v[78:79], v[78:79], off
	s_waitcnt vmcnt(0)
	v_mul_f64 v[166:167], s[10:11], v[78:79]
.LBB188_103:
	v_add_u32_e32 v80, 0x70, v132
	v_add_u32_e32 v78, 0x74, v132
	v_ashrrev_i32_e32 v81, 31, v80
	v_ashrrev_i32_e32 v79, 31, v78
	v_add_f64 v[76:77], v[76:77], v[166:167]
	v_lshl_add_u64 v[166:167], v[82:83], 3, v[138:139]
	s_mov_b64 s[2:3], -1
	s_mov_b64 vcc, s[8:9]
	global_store_dwordx2 v[166:167], v[76:77], off
	s_cbranch_vccz .LBB188_105
; %bb.104:
	v_add_f64 v[76:77], v[74:75], 0
	v_lshl_add_u64 v[166:167], v[80:81], 3, v[138:139]
	s_mov_b64 s[2:3], 0
	global_store_dwordx2 v[166:167], v[76:77], off
.LBB188_105:
	v_mov_b64_e32 v[168:169], 0
	s_andn2_b64 vcc, exec, s[2:3]
	v_lshlrev_b64 v[166:167], 3, v[80:81]
	s_cbranch_vccnz .LBB188_107
; %bb.106:
	v_lshl_add_u64 v[76:77], v[146:147], 0, v[166:167]
	global_load_dwordx2 v[76:77], v[76:77], off
	v_lshl_add_u64 v[168:169], v[138:139], 0, v[166:167]
	s_waitcnt vmcnt(0)
	v_fmac_f64_e32 v[74:75], s[10:11], v[76:77]
	global_store_dwordx2 v[168:169], v[74:75], off
	v_lshl_add_u64 v[74:75], v[78:79], 3, v[146:147]
	global_load_dwordx2 v[74:75], v[74:75], off
	s_waitcnt vmcnt(0)
	v_mul_f64 v[168:169], s[10:11], v[74:75]
.LBB188_107:
	v_add_u32_e32 v76, 0x78, v132
	v_add_u32_e32 v74, 0x7c, v132
	v_ashrrev_i32_e32 v77, 31, v76
	v_ashrrev_i32_e32 v75, 31, v74
	v_add_f64 v[72:73], v[72:73], v[168:169]
	v_lshl_add_u64 v[168:169], v[78:79], 3, v[138:139]
	s_mov_b64 s[2:3], -1
	s_mov_b64 vcc, s[8:9]
	global_store_dwordx2 v[168:169], v[72:73], off
	s_cbranch_vccz .LBB188_109
; %bb.108:
	v_add_f64 v[72:73], v[70:71], 0
	v_lshl_add_u64 v[168:169], v[76:77], 3, v[138:139]
	s_mov_b64 s[2:3], 0
	global_store_dwordx2 v[168:169], v[72:73], off
.LBB188_109:
	v_mov_b64_e32 v[168:169], 0
	s_andn2_b64 vcc, exec, s[2:3]
	v_lshlrev_b64 v[72:73], 3, v[76:77]
	s_cbranch_vccnz .LBB188_111
; %bb.110:
	v_lshl_add_u64 v[168:169], v[146:147], 0, v[72:73]
	global_load_dwordx2 v[168:169], v[168:169], off
	v_lshl_add_u64 v[172:173], v[138:139], 0, v[72:73]
	s_waitcnt vmcnt(0)
	v_fmac_f64_e32 v[70:71], s[10:11], v[168:169]
	global_store_dwordx2 v[172:173], v[70:71], off
	v_lshl_add_u64 v[70:71], v[74:75], 3, v[146:147]
	global_load_dwordx2 v[70:71], v[70:71], off
	s_waitcnt vmcnt(0)
	v_mul_f64 v[168:169], s[10:11], v[70:71]
.LBB188_111:
	v_add_f64 v[68:69], v[68:69], v[168:169]
	v_lshl_add_u64 v[70:71], v[74:75], 3, v[138:139]
	global_store_dwordx2 v[70:71], v[68:69], off
	v_add_u32_e32 v70, 64, v170
	v_mad_i64_i32 v[68:69], s[2:3], v70, s5, 0
	v_lshl_add_u64 v[68:69], v[68:69], 3, s[0:1]
	v_mad_i64_i32 v[70:71], s[0:1], v70, s4, 0
	s_mov_b64 s[0:1], -1
	s_mov_b64 vcc, s[8:9]
	s_cbranch_vccz .LBB188_113
; %bb.112:
	v_add_f64 v[138:139], v[66:67], 0
	v_lshl_add_u64 v[132:133], v[132:133], 3, v[68:69]
	s_mov_b64 s[0:1], 0
	global_store_dwordx2 v[132:133], v[138:139], off
.LBB188_113:
	v_lshl_add_u64 v[70:71], v[70:71], 3, s[18:19]
	s_andn2_b64 vcc, exec, s[0:1]
	v_mov_b64_e32 v[132:133], 0
	s_cbranch_vccnz .LBB188_115
; %bb.114:
	v_lshl_add_u64 v[132:133], v[70:71], 0, v[136:137]
	global_load_dwordx2 v[132:133], v[132:133], off
	v_lshl_add_u64 v[136:137], v[68:69], 0, v[136:137]
	s_waitcnt vmcnt(0)
	v_fmac_f64_e32 v[66:67], s[10:11], v[132:133]
	global_store_dwordx2 v[136:137], v[66:67], off
	v_lshl_add_u64 v[66:67], v[0:1], 3, v[70:71]
	global_load_dwordx2 v[66:67], v[66:67], off
	s_waitcnt vmcnt(0)
	v_mul_f64 v[132:133], s[10:11], v[66:67]
.LBB188_115:
	v_add_f64 v[64:65], v[64:65], v[132:133]
	v_lshl_add_u64 v[0:1], v[0:1], 3, v[68:69]
	s_mov_b64 s[0:1], -1
	s_mov_b64 vcc, s[8:9]
	global_store_dwordx2 v[0:1], v[64:65], off
	s_cbranch_vccz .LBB188_117
; %bb.116:
	v_add_f64 v[0:1], v[62:63], 0
	v_lshl_add_u64 v[64:65], v[134:135], 3, v[68:69]
	s_mov_b64 s[0:1], 0
	global_store_dwordx2 v[64:65], v[0:1], off
.LBB188_117:
	s_andn2_b64 vcc, exec, s[0:1]
	v_mov_b64_e32 v[0:1], 0
	s_cbranch_vccnz .LBB188_119
; %bb.118:
	v_lshl_add_u64 v[0:1], v[70:71], 0, v[130:131]
	global_load_dwordx2 v[0:1], v[0:1], off
	v_lshl_add_u64 v[64:65], v[68:69], 0, v[130:131]
	s_waitcnt vmcnt(0)
	v_fmac_f64_e32 v[62:63], s[10:11], v[0:1]
	global_store_dwordx2 v[64:65], v[62:63], off
	v_lshl_add_u64 v[0:1], v[2:3], 3, v[70:71]
	global_load_dwordx2 v[0:1], v[0:1], off
	s_waitcnt vmcnt(0)
	v_mul_f64 v[0:1], s[10:11], v[0:1]
.LBB188_119:
	v_add_f64 v[0:1], v[60:61], v[0:1]
	v_lshl_add_u64 v[2:3], v[2:3], 3, v[68:69]
	s_mov_b64 s[0:1], -1
	s_mov_b64 vcc, s[8:9]
	global_store_dwordx2 v[2:3], v[0:1], off
	s_cbranch_vccz .LBB188_121
; %bb.120:
	v_add_f64 v[0:1], v[58:59], 0
	v_lshl_add_u64 v[2:3], v[128:129], 3, v[68:69]
	s_mov_b64 s[0:1], 0
	global_store_dwordx2 v[2:3], v[0:1], off
.LBB188_121:
	s_andn2_b64 vcc, exec, s[0:1]
	v_mov_b64_e32 v[0:1], 0
	s_cbranch_vccnz .LBB188_123
; %bb.122:
	v_lshl_add_u64 v[0:1], v[70:71], 0, v[140:141]
	global_load_dwordx2 v[0:1], v[0:1], off
	v_lshl_add_u64 v[2:3], v[68:69], 0, v[140:141]
	s_waitcnt vmcnt(0)
	v_fmac_f64_e32 v[58:59], s[10:11], v[0:1]
	global_store_dwordx2 v[2:3], v[58:59], off
	v_lshl_add_u64 v[0:1], v[124:125], 3, v[70:71]
	global_load_dwordx2 v[0:1], v[0:1], off
	s_waitcnt vmcnt(0)
	v_mul_f64 v[0:1], s[10:11], v[0:1]
.LBB188_123:
	v_add_f64 v[0:1], v[56:57], v[0:1]
	v_lshl_add_u64 v[2:3], v[124:125], 3, v[68:69]
	s_mov_b64 s[0:1], -1
	s_mov_b64 vcc, s[8:9]
	global_store_dwordx2 v[2:3], v[0:1], off
	s_cbranch_vccz .LBB188_125
; %bb.124:
	v_add_f64 v[0:1], v[54:55], 0
	v_lshl_add_u64 v[2:3], v[126:127], 3, v[68:69]
	s_mov_b64 s[0:1], 0
	global_store_dwordx2 v[2:3], v[0:1], off
.LBB188_125:
	s_andn2_b64 vcc, exec, s[0:1]
	v_mov_b64_e32 v[0:1], 0
	s_cbranch_vccnz .LBB188_127
; %bb.126:
	v_lshl_add_u64 v[0:1], v[70:71], 0, v[142:143]
	global_load_dwordx2 v[0:1], v[0:1], off
	v_lshl_add_u64 v[2:3], v[68:69], 0, v[142:143]
	s_waitcnt vmcnt(0)
	v_fmac_f64_e32 v[54:55], s[10:11], v[0:1]
	global_store_dwordx2 v[2:3], v[54:55], off
	v_lshl_add_u64 v[0:1], v[122:123], 3, v[70:71]
	global_load_dwordx2 v[0:1], v[0:1], off
	s_waitcnt vmcnt(0)
	v_mul_f64 v[0:1], s[10:11], v[0:1]
.LBB188_127:
	v_add_f64 v[0:1], v[52:53], v[0:1]
	v_lshl_add_u64 v[2:3], v[122:123], 3, v[68:69]
	s_mov_b64 s[0:1], -1
	s_mov_b64 vcc, s[8:9]
	global_store_dwordx2 v[2:3], v[0:1], off
	s_cbranch_vccz .LBB188_129
; %bb.128:
	v_add_f64 v[0:1], v[50:51], 0
	v_lshl_add_u64 v[2:3], v[120:121], 3, v[68:69]
	s_mov_b64 s[0:1], 0
	global_store_dwordx2 v[2:3], v[0:1], off
.LBB188_129:
	s_andn2_b64 vcc, exec, s[0:1]
	v_mov_b64_e32 v[0:1], 0
	s_cbranch_vccnz .LBB188_131
; %bb.130:
	v_lshl_add_u64 v[0:1], v[70:71], 0, v[144:145]
	global_load_dwordx2 v[0:1], v[0:1], off
	v_lshl_add_u64 v[2:3], v[68:69], 0, v[144:145]
	s_waitcnt vmcnt(0)
	v_fmac_f64_e32 v[50:51], s[10:11], v[0:1]
	global_store_dwordx2 v[2:3], v[50:51], off
	v_lshl_add_u64 v[0:1], v[118:119], 3, v[70:71]
	global_load_dwordx2 v[0:1], v[0:1], off
	s_waitcnt vmcnt(0)
	v_mul_f64 v[0:1], s[10:11], v[0:1]
.LBB188_131:
	v_add_f64 v[0:1], v[48:49], v[0:1]
	v_lshl_add_u64 v[2:3], v[118:119], 3, v[68:69]
	s_mov_b64 s[0:1], -1
	s_mov_b64 vcc, s[8:9]
	global_store_dwordx2 v[2:3], v[0:1], off
	s_cbranch_vccz .LBB188_133
; %bb.132:
	v_add_f64 v[0:1], v[46:47], 0
	v_lshl_add_u64 v[2:3], v[116:117], 3, v[68:69]
	s_mov_b64 s[0:1], 0
	global_store_dwordx2 v[2:3], v[0:1], off
.LBB188_133:
	s_andn2_b64 vcc, exec, s[0:1]
	v_mov_b64_e32 v[0:1], 0
	s_cbranch_vccnz .LBB188_135
; %bb.134:
	v_lshl_add_u64 v[0:1], v[70:71], 0, v[148:149]
	global_load_dwordx2 v[0:1], v[0:1], off
	v_lshl_add_u64 v[2:3], v[68:69], 0, v[148:149]
	s_waitcnt vmcnt(0)
	v_fmac_f64_e32 v[46:47], s[10:11], v[0:1]
	global_store_dwordx2 v[2:3], v[46:47], off
	v_lshl_add_u64 v[0:1], v[114:115], 3, v[70:71]
	global_load_dwordx2 v[0:1], v[0:1], off
	s_waitcnt vmcnt(0)
	v_mul_f64 v[0:1], s[10:11], v[0:1]
.LBB188_135:
	v_add_f64 v[0:1], v[44:45], v[0:1]
	v_lshl_add_u64 v[2:3], v[114:115], 3, v[68:69]
	s_mov_b64 s[0:1], -1
	s_mov_b64 vcc, s[8:9]
	global_store_dwordx2 v[2:3], v[0:1], off
	s_cbranch_vccz .LBB188_137
; %bb.136:
	v_add_f64 v[0:1], v[42:43], 0
	v_lshl_add_u64 v[2:3], v[112:113], 3, v[68:69]
	s_mov_b64 s[0:1], 0
	global_store_dwordx2 v[2:3], v[0:1], off
.LBB188_137:
	s_andn2_b64 vcc, exec, s[0:1]
	v_mov_b64_e32 v[0:1], 0
	s_cbranch_vccnz .LBB188_139
; %bb.138:
	v_lshl_add_u64 v[0:1], v[70:71], 0, v[150:151]
	global_load_dwordx2 v[0:1], v[0:1], off
	v_lshl_add_u64 v[2:3], v[68:69], 0, v[150:151]
	s_waitcnt vmcnt(0)
	v_fmac_f64_e32 v[42:43], s[10:11], v[0:1]
	global_store_dwordx2 v[2:3], v[42:43], off
	v_lshl_add_u64 v[0:1], v[110:111], 3, v[70:71]
	global_load_dwordx2 v[0:1], v[0:1], off
	s_waitcnt vmcnt(0)
	v_mul_f64 v[0:1], s[10:11], v[0:1]
.LBB188_139:
	v_add_f64 v[0:1], v[40:41], v[0:1]
	v_lshl_add_u64 v[2:3], v[110:111], 3, v[68:69]
	s_mov_b64 s[0:1], -1
	s_mov_b64 vcc, s[8:9]
	global_store_dwordx2 v[2:3], v[0:1], off
	s_cbranch_vccz .LBB188_141
; %bb.140:
	v_add_f64 v[0:1], v[38:39], 0
	v_lshl_add_u64 v[2:3], v[108:109], 3, v[68:69]
	s_mov_b64 s[0:1], 0
	global_store_dwordx2 v[2:3], v[0:1], off
.LBB188_141:
	s_andn2_b64 vcc, exec, s[0:1]
	v_mov_b64_e32 v[0:1], 0
	s_cbranch_vccnz .LBB188_143
; %bb.142:
	v_lshl_add_u64 v[0:1], v[70:71], 0, v[152:153]
	global_load_dwordx2 v[0:1], v[0:1], off
	v_lshl_add_u64 v[2:3], v[68:69], 0, v[152:153]
	s_waitcnt vmcnt(0)
	v_fmac_f64_e32 v[38:39], s[10:11], v[0:1]
	global_store_dwordx2 v[2:3], v[38:39], off
	v_lshl_add_u64 v[0:1], v[106:107], 3, v[70:71]
	global_load_dwordx2 v[0:1], v[0:1], off
	s_waitcnt vmcnt(0)
	v_mul_f64 v[0:1], s[10:11], v[0:1]
.LBB188_143:
	v_add_f64 v[0:1], v[36:37], v[0:1]
	v_lshl_add_u64 v[2:3], v[106:107], 3, v[68:69]
	s_mov_b64 s[0:1], -1
	s_mov_b64 vcc, s[8:9]
	global_store_dwordx2 v[2:3], v[0:1], off
	s_cbranch_vccz .LBB188_145
; %bb.144:
	v_add_f64 v[0:1], v[34:35], 0
	v_lshl_add_u64 v[2:3], v[104:105], 3, v[68:69]
	s_mov_b64 s[0:1], 0
	global_store_dwordx2 v[2:3], v[0:1], off
.LBB188_145:
	s_andn2_b64 vcc, exec, s[0:1]
	v_mov_b64_e32 v[0:1], 0
	s_cbranch_vccnz .LBB188_147
; %bb.146:
	v_lshl_add_u64 v[0:1], v[70:71], 0, v[154:155]
	global_load_dwordx2 v[0:1], v[0:1], off
	v_lshl_add_u64 v[2:3], v[68:69], 0, v[154:155]
	s_waitcnt vmcnt(0)
	v_fmac_f64_e32 v[34:35], s[10:11], v[0:1]
	global_store_dwordx2 v[2:3], v[34:35], off
	v_lshl_add_u64 v[0:1], v[102:103], 3, v[70:71]
	global_load_dwordx2 v[0:1], v[0:1], off
	s_waitcnt vmcnt(0)
	v_mul_f64 v[0:1], s[10:11], v[0:1]
.LBB188_147:
	v_add_f64 v[0:1], v[32:33], v[0:1]
	v_lshl_add_u64 v[2:3], v[102:103], 3, v[68:69]
	s_mov_b64 s[0:1], -1
	s_mov_b64 vcc, s[8:9]
	global_store_dwordx2 v[2:3], v[0:1], off
	s_cbranch_vccz .LBB188_149
; %bb.148:
	v_add_f64 v[0:1], v[30:31], 0
	v_lshl_add_u64 v[2:3], v[100:101], 3, v[68:69]
	s_mov_b64 s[0:1], 0
	global_store_dwordx2 v[2:3], v[0:1], off
.LBB188_149:
	s_andn2_b64 vcc, exec, s[0:1]
	v_mov_b64_e32 v[0:1], 0
	s_cbranch_vccnz .LBB188_151
; %bb.150:
	v_lshl_add_u64 v[0:1], v[70:71], 0, v[156:157]
	global_load_dwordx2 v[0:1], v[0:1], off
	v_lshl_add_u64 v[2:3], v[68:69], 0, v[156:157]
	s_waitcnt vmcnt(0)
	v_fmac_f64_e32 v[30:31], s[10:11], v[0:1]
	global_store_dwordx2 v[2:3], v[30:31], off
	v_lshl_add_u64 v[0:1], v[98:99], 3, v[70:71]
	global_load_dwordx2 v[0:1], v[0:1], off
	s_waitcnt vmcnt(0)
	v_mul_f64 v[0:1], s[10:11], v[0:1]
.LBB188_151:
	v_add_f64 v[0:1], v[28:29], v[0:1]
	v_lshl_add_u64 v[2:3], v[98:99], 3, v[68:69]
	s_mov_b64 s[0:1], -1
	s_mov_b64 vcc, s[8:9]
	global_store_dwordx2 v[2:3], v[0:1], off
	s_cbranch_vccz .LBB188_153
; %bb.152:
	v_add_f64 v[0:1], v[26:27], 0
	v_lshl_add_u64 v[2:3], v[96:97], 3, v[68:69]
	s_mov_b64 s[0:1], 0
	global_store_dwordx2 v[2:3], v[0:1], off
.LBB188_153:
	s_andn2_b64 vcc, exec, s[0:1]
	v_mov_b64_e32 v[0:1], 0
	s_cbranch_vccnz .LBB188_155
; %bb.154:
	v_lshl_add_u64 v[0:1], v[70:71], 0, v[158:159]
	global_load_dwordx2 v[0:1], v[0:1], off
	v_lshl_add_u64 v[2:3], v[68:69], 0, v[158:159]
	s_waitcnt vmcnt(0)
	v_fmac_f64_e32 v[26:27], s[10:11], v[0:1]
	global_store_dwordx2 v[2:3], v[26:27], off
	v_lshl_add_u64 v[0:1], v[94:95], 3, v[70:71]
	global_load_dwordx2 v[0:1], v[0:1], off
	s_waitcnt vmcnt(0)
	v_mul_f64 v[0:1], s[10:11], v[0:1]
.LBB188_155:
	v_add_f64 v[0:1], v[24:25], v[0:1]
	v_lshl_add_u64 v[2:3], v[94:95], 3, v[68:69]
	s_mov_b64 s[0:1], -1
	s_mov_b64 vcc, s[8:9]
	global_store_dwordx2 v[2:3], v[0:1], off
	s_cbranch_vccz .LBB188_157
; %bb.156:
	v_add_f64 v[0:1], v[22:23], 0
	v_lshl_add_u64 v[2:3], v[92:93], 3, v[68:69]
	s_mov_b64 s[0:1], 0
	global_store_dwordx2 v[2:3], v[0:1], off
.LBB188_157:
	s_andn2_b64 vcc, exec, s[0:1]
	v_mov_b64_e32 v[0:1], 0
	s_cbranch_vccnz .LBB188_159
; %bb.158:
	v_lshl_add_u64 v[0:1], v[70:71], 0, v[160:161]
	global_load_dwordx2 v[0:1], v[0:1], off
	v_lshl_add_u64 v[2:3], v[68:69], 0, v[160:161]
	s_waitcnt vmcnt(0)
	v_fmac_f64_e32 v[22:23], s[10:11], v[0:1]
	global_store_dwordx2 v[2:3], v[22:23], off
	v_lshl_add_u64 v[0:1], v[90:91], 3, v[70:71]
	global_load_dwordx2 v[0:1], v[0:1], off
	s_waitcnt vmcnt(0)
	v_mul_f64 v[0:1], s[10:11], v[0:1]
.LBB188_159:
	v_add_f64 v[0:1], v[20:21], v[0:1]
	v_lshl_add_u64 v[2:3], v[90:91], 3, v[68:69]
	s_mov_b64 s[0:1], -1
	s_mov_b64 vcc, s[8:9]
	global_store_dwordx2 v[2:3], v[0:1], off
	s_cbranch_vccz .LBB188_161
; %bb.160:
	v_add_f64 v[0:1], v[18:19], 0
	v_lshl_add_u64 v[2:3], v[88:89], 3, v[68:69]
	s_mov_b64 s[0:1], 0
	global_store_dwordx2 v[2:3], v[0:1], off
.LBB188_161:
	s_andn2_b64 vcc, exec, s[0:1]
	v_mov_b64_e32 v[0:1], 0
	s_cbranch_vccnz .LBB188_163
; %bb.162:
	v_lshl_add_u64 v[0:1], v[70:71], 0, v[162:163]
	global_load_dwordx2 v[0:1], v[0:1], off
	v_lshl_add_u64 v[2:3], v[68:69], 0, v[162:163]
	s_waitcnt vmcnt(0)
	v_fmac_f64_e32 v[18:19], s[10:11], v[0:1]
	global_store_dwordx2 v[2:3], v[18:19], off
	v_lshl_add_u64 v[0:1], v[86:87], 3, v[70:71]
	global_load_dwordx2 v[0:1], v[0:1], off
	s_waitcnt vmcnt(0)
	v_mul_f64 v[0:1], s[10:11], v[0:1]
.LBB188_163:
	v_add_f64 v[0:1], v[16:17], v[0:1]
	v_lshl_add_u64 v[2:3], v[86:87], 3, v[68:69]
	s_mov_b64 s[0:1], -1
	s_mov_b64 vcc, s[8:9]
	global_store_dwordx2 v[2:3], v[0:1], off
	s_cbranch_vccz .LBB188_165
; %bb.164:
	v_add_f64 v[0:1], v[14:15], 0
	v_lshl_add_u64 v[2:3], v[84:85], 3, v[68:69]
	s_mov_b64 s[0:1], 0
	global_store_dwordx2 v[2:3], v[0:1], off
.LBB188_165:
	s_andn2_b64 vcc, exec, s[0:1]
	v_mov_b64_e32 v[0:1], 0
	s_cbranch_vccnz .LBB188_167
; %bb.166:
	v_lshl_add_u64 v[0:1], v[70:71], 0, v[164:165]
	global_load_dwordx2 v[0:1], v[0:1], off
	v_lshl_add_u64 v[2:3], v[68:69], 0, v[164:165]
	s_waitcnt vmcnt(0)
	v_fmac_f64_e32 v[14:15], s[10:11], v[0:1]
	global_store_dwordx2 v[2:3], v[14:15], off
	v_lshl_add_u64 v[0:1], v[82:83], 3, v[70:71]
	global_load_dwordx2 v[0:1], v[0:1], off
	s_waitcnt vmcnt(0)
	v_mul_f64 v[0:1], s[10:11], v[0:1]
.LBB188_167:
	v_add_f64 v[0:1], v[12:13], v[0:1]
	v_lshl_add_u64 v[2:3], v[82:83], 3, v[68:69]
	s_mov_b64 s[0:1], -1
	s_mov_b64 vcc, s[8:9]
	global_store_dwordx2 v[2:3], v[0:1], off
	s_cbranch_vccz .LBB188_169
; %bb.168:
	v_add_f64 v[0:1], v[10:11], 0
	v_lshl_add_u64 v[2:3], v[80:81], 3, v[68:69]
	s_mov_b64 s[0:1], 0
	global_store_dwordx2 v[2:3], v[0:1], off
.LBB188_169:
	s_andn2_b64 vcc, exec, s[0:1]
	v_mov_b64_e32 v[0:1], 0
	s_cbranch_vccnz .LBB188_171
; %bb.170:
	v_lshl_add_u64 v[0:1], v[70:71], 0, v[166:167]
	global_load_dwordx2 v[0:1], v[0:1], off
	v_lshl_add_u64 v[2:3], v[68:69], 0, v[166:167]
	s_waitcnt vmcnt(0)
	v_fmac_f64_e32 v[10:11], s[10:11], v[0:1]
	global_store_dwordx2 v[2:3], v[10:11], off
	v_lshl_add_u64 v[0:1], v[78:79], 3, v[70:71]
	global_load_dwordx2 v[0:1], v[0:1], off
	s_waitcnt vmcnt(0)
	v_mul_f64 v[0:1], s[10:11], v[0:1]
.LBB188_171:
	v_add_f64 v[0:1], v[8:9], v[0:1]
	v_lshl_add_u64 v[2:3], v[78:79], 3, v[68:69]
	s_mov_b64 s[0:1], -1
	s_mov_b64 vcc, s[8:9]
	global_store_dwordx2 v[2:3], v[0:1], off
	s_cbranch_vccz .LBB188_174
; %bb.172:
	v_add_f64 v[0:1], v[6:7], 0
	v_lshl_add_u64 v[2:3], v[76:77], 3, v[68:69]
	global_store_dwordx2 v[2:3], v[0:1], off
	v_mov_b64_e32 v[0:1], 0
	s_cbranch_execz .LBB188_175
.LBB188_173:
	v_add_f64 v[0:1], v[4:5], v[0:1]
	v_lshl_add_u64 v[2:3], v[74:75], 3, v[68:69]
	global_store_dwordx2 v[2:3], v[0:1], off
	s_endpgm
.LBB188_174:
	s_andn2_b64 vcc, exec, s[0:1]
	v_mov_b64_e32 v[0:1], 0
	s_cbranch_vccnz .LBB188_173
.LBB188_175:
	v_lshl_add_u64 v[0:1], v[70:71], 0, v[72:73]
	global_load_dwordx2 v[0:1], v[0:1], off
	v_lshl_add_u64 v[2:3], v[68:69], 0, v[72:73]
	s_waitcnt vmcnt(0)
	v_fmac_f64_e32 v[6:7], s[10:11], v[0:1]
	global_store_dwordx2 v[2:3], v[6:7], off
	v_lshl_add_u64 v[0:1], v[74:75], 3, v[70:71]
	global_load_dwordx2 v[0:1], v[0:1], off
	s_waitcnt vmcnt(0)
	v_mul_f64 v[0:1], s[10:11], v[0:1]
	v_add_f64 v[0:1], v[4:5], v[0:1]
	v_lshl_add_u64 v[2:3], v[74:75], 3, v[68:69]
	global_store_dwordx2 v[2:3], v[0:1], off
	s_endpgm
	.section	.rodata,"a",@progbits
	.p2align	6, 0x0
	.amdhsa_kernel _ZN12_GLOBAL__N_120geam_min_plus_kernelIdddLi4ELi64ELi128ELi128ELi4ELi4ELi64ELi4ELi64ELc84ELc78ELb0ELb0ELb0EdKddEEviiiT16_PT17_ilS4_ilS2_S4_ilPT18_ili26rocblas_geam_ex_operation_
		.amdhsa_group_segment_fixed_size 16384
		.amdhsa_private_segment_fixed_size 0
		.amdhsa_kernarg_size 136
		.amdhsa_user_sgpr_count 2
		.amdhsa_user_sgpr_dispatch_ptr 0
		.amdhsa_user_sgpr_queue_ptr 0
		.amdhsa_user_sgpr_kernarg_segment_ptr 1
		.amdhsa_user_sgpr_dispatch_id 0
		.amdhsa_user_sgpr_kernarg_preload_length 0
		.amdhsa_user_sgpr_kernarg_preload_offset 0
		.amdhsa_user_sgpr_private_segment_size 0
		.amdhsa_uses_dynamic_stack 0
		.amdhsa_enable_private_segment 0
		.amdhsa_system_sgpr_workgroup_id_x 1
		.amdhsa_system_sgpr_workgroup_id_y 0
		.amdhsa_system_sgpr_workgroup_id_z 1
		.amdhsa_system_sgpr_workgroup_info 0
		.amdhsa_system_vgpr_workitem_id 1
		.amdhsa_next_free_vgpr 252
		.amdhsa_next_free_sgpr 30
		.amdhsa_accum_offset 252
		.amdhsa_reserve_vcc 1
		.amdhsa_float_round_mode_32 0
		.amdhsa_float_round_mode_16_64 0
		.amdhsa_float_denorm_mode_32 3
		.amdhsa_float_denorm_mode_16_64 3
		.amdhsa_dx10_clamp 1
		.amdhsa_ieee_mode 1
		.amdhsa_fp16_overflow 0
		.amdhsa_tg_split 0
		.amdhsa_exception_fp_ieee_invalid_op 0
		.amdhsa_exception_fp_denorm_src 0
		.amdhsa_exception_fp_ieee_div_zero 0
		.amdhsa_exception_fp_ieee_overflow 0
		.amdhsa_exception_fp_ieee_underflow 0
		.amdhsa_exception_fp_ieee_inexact 0
		.amdhsa_exception_int_div_zero 0
	.end_amdhsa_kernel
	.section	.text._ZN12_GLOBAL__N_120geam_min_plus_kernelIdddLi4ELi64ELi128ELi128ELi4ELi4ELi64ELi4ELi64ELc84ELc78ELb0ELb0ELb0EdKddEEviiiT16_PT17_ilS4_ilS2_S4_ilPT18_ili26rocblas_geam_ex_operation_,"axG",@progbits,_ZN12_GLOBAL__N_120geam_min_plus_kernelIdddLi4ELi64ELi128ELi128ELi4ELi4ELi64ELi4ELi64ELc84ELc78ELb0ELb0ELb0EdKddEEviiiT16_PT17_ilS4_ilS2_S4_ilPT18_ili26rocblas_geam_ex_operation_,comdat
.Lfunc_end188:
	.size	_ZN12_GLOBAL__N_120geam_min_plus_kernelIdddLi4ELi64ELi128ELi128ELi4ELi4ELi64ELi4ELi64ELc84ELc78ELb0ELb0ELb0EdKddEEviiiT16_PT17_ilS4_ilS2_S4_ilPT18_ili26rocblas_geam_ex_operation_, .Lfunc_end188-_ZN12_GLOBAL__N_120geam_min_plus_kernelIdddLi4ELi64ELi128ELi128ELi4ELi4ELi64ELi4ELi64ELc84ELc78ELb0ELb0ELb0EdKddEEviiiT16_PT17_ilS4_ilS2_S4_ilPT18_ili26rocblas_geam_ex_operation_
                                        ; -- End function
	.set _ZN12_GLOBAL__N_120geam_min_plus_kernelIdddLi4ELi64ELi128ELi128ELi4ELi4ELi64ELi4ELi64ELc84ELc78ELb0ELb0ELb0EdKddEEviiiT16_PT17_ilS4_ilS2_S4_ilPT18_ili26rocblas_geam_ex_operation_.num_vgpr, 252
	.set _ZN12_GLOBAL__N_120geam_min_plus_kernelIdddLi4ELi64ELi128ELi128ELi4ELi4ELi64ELi4ELi64ELc84ELc78ELb0ELb0ELb0EdKddEEviiiT16_PT17_ilS4_ilS2_S4_ilPT18_ili26rocblas_geam_ex_operation_.num_agpr, 0
	.set _ZN12_GLOBAL__N_120geam_min_plus_kernelIdddLi4ELi64ELi128ELi128ELi4ELi4ELi64ELi4ELi64ELc84ELc78ELb0ELb0ELb0EdKddEEviiiT16_PT17_ilS4_ilS2_S4_ilPT18_ili26rocblas_geam_ex_operation_.numbered_sgpr, 30
	.set _ZN12_GLOBAL__N_120geam_min_plus_kernelIdddLi4ELi64ELi128ELi128ELi4ELi4ELi64ELi4ELi64ELc84ELc78ELb0ELb0ELb0EdKddEEviiiT16_PT17_ilS4_ilS2_S4_ilPT18_ili26rocblas_geam_ex_operation_.num_named_barrier, 0
	.set _ZN12_GLOBAL__N_120geam_min_plus_kernelIdddLi4ELi64ELi128ELi128ELi4ELi4ELi64ELi4ELi64ELc84ELc78ELb0ELb0ELb0EdKddEEviiiT16_PT17_ilS4_ilS2_S4_ilPT18_ili26rocblas_geam_ex_operation_.private_seg_size, 0
	.set _ZN12_GLOBAL__N_120geam_min_plus_kernelIdddLi4ELi64ELi128ELi128ELi4ELi4ELi64ELi4ELi64ELc84ELc78ELb0ELb0ELb0EdKddEEviiiT16_PT17_ilS4_ilS2_S4_ilPT18_ili26rocblas_geam_ex_operation_.uses_vcc, 1
	.set _ZN12_GLOBAL__N_120geam_min_plus_kernelIdddLi4ELi64ELi128ELi128ELi4ELi4ELi64ELi4ELi64ELc84ELc78ELb0ELb0ELb0EdKddEEviiiT16_PT17_ilS4_ilS2_S4_ilPT18_ili26rocblas_geam_ex_operation_.uses_flat_scratch, 0
	.set _ZN12_GLOBAL__N_120geam_min_plus_kernelIdddLi4ELi64ELi128ELi128ELi4ELi4ELi64ELi4ELi64ELc84ELc78ELb0ELb0ELb0EdKddEEviiiT16_PT17_ilS4_ilS2_S4_ilPT18_ili26rocblas_geam_ex_operation_.has_dyn_sized_stack, 0
	.set _ZN12_GLOBAL__N_120geam_min_plus_kernelIdddLi4ELi64ELi128ELi128ELi4ELi4ELi64ELi4ELi64ELc84ELc78ELb0ELb0ELb0EdKddEEviiiT16_PT17_ilS4_ilS2_S4_ilPT18_ili26rocblas_geam_ex_operation_.has_recursion, 0
	.set _ZN12_GLOBAL__N_120geam_min_plus_kernelIdddLi4ELi64ELi128ELi128ELi4ELi4ELi64ELi4ELi64ELc84ELc78ELb0ELb0ELb0EdKddEEviiiT16_PT17_ilS4_ilS2_S4_ilPT18_ili26rocblas_geam_ex_operation_.has_indirect_call, 0
	.section	.AMDGPU.csdata,"",@progbits
; Kernel info:
; codeLenInByte = 13040
; TotalNumSgprs: 36
; NumVgprs: 252
; NumAgprs: 0
; TotalNumVgprs: 252
; ScratchSize: 0
; MemoryBound: 0
; FloatMode: 240
; IeeeMode: 1
; LDSByteSize: 16384 bytes/workgroup (compile time only)
; SGPRBlocks: 4
; VGPRBlocks: 31
; NumSGPRsForWavesPerEU: 36
; NumVGPRsForWavesPerEU: 252
; AccumOffset: 252
; Occupancy: 2
; WaveLimiterHint : 0
; COMPUTE_PGM_RSRC2:SCRATCH_EN: 0
; COMPUTE_PGM_RSRC2:USER_SGPR: 2
; COMPUTE_PGM_RSRC2:TRAP_HANDLER: 0
; COMPUTE_PGM_RSRC2:TGID_X_EN: 1
; COMPUTE_PGM_RSRC2:TGID_Y_EN: 0
; COMPUTE_PGM_RSRC2:TGID_Z_EN: 1
; COMPUTE_PGM_RSRC2:TIDIG_COMP_CNT: 1
; COMPUTE_PGM_RSRC3_GFX90A:ACCUM_OFFSET: 62
; COMPUTE_PGM_RSRC3_GFX90A:TG_SPLIT: 0
	.section	.text._ZN12_GLOBAL__N_120geam_min_plus_kernelIdddLi4ELi64ELi128ELi128ELi4ELi4ELi64ELi4ELi64ELc84ELc78ELb0ELb1ELb0EPKdS1_dEEviiiT16_PT17_ilS5_ilS3_S5_ilPT18_ili26rocblas_geam_ex_operation_,"axG",@progbits,_ZN12_GLOBAL__N_120geam_min_plus_kernelIdddLi4ELi64ELi128ELi128ELi4ELi4ELi64ELi4ELi64ELc84ELc78ELb0ELb1ELb0EPKdS1_dEEviiiT16_PT17_ilS5_ilS3_S5_ilPT18_ili26rocblas_geam_ex_operation_,comdat
	.globl	_ZN12_GLOBAL__N_120geam_min_plus_kernelIdddLi4ELi64ELi128ELi128ELi4ELi4ELi64ELi4ELi64ELc84ELc78ELb0ELb1ELb0EPKdS1_dEEviiiT16_PT17_ilS5_ilS3_S5_ilPT18_ili26rocblas_geam_ex_operation_ ; -- Begin function _ZN12_GLOBAL__N_120geam_min_plus_kernelIdddLi4ELi64ELi128ELi128ELi4ELi4ELi64ELi4ELi64ELc84ELc78ELb0ELb1ELb0EPKdS1_dEEviiiT16_PT17_ilS5_ilS3_S5_ilPT18_ili26rocblas_geam_ex_operation_
	.p2align	8
	.type	_ZN12_GLOBAL__N_120geam_min_plus_kernelIdddLi4ELi64ELi128ELi128ELi4ELi4ELi64ELi4ELi64ELc84ELc78ELb0ELb1ELb0EPKdS1_dEEviiiT16_PT17_ilS5_ilS3_S5_ilPT18_ili26rocblas_geam_ex_operation_,@function
_ZN12_GLOBAL__N_120geam_min_plus_kernelIdddLi4ELi64ELi128ELi128ELi4ELi4ELi64ELi4ELi64ELc84ELc78ELb0ELb1ELb0EPKdS1_dEEviiiT16_PT17_ilS5_ilS3_S5_ilPT18_ili26rocblas_geam_ex_operation_: ; @_ZN12_GLOBAL__N_120geam_min_plus_kernelIdddLi4ELi64ELi128ELi128ELi4ELi4ELi64ELi4ELi64ELc84ELc78ELb0ELb1ELb0EPKdS1_dEEviiiT16_PT17_ilS5_ilS3_S5_ilPT18_ili26rocblas_geam_ex_operation_
; %bb.0:
	s_load_dwordx4 s[12:15], s[0:1], 0x10
	s_load_dwordx4 s[4:7], s[0:1], 0x28
	;; [unrolled: 1-line block ×3, first 2 shown]
	s_mov_b32 s16, s3
	s_mov_b32 s17, 0
	s_lshl_b64 s[20:21], s[16:17], 3
	s_waitcnt lgkmcnt(0)
	s_add_u32 s12, s12, s20
	s_addc_u32 s13, s13, s21
	s_load_dwordx2 s[18:19], s[12:13], 0x0
	s_load_dwordx2 s[24:25], s[0:1], 0x50
	s_add_u32 s10, s10, s20
	s_addc_u32 s11, s11, s21
	s_mov_b64 s[20:21], 0
	s_waitcnt lgkmcnt(0)
	v_cmp_eq_f64_e64 s[22:23], s[18:19], 0
	v_cmp_neq_f64_e64 s[12:13], s[18:19], 0
	s_and_b64 vcc, exec, s[22:23]
	s_mov_b64 s[22:23], 0
	s_cbranch_vccnz .LBB189_2
; %bb.1:
	s_mul_i32 s3, s5, s16
	s_mul_hi_u32 s5, s4, s16
	s_add_i32 s5, s5, s3
	s_mul_i32 s4, s4, s16
	s_lshl_b64 s[4:5], s[4:5], 3
	s_add_u32 s22, s14, s4
	s_addc_u32 s23, s15, s5
.LBB189_2:
	s_load_dwordx2 s[70:71], s[10:11], 0x0
	s_andn2_b64 vcc, exec, s[12:13]
	s_cbranch_vccnz .LBB189_4
; %bb.3:
	s_mul_i32 s3, s9, s16
	s_mul_hi_u32 s4, s8, s16
	s_add_i32 s5, s4, s3
	s_mul_i32 s4, s8, s16
	s_lshl_b64 s[4:5], s[4:5], 3
	s_add_u32 s20, s6, s4
	s_addc_u32 s21, s7, s5
.LBB189_4:
	s_load_dwordx4 s[8:11], s[0:1], 0x60
	s_waitcnt lgkmcnt(0)
	v_cmp_eq_f64_e64 s[4:5], s[70:71], 0
	s_mov_b64 s[76:77], 0
	v_cmp_neq_f64_e64 s[12:13], s[70:71], 0
	s_and_b64 vcc, exec, s[4:5]
	s_cbranch_vccnz .LBB189_6
; %bb.5:
	s_mul_i32 s3, s9, s16
	s_mul_hi_u32 s4, s8, s16
	s_add_i32 s5, s4, s3
	s_mul_i32 s4, s8, s16
	s_lshl_b64 s[4:5], s[4:5], 3
	s_add_u32 s76, s24, s4
	s_addc_u32 s77, s25, s5
.LBB189_6:
	s_load_dwordx4 s[72:75], s[0:1], 0x0
	s_load_dword s28, s[0:1], 0x20
	v_bfe_u32 v146, v0, 10, 10
	v_bfe_u32 v4, v0, 2, 8
	v_add_u32_e32 v137, v4, v146
	s_waitcnt lgkmcnt(0)
	s_add_i32 s3, s72, -1
	s_ashr_i32 s4, s3, 31
	s_lshr_b32 s4, s4, 25
	s_add_i32 s3, s3, s4
	s_ashr_i32 s3, s3, 7
	s_add_i32 s4, s3, 1
	v_cvt_f32_u32_e32 v1, s4
	s_not_b32 s3, s3
	v_and_b32_e32 v148, 3, v0
	v_cmp_le_i32_e32 vcc, s74, v148
	v_rcp_iflag_f32_e32 v1, v1
	v_cmp_eq_f64_e64 s[14:15], s[18:19], 0
	v_mov_b64_e32 v[2:3], 0
	v_mov_b64_e32 v[4:5], 0
	v_mul_f32_e32 v1, 0x4f7ffffe, v1
	v_cvt_u32_f32_e32 v1, v1
	s_nop 0
	v_readfirstlane_b32 s5, v1
	s_mul_i32 s3, s3, s5
	s_mul_hi_u32 s3, s5, s3
	s_add_i32 s5, s5, s3
	s_mul_hi_u32 s3, s2, s5
	s_mul_i32 s5, s3, s4
	s_sub_i32 s5, s2, s5
	s_add_i32 s6, s3, 1
	s_sub_i32 s7, s5, s4
	s_cmp_ge_u32 s5, s4
	s_cselect_b32 s3, s6, s3
	s_cselect_b32 s5, s7, s5
	s_add_i32 s6, s3, 1
	s_cmp_ge_u32 s5, s4
	s_cselect_b32 s8, s6, s3
	s_mul_i32 s3, s8, s4
	s_sub_i32 s2, s2, s3
	s_lshl_b32 s17, s2, 7
	s_add_i32 s27, s74, -1
	v_add_u32_e32 v136, s17, v137
	v_min_i32_e32 v6, s27, v148
	v_cmp_le_i32_e64 s[2:3], s72, v136
	v_ashrrev_i32_e32 v7, 31, v6
	s_or_b64 s[4:5], vcc, s[2:3]
	v_lshl_add_u64 v[8:9], v[6:7], 3, s[22:23]
	s_nor_b64 s[6:7], s[14:15], s[4:5]
	s_and_saveexec_b64 s[4:5], s[6:7]
	s_cbranch_execz .LBB189_8
; %bb.7:
	v_mad_i64_i32 v[4:5], s[6:7], v136, s28, 0
	v_lshl_add_u64 v[4:5], v[4:5], 3, v[8:9]
	global_load_dwordx2 v[4:5], v[4:5], off
	s_waitcnt vmcnt(0)
	v_mul_f64 v[4:5], s[18:19], v[4:5]
.LBB189_8:
	s_or_b64 exec, exec, s[4:5]
	v_add_u32_e32 v138, 64, v136
	v_cmp_le_i32_e64 s[4:5], s72, v138
	s_or_b64 s[6:7], vcc, s[4:5]
	s_nor_b64 s[24:25], s[14:15], s[6:7]
	s_and_saveexec_b64 s[6:7], s[24:25]
	s_cbranch_execz .LBB189_10
; %bb.9:
	v_mad_i64_i32 v[2:3], s[24:25], v138, s28, 0
	v_lshl_add_u64 v[2:3], v[2:3], 3, v[8:9]
	global_load_dwordx2 v[2:3], v[2:3], off
	s_waitcnt vmcnt(0)
	v_mul_f64 v[2:3], s[18:19], v[2:3]
.LBB189_10:
	s_or_b64 exec, exec, s[6:7]
	s_load_dword s29, s[0:1], 0x38
	s_lshl_b32 s26, s8, 7
	v_add_u32_e32 v139, s26, v137
	v_cmp_le_i32_e64 s[6:7], s73, v139
	s_or_b64 s[8:9], vcc, s[6:7]
	v_lshl_add_u64 v[10:11], v[6:7], 3, s[20:21]
	s_nor_b64 s[24:25], s[14:15], s[8:9]
	v_mov_b64_e32 v[6:7], 0
	v_mov_b64_e32 v[8:9], 0
	s_and_saveexec_b64 s[8:9], s[24:25]
	s_cbranch_execz .LBB189_12
; %bb.11:
	s_waitcnt lgkmcnt(0)
	v_mad_i64_i32 v[8:9], s[24:25], v139, s29, 0
	v_lshl_add_u64 v[8:9], v[8:9], 3, v[10:11]
	global_load_dwordx2 v[8:9], v[8:9], off
	s_waitcnt vmcnt(0)
	v_mul_f64 v[8:9], s[18:19], v[8:9]
.LBB189_12:
	s_or_b64 exec, exec, s[8:9]
	v_add_u32_e32 v140, 64, v139
	v_cmp_le_i32_e64 s[8:9], s73, v140
	s_or_b64 s[24:25], vcc, s[8:9]
	s_nor_b64 s[30:31], s[14:15], s[24:25]
	s_and_saveexec_b64 s[24:25], s[30:31]
	s_cbranch_execz .LBB189_14
; %bb.13:
	s_waitcnt lgkmcnt(0)
	v_mad_i64_i32 v[6:7], s[30:31], v140, s29, 0
	v_lshl_add_u64 v[6:7], v[6:7], 3, v[10:11]
	global_load_dwordx2 v[6:7], v[6:7], off
	s_waitcnt vmcnt(0)
	v_mul_f64 v[6:7], s[18:19], v[6:7]
.LBB189_14:
	s_or_b64 exec, exec, s[24:25]
	v_or_b32_e32 v1, 4, v148
	v_cmp_le_i32_e32 vcc, s74, v1
	v_min_i32_e32 v10, s27, v1
	v_ashrrev_i32_e32 v11, 31, v10
	s_or_b64 s[24:25], vcc, s[2:3]
	v_lshl_add_u64 v[12:13], v[10:11], 3, s[22:23]
	s_nor_b64 s[30:31], s[14:15], s[24:25]
	v_mov_b64_e32 v[128:129], 0
	v_mov_b64_e32 v[130:131], 0
	s_and_saveexec_b64 s[24:25], s[30:31]
	s_cbranch_execz .LBB189_16
; %bb.15:
	v_mad_i64_i32 v[14:15], s[30:31], v136, s28, 0
	v_lshl_add_u64 v[14:15], v[14:15], 3, v[12:13]
	global_load_dwordx2 v[14:15], v[14:15], off
	s_waitcnt vmcnt(0)
	v_mul_f64 v[130:131], s[18:19], v[14:15]
.LBB189_16:
	s_or_b64 exec, exec, s[24:25]
	s_or_b64 s[24:25], vcc, s[4:5]
	s_nor_b64 s[30:31], s[14:15], s[24:25]
	s_and_saveexec_b64 s[24:25], s[30:31]
	s_cbranch_execz .LBB189_18
; %bb.17:
	v_mad_i64_i32 v[14:15], s[30:31], v138, s28, 0
	v_lshl_add_u64 v[12:13], v[14:15], 3, v[12:13]
	global_load_dwordx2 v[12:13], v[12:13], off
	s_waitcnt vmcnt(0)
	v_mul_f64 v[128:129], s[18:19], v[12:13]
.LBB189_18:
	s_or_b64 exec, exec, s[24:25]
	s_or_b64 s[24:25], vcc, s[6:7]
	v_lshl_add_u64 v[10:11], v[10:11], 3, s[20:21]
	s_nor_b64 s[30:31], s[14:15], s[24:25]
	v_mov_b64_e32 v[132:133], 0
	v_mov_b64_e32 v[134:135], 0
	s_and_saveexec_b64 s[24:25], s[30:31]
	s_cbranch_execz .LBB189_20
; %bb.19:
	s_waitcnt lgkmcnt(0)
	v_mad_i64_i32 v[12:13], s[30:31], v139, s29, 0
	v_lshl_add_u64 v[12:13], v[12:13], 3, v[10:11]
	global_load_dwordx2 v[12:13], v[12:13], off
	s_waitcnt vmcnt(0)
	v_mul_f64 v[134:135], s[18:19], v[12:13]
.LBB189_20:
	s_or_b64 exec, exec, s[24:25]
	s_or_b64 s[24:25], vcc, s[8:9]
	v_and_b32_e32 v147, 0x3ff, v0
	s_nor_b64 s[30:31], s[14:15], s[24:25]
	s_and_saveexec_b64 s[24:25], s[30:31]
	s_cbranch_execz .LBB189_22
; %bb.21:
	s_waitcnt lgkmcnt(0)
	v_mad_i64_i32 v[0:1], s[30:31], v140, s29, 0
	v_lshl_add_u64 v[0:1], v[0:1], 3, v[10:11]
	global_load_dwordx2 v[0:1], v[0:1], off
	s_waitcnt vmcnt(0)
	v_mul_f64 v[132:133], s[18:19], v[0:1]
.LBB189_22:
	s_or_b64 exec, exec, s[24:25]
	v_lshlrev_b32_e32 v0, 5, v137
	v_lshl_or_b32 v150, v148, 3, v0
	v_lshlrev_b32_e32 v141, 5, v146
	ds_write2st64_b64 v150, v[4:5], v[2:3] offset1:4
	v_add_u32_e32 v151, 0x2000, v150
	ds_write2st64_b64 v150, v[8:9], v[6:7] offset0:16 offset1:20
	v_lshlrev_b32_e32 v152, 5, v147
	v_add_u32_e32 v153, 0x2000, v141
	v_mov_b64_e32 v[126:127], 0
	s_mov_b32 s24, 0
	v_mov_b64_e32 v[124:125], 0
	v_mov_b64_e32 v[122:123], 0
	;; [unrolled: 1-line block ×63, first 2 shown]
	s_waitcnt lgkmcnt(0)
	s_barrier
.LBB189_23:                             ; =>This Inner Loop Header: Depth=1
	v_add_u32_e32 v149, s24, v152
	v_add_u32_e32 v182, s24, v153
	ds_read2_b64 v[142:145], v149 offset1:16
	ds_read2_b64 v[154:157], v149 offset0:32 offset1:48
	ds_read2_b64 v[158:161], v149 offset0:64 offset1:80
	ds_read2_b64 v[162:165], v149 offset0:96 offset1:112
	ds_read2_b64 v[166:169], v149 offset0:128 offset1:144
	ds_read2_b64 v[170:173], v149 offset0:160 offset1:176
	ds_read2_b64 v[174:177], v149 offset0:192 offset1:208
	ds_read2_b64 v[178:181], v149 offset0:224 offset1:240
	ds_read2st64_b64 v[182:185], v182 offset1:4
	v_add_u32_e32 v149, 0x800, v149
	ds_read2_b64 v[186:189], v149 offset1:16
	ds_read2_b64 v[190:193], v149 offset0:32 offset1:48
	ds_read2_b64 v[194:197], v149 offset0:64 offset1:80
	;; [unrolled: 1-line block ×7, first 2 shown]
	s_waitcnt lgkmcnt(14)
	v_max_f64 v[142:143], v[142:143], v[142:143]
	v_max_f64 v[144:145], v[144:145], v[144:145]
	;; [unrolled: 1-line block ×6, first 2 shown]
	s_waitcnt lgkmcnt(13)
	v_max_f64 v[162:163], v[162:163], v[162:163]
	v_max_f64 v[164:165], v[164:165], v[164:165]
	s_waitcnt lgkmcnt(12)
	v_max_f64 v[166:167], v[166:167], v[166:167]
	v_max_f64 v[168:169], v[168:169], v[168:169]
	;; [unrolled: 3-line block ×14, first 2 shown]
	v_min_f64 v[218:219], v[142:143], v[182:183]
	v_min_f64 v[220:221], v[144:145], v[182:183]
	;; [unrolled: 1-line block ×32, first 2 shown]
	s_add_i32 s24, s24, 8
	v_add_f64 v[62:63], v[62:63], v[142:143]
	v_add_f64 v[60:61], v[60:61], v[144:145]
	;; [unrolled: 1-line block ×16, first 2 shown]
	v_min_f64 v[142:143], v[186:187], v[182:183]
	v_min_f64 v[144:145], v[188:189], v[182:183]
	;; [unrolled: 1-line block ×32, first 2 shown]
	s_cmp_eq_u32 s24, 32
	v_add_f64 v[126:127], v[126:127], v[218:219]
	v_add_f64 v[124:125], v[124:125], v[220:221]
	;; [unrolled: 1-line block ×48, first 2 shown]
	s_cbranch_scc0 .LBB189_23
; %bb.24:
	v_lshlrev_b32_e32 v142, 3, v148
	v_lshl_or_b32 v137, v137, 5, v142
	s_cmp_gt_i32 s74, 8
	ds_write2st64_b64 v137, v[130:131], v[128:129] offset0:8 offset1:12
	ds_write2st64_b64 v137, v[134:135], v[132:133] offset0:24 offset1:28
	s_waitcnt lgkmcnt(0)
	s_barrier
	s_cbranch_scc1 .LBB189_26
; %bb.25:
	v_add_u32_e32 v149, 0x3000, v141
	s_cbranch_execz .LBB189_27
	s_branch .LBB189_49
.LBB189_26:
                                        ; implicit-def: $vgpr149
.LBB189_27:
	s_or_b64 s[2:3], s[2:3], s[14:15]
	s_or_b64 s[4:5], s[4:5], s[14:15]
	;; [unrolled: 1-line block ×4, first 2 shown]
	v_mad_i64_i32 v[128:129], s[14:15], v136, s28, 0
	v_mov_b32_e32 v136, 0x1000
	v_add_u32_e32 v154, 0x1000, v137
	v_add_u32_e32 v155, 0x3000, v137
	s_add_i32 s24, s74, -8
	v_mad_i64_i32 v[130:131], s[14:15], v138, s28, 0
	v_mad_i64_i32 v[132:133], s[14:15], v139, s29, 0
	;; [unrolled: 1-line block ×3, first 2 shown]
	v_lshl_add_u32 v156, v147, 5, v136
	v_add_u32_e32 v149, 0x3000, v141
	s_mov_b32 s25, 8
	s_mov_b32 s28, 0
.LBB189_28:                             ; =>This Loop Header: Depth=1
                                        ;     Child Loop BB189_37 Depth 2
                                        ;     Child Loop BB189_47 Depth 2
	v_or_b32_e32 v157, s25, v148
	v_min_i32_e32 v140, s27, v157
	v_cmp_le_i32_e32 vcc, s74, v157
	v_ashrrev_i32_e32 v141, 31, v140
	v_lshl_add_u64 v[142:143], v[140:141], 3, s[22:23]
	s_nor_b64 s[30:31], vcc, s[2:3]
	v_mov_b64_e32 v[136:137], 0
	v_mov_b64_e32 v[138:139], 0
	s_and_saveexec_b64 s[14:15], s[30:31]
	s_cbranch_execz .LBB189_30
; %bb.29:                               ;   in Loop: Header=BB189_28 Depth=1
	v_lshl_add_u64 v[138:139], v[128:129], 3, v[142:143]
	global_load_dwordx2 v[138:139], v[138:139], off
	s_waitcnt vmcnt(0)
	v_mul_f64 v[138:139], s[18:19], v[138:139]
.LBB189_30:                             ;   in Loop: Header=BB189_28 Depth=1
	s_or_b64 exec, exec, s[14:15]
	s_nor_b64 s[30:31], vcc, s[4:5]
	s_and_saveexec_b64 s[14:15], s[30:31]
	s_cbranch_execz .LBB189_32
; %bb.31:                               ;   in Loop: Header=BB189_28 Depth=1
	v_lshl_add_u64 v[136:137], v[130:131], 3, v[142:143]
	global_load_dwordx2 v[136:137], v[136:137], off
	s_waitcnt vmcnt(0)
	v_mul_f64 v[136:137], s[18:19], v[136:137]
.LBB189_32:                             ;   in Loop: Header=BB189_28 Depth=1
	s_or_b64 exec, exec, s[14:15]
	v_lshl_add_u64 v[144:145], v[140:141], 3, s[20:21]
	s_nor_b64 s[30:31], vcc, s[6:7]
	v_mov_b64_e32 v[140:141], 0
	v_mov_b64_e32 v[142:143], 0
	s_and_saveexec_b64 s[14:15], s[30:31]
	s_cbranch_execz .LBB189_34
; %bb.33:                               ;   in Loop: Header=BB189_28 Depth=1
	v_lshl_add_u64 v[142:143], v[132:133], 3, v[144:145]
	global_load_dwordx2 v[142:143], v[142:143], off
	s_waitcnt vmcnt(0)
	v_mul_f64 v[142:143], s[18:19], v[142:143]
.LBB189_34:                             ;   in Loop: Header=BB189_28 Depth=1
	s_or_b64 exec, exec, s[14:15]
	s_nor_b64 s[30:31], vcc, s[8:9]
	s_and_saveexec_b64 s[14:15], s[30:31]
	s_cbranch_execz .LBB189_36
; %bb.35:                               ;   in Loop: Header=BB189_28 Depth=1
	v_lshl_add_u64 v[140:141], v[134:135], 3, v[144:145]
	global_load_dwordx2 v[140:141], v[140:141], off
	s_waitcnt vmcnt(0)
	v_mul_f64 v[140:141], s[18:19], v[140:141]
.LBB189_36:                             ;   in Loop: Header=BB189_28 Depth=1
	s_or_b64 exec, exec, s[14:15]
	s_mov_b32 s14, 0
.LBB189_37:                             ;   Parent Loop BB189_28 Depth=1
                                        ; =>  This Inner Loop Header: Depth=2
	v_add_u32_e32 v144, s14, v156
	ds_read2_b64 v[158:161], v144 offset1:16
	ds_read2_b64 v[162:165], v144 offset0:32 offset1:48
	ds_read2_b64 v[166:169], v144 offset0:64 offset1:80
	;; [unrolled: 1-line block ×7, first 2 shown]
	v_add_u32_e32 v144, 0x800, v144
	ds_read2_b64 v[190:193], v144 offset1:16
	ds_read2_b64 v[194:197], v144 offset0:32 offset1:48
	ds_read2_b64 v[198:201], v144 offset0:64 offset1:80
	;; [unrolled: 1-line block ×7, first 2 shown]
	v_add_u32_e32 v144, s14, v149
	ds_read2st64_b64 v[222:225], v144 offset1:4
	s_waitcnt lgkmcnt(14)
	v_max_f64 v[158:159], v[158:159], v[158:159]
	v_max_f64 v[160:161], v[160:161], v[160:161]
	;; [unrolled: 1-line block ×4, first 2 shown]
	s_waitcnt lgkmcnt(0)
	v_max_f64 v[144:145], v[222:223], v[222:223]
	v_min_f64 v[222:223], v[158:159], v[144:145]
	v_add_f64 v[126:127], v[126:127], v[222:223]
	v_min_f64 v[222:223], v[160:161], v[144:145]
	v_add_f64 v[124:125], v[124:125], v[222:223]
	;; [unrolled: 2-line block ×3, first 2 shown]
	v_min_f64 v[222:223], v[164:165], v[144:145]
	v_max_f64 v[166:167], v[166:167], v[166:167]
	v_add_f64 v[120:121], v[120:121], v[222:223]
	v_min_f64 v[222:223], v[166:167], v[144:145]
	v_max_f64 v[168:169], v[168:169], v[168:169]
	v_add_f64 v[118:119], v[118:119], v[222:223]
	;; [unrolled: 3-line block ×26, first 2 shown]
	v_min_f64 v[222:223], v[216:217], v[144:145]
	v_max_f64 v[218:219], v[218:219], v[218:219]
	v_max_f64 v[220:221], v[220:221], v[220:221]
	v_add_f64 v[68:69], v[68:69], v[222:223]
	v_min_f64 v[222:223], v[218:219], v[144:145]
	v_min_f64 v[144:145], v[220:221], v[144:145]
	v_add_f64 v[64:65], v[64:65], v[144:145]
	v_max_f64 v[144:145], v[224:225], v[224:225]
	v_min_f64 v[158:159], v[158:159], v[144:145]
	v_add_f64 v[62:63], v[62:63], v[158:159]
	v_min_f64 v[158:159], v[160:161], v[144:145]
	v_add_f64 v[60:61], v[60:61], v[158:159]
	;; [unrolled: 2-line block ×30, first 2 shown]
	v_min_f64 v[158:159], v[218:219], v[144:145]
	v_min_f64 v[144:145], v[220:221], v[144:145]
	s_add_i32 s14, s14, 8
	v_add_f64 v[66:67], v[66:67], v[222:223]
	v_add_f64 v[2:3], v[2:3], v[158:159]
	;; [unrolled: 1-line block ×3, first 2 shown]
	s_cmp_eq_u32 s14, 32
	s_cbranch_scc0 .LBB189_37
; %bb.38:                               ;   in Loop: Header=BB189_28 Depth=1
	ds_write2st64_b64 v150, v[138:139], v[136:137] offset1:4
	ds_write2st64_b64 v151, v[142:143], v[140:141] offset1:4
	v_or_b32_e32 v136, 4, v157
	v_min_i32_e32 v140, s27, v136
	v_cmp_le_i32_e32 vcc, s74, v136
	v_ashrrev_i32_e32 v141, 31, v140
	v_lshl_add_u64 v[142:143], v[140:141], 3, s[22:23]
	s_nor_b64 s[30:31], vcc, s[2:3]
	v_mov_b64_e32 v[136:137], 0
	v_mov_b64_e32 v[138:139], 0
	s_waitcnt lgkmcnt(0)
	s_barrier
	s_and_saveexec_b64 s[14:15], s[30:31]
	s_cbranch_execz .LBB189_40
; %bb.39:                               ;   in Loop: Header=BB189_28 Depth=1
	v_lshl_add_u64 v[138:139], v[128:129], 3, v[142:143]
	global_load_dwordx2 v[138:139], v[138:139], off
	s_waitcnt vmcnt(0)
	v_mul_f64 v[138:139], s[18:19], v[138:139]
.LBB189_40:                             ;   in Loop: Header=BB189_28 Depth=1
	s_or_b64 exec, exec, s[14:15]
	s_nor_b64 s[30:31], vcc, s[4:5]
	s_and_saveexec_b64 s[14:15], s[30:31]
	s_cbranch_execz .LBB189_42
; %bb.41:                               ;   in Loop: Header=BB189_28 Depth=1
	v_lshl_add_u64 v[136:137], v[130:131], 3, v[142:143]
	global_load_dwordx2 v[136:137], v[136:137], off
	s_waitcnt vmcnt(0)
	v_mul_f64 v[136:137], s[18:19], v[136:137]
.LBB189_42:                             ;   in Loop: Header=BB189_28 Depth=1
	s_or_b64 exec, exec, s[14:15]
	v_lshl_add_u64 v[144:145], v[140:141], 3, s[20:21]
	s_nor_b64 s[30:31], vcc, s[6:7]
	v_mov_b64_e32 v[140:141], 0
	v_mov_b64_e32 v[142:143], 0
	s_and_saveexec_b64 s[14:15], s[30:31]
	s_cbranch_execz .LBB189_44
; %bb.43:                               ;   in Loop: Header=BB189_28 Depth=1
	v_lshl_add_u64 v[142:143], v[132:133], 3, v[144:145]
	global_load_dwordx2 v[142:143], v[142:143], off
	s_waitcnt vmcnt(0)
	v_mul_f64 v[142:143], s[18:19], v[142:143]
.LBB189_44:                             ;   in Loop: Header=BB189_28 Depth=1
	s_or_b64 exec, exec, s[14:15]
	s_nor_b64 s[30:31], vcc, s[8:9]
	s_and_saveexec_b64 s[14:15], s[30:31]
	s_cbranch_execz .LBB189_46
; %bb.45:                               ;   in Loop: Header=BB189_28 Depth=1
	v_lshl_add_u64 v[140:141], v[134:135], 3, v[144:145]
	global_load_dwordx2 v[140:141], v[140:141], off
	s_waitcnt vmcnt(0)
	v_mul_f64 v[140:141], s[18:19], v[140:141]
.LBB189_46:                             ;   in Loop: Header=BB189_28 Depth=1
	s_or_b64 exec, exec, s[14:15]
	s_mov_b32 s14, 0
.LBB189_47:                             ;   Parent Loop BB189_28 Depth=1
                                        ; =>  This Inner Loop Header: Depth=2
	v_add_u32_e32 v144, s14, v152
	ds_read2_b64 v[158:161], v144 offset1:16
	ds_read2_b64 v[162:165], v144 offset0:32 offset1:48
	ds_read2_b64 v[166:169], v144 offset0:64 offset1:80
	ds_read2_b64 v[170:173], v144 offset0:96 offset1:112
	ds_read2_b64 v[174:177], v144 offset0:128 offset1:144
	ds_read2_b64 v[178:181], v144 offset0:160 offset1:176
	ds_read2_b64 v[182:185], v144 offset0:192 offset1:208
	ds_read2_b64 v[186:189], v144 offset0:224 offset1:240
	v_add_u32_e32 v144, 0x800, v144
	ds_read2_b64 v[190:193], v144 offset1:16
	ds_read2_b64 v[194:197], v144 offset0:32 offset1:48
	ds_read2_b64 v[198:201], v144 offset0:64 offset1:80
	;; [unrolled: 1-line block ×7, first 2 shown]
	v_add_u32_e32 v144, s14, v153
	ds_read2st64_b64 v[222:225], v144 offset1:4
	s_waitcnt lgkmcnt(14)
	v_max_f64 v[158:159], v[158:159], v[158:159]
	v_max_f64 v[160:161], v[160:161], v[160:161]
	;; [unrolled: 1-line block ×4, first 2 shown]
	s_waitcnt lgkmcnt(0)
	v_max_f64 v[144:145], v[222:223], v[222:223]
	v_min_f64 v[222:223], v[158:159], v[144:145]
	v_add_f64 v[126:127], v[126:127], v[222:223]
	v_min_f64 v[222:223], v[160:161], v[144:145]
	v_add_f64 v[124:125], v[124:125], v[222:223]
	;; [unrolled: 2-line block ×3, first 2 shown]
	v_min_f64 v[222:223], v[164:165], v[144:145]
	v_max_f64 v[166:167], v[166:167], v[166:167]
	v_add_f64 v[120:121], v[120:121], v[222:223]
	v_min_f64 v[222:223], v[166:167], v[144:145]
	v_max_f64 v[168:169], v[168:169], v[168:169]
	v_add_f64 v[118:119], v[118:119], v[222:223]
	;; [unrolled: 3-line block ×26, first 2 shown]
	v_min_f64 v[222:223], v[216:217], v[144:145]
	v_max_f64 v[218:219], v[218:219], v[218:219]
	v_max_f64 v[220:221], v[220:221], v[220:221]
	v_add_f64 v[68:69], v[68:69], v[222:223]
	v_min_f64 v[222:223], v[218:219], v[144:145]
	v_min_f64 v[144:145], v[220:221], v[144:145]
	v_add_f64 v[64:65], v[64:65], v[144:145]
	v_max_f64 v[144:145], v[224:225], v[224:225]
	v_min_f64 v[158:159], v[158:159], v[144:145]
	v_add_f64 v[62:63], v[62:63], v[158:159]
	v_min_f64 v[158:159], v[160:161], v[144:145]
	v_add_f64 v[60:61], v[60:61], v[158:159]
	;; [unrolled: 2-line block ×30, first 2 shown]
	v_min_f64 v[158:159], v[218:219], v[144:145]
	v_min_f64 v[144:145], v[220:221], v[144:145]
	s_add_i32 s14, s14, 8
	v_add_f64 v[66:67], v[66:67], v[222:223]
	v_add_f64 v[2:3], v[2:3], v[158:159]
	;; [unrolled: 1-line block ×3, first 2 shown]
	s_cmp_eq_u32 s14, 32
	s_cbranch_scc0 .LBB189_47
; %bb.48:                               ;   in Loop: Header=BB189_28 Depth=1
	s_add_i32 s25, s25, 8
	s_add_i32 s28, s28, 8
	s_cmp_ge_i32 s28, s24
	ds_write2st64_b64 v154, v[138:139], v[136:137] offset1:4
	ds_write2st64_b64 v155, v[142:143], v[140:141] offset1:4
	s_waitcnt lgkmcnt(0)
	s_barrier
	s_cbranch_scc0 .LBB189_28
.LBB189_49:
	v_mov_b32_e32 v128, 0x1000
	v_lshl_add_u32 v128, v147, 5, v128
	s_mov_b32 s2, 0
.LBB189_50:                             ; =>This Inner Loop Header: Depth=1
	v_add_u32_e32 v129, s2, v128
	v_add_u32_e32 v148, s2, v149
	ds_read2_b64 v[130:133], v129 offset1:16
	ds_read2_b64 v[134:137], v129 offset0:32 offset1:48
	ds_read2_b64 v[138:141], v129 offset0:64 offset1:80
	;; [unrolled: 1-line block ×7, first 2 shown]
	v_add_u32_e32 v129, 0x800, v129
	ds_read2st64_b64 v[166:169], v148 offset1:4
	ds_read2_b64 v[170:173], v129 offset1:16
	ds_read2_b64 v[174:177], v129 offset0:32 offset1:48
	ds_read2_b64 v[178:181], v129 offset0:64 offset1:80
	;; [unrolled: 1-line block ×7, first 2 shown]
	s_waitcnt lgkmcnt(14)
	v_max_f64 v[130:131], v[130:131], v[130:131]
	v_max_f64 v[132:133], v[132:133], v[132:133]
	;; [unrolled: 1-line block ×3, first 2 shown]
	s_waitcnt lgkmcnt(8)
	v_max_f64 v[166:167], v[166:167], v[166:167]
	v_max_f64 v[136:137], v[136:137], v[136:137]
	;; [unrolled: 1-line block ×15, first 2 shown]
	v_min_f64 v[202:203], v[130:131], v[166:167]
	v_min_f64 v[204:205], v[132:133], v[166:167]
	;; [unrolled: 1-line block ×16, first 2 shown]
	s_waitcnt lgkmcnt(7)
	v_max_f64 v[170:171], v[170:171], v[170:171]
	v_max_f64 v[172:173], v[172:173], v[172:173]
	s_waitcnt lgkmcnt(6)
	v_max_f64 v[174:175], v[174:175], v[174:175]
	v_max_f64 v[176:177], v[176:177], v[176:177]
	;; [unrolled: 3-line block ×8, first 2 shown]
	v_min_f64 v[130:131], v[130:131], v[168:169]
	v_min_f64 v[132:133], v[132:133], v[168:169]
	;; [unrolled: 1-line block ×16, first 2 shown]
	s_add_i32 s2, s2, 8
	v_add_f64 v[126:127], v[126:127], v[202:203]
	v_add_f64 v[124:125], v[124:125], v[204:205]
	;; [unrolled: 1-line block ×15, first 2 shown]
	v_min_f64 v[202:203], v[170:171], v[166:167]
	v_min_f64 v[204:205], v[172:173], v[166:167]
	;; [unrolled: 1-line block ×16, first 2 shown]
	v_add_f64 v[62:63], v[62:63], v[130:131]
	v_add_f64 v[60:61], v[60:61], v[132:133]
	;; [unrolled: 1-line block ×16, first 2 shown]
	v_min_f64 v[130:131], v[170:171], v[168:169]
	v_min_f64 v[132:133], v[172:173], v[168:169]
	;; [unrolled: 1-line block ×16, first 2 shown]
	s_cmp_eq_u32 s2, 32
	v_add_f64 v[96:97], v[96:97], v[232:233]
	v_add_f64 v[94:95], v[94:95], v[202:203]
	;; [unrolled: 1-line block ×33, first 2 shown]
	s_cbranch_scc0 .LBB189_50
; %bb.51:
	s_load_dwordx2 s[2:3], s[0:1], 0x78
	s_load_dword s78, s[0:1], 0x58
	s_load_dword s33, s[0:1], 0x70
	v_add_u32_e32 v136, s26, v146
	v_add_u32_e32 v128, s17, v147
	s_waitcnt lgkmcnt(0)
	s_mul_i32 s1, s3, s16
	s_mul_hi_u32 s3, s2, s16
	s_mul_i32 s0, s2, s16
	s_add_i32 s1, s3, s1
	s_lshl_b64 s[0:1], s[0:1], 3
	s_add_u32 s74, s10, s0
	s_addc_u32 s75, s11, s1
	v_mad_i64_i32 v[130:131], s[0:1], v136, s78, 0
	v_cmp_gt_i32_e64 s[24:25], s73, v136
	v_lshl_add_u64 v[132:133], v[130:131], 3, s[76:77]
	v_mad_i64_i32 v[130:131], s[0:1], v136, s33, 0
	v_cmp_gt_i32_e64 s[2:3], s72, v128
	v_cndmask_b32_e64 v134, 0, 1, s[12:13]
	v_lshl_add_u64 v[130:131], v[130:131], 3, s[74:75]
	s_and_b64 s[6:7], s[24:25], s[2:3]
	v_ashrrev_i32_e32 v129, 31, v128
	v_cmp_ne_u32_e64 s[0:1], 1, v134
	s_and_saveexec_b64 s[4:5], s[6:7]
	s_cbranch_execz .LBB189_56
; %bb.52:
	s_and_b64 vcc, exec, s[0:1]
	s_cbranch_vccnz .LBB189_54
; %bb.53:
	v_lshl_add_u64 v[134:135], v[128:129], 3, v[132:133]
	global_load_dwordx2 v[134:135], v[134:135], off
	s_waitcnt vmcnt(0)
	v_mul_f64 v[134:135], s[70:71], v[134:135]
	s_branch .LBB189_55
.LBB189_54:
	v_mov_b64_e32 v[134:135], 0
.LBB189_55:
	v_add_f64 v[126:127], v[126:127], v[134:135]
	v_lshl_add_u64 v[134:135], v[128:129], 3, v[130:131]
	global_store_dwordx2 v[134:135], v[126:127], off
.LBB189_56:
	s_or_b64 exec, exec, s[4:5]
	v_add_u32_e32 v126, 4, v128
	v_cmp_gt_i32_e64 s[4:5], s72, v126
	s_and_b64 s[8:9], s[24:25], s[4:5]
	v_ashrrev_i32_e32 v127, 31, v126
	s_and_saveexec_b64 s[6:7], s[8:9]
	s_cbranch_execz .LBB189_61
; %bb.57:
	s_and_b64 vcc, exec, s[0:1]
	s_cbranch_vccnz .LBB189_59
; %bb.58:
	v_lshl_add_u64 v[134:135], v[126:127], 3, v[132:133]
	global_load_dwordx2 v[134:135], v[134:135], off
	s_waitcnt vmcnt(0)
	v_mul_f64 v[134:135], s[70:71], v[134:135]
	s_branch .LBB189_60
.LBB189_59:
	v_mov_b64_e32 v[134:135], 0
.LBB189_60:
	v_add_f64 v[124:125], v[124:125], v[134:135]
	v_lshl_add_u64 v[134:135], v[126:127], 3, v[130:131]
	global_store_dwordx2 v[134:135], v[124:125], off
.LBB189_61:
	s_or_b64 exec, exec, s[6:7]
	v_add_u32_e32 v124, 8, v128
	v_cmp_gt_i32_e64 s[6:7], s72, v124
	s_and_b64 s[10:11], s[24:25], s[6:7]
	v_ashrrev_i32_e32 v125, 31, v124
	;; [unrolled: 23-line block ×31, first 2 shown]
	s_and_saveexec_b64 s[24:25], s[80:81]
	s_cbranch_execz .LBB189_211
; %bb.207:
	s_and_b64 vcc, exec, s[0:1]
	s_cbranch_vccnz .LBB189_209
; %bb.208:
	v_lshl_add_u64 v[132:133], v[66:67], 3, v[132:133]
	global_load_dwordx2 v[132:133], v[132:133], off
	s_waitcnt vmcnt(0)
	v_mul_f64 v[132:133], s[70:71], v[132:133]
	s_branch .LBB189_210
.LBB189_209:
	v_mov_b64_e32 v[132:133], 0
.LBB189_210:
	v_add_f64 v[64:65], v[64:65], v[132:133]
	v_lshl_add_u64 v[130:131], v[66:67], 3, v[130:131]
	global_store_dwordx2 v[130:131], v[64:65], off
.LBB189_211:
	s_or_b64 exec, exec, s[24:25]
	v_add_u32_e32 v132, 64, v136
	v_cmp_gt_i32_e64 s[24:25], s73, v132
	v_mad_i64_i32 v[64:65], s[72:73], v132, s78, 0
	v_lshl_add_u64 v[130:131], v[64:65], 3, s[76:77]
	v_mad_i64_i32 v[64:65], s[72:73], v132, s33, 0
	v_lshl_add_u64 v[64:65], v[64:65], 3, s[74:75]
	s_and_b64 s[2:3], s[24:25], s[2:3]
	s_and_saveexec_b64 s[72:73], s[2:3]
	s_xor_b64 s[2:3], exec, s[72:73]
	s_cbranch_execnz .LBB189_244
; %bb.212:
	s_or_b64 exec, exec, s[2:3]
	s_and_b64 s[4:5], s[24:25], s[4:5]
	s_and_saveexec_b64 s[2:3], s[4:5]
	s_cbranch_execnz .LBB189_248
.LBB189_213:
	s_or_b64 exec, exec, s[2:3]
	s_and_b64 s[4:5], s[24:25], s[6:7]
	s_and_saveexec_b64 s[2:3], s[4:5]
	s_cbranch_execnz .LBB189_252
.LBB189_214:
	s_or_b64 exec, exec, s[2:3]
	s_and_b64 s[4:5], s[24:25], s[8:9]
	s_and_saveexec_b64 s[2:3], s[4:5]
	s_cbranch_execnz .LBB189_256
.LBB189_215:
	s_or_b64 exec, exec, s[2:3]
	s_and_b64 s[4:5], s[24:25], s[10:11]
	s_and_saveexec_b64 s[2:3], s[4:5]
	s_cbranch_execnz .LBB189_260
.LBB189_216:
	s_or_b64 exec, exec, s[2:3]
	s_and_b64 s[4:5], s[24:25], s[12:13]
	s_and_saveexec_b64 s[2:3], s[4:5]
	s_cbranch_execnz .LBB189_264
.LBB189_217:
	s_or_b64 exec, exec, s[2:3]
	s_and_b64 s[4:5], s[24:25], s[14:15]
	s_and_saveexec_b64 s[2:3], s[4:5]
	s_cbranch_execnz .LBB189_268
.LBB189_218:
	s_or_b64 exec, exec, s[2:3]
	s_and_b64 s[4:5], s[24:25], s[16:17]
	s_and_saveexec_b64 s[2:3], s[4:5]
	s_cbranch_execnz .LBB189_272
.LBB189_219:
	s_or_b64 exec, exec, s[2:3]
	s_and_b64 s[4:5], s[24:25], s[18:19]
	s_and_saveexec_b64 s[2:3], s[4:5]
	s_cbranch_execnz .LBB189_276
.LBB189_220:
	s_or_b64 exec, exec, s[2:3]
	s_and_b64 s[4:5], s[24:25], s[20:21]
	s_and_saveexec_b64 s[2:3], s[4:5]
	s_cbranch_execnz .LBB189_280
.LBB189_221:
	s_or_b64 exec, exec, s[2:3]
	s_and_b64 s[4:5], s[24:25], s[22:23]
	s_and_saveexec_b64 s[2:3], s[4:5]
	s_cbranch_execnz .LBB189_284
.LBB189_222:
	s_or_b64 exec, exec, s[2:3]
	s_and_b64 s[4:5], s[24:25], s[26:27]
	s_and_saveexec_b64 s[2:3], s[4:5]
	s_cbranch_execnz .LBB189_288
.LBB189_223:
	s_or_b64 exec, exec, s[2:3]
	s_and_b64 s[4:5], s[24:25], s[28:29]
	s_and_saveexec_b64 s[2:3], s[4:5]
	s_cbranch_execnz .LBB189_292
.LBB189_224:
	s_or_b64 exec, exec, s[2:3]
	s_and_b64 s[4:5], s[24:25], s[30:31]
	s_and_saveexec_b64 s[2:3], s[4:5]
	s_cbranch_execnz .LBB189_296
.LBB189_225:
	s_or_b64 exec, exec, s[2:3]
	s_and_b64 s[4:5], s[24:25], s[34:35]
	s_and_saveexec_b64 s[2:3], s[4:5]
	s_cbranch_execnz .LBB189_300
.LBB189_226:
	s_or_b64 exec, exec, s[2:3]
	s_and_b64 s[4:5], s[24:25], s[36:37]
	s_and_saveexec_b64 s[2:3], s[4:5]
	s_cbranch_execnz .LBB189_304
.LBB189_227:
	s_or_b64 exec, exec, s[2:3]
	s_and_b64 s[4:5], s[24:25], s[38:39]
	s_and_saveexec_b64 s[2:3], s[4:5]
	s_cbranch_execnz .LBB189_308
.LBB189_228:
	s_or_b64 exec, exec, s[2:3]
	s_and_b64 s[4:5], s[24:25], s[40:41]
	s_and_saveexec_b64 s[2:3], s[4:5]
	s_cbranch_execnz .LBB189_312
.LBB189_229:
	s_or_b64 exec, exec, s[2:3]
	s_and_b64 s[4:5], s[24:25], s[42:43]
	s_and_saveexec_b64 s[2:3], s[4:5]
	s_cbranch_execnz .LBB189_316
.LBB189_230:
	s_or_b64 exec, exec, s[2:3]
	s_and_b64 s[4:5], s[24:25], s[44:45]
	s_and_saveexec_b64 s[2:3], s[4:5]
	s_cbranch_execnz .LBB189_320
.LBB189_231:
	s_or_b64 exec, exec, s[2:3]
	s_and_b64 s[4:5], s[24:25], s[46:47]
	s_and_saveexec_b64 s[2:3], s[4:5]
	s_cbranch_execnz .LBB189_324
.LBB189_232:
	s_or_b64 exec, exec, s[2:3]
	s_and_b64 s[4:5], s[24:25], s[48:49]
	s_and_saveexec_b64 s[2:3], s[4:5]
	s_cbranch_execnz .LBB189_328
.LBB189_233:
	s_or_b64 exec, exec, s[2:3]
	s_and_b64 s[4:5], s[24:25], s[50:51]
	s_and_saveexec_b64 s[2:3], s[4:5]
	s_cbranch_execnz .LBB189_332
.LBB189_234:
	s_or_b64 exec, exec, s[2:3]
	s_and_b64 s[4:5], s[24:25], s[52:53]
	s_and_saveexec_b64 s[2:3], s[4:5]
	s_cbranch_execnz .LBB189_336
.LBB189_235:
	s_or_b64 exec, exec, s[2:3]
	s_and_b64 s[4:5], s[24:25], s[54:55]
	s_and_saveexec_b64 s[2:3], s[4:5]
	s_cbranch_execnz .LBB189_340
.LBB189_236:
	s_or_b64 exec, exec, s[2:3]
	s_and_b64 s[4:5], s[24:25], s[56:57]
	s_and_saveexec_b64 s[2:3], s[4:5]
	s_cbranch_execnz .LBB189_344
.LBB189_237:
	s_or_b64 exec, exec, s[2:3]
	s_and_b64 s[4:5], s[24:25], s[58:59]
	s_and_saveexec_b64 s[2:3], s[4:5]
	s_cbranch_execnz .LBB189_348
.LBB189_238:
	s_or_b64 exec, exec, s[2:3]
	s_and_b64 s[4:5], s[24:25], s[60:61]
	s_and_saveexec_b64 s[2:3], s[4:5]
	s_cbranch_execnz .LBB189_352
.LBB189_239:
	s_or_b64 exec, exec, s[2:3]
	s_and_b64 s[4:5], s[24:25], s[62:63]
	s_and_saveexec_b64 s[2:3], s[4:5]
	s_cbranch_execnz .LBB189_356
.LBB189_240:
	s_or_b64 exec, exec, s[2:3]
	s_and_b64 s[4:5], s[24:25], s[64:65]
	s_and_saveexec_b64 s[2:3], s[4:5]
	s_cbranch_execnz .LBB189_360
.LBB189_241:
	s_or_b64 exec, exec, s[2:3]
	s_and_b64 s[4:5], s[24:25], s[66:67]
	s_and_saveexec_b64 s[2:3], s[4:5]
	s_cbranch_execnz .LBB189_364
.LBB189_242:
	s_or_b64 exec, exec, s[2:3]
	s_and_b64 s[2:3], s[24:25], s[68:69]
	s_and_saveexec_b64 s[4:5], s[2:3]
	s_cbranch_execnz .LBB189_368
.LBB189_243:
	s_endpgm
.LBB189_244:
	s_and_b64 vcc, exec, s[0:1]
	s_cbranch_vccnz .LBB189_246
; %bb.245:
	v_lshl_add_u64 v[132:133], v[128:129], 3, v[130:131]
	global_load_dwordx2 v[132:133], v[132:133], off
	s_waitcnt vmcnt(0)
	v_mul_f64 v[132:133], s[70:71], v[132:133]
	s_branch .LBB189_247
.LBB189_246:
	v_mov_b64_e32 v[132:133], 0
.LBB189_247:
	v_add_f64 v[62:63], v[62:63], v[132:133]
	v_lshl_add_u64 v[128:129], v[128:129], 3, v[64:65]
	global_store_dwordx2 v[128:129], v[62:63], off
	s_or_b64 exec, exec, s[2:3]
	s_and_b64 s[4:5], s[24:25], s[4:5]
	s_and_saveexec_b64 s[2:3], s[4:5]
	s_cbranch_execz .LBB189_213
.LBB189_248:
	s_and_b64 vcc, exec, s[0:1]
	s_cbranch_vccnz .LBB189_250
; %bb.249:
	v_lshl_add_u64 v[62:63], v[126:127], 3, v[130:131]
	global_load_dwordx2 v[62:63], v[62:63], off
	s_waitcnt vmcnt(0)
	v_mul_f64 v[62:63], s[70:71], v[62:63]
	s_branch .LBB189_251
.LBB189_250:
	v_mov_b64_e32 v[62:63], 0
.LBB189_251:
	v_add_f64 v[60:61], v[60:61], v[62:63]
	v_lshl_add_u64 v[62:63], v[126:127], 3, v[64:65]
	global_store_dwordx2 v[62:63], v[60:61], off
	s_or_b64 exec, exec, s[2:3]
	s_and_b64 s[4:5], s[24:25], s[6:7]
	s_and_saveexec_b64 s[2:3], s[4:5]
	s_cbranch_execz .LBB189_214
.LBB189_252:
	s_and_b64 vcc, exec, s[0:1]
	s_cbranch_vccnz .LBB189_254
; %bb.253:
	v_lshl_add_u64 v[60:61], v[124:125], 3, v[130:131]
	global_load_dwordx2 v[60:61], v[60:61], off
	s_waitcnt vmcnt(0)
	v_mul_f64 v[60:61], s[70:71], v[60:61]
	s_branch .LBB189_255
.LBB189_254:
	v_mov_b64_e32 v[60:61], 0
.LBB189_255:
	v_add_f64 v[58:59], v[58:59], v[60:61]
	v_lshl_add_u64 v[60:61], v[124:125], 3, v[64:65]
	global_store_dwordx2 v[60:61], v[58:59], off
	s_or_b64 exec, exec, s[2:3]
	s_and_b64 s[4:5], s[24:25], s[8:9]
	s_and_saveexec_b64 s[2:3], s[4:5]
	s_cbranch_execz .LBB189_215
.LBB189_256:
	s_and_b64 vcc, exec, s[0:1]
	s_cbranch_vccnz .LBB189_258
; %bb.257:
	v_lshl_add_u64 v[58:59], v[122:123], 3, v[130:131]
	global_load_dwordx2 v[58:59], v[58:59], off
	s_waitcnt vmcnt(0)
	v_mul_f64 v[58:59], s[70:71], v[58:59]
	s_branch .LBB189_259
.LBB189_258:
	v_mov_b64_e32 v[58:59], 0
.LBB189_259:
	v_add_f64 v[56:57], v[56:57], v[58:59]
	v_lshl_add_u64 v[58:59], v[122:123], 3, v[64:65]
	global_store_dwordx2 v[58:59], v[56:57], off
	s_or_b64 exec, exec, s[2:3]
	s_and_b64 s[4:5], s[24:25], s[10:11]
	s_and_saveexec_b64 s[2:3], s[4:5]
	s_cbranch_execz .LBB189_216
.LBB189_260:
	s_and_b64 vcc, exec, s[0:1]
	s_cbranch_vccnz .LBB189_262
; %bb.261:
	v_lshl_add_u64 v[56:57], v[120:121], 3, v[130:131]
	global_load_dwordx2 v[56:57], v[56:57], off
	s_waitcnt vmcnt(0)
	v_mul_f64 v[56:57], s[70:71], v[56:57]
	s_branch .LBB189_263
.LBB189_262:
	v_mov_b64_e32 v[56:57], 0
.LBB189_263:
	v_add_f64 v[54:55], v[54:55], v[56:57]
	v_lshl_add_u64 v[56:57], v[120:121], 3, v[64:65]
	global_store_dwordx2 v[56:57], v[54:55], off
	s_or_b64 exec, exec, s[2:3]
	s_and_b64 s[4:5], s[24:25], s[12:13]
	s_and_saveexec_b64 s[2:3], s[4:5]
	s_cbranch_execz .LBB189_217
.LBB189_264:
	s_and_b64 vcc, exec, s[0:1]
	s_cbranch_vccnz .LBB189_266
; %bb.265:
	v_lshl_add_u64 v[54:55], v[118:119], 3, v[130:131]
	global_load_dwordx2 v[54:55], v[54:55], off
	s_waitcnt vmcnt(0)
	v_mul_f64 v[54:55], s[70:71], v[54:55]
	s_branch .LBB189_267
.LBB189_266:
	v_mov_b64_e32 v[54:55], 0
.LBB189_267:
	v_add_f64 v[52:53], v[52:53], v[54:55]
	v_lshl_add_u64 v[54:55], v[118:119], 3, v[64:65]
	global_store_dwordx2 v[54:55], v[52:53], off
	s_or_b64 exec, exec, s[2:3]
	s_and_b64 s[4:5], s[24:25], s[14:15]
	s_and_saveexec_b64 s[2:3], s[4:5]
	s_cbranch_execz .LBB189_218
.LBB189_268:
	s_and_b64 vcc, exec, s[0:1]
	s_cbranch_vccnz .LBB189_270
; %bb.269:
	v_lshl_add_u64 v[52:53], v[116:117], 3, v[130:131]
	global_load_dwordx2 v[52:53], v[52:53], off
	s_waitcnt vmcnt(0)
	v_mul_f64 v[52:53], s[70:71], v[52:53]
	s_branch .LBB189_271
.LBB189_270:
	v_mov_b64_e32 v[52:53], 0
.LBB189_271:
	v_add_f64 v[50:51], v[50:51], v[52:53]
	v_lshl_add_u64 v[52:53], v[116:117], 3, v[64:65]
	global_store_dwordx2 v[52:53], v[50:51], off
	s_or_b64 exec, exec, s[2:3]
	s_and_b64 s[4:5], s[24:25], s[16:17]
	s_and_saveexec_b64 s[2:3], s[4:5]
	s_cbranch_execz .LBB189_219
.LBB189_272:
	s_and_b64 vcc, exec, s[0:1]
	s_cbranch_vccnz .LBB189_274
; %bb.273:
	v_lshl_add_u64 v[50:51], v[114:115], 3, v[130:131]
	global_load_dwordx2 v[50:51], v[50:51], off
	s_waitcnt vmcnt(0)
	v_mul_f64 v[50:51], s[70:71], v[50:51]
	s_branch .LBB189_275
.LBB189_274:
	v_mov_b64_e32 v[50:51], 0
.LBB189_275:
	v_add_f64 v[48:49], v[48:49], v[50:51]
	v_lshl_add_u64 v[50:51], v[114:115], 3, v[64:65]
	global_store_dwordx2 v[50:51], v[48:49], off
	s_or_b64 exec, exec, s[2:3]
	s_and_b64 s[4:5], s[24:25], s[18:19]
	s_and_saveexec_b64 s[2:3], s[4:5]
	s_cbranch_execz .LBB189_220
.LBB189_276:
	s_and_b64 vcc, exec, s[0:1]
	s_cbranch_vccnz .LBB189_278
; %bb.277:
	v_lshl_add_u64 v[48:49], v[112:113], 3, v[130:131]
	global_load_dwordx2 v[48:49], v[48:49], off
	s_waitcnt vmcnt(0)
	v_mul_f64 v[48:49], s[70:71], v[48:49]
	s_branch .LBB189_279
.LBB189_278:
	v_mov_b64_e32 v[48:49], 0
.LBB189_279:
	v_add_f64 v[46:47], v[46:47], v[48:49]
	v_lshl_add_u64 v[48:49], v[112:113], 3, v[64:65]
	global_store_dwordx2 v[48:49], v[46:47], off
	s_or_b64 exec, exec, s[2:3]
	s_and_b64 s[4:5], s[24:25], s[20:21]
	s_and_saveexec_b64 s[2:3], s[4:5]
	s_cbranch_execz .LBB189_221
.LBB189_280:
	s_and_b64 vcc, exec, s[0:1]
	s_cbranch_vccnz .LBB189_282
; %bb.281:
	v_lshl_add_u64 v[46:47], v[110:111], 3, v[130:131]
	global_load_dwordx2 v[46:47], v[46:47], off
	s_waitcnt vmcnt(0)
	v_mul_f64 v[46:47], s[70:71], v[46:47]
	s_branch .LBB189_283
.LBB189_282:
	v_mov_b64_e32 v[46:47], 0
.LBB189_283:
	v_add_f64 v[44:45], v[44:45], v[46:47]
	v_lshl_add_u64 v[46:47], v[110:111], 3, v[64:65]
	global_store_dwordx2 v[46:47], v[44:45], off
	s_or_b64 exec, exec, s[2:3]
	s_and_b64 s[4:5], s[24:25], s[22:23]
	s_and_saveexec_b64 s[2:3], s[4:5]
	s_cbranch_execz .LBB189_222
.LBB189_284:
	s_and_b64 vcc, exec, s[0:1]
	s_cbranch_vccnz .LBB189_286
; %bb.285:
	v_lshl_add_u64 v[44:45], v[108:109], 3, v[130:131]
	global_load_dwordx2 v[44:45], v[44:45], off
	s_waitcnt vmcnt(0)
	v_mul_f64 v[44:45], s[70:71], v[44:45]
	s_branch .LBB189_287
.LBB189_286:
	v_mov_b64_e32 v[44:45], 0
.LBB189_287:
	v_add_f64 v[42:43], v[42:43], v[44:45]
	v_lshl_add_u64 v[44:45], v[108:109], 3, v[64:65]
	global_store_dwordx2 v[44:45], v[42:43], off
	s_or_b64 exec, exec, s[2:3]
	s_and_b64 s[4:5], s[24:25], s[26:27]
	s_and_saveexec_b64 s[2:3], s[4:5]
	s_cbranch_execz .LBB189_223
.LBB189_288:
	s_and_b64 vcc, exec, s[0:1]
	s_cbranch_vccnz .LBB189_290
; %bb.289:
	v_lshl_add_u64 v[42:43], v[106:107], 3, v[130:131]
	global_load_dwordx2 v[42:43], v[42:43], off
	s_waitcnt vmcnt(0)
	v_mul_f64 v[42:43], s[70:71], v[42:43]
	s_branch .LBB189_291
.LBB189_290:
	v_mov_b64_e32 v[42:43], 0
.LBB189_291:
	v_add_f64 v[40:41], v[40:41], v[42:43]
	v_lshl_add_u64 v[42:43], v[106:107], 3, v[64:65]
	global_store_dwordx2 v[42:43], v[40:41], off
	s_or_b64 exec, exec, s[2:3]
	s_and_b64 s[4:5], s[24:25], s[28:29]
	s_and_saveexec_b64 s[2:3], s[4:5]
	s_cbranch_execz .LBB189_224
.LBB189_292:
	s_and_b64 vcc, exec, s[0:1]
	s_cbranch_vccnz .LBB189_294
; %bb.293:
	v_lshl_add_u64 v[40:41], v[104:105], 3, v[130:131]
	global_load_dwordx2 v[40:41], v[40:41], off
	s_waitcnt vmcnt(0)
	v_mul_f64 v[40:41], s[70:71], v[40:41]
	s_branch .LBB189_295
.LBB189_294:
	v_mov_b64_e32 v[40:41], 0
.LBB189_295:
	v_add_f64 v[38:39], v[38:39], v[40:41]
	v_lshl_add_u64 v[40:41], v[104:105], 3, v[64:65]
	global_store_dwordx2 v[40:41], v[38:39], off
	s_or_b64 exec, exec, s[2:3]
	s_and_b64 s[4:5], s[24:25], s[30:31]
	s_and_saveexec_b64 s[2:3], s[4:5]
	s_cbranch_execz .LBB189_225
.LBB189_296:
	s_and_b64 vcc, exec, s[0:1]
	s_cbranch_vccnz .LBB189_298
; %bb.297:
	v_lshl_add_u64 v[38:39], v[102:103], 3, v[130:131]
	global_load_dwordx2 v[38:39], v[38:39], off
	s_waitcnt vmcnt(0)
	v_mul_f64 v[38:39], s[70:71], v[38:39]
	s_branch .LBB189_299
.LBB189_298:
	v_mov_b64_e32 v[38:39], 0
.LBB189_299:
	v_add_f64 v[36:37], v[36:37], v[38:39]
	v_lshl_add_u64 v[38:39], v[102:103], 3, v[64:65]
	global_store_dwordx2 v[38:39], v[36:37], off
	s_or_b64 exec, exec, s[2:3]
	s_and_b64 s[4:5], s[24:25], s[34:35]
	s_and_saveexec_b64 s[2:3], s[4:5]
	s_cbranch_execz .LBB189_226
.LBB189_300:
	s_and_b64 vcc, exec, s[0:1]
	s_cbranch_vccnz .LBB189_302
; %bb.301:
	v_lshl_add_u64 v[36:37], v[100:101], 3, v[130:131]
	global_load_dwordx2 v[36:37], v[36:37], off
	s_waitcnt vmcnt(0)
	v_mul_f64 v[36:37], s[70:71], v[36:37]
	s_branch .LBB189_303
.LBB189_302:
	v_mov_b64_e32 v[36:37], 0
.LBB189_303:
	v_add_f64 v[34:35], v[34:35], v[36:37]
	v_lshl_add_u64 v[36:37], v[100:101], 3, v[64:65]
	global_store_dwordx2 v[36:37], v[34:35], off
	s_or_b64 exec, exec, s[2:3]
	s_and_b64 s[4:5], s[24:25], s[36:37]
	s_and_saveexec_b64 s[2:3], s[4:5]
	s_cbranch_execz .LBB189_227
.LBB189_304:
	s_and_b64 vcc, exec, s[0:1]
	s_cbranch_vccnz .LBB189_306
; %bb.305:
	v_lshl_add_u64 v[34:35], v[98:99], 3, v[130:131]
	global_load_dwordx2 v[34:35], v[34:35], off
	s_waitcnt vmcnt(0)
	v_mul_f64 v[34:35], s[70:71], v[34:35]
	s_branch .LBB189_307
.LBB189_306:
	v_mov_b64_e32 v[34:35], 0
.LBB189_307:
	v_add_f64 v[32:33], v[32:33], v[34:35]
	v_lshl_add_u64 v[34:35], v[98:99], 3, v[64:65]
	global_store_dwordx2 v[34:35], v[32:33], off
	s_or_b64 exec, exec, s[2:3]
	s_and_b64 s[4:5], s[24:25], s[38:39]
	s_and_saveexec_b64 s[2:3], s[4:5]
	s_cbranch_execz .LBB189_228
.LBB189_308:
	s_and_b64 vcc, exec, s[0:1]
	s_cbranch_vccnz .LBB189_310
; %bb.309:
	v_lshl_add_u64 v[32:33], v[96:97], 3, v[130:131]
	global_load_dwordx2 v[32:33], v[32:33], off
	s_waitcnt vmcnt(0)
	v_mul_f64 v[32:33], s[70:71], v[32:33]
	s_branch .LBB189_311
.LBB189_310:
	v_mov_b64_e32 v[32:33], 0
.LBB189_311:
	v_add_f64 v[30:31], v[30:31], v[32:33]
	v_lshl_add_u64 v[32:33], v[96:97], 3, v[64:65]
	global_store_dwordx2 v[32:33], v[30:31], off
	s_or_b64 exec, exec, s[2:3]
	s_and_b64 s[4:5], s[24:25], s[40:41]
	s_and_saveexec_b64 s[2:3], s[4:5]
	s_cbranch_execz .LBB189_229
.LBB189_312:
	s_and_b64 vcc, exec, s[0:1]
	s_cbranch_vccnz .LBB189_314
; %bb.313:
	v_lshl_add_u64 v[30:31], v[94:95], 3, v[130:131]
	global_load_dwordx2 v[30:31], v[30:31], off
	s_waitcnt vmcnt(0)
	v_mul_f64 v[30:31], s[70:71], v[30:31]
	s_branch .LBB189_315
.LBB189_314:
	v_mov_b64_e32 v[30:31], 0
.LBB189_315:
	v_add_f64 v[28:29], v[28:29], v[30:31]
	v_lshl_add_u64 v[30:31], v[94:95], 3, v[64:65]
	global_store_dwordx2 v[30:31], v[28:29], off
	s_or_b64 exec, exec, s[2:3]
	s_and_b64 s[4:5], s[24:25], s[42:43]
	s_and_saveexec_b64 s[2:3], s[4:5]
	s_cbranch_execz .LBB189_230
.LBB189_316:
	s_and_b64 vcc, exec, s[0:1]
	s_cbranch_vccnz .LBB189_318
; %bb.317:
	v_lshl_add_u64 v[28:29], v[92:93], 3, v[130:131]
	global_load_dwordx2 v[28:29], v[28:29], off
	s_waitcnt vmcnt(0)
	v_mul_f64 v[28:29], s[70:71], v[28:29]
	s_branch .LBB189_319
.LBB189_318:
	v_mov_b64_e32 v[28:29], 0
.LBB189_319:
	v_add_f64 v[26:27], v[26:27], v[28:29]
	v_lshl_add_u64 v[28:29], v[92:93], 3, v[64:65]
	global_store_dwordx2 v[28:29], v[26:27], off
	s_or_b64 exec, exec, s[2:3]
	s_and_b64 s[4:5], s[24:25], s[44:45]
	s_and_saveexec_b64 s[2:3], s[4:5]
	s_cbranch_execz .LBB189_231
.LBB189_320:
	s_and_b64 vcc, exec, s[0:1]
	s_cbranch_vccnz .LBB189_322
; %bb.321:
	v_lshl_add_u64 v[26:27], v[90:91], 3, v[130:131]
	global_load_dwordx2 v[26:27], v[26:27], off
	s_waitcnt vmcnt(0)
	v_mul_f64 v[26:27], s[70:71], v[26:27]
	s_branch .LBB189_323
.LBB189_322:
	v_mov_b64_e32 v[26:27], 0
.LBB189_323:
	v_add_f64 v[24:25], v[24:25], v[26:27]
	v_lshl_add_u64 v[26:27], v[90:91], 3, v[64:65]
	global_store_dwordx2 v[26:27], v[24:25], off
	s_or_b64 exec, exec, s[2:3]
	s_and_b64 s[4:5], s[24:25], s[46:47]
	s_and_saveexec_b64 s[2:3], s[4:5]
	s_cbranch_execz .LBB189_232
.LBB189_324:
	s_and_b64 vcc, exec, s[0:1]
	s_cbranch_vccnz .LBB189_326
; %bb.325:
	v_lshl_add_u64 v[24:25], v[88:89], 3, v[130:131]
	global_load_dwordx2 v[24:25], v[24:25], off
	s_waitcnt vmcnt(0)
	v_mul_f64 v[24:25], s[70:71], v[24:25]
	s_branch .LBB189_327
.LBB189_326:
	v_mov_b64_e32 v[24:25], 0
.LBB189_327:
	v_add_f64 v[22:23], v[22:23], v[24:25]
	v_lshl_add_u64 v[24:25], v[88:89], 3, v[64:65]
	global_store_dwordx2 v[24:25], v[22:23], off
	s_or_b64 exec, exec, s[2:3]
	s_and_b64 s[4:5], s[24:25], s[48:49]
	s_and_saveexec_b64 s[2:3], s[4:5]
	s_cbranch_execz .LBB189_233
.LBB189_328:
	s_and_b64 vcc, exec, s[0:1]
	s_cbranch_vccnz .LBB189_330
; %bb.329:
	v_lshl_add_u64 v[22:23], v[86:87], 3, v[130:131]
	global_load_dwordx2 v[22:23], v[22:23], off
	s_waitcnt vmcnt(0)
	v_mul_f64 v[22:23], s[70:71], v[22:23]
	s_branch .LBB189_331
.LBB189_330:
	v_mov_b64_e32 v[22:23], 0
.LBB189_331:
	v_add_f64 v[20:21], v[20:21], v[22:23]
	v_lshl_add_u64 v[22:23], v[86:87], 3, v[64:65]
	global_store_dwordx2 v[22:23], v[20:21], off
	s_or_b64 exec, exec, s[2:3]
	s_and_b64 s[4:5], s[24:25], s[50:51]
	s_and_saveexec_b64 s[2:3], s[4:5]
	s_cbranch_execz .LBB189_234
.LBB189_332:
	s_and_b64 vcc, exec, s[0:1]
	s_cbranch_vccnz .LBB189_334
; %bb.333:
	v_lshl_add_u64 v[20:21], v[84:85], 3, v[130:131]
	global_load_dwordx2 v[20:21], v[20:21], off
	s_waitcnt vmcnt(0)
	v_mul_f64 v[20:21], s[70:71], v[20:21]
	s_branch .LBB189_335
.LBB189_334:
	v_mov_b64_e32 v[20:21], 0
.LBB189_335:
	v_add_f64 v[18:19], v[18:19], v[20:21]
	v_lshl_add_u64 v[20:21], v[84:85], 3, v[64:65]
	global_store_dwordx2 v[20:21], v[18:19], off
	s_or_b64 exec, exec, s[2:3]
	s_and_b64 s[4:5], s[24:25], s[52:53]
	s_and_saveexec_b64 s[2:3], s[4:5]
	s_cbranch_execz .LBB189_235
.LBB189_336:
	s_and_b64 vcc, exec, s[0:1]
	s_cbranch_vccnz .LBB189_338
; %bb.337:
	v_lshl_add_u64 v[18:19], v[82:83], 3, v[130:131]
	global_load_dwordx2 v[18:19], v[18:19], off
	s_waitcnt vmcnt(0)
	v_mul_f64 v[18:19], s[70:71], v[18:19]
	s_branch .LBB189_339
.LBB189_338:
	v_mov_b64_e32 v[18:19], 0
.LBB189_339:
	v_add_f64 v[16:17], v[16:17], v[18:19]
	v_lshl_add_u64 v[18:19], v[82:83], 3, v[64:65]
	global_store_dwordx2 v[18:19], v[16:17], off
	s_or_b64 exec, exec, s[2:3]
	s_and_b64 s[4:5], s[24:25], s[54:55]
	s_and_saveexec_b64 s[2:3], s[4:5]
	s_cbranch_execz .LBB189_236
.LBB189_340:
	s_and_b64 vcc, exec, s[0:1]
	s_cbranch_vccnz .LBB189_342
; %bb.341:
	v_lshl_add_u64 v[16:17], v[80:81], 3, v[130:131]
	global_load_dwordx2 v[16:17], v[16:17], off
	s_waitcnt vmcnt(0)
	v_mul_f64 v[16:17], s[70:71], v[16:17]
	s_branch .LBB189_343
.LBB189_342:
	v_mov_b64_e32 v[16:17], 0
.LBB189_343:
	v_add_f64 v[14:15], v[14:15], v[16:17]
	v_lshl_add_u64 v[16:17], v[80:81], 3, v[64:65]
	global_store_dwordx2 v[16:17], v[14:15], off
	s_or_b64 exec, exec, s[2:3]
	s_and_b64 s[4:5], s[24:25], s[56:57]
	s_and_saveexec_b64 s[2:3], s[4:5]
	s_cbranch_execz .LBB189_237
.LBB189_344:
	s_and_b64 vcc, exec, s[0:1]
	s_cbranch_vccnz .LBB189_346
; %bb.345:
	v_lshl_add_u64 v[14:15], v[78:79], 3, v[130:131]
	global_load_dwordx2 v[14:15], v[14:15], off
	s_waitcnt vmcnt(0)
	v_mul_f64 v[14:15], s[70:71], v[14:15]
	s_branch .LBB189_347
.LBB189_346:
	v_mov_b64_e32 v[14:15], 0
.LBB189_347:
	v_add_f64 v[12:13], v[12:13], v[14:15]
	v_lshl_add_u64 v[14:15], v[78:79], 3, v[64:65]
	global_store_dwordx2 v[14:15], v[12:13], off
	s_or_b64 exec, exec, s[2:3]
	s_and_b64 s[4:5], s[24:25], s[58:59]
	s_and_saveexec_b64 s[2:3], s[4:5]
	s_cbranch_execz .LBB189_238
.LBB189_348:
	s_and_b64 vcc, exec, s[0:1]
	s_cbranch_vccnz .LBB189_350
; %bb.349:
	v_lshl_add_u64 v[12:13], v[76:77], 3, v[130:131]
	global_load_dwordx2 v[12:13], v[12:13], off
	s_waitcnt vmcnt(0)
	v_mul_f64 v[12:13], s[70:71], v[12:13]
	s_branch .LBB189_351
.LBB189_350:
	v_mov_b64_e32 v[12:13], 0
.LBB189_351:
	v_add_f64 v[10:11], v[10:11], v[12:13]
	v_lshl_add_u64 v[12:13], v[76:77], 3, v[64:65]
	global_store_dwordx2 v[12:13], v[10:11], off
	s_or_b64 exec, exec, s[2:3]
	s_and_b64 s[4:5], s[24:25], s[60:61]
	s_and_saveexec_b64 s[2:3], s[4:5]
	s_cbranch_execz .LBB189_239
.LBB189_352:
	s_and_b64 vcc, exec, s[0:1]
	s_cbranch_vccnz .LBB189_354
; %bb.353:
	v_lshl_add_u64 v[10:11], v[74:75], 3, v[130:131]
	global_load_dwordx2 v[10:11], v[10:11], off
	s_waitcnt vmcnt(0)
	v_mul_f64 v[10:11], s[70:71], v[10:11]
	s_branch .LBB189_355
.LBB189_354:
	v_mov_b64_e32 v[10:11], 0
.LBB189_355:
	v_add_f64 v[8:9], v[8:9], v[10:11]
	v_lshl_add_u64 v[10:11], v[74:75], 3, v[64:65]
	global_store_dwordx2 v[10:11], v[8:9], off
	s_or_b64 exec, exec, s[2:3]
	s_and_b64 s[4:5], s[24:25], s[62:63]
	s_and_saveexec_b64 s[2:3], s[4:5]
	s_cbranch_execz .LBB189_240
.LBB189_356:
	s_and_b64 vcc, exec, s[0:1]
	s_cbranch_vccnz .LBB189_358
; %bb.357:
	v_lshl_add_u64 v[8:9], v[72:73], 3, v[130:131]
	global_load_dwordx2 v[8:9], v[8:9], off
	s_waitcnt vmcnt(0)
	v_mul_f64 v[8:9], s[70:71], v[8:9]
	s_branch .LBB189_359
.LBB189_358:
	v_mov_b64_e32 v[8:9], 0
.LBB189_359:
	v_add_f64 v[6:7], v[6:7], v[8:9]
	v_lshl_add_u64 v[8:9], v[72:73], 3, v[64:65]
	global_store_dwordx2 v[8:9], v[6:7], off
	s_or_b64 exec, exec, s[2:3]
	s_and_b64 s[4:5], s[24:25], s[64:65]
	s_and_saveexec_b64 s[2:3], s[4:5]
	s_cbranch_execz .LBB189_241
.LBB189_360:
	s_and_b64 vcc, exec, s[0:1]
	s_cbranch_vccnz .LBB189_362
; %bb.361:
	v_lshl_add_u64 v[6:7], v[70:71], 3, v[130:131]
	global_load_dwordx2 v[6:7], v[6:7], off
	s_waitcnt vmcnt(0)
	v_mul_f64 v[6:7], s[70:71], v[6:7]
	s_branch .LBB189_363
.LBB189_362:
	v_mov_b64_e32 v[6:7], 0
.LBB189_363:
	v_add_f64 v[4:5], v[4:5], v[6:7]
	v_lshl_add_u64 v[6:7], v[70:71], 3, v[64:65]
	global_store_dwordx2 v[6:7], v[4:5], off
	s_or_b64 exec, exec, s[2:3]
	s_and_b64 s[4:5], s[24:25], s[66:67]
	s_and_saveexec_b64 s[2:3], s[4:5]
	s_cbranch_execz .LBB189_242
.LBB189_364:
	s_and_b64 vcc, exec, s[0:1]
	s_cbranch_vccnz .LBB189_366
; %bb.365:
	v_lshl_add_u64 v[4:5], v[68:69], 3, v[130:131]
	global_load_dwordx2 v[4:5], v[4:5], off
	s_waitcnt vmcnt(0)
	v_mul_f64 v[4:5], s[70:71], v[4:5]
	s_branch .LBB189_367
.LBB189_366:
	v_mov_b64_e32 v[4:5], 0
.LBB189_367:
	v_add_f64 v[2:3], v[2:3], v[4:5]
	v_lshl_add_u64 v[4:5], v[68:69], 3, v[64:65]
	global_store_dwordx2 v[4:5], v[2:3], off
	s_or_b64 exec, exec, s[2:3]
	s_and_b64 s[2:3], s[24:25], s[68:69]
	s_and_saveexec_b64 s[4:5], s[2:3]
	s_cbranch_execz .LBB189_243
.LBB189_368:
	s_and_b64 vcc, exec, s[0:1]
	s_cbranch_vccnz .LBB189_370
; %bb.369:
	v_lshl_add_u64 v[2:3], v[66:67], 3, v[130:131]
	global_load_dwordx2 v[2:3], v[2:3], off
	s_waitcnt vmcnt(0)
	v_mul_f64 v[2:3], s[70:71], v[2:3]
	v_add_f64 v[0:1], v[0:1], v[2:3]
	v_lshl_add_u64 v[2:3], v[66:67], 3, v[64:65]
	global_store_dwordx2 v[2:3], v[0:1], off
	s_endpgm
.LBB189_370:
	v_mov_b64_e32 v[2:3], 0
	v_add_f64 v[0:1], v[0:1], v[2:3]
	v_lshl_add_u64 v[2:3], v[66:67], 3, v[64:65]
	global_store_dwordx2 v[2:3], v[0:1], off
	s_endpgm
	.section	.rodata,"a",@progbits
	.p2align	6, 0x0
	.amdhsa_kernel _ZN12_GLOBAL__N_120geam_min_plus_kernelIdddLi4ELi64ELi128ELi128ELi4ELi4ELi64ELi4ELi64ELc84ELc78ELb0ELb1ELb0EPKdS1_dEEviiiT16_PT17_ilS5_ilS3_S5_ilPT18_ili26rocblas_geam_ex_operation_
		.amdhsa_group_segment_fixed_size 16384
		.amdhsa_private_segment_fixed_size 0
		.amdhsa_kernarg_size 136
		.amdhsa_user_sgpr_count 2
		.amdhsa_user_sgpr_dispatch_ptr 0
		.amdhsa_user_sgpr_queue_ptr 0
		.amdhsa_user_sgpr_kernarg_segment_ptr 1
		.amdhsa_user_sgpr_dispatch_id 0
		.amdhsa_user_sgpr_kernarg_preload_length 0
		.amdhsa_user_sgpr_kernarg_preload_offset 0
		.amdhsa_user_sgpr_private_segment_size 0
		.amdhsa_uses_dynamic_stack 0
		.amdhsa_enable_private_segment 0
		.amdhsa_system_sgpr_workgroup_id_x 1
		.amdhsa_system_sgpr_workgroup_id_y 0
		.amdhsa_system_sgpr_workgroup_id_z 1
		.amdhsa_system_sgpr_workgroup_info 0
		.amdhsa_system_vgpr_workitem_id 1
		.amdhsa_next_free_vgpr 250
		.amdhsa_next_free_sgpr 82
		.amdhsa_accum_offset 252
		.amdhsa_reserve_vcc 1
		.amdhsa_float_round_mode_32 0
		.amdhsa_float_round_mode_16_64 0
		.amdhsa_float_denorm_mode_32 3
		.amdhsa_float_denorm_mode_16_64 3
		.amdhsa_dx10_clamp 1
		.amdhsa_ieee_mode 1
		.amdhsa_fp16_overflow 0
		.amdhsa_tg_split 0
		.amdhsa_exception_fp_ieee_invalid_op 0
		.amdhsa_exception_fp_denorm_src 0
		.amdhsa_exception_fp_ieee_div_zero 0
		.amdhsa_exception_fp_ieee_overflow 0
		.amdhsa_exception_fp_ieee_underflow 0
		.amdhsa_exception_fp_ieee_inexact 0
		.amdhsa_exception_int_div_zero 0
	.end_amdhsa_kernel
	.section	.text._ZN12_GLOBAL__N_120geam_min_plus_kernelIdddLi4ELi64ELi128ELi128ELi4ELi4ELi64ELi4ELi64ELc84ELc78ELb0ELb1ELb0EPKdS1_dEEviiiT16_PT17_ilS5_ilS3_S5_ilPT18_ili26rocblas_geam_ex_operation_,"axG",@progbits,_ZN12_GLOBAL__N_120geam_min_plus_kernelIdddLi4ELi64ELi128ELi128ELi4ELi4ELi64ELi4ELi64ELc84ELc78ELb0ELb1ELb0EPKdS1_dEEviiiT16_PT17_ilS5_ilS3_S5_ilPT18_ili26rocblas_geam_ex_operation_,comdat
.Lfunc_end189:
	.size	_ZN12_GLOBAL__N_120geam_min_plus_kernelIdddLi4ELi64ELi128ELi128ELi4ELi4ELi64ELi4ELi64ELc84ELc78ELb0ELb1ELb0EPKdS1_dEEviiiT16_PT17_ilS5_ilS3_S5_ilPT18_ili26rocblas_geam_ex_operation_, .Lfunc_end189-_ZN12_GLOBAL__N_120geam_min_plus_kernelIdddLi4ELi64ELi128ELi128ELi4ELi4ELi64ELi4ELi64ELc84ELc78ELb0ELb1ELb0EPKdS1_dEEviiiT16_PT17_ilS5_ilS3_S5_ilPT18_ili26rocblas_geam_ex_operation_
                                        ; -- End function
	.set _ZN12_GLOBAL__N_120geam_min_plus_kernelIdddLi4ELi64ELi128ELi128ELi4ELi4ELi64ELi4ELi64ELc84ELc78ELb0ELb1ELb0EPKdS1_dEEviiiT16_PT17_ilS5_ilS3_S5_ilPT18_ili26rocblas_geam_ex_operation_.num_vgpr, 250
	.set _ZN12_GLOBAL__N_120geam_min_plus_kernelIdddLi4ELi64ELi128ELi128ELi4ELi4ELi64ELi4ELi64ELc84ELc78ELb0ELb1ELb0EPKdS1_dEEviiiT16_PT17_ilS5_ilS3_S5_ilPT18_ili26rocblas_geam_ex_operation_.num_agpr, 0
	.set _ZN12_GLOBAL__N_120geam_min_plus_kernelIdddLi4ELi64ELi128ELi128ELi4ELi4ELi64ELi4ELi64ELc84ELc78ELb0ELb1ELb0EPKdS1_dEEviiiT16_PT17_ilS5_ilS3_S5_ilPT18_ili26rocblas_geam_ex_operation_.numbered_sgpr, 82
	.set _ZN12_GLOBAL__N_120geam_min_plus_kernelIdddLi4ELi64ELi128ELi128ELi4ELi4ELi64ELi4ELi64ELc84ELc78ELb0ELb1ELb0EPKdS1_dEEviiiT16_PT17_ilS5_ilS3_S5_ilPT18_ili26rocblas_geam_ex_operation_.num_named_barrier, 0
	.set _ZN12_GLOBAL__N_120geam_min_plus_kernelIdddLi4ELi64ELi128ELi128ELi4ELi4ELi64ELi4ELi64ELc84ELc78ELb0ELb1ELb0EPKdS1_dEEviiiT16_PT17_ilS5_ilS3_S5_ilPT18_ili26rocblas_geam_ex_operation_.private_seg_size, 0
	.set _ZN12_GLOBAL__N_120geam_min_plus_kernelIdddLi4ELi64ELi128ELi128ELi4ELi4ELi64ELi4ELi64ELc84ELc78ELb0ELb1ELb0EPKdS1_dEEviiiT16_PT17_ilS5_ilS3_S5_ilPT18_ili26rocblas_geam_ex_operation_.uses_vcc, 1
	.set _ZN12_GLOBAL__N_120geam_min_plus_kernelIdddLi4ELi64ELi128ELi128ELi4ELi4ELi64ELi4ELi64ELc84ELc78ELb0ELb1ELb0EPKdS1_dEEviiiT16_PT17_ilS5_ilS3_S5_ilPT18_ili26rocblas_geam_ex_operation_.uses_flat_scratch, 0
	.set _ZN12_GLOBAL__N_120geam_min_plus_kernelIdddLi4ELi64ELi128ELi128ELi4ELi4ELi64ELi4ELi64ELc84ELc78ELb0ELb1ELb0EPKdS1_dEEviiiT16_PT17_ilS5_ilS3_S5_ilPT18_ili26rocblas_geam_ex_operation_.has_dyn_sized_stack, 0
	.set _ZN12_GLOBAL__N_120geam_min_plus_kernelIdddLi4ELi64ELi128ELi128ELi4ELi4ELi64ELi4ELi64ELc84ELc78ELb0ELb1ELb0EPKdS1_dEEviiiT16_PT17_ilS5_ilS3_S5_ilPT18_ili26rocblas_geam_ex_operation_.has_recursion, 0
	.set _ZN12_GLOBAL__N_120geam_min_plus_kernelIdddLi4ELi64ELi128ELi128ELi4ELi4ELi64ELi4ELi64ELc84ELc78ELb0ELb1ELb0EPKdS1_dEEviiiT16_PT17_ilS5_ilS3_S5_ilPT18_ili26rocblas_geam_ex_operation_.has_indirect_call, 0
	.section	.AMDGPU.csdata,"",@progbits
; Kernel info:
; codeLenInByte = 14664
; TotalNumSgprs: 88
; NumVgprs: 250
; NumAgprs: 0
; TotalNumVgprs: 250
; ScratchSize: 0
; MemoryBound: 0
; FloatMode: 240
; IeeeMode: 1
; LDSByteSize: 16384 bytes/workgroup (compile time only)
; SGPRBlocks: 10
; VGPRBlocks: 31
; NumSGPRsForWavesPerEU: 88
; NumVGPRsForWavesPerEU: 250
; AccumOffset: 252
; Occupancy: 2
; WaveLimiterHint : 0
; COMPUTE_PGM_RSRC2:SCRATCH_EN: 0
; COMPUTE_PGM_RSRC2:USER_SGPR: 2
; COMPUTE_PGM_RSRC2:TRAP_HANDLER: 0
; COMPUTE_PGM_RSRC2:TGID_X_EN: 1
; COMPUTE_PGM_RSRC2:TGID_Y_EN: 0
; COMPUTE_PGM_RSRC2:TGID_Z_EN: 1
; COMPUTE_PGM_RSRC2:TIDIG_COMP_CNT: 1
; COMPUTE_PGM_RSRC3_GFX90A:ACCUM_OFFSET: 62
; COMPUTE_PGM_RSRC3_GFX90A:TG_SPLIT: 0
	.section	.text._ZN12_GLOBAL__N_120geam_min_plus_kernelIdddLi4ELi64ELi128ELi128ELi4ELi4ELi64ELi4ELi64ELc84ELc78ELb1ELb1ELb0EdKddEEviiiT16_PT17_ilS4_ilS2_S4_ilPT18_ili26rocblas_geam_ex_operation_,"axG",@progbits,_ZN12_GLOBAL__N_120geam_min_plus_kernelIdddLi4ELi64ELi128ELi128ELi4ELi4ELi64ELi4ELi64ELc84ELc78ELb1ELb1ELb0EdKddEEviiiT16_PT17_ilS4_ilS2_S4_ilPT18_ili26rocblas_geam_ex_operation_,comdat
	.globl	_ZN12_GLOBAL__N_120geam_min_plus_kernelIdddLi4ELi64ELi128ELi128ELi4ELi4ELi64ELi4ELi64ELc84ELc78ELb1ELb1ELb0EdKddEEviiiT16_PT17_ilS4_ilS2_S4_ilPT18_ili26rocblas_geam_ex_operation_ ; -- Begin function _ZN12_GLOBAL__N_120geam_min_plus_kernelIdddLi4ELi64ELi128ELi128ELi4ELi4ELi64ELi4ELi64ELc84ELc78ELb1ELb1ELb0EdKddEEviiiT16_PT17_ilS4_ilS2_S4_ilPT18_ili26rocblas_geam_ex_operation_
	.p2align	8
	.type	_ZN12_GLOBAL__N_120geam_min_plus_kernelIdddLi4ELi64ELi128ELi128ELi4ELi4ELi64ELi4ELi64ELc84ELc78ELb1ELb1ELb0EdKddEEviiiT16_PT17_ilS4_ilS2_S4_ilPT18_ili26rocblas_geam_ex_operation_,@function
_ZN12_GLOBAL__N_120geam_min_plus_kernelIdddLi4ELi64ELi128ELi128ELi4ELi4ELi64ELi4ELi64ELc84ELc78ELb1ELb1ELb0EdKddEEviiiT16_PT17_ilS4_ilS2_S4_ilPT18_ili26rocblas_geam_ex_operation_: ; @_ZN12_GLOBAL__N_120geam_min_plus_kernelIdddLi4ELi64ELi128ELi128ELi4ELi4ELi64ELi4ELi64ELc84ELc78ELb1ELb1ELb0EdKddEEviiiT16_PT17_ilS4_ilS2_S4_ilPT18_ili26rocblas_geam_ex_operation_
; %bb.0:
	s_load_dwordx4 s[8:11], s[0:1], 0x10
	s_load_dwordx4 s[4:7], s[0:1], 0x28
	s_mov_b64 s[18:19], 0
	s_waitcnt lgkmcnt(0)
	v_cmp_eq_f64_e64 s[8:9], s[8:9], 0
	s_and_b64 vcc, exec, s[8:9]
	s_cbranch_vccnz .LBB190_2
; %bb.1:
	s_mul_i32 s5, s5, s3
	s_mul_hi_u32 s12, s4, s3
	s_add_i32 s5, s12, s5
	s_mul_i32 s4, s4, s3
	s_lshl_b64 s[4:5], s[4:5], 3
	s_add_u32 s18, s10, s4
	s_addc_u32 s19, s11, s5
.LBB190_2:
	s_load_dwordx4 s[68:71], s[0:1], 0x40
	s_load_dwordx2 s[4:5], s[0:1], 0x50
	s_andn2_b64 vcc, exec, s[8:9]
	s_mov_b64 s[8:9], -1
	s_cbranch_vccnz .LBB190_4
; %bb.3:
	s_mov_b64 s[8:9], 0
.LBB190_4:
	s_mov_b64 s[76:77], 0
	s_andn2_b64 vcc, exec, s[8:9]
	s_mov_b64 s[20:21], 0
	s_cbranch_vccnz .LBB190_6
; %bb.5:
	s_waitcnt lgkmcnt(0)
	s_mul_i32 s8, s69, s3
	s_mul_hi_u32 s9, s68, s3
	s_add_i32 s9, s9, s8
	s_mul_i32 s8, s68, s3
	s_lshl_b64 s[8:9], s[8:9], 3
	s_add_u32 s20, s6, s8
	s_addc_u32 s21, s7, s9
.LBB190_6:
	s_load_dwordx4 s[12:15], s[0:1], 0x60
	s_waitcnt lgkmcnt(0)
	v_cmp_eq_f64_e64 s[6:7], s[70:71], 0
	v_cmp_neq_f64_e64 s[16:17], s[70:71], 0
	s_and_b64 vcc, exec, s[6:7]
	s_cbranch_vccnz .LBB190_8
; %bb.7:
	s_mul_i32 s6, s13, s3
	s_mul_hi_u32 s7, s12, s3
	s_add_i32 s7, s7, s6
	s_mul_i32 s6, s12, s3
	s_lshl_b64 s[6:7], s[6:7], 3
	s_add_u32 s76, s4, s6
	s_addc_u32 s77, s5, s7
.LBB190_8:
	s_load_dwordx4 s[72:75], s[0:1], 0x0
	s_load_dword s24, s[0:1], 0x20
	v_bfe_u32 v154, v0, 10, 10
	v_bfe_u32 v2, v0, 2, 8
	v_add_u32_e32 v139, v2, v154
	s_waitcnt lgkmcnt(0)
	s_add_i32 s4, s72, -1
	s_ashr_i32 s5, s4, 31
	s_lshr_b32 s5, s5, 25
	s_add_i32 s4, s4, s5
	s_ashr_i32 s4, s4, 7
	s_add_i32 s5, s4, 1
	v_cvt_f32_u32_e32 v1, s5
	s_not_b32 s4, s4
	v_and_b32_e32 v156, 3, v0
	v_mov_b32_e32 v129, 0
	v_rcp_iflag_f32_e32 v1, v1
	v_lshlrev_b32_e32 v128, 3, v156
	v_cmp_le_i32_e32 vcc, s74, v156
	v_lshl_add_u64 v[6:7], s[18:19], 0, v[128:129]
	v_mul_f32_e32 v1, 0x4f7ffffe, v1
	v_cvt_u32_f32_e32 v1, v1
	v_mov_b64_e32 v[2:3], 0
	v_mov_b64_e32 v[4:5], 0
	v_readfirstlane_b32 s6, v1
	s_mul_i32 s4, s4, s6
	s_mul_hi_u32 s4, s6, s4
	s_add_i32 s6, s6, s4
	s_mul_hi_u32 s4, s2, s6
	s_mul_i32 s6, s4, s5
	s_sub_i32 s6, s2, s6
	s_add_i32 s7, s4, 1
	s_sub_i32 s8, s6, s5
	s_cmp_ge_u32 s6, s5
	s_cselect_b32 s4, s7, s4
	s_cselect_b32 s6, s8, s6
	s_add_i32 s7, s4, 1
	s_cmp_ge_u32 s6, s5
	s_cselect_b32 s8, s7, s4
	s_mul_i32 s4, s8, s5
	s_sub_i32 s2, s2, s4
	s_lshl_b32 s2, s2, 7
	v_add_u32_e32 v138, s2, v139
	v_cmp_le_i32_e64 s[10:11], s72, v138
	s_nor_b64 s[6:7], vcc, s[10:11]
	s_and_saveexec_b64 s[4:5], s[6:7]
	s_cbranch_execz .LBB190_10
; %bb.9:
	v_mad_i64_i32 v[4:5], s[6:7], v138, s24, 0
	v_lshl_add_u64 v[4:5], v[4:5], 3, v[6:7]
	global_load_dwordx2 v[4:5], v[4:5], off
.LBB190_10:
	s_or_b64 exec, exec, s[4:5]
	v_add_u32_e32 v140, 64, v138
	v_cmp_le_i32_e64 s[4:5], s72, v140
	s_nor_b64 s[12:13], vcc, s[4:5]
	s_and_saveexec_b64 s[6:7], s[12:13]
	s_cbranch_execz .LBB190_12
; %bb.11:
	v_mad_i64_i32 v[2:3], s[12:13], v140, s24, 0
	v_lshl_add_u64 v[2:3], v[2:3], 3, v[6:7]
	global_load_dwordx2 v[2:3], v[2:3], off
.LBB190_12:
	s_or_b64 exec, exec, s[6:7]
	s_load_dword s25, s[0:1], 0x38
	s_lshl_b32 s22, s8, 7
	v_add_u32_e32 v141, s22, v139
	v_mov_b32_e32 v129, 0
	v_cmp_le_i32_e64 s[6:7], s73, v141
	v_lshl_add_u64 v[12:13], s[20:21], 0, v[128:129]
	s_nor_b64 s[12:13], vcc, s[6:7]
	v_mov_b64_e32 v[8:9], 0
	v_mov_b64_e32 v[10:11], 0
	s_and_saveexec_b64 s[8:9], s[12:13]
	s_cbranch_execz .LBB190_14
; %bb.13:
	s_waitcnt lgkmcnt(0)
	v_mad_i64_i32 v[10:11], s[12:13], v141, s25, 0
	v_lshl_add_u64 v[10:11], v[10:11], 3, v[12:13]
	global_load_dwordx2 v[10:11], v[10:11], off
.LBB190_14:
	s_or_b64 exec, exec, s[8:9]
	v_add_u32_e32 v142, 64, v141
	v_cmp_le_i32_e64 s[8:9], s73, v142
	s_nor_b64 s[26:27], vcc, s[8:9]
	s_and_saveexec_b64 s[12:13], s[26:27]
	s_cbranch_execz .LBB190_16
; %bb.15:
	s_waitcnt lgkmcnt(0)
	v_mad_i64_i32 v[8:9], s[26:27], v142, s25, 0
	v_lshl_add_u64 v[8:9], v[8:9], 3, v[12:13]
	global_load_dwordx2 v[8:9], v[8:9], off
.LBB190_16:
	s_or_b64 exec, exec, s[12:13]
	v_or_b32_e32 v1, 4, v156
	v_cmp_le_i32_e32 vcc, s74, v1
	s_nor_b64 s[26:27], vcc, s[10:11]
	v_mov_b64_e32 v[130:131], 0
	v_mov_b64_e32 v[132:133], 0
	s_and_saveexec_b64 s[12:13], s[26:27]
	s_cbranch_execz .LBB190_18
; %bb.17:
	v_mad_i64_i32 v[14:15], s[26:27], v138, s24, 0
	v_lshl_add_u64 v[14:15], v[14:15], 3, v[6:7]
	global_load_dwordx2 v[132:133], v[14:15], off offset:32
.LBB190_18:
	s_or_b64 exec, exec, s[12:13]
	s_nor_b64 s[26:27], vcc, s[4:5]
	s_and_saveexec_b64 s[12:13], s[26:27]
	s_cbranch_execz .LBB190_20
; %bb.19:
	v_mad_i64_i32 v[14:15], s[26:27], v140, s24, 0
	v_lshl_add_u64 v[6:7], v[14:15], 3, v[6:7]
	global_load_dwordx2 v[130:131], v[6:7], off offset:32
.LBB190_20:
	s_or_b64 exec, exec, s[12:13]
	s_nor_b64 s[26:27], vcc, s[6:7]
	v_mov_b64_e32 v[134:135], 0
	v_mov_b64_e32 v[136:137], 0
	s_and_saveexec_b64 s[12:13], s[26:27]
	s_cbranch_execz .LBB190_22
; %bb.21:
	s_waitcnt lgkmcnt(0)
	v_mad_i64_i32 v[6:7], s[26:27], v141, s25, 0
	v_lshl_add_u64 v[6:7], v[6:7], 3, v[12:13]
	global_load_dwordx2 v[136:137], v[6:7], off offset:32
.LBB190_22:
	s_or_b64 exec, exec, s[12:13]
	v_and_b32_e32 v155, 0x3ff, v0
	s_nor_b64 s[26:27], vcc, s[8:9]
	s_and_saveexec_b64 s[12:13], s[26:27]
	s_cbranch_execz .LBB190_24
; %bb.23:
	s_waitcnt lgkmcnt(0)
	v_mad_i64_i32 v[0:1], s[26:27], v142, s25, 0
	v_lshl_add_u64 v[0:1], v[0:1], 3, v[12:13]
	global_load_dwordx2 v[134:135], v[0:1], off offset:32
.LBB190_24:
	s_or_b64 exec, exec, s[12:13]
	v_lshlrev_b32_e32 v0, 5, v139
	v_lshl_or_b32 v158, v156, 3, v0
	v_lshlrev_b32_e32 v143, 5, v154
	s_waitcnt vmcnt(0)
	ds_write2st64_b64 v158, v[4:5], v[2:3] offset1:4
	v_add_u32_e32 v159, 0x2000, v158
	ds_write2st64_b64 v158, v[10:11], v[8:9] offset0:16 offset1:20
	v_lshlrev_b32_e32 v160, 5, v155
	v_add_u32_e32 v161, 0x2000, v143
	v_mov_b64_e32 v[126:127], 0
	s_mov_b32 s12, 0
	v_mov_b64_e32 v[124:125], 0
	v_mov_b64_e32 v[122:123], 0
	;; [unrolled: 1-line block ×63, first 2 shown]
	s_waitcnt lgkmcnt(0)
	s_barrier
.LBB190_25:                             ; =>This Inner Loop Header: Depth=1
	v_add_u32_e32 v129, s12, v160
	v_add_u32_e32 v152, s12, v161
	ds_read2_b64 v[144:147], v129 offset1:16
	ds_read2_b64 v[148:151], v129 offset0:32 offset1:48
	ds_read2_b64 v[162:165], v129 offset0:64 offset1:80
	;; [unrolled: 1-line block ×7, first 2 shown]
	ds_read2st64_b64 v[186:189], v152 offset1:4
	v_add_u32_e32 v129, 0x800, v129
	ds_read2_b64 v[190:193], v129 offset1:16
	ds_read2_b64 v[194:197], v129 offset0:32 offset1:48
	ds_read2_b64 v[198:201], v129 offset0:64 offset1:80
	;; [unrolled: 1-line block ×7, first 2 shown]
	s_waitcnt lgkmcnt(14)
	v_max_f64 v[144:145], v[144:145], v[144:145]
	v_max_f64 v[146:147], v[146:147], v[146:147]
	;; [unrolled: 1-line block ×6, first 2 shown]
	s_waitcnt lgkmcnt(13)
	v_max_f64 v[164:165], v[166:167], v[166:167]
	v_max_f64 v[166:167], v[168:169], v[168:169]
	s_waitcnt lgkmcnt(12)
	v_max_f64 v[168:169], v[170:171], v[170:171]
	v_max_f64 v[170:171], v[172:173], v[172:173]
	;; [unrolled: 3-line block ×14, first 2 shown]
	v_min_f64 v[220:221], v[144:145], v[184:185]
	v_min_f64 v[222:223], v[146:147], v[184:185]
	v_min_f64 v[224:225], v[148:149], v[184:185]
	v_min_f64 v[226:227], v[150:151], v[184:185]
	v_min_f64 v[228:229], v[152:153], v[184:185]
	v_min_f64 v[230:231], v[162:163], v[184:185]
	v_min_f64 v[232:233], v[164:165], v[184:185]
	v_min_f64 v[234:235], v[166:167], v[184:185]
	v_min_f64 v[236:237], v[168:169], v[184:185]
	v_min_f64 v[238:239], v[170:171], v[184:185]
	v_min_f64 v[240:241], v[172:173], v[184:185]
	v_min_f64 v[242:243], v[174:175], v[184:185]
	v_min_f64 v[244:245], v[176:177], v[184:185]
	v_min_f64 v[246:247], v[178:179], v[184:185]
	v_min_f64 v[248:249], v[180:181], v[184:185]
	v_min_f64 v[250:251], v[182:183], v[184:185]
	v_min_f64 v[144:145], v[144:145], v[186:187]
	v_min_f64 v[146:147], v[146:147], v[186:187]
	v_min_f64 v[148:149], v[148:149], v[186:187]
	v_min_f64 v[150:151], v[150:151], v[186:187]
	v_min_f64 v[152:153], v[152:153], v[186:187]
	v_min_f64 v[162:163], v[162:163], v[186:187]
	v_min_f64 v[164:165], v[164:165], v[186:187]
	v_min_f64 v[166:167], v[166:167], v[186:187]
	v_min_f64 v[168:169], v[168:169], v[186:187]
	v_min_f64 v[170:171], v[170:171], v[186:187]
	v_min_f64 v[172:173], v[172:173], v[186:187]
	v_min_f64 v[174:175], v[174:175], v[186:187]
	v_min_f64 v[176:177], v[176:177], v[186:187]
	v_min_f64 v[178:179], v[178:179], v[186:187]
	v_min_f64 v[180:181], v[180:181], v[186:187]
	v_min_f64 v[182:183], v[182:183], v[186:187]
	s_add_i32 s12, s12, 8
	v_add_f64 v[62:63], v[62:63], v[144:145]
	v_add_f64 v[60:61], v[60:61], v[146:147]
	;; [unrolled: 1-line block ×16, first 2 shown]
	v_min_f64 v[144:145], v[188:189], v[184:185]
	v_min_f64 v[146:147], v[190:191], v[184:185]
	;; [unrolled: 1-line block ×32, first 2 shown]
	s_cmp_eq_u32 s12, 32
	v_add_f64 v[126:127], v[126:127], v[220:221]
	v_add_f64 v[124:125], v[124:125], v[222:223]
	;; [unrolled: 1-line block ×48, first 2 shown]
	s_cbranch_scc0 .LBB190_25
; %bb.26:
	v_lshl_or_b32 v128, v139, 5, v128
	s_cmp_gt_i32 s74, 8
	ds_write2st64_b64 v128, v[132:133], v[130:131] offset0:8 offset1:12
	ds_write2st64_b64 v128, v[136:137], v[134:135] offset0:24 offset1:28
	s_waitcnt lgkmcnt(0)
	s_barrier
	s_cbranch_scc1 .LBB190_28
; %bb.27:
	v_add_u32_e32 v157, 0x3000, v143
	s_cbranch_execz .LBB190_29
	s_branch .LBB190_51
.LBB190_28:
                                        ; implicit-def: $vgpr157
.LBB190_29:
	v_mov_b32_e32 v136, 0x1000
	v_add_u32_e32 v162, 0x1000, v128
	v_add_u32_e32 v163, 0x3000, v128
	s_add_i32 s23, s74, -8
	v_mad_i64_i32 v[128:129], s[12:13], v138, s24, 0
	v_mad_i64_i32 v[130:131], s[12:13], v140, s24, 0
	;; [unrolled: 1-line block ×4, first 2 shown]
	v_lshl_add_u32 v164, v155, 5, v136
	v_add_u32_e32 v157, 0x3000, v143
	s_mov_b32 s24, 8
	s_mov_b32 s25, 0
	v_mov_b32_e32 v137, 0
.LBB190_30:                             ; =>This Loop Header: Depth=1
                                        ;     Child Loop BB190_39 Depth 2
                                        ;     Child Loop BB190_49 Depth 2
	v_or_b32_e32 v136, s24, v156
	v_cmp_le_i32_e32 vcc, s74, v136
	v_lshl_add_u64 v[140:141], v[136:137], 3, s[18:19]
	s_nor_b64 s[26:27], s[10:11], vcc
	v_mov_b64_e32 v[146:147], 0
	v_lshl_add_u64 v[138:139], v[128:129], 3, v[140:141]
	v_mov_b64_e32 v[148:149], 0
	s_and_saveexec_b64 s[12:13], s[26:27]
	s_cbranch_execz .LBB190_32
; %bb.31:                               ;   in Loop: Header=BB190_30 Depth=1
	global_load_dwordx2 v[148:149], v[138:139], off
.LBB190_32:                             ;   in Loop: Header=BB190_30 Depth=1
	s_or_b64 exec, exec, s[12:13]
	s_nor_b64 s[26:27], s[4:5], vcc
	v_lshl_add_u64 v[140:141], v[130:131], 3, v[140:141]
	s_and_saveexec_b64 s[12:13], s[26:27]
	s_cbranch_execz .LBB190_34
; %bb.33:                               ;   in Loop: Header=BB190_30 Depth=1
	global_load_dwordx2 v[146:147], v[140:141], off
.LBB190_34:                             ;   in Loop: Header=BB190_30 Depth=1
	s_or_b64 exec, exec, s[12:13]
	v_lshl_add_u64 v[144:145], v[136:137], 3, s[20:21]
	s_nor_b64 s[26:27], s[6:7], vcc
	v_mov_b64_e32 v[150:151], 0
	v_lshl_add_u64 v[142:143], v[132:133], 3, v[144:145]
	v_mov_b64_e32 v[152:153], 0
	s_and_saveexec_b64 s[12:13], s[26:27]
	s_cbranch_execz .LBB190_36
; %bb.35:                               ;   in Loop: Header=BB190_30 Depth=1
	global_load_dwordx2 v[152:153], v[142:143], off
.LBB190_36:                             ;   in Loop: Header=BB190_30 Depth=1
	s_or_b64 exec, exec, s[12:13]
	s_nor_b64 s[26:27], s[8:9], vcc
	v_lshl_add_u64 v[144:145], v[134:135], 3, v[144:145]
	s_and_saveexec_b64 s[12:13], s[26:27]
	s_cbranch_execz .LBB190_38
; %bb.37:                               ;   in Loop: Header=BB190_30 Depth=1
	global_load_dwordx2 v[150:151], v[144:145], off
.LBB190_38:                             ;   in Loop: Header=BB190_30 Depth=1
	s_or_b64 exec, exec, s[12:13]
	s_mov_b32 s12, 0
.LBB190_39:                             ;   Parent Loop BB190_30 Depth=1
                                        ; =>  This Inner Loop Header: Depth=2
	v_add_u32_e32 v165, s12, v164
	ds_read2_b64 v[166:169], v165 offset1:16
	ds_read2_b64 v[170:173], v165 offset0:32 offset1:48
	ds_read2_b64 v[174:177], v165 offset0:64 offset1:80
	;; [unrolled: 1-line block ×7, first 2 shown]
	v_add_u32_e32 v165, 0x800, v165
	ds_read2_b64 v[198:201], v165 offset1:16
	ds_read2_b64 v[202:205], v165 offset0:32 offset1:48
	ds_read2_b64 v[206:209], v165 offset0:64 offset1:80
	;; [unrolled: 1-line block ×7, first 2 shown]
	v_add_u32_e32 v165, s12, v157
	ds_read2st64_b64 v[230:233], v165 offset1:4
	s_waitcnt lgkmcnt(14)
	v_max_f64 v[166:167], v[166:167], v[166:167]
	v_max_f64 v[168:169], v[168:169], v[168:169]
	;; [unrolled: 1-line block ×4, first 2 shown]
	s_waitcnt lgkmcnt(0)
	v_max_f64 v[230:231], v[230:231], v[230:231]
	v_min_f64 v[234:235], v[166:167], v[230:231]
	v_add_f64 v[126:127], v[126:127], v[234:235]
	v_min_f64 v[234:235], v[168:169], v[230:231]
	v_add_f64 v[124:125], v[124:125], v[234:235]
	;; [unrolled: 2-line block ×3, first 2 shown]
	v_min_f64 v[234:235], v[172:173], v[230:231]
	v_max_f64 v[174:175], v[174:175], v[174:175]
	v_add_f64 v[120:121], v[120:121], v[234:235]
	v_min_f64 v[234:235], v[174:175], v[230:231]
	v_max_f64 v[176:177], v[176:177], v[176:177]
	v_add_f64 v[118:119], v[118:119], v[234:235]
	;; [unrolled: 3-line block ×26, first 2 shown]
	v_min_f64 v[234:235], v[224:225], v[230:231]
	v_max_f64 v[226:227], v[226:227], v[226:227]
	v_max_f64 v[228:229], v[228:229], v[228:229]
	v_add_f64 v[68:69], v[68:69], v[234:235]
	v_min_f64 v[234:235], v[226:227], v[230:231]
	v_min_f64 v[230:231], v[228:229], v[230:231]
	v_add_f64 v[64:65], v[64:65], v[230:231]
	v_max_f64 v[230:231], v[232:233], v[232:233]
	v_min_f64 v[166:167], v[166:167], v[230:231]
	v_add_f64 v[62:63], v[62:63], v[166:167]
	v_min_f64 v[166:167], v[168:169], v[230:231]
	v_add_f64 v[60:61], v[60:61], v[166:167]
	;; [unrolled: 2-line block ×31, first 2 shown]
	v_min_f64 v[166:167], v[228:229], v[230:231]
	s_add_i32 s12, s12, 8
	v_add_f64 v[66:67], v[66:67], v[234:235]
	v_add_f64 v[0:1], v[0:1], v[166:167]
	s_cmp_eq_u32 s12, 32
	s_cbranch_scc0 .LBB190_39
; %bb.40:                               ;   in Loop: Header=BB190_30 Depth=1
	v_or_b32_e32 v136, 4, v136
	v_cmp_le_i32_e32 vcc, s74, v136
	s_waitcnt vmcnt(0)
	ds_write2st64_b64 v158, v[148:149], v[146:147] offset1:4
	ds_write2st64_b64 v159, v[152:153], v[150:151] offset1:4
	s_nor_b64 s[26:27], s[10:11], vcc
	v_mov_b64_e32 v[146:147], 0
	v_mov_b64_e32 v[148:149], 0
	s_waitcnt lgkmcnt(0)
	s_barrier
	s_and_saveexec_b64 s[12:13], s[26:27]
	s_cbranch_execz .LBB190_42
; %bb.41:                               ;   in Loop: Header=BB190_30 Depth=1
	global_load_dwordx2 v[148:149], v[138:139], off offset:32
.LBB190_42:                             ;   in Loop: Header=BB190_30 Depth=1
	s_or_b64 exec, exec, s[12:13]
	s_nor_b64 s[26:27], s[4:5], vcc
	s_and_saveexec_b64 s[12:13], s[26:27]
	s_cbranch_execz .LBB190_44
; %bb.43:                               ;   in Loop: Header=BB190_30 Depth=1
	global_load_dwordx2 v[146:147], v[140:141], off offset:32
.LBB190_44:                             ;   in Loop: Header=BB190_30 Depth=1
	s_or_b64 exec, exec, s[12:13]
	s_nor_b64 s[26:27], s[6:7], vcc
	v_mov_b64_e32 v[138:139], 0
	v_mov_b64_e32 v[140:141], 0
	s_and_saveexec_b64 s[12:13], s[26:27]
	s_cbranch_execz .LBB190_46
; %bb.45:                               ;   in Loop: Header=BB190_30 Depth=1
	global_load_dwordx2 v[140:141], v[142:143], off offset:32
.LBB190_46:                             ;   in Loop: Header=BB190_30 Depth=1
	s_or_b64 exec, exec, s[12:13]
	s_nor_b64 s[26:27], s[8:9], vcc
	s_and_saveexec_b64 s[12:13], s[26:27]
	s_cbranch_execz .LBB190_48
; %bb.47:                               ;   in Loop: Header=BB190_30 Depth=1
	global_load_dwordx2 v[138:139], v[144:145], off offset:32
.LBB190_48:                             ;   in Loop: Header=BB190_30 Depth=1
	s_or_b64 exec, exec, s[12:13]
	s_mov_b32 s12, 0
.LBB190_49:                             ;   Parent Loop BB190_30 Depth=1
                                        ; =>  This Inner Loop Header: Depth=2
	v_add_u32_e32 v136, s12, v160
	ds_read2_b64 v[142:145], v136 offset1:16
	ds_read2_b64 v[150:153], v136 offset0:32 offset1:48
	ds_read2_b64 v[166:169], v136 offset0:64 offset1:80
	;; [unrolled: 1-line block ×7, first 2 shown]
	v_add_u32_e32 v136, 0x800, v136
	ds_read2_b64 v[190:193], v136 offset1:16
	ds_read2_b64 v[194:197], v136 offset0:32 offset1:48
	ds_read2_b64 v[198:201], v136 offset0:64 offset1:80
	;; [unrolled: 1-line block ×7, first 2 shown]
	v_add_u32_e32 v136, s12, v161
	ds_read2st64_b64 v[222:225], v136 offset1:4
	s_waitcnt lgkmcnt(14)
	v_max_f64 v[142:143], v[142:143], v[142:143]
	v_max_f64 v[144:145], v[144:145], v[144:145]
	;; [unrolled: 1-line block ×4, first 2 shown]
	s_waitcnt lgkmcnt(0)
	v_max_f64 v[222:223], v[222:223], v[222:223]
	v_min_f64 v[226:227], v[142:143], v[222:223]
	v_add_f64 v[126:127], v[126:127], v[226:227]
	v_min_f64 v[226:227], v[144:145], v[222:223]
	v_add_f64 v[124:125], v[124:125], v[226:227]
	v_min_f64 v[226:227], v[150:151], v[222:223]
	v_add_f64 v[122:123], v[122:123], v[226:227]
	v_min_f64 v[226:227], v[152:153], v[222:223]
	v_max_f64 v[166:167], v[166:167], v[166:167]
	v_add_f64 v[120:121], v[120:121], v[226:227]
	v_min_f64 v[226:227], v[166:167], v[222:223]
	v_max_f64 v[168:169], v[168:169], v[168:169]
	v_add_f64 v[118:119], v[118:119], v[226:227]
	;; [unrolled: 3-line block ×26, first 2 shown]
	v_min_f64 v[226:227], v[216:217], v[222:223]
	v_max_f64 v[218:219], v[218:219], v[218:219]
	v_max_f64 v[220:221], v[220:221], v[220:221]
	v_add_f64 v[68:69], v[68:69], v[226:227]
	v_min_f64 v[226:227], v[218:219], v[222:223]
	v_min_f64 v[222:223], v[220:221], v[222:223]
	v_add_f64 v[64:65], v[64:65], v[222:223]
	v_max_f64 v[222:223], v[224:225], v[224:225]
	v_min_f64 v[142:143], v[142:143], v[222:223]
	v_add_f64 v[62:63], v[62:63], v[142:143]
	v_min_f64 v[142:143], v[144:145], v[222:223]
	v_add_f64 v[60:61], v[60:61], v[142:143]
	;; [unrolled: 2-line block ×31, first 2 shown]
	v_min_f64 v[142:143], v[220:221], v[222:223]
	s_add_i32 s12, s12, 8
	v_add_f64 v[66:67], v[66:67], v[226:227]
	v_add_f64 v[0:1], v[0:1], v[142:143]
	s_cmp_eq_u32 s12, 32
	s_cbranch_scc0 .LBB190_49
; %bb.50:                               ;   in Loop: Header=BB190_30 Depth=1
	s_add_i32 s24, s24, 8
	s_add_i32 s25, s25, 8
	s_cmp_ge_i32 s25, s23
	s_waitcnt vmcnt(0)
	ds_write2st64_b64 v162, v[148:149], v[146:147] offset1:4
	ds_write2st64_b64 v163, v[140:141], v[138:139] offset1:4
	s_waitcnt lgkmcnt(0)
	s_barrier
	s_cbranch_scc0 .LBB190_30
.LBB190_51:
	v_mov_b32_e32 v128, 0x1000
	v_lshl_add_u32 v128, v155, 5, v128
	s_mov_b32 s4, 0
.LBB190_52:                             ; =>This Inner Loop Header: Depth=1
	v_add_u32_e32 v129, s4, v128
	v_add_u32_e32 v156, s4, v157
	ds_read2_b64 v[130:133], v129 offset1:16
	ds_read2_b64 v[134:137], v129 offset0:32 offset1:48
	ds_read2_b64 v[138:141], v129 offset0:64 offset1:80
	;; [unrolled: 1-line block ×7, first 2 shown]
	v_add_u32_e32 v129, 0x800, v129
	ds_read2st64_b64 v[166:169], v156 offset1:4
	ds_read2_b64 v[170:173], v129 offset1:16
	ds_read2_b64 v[174:177], v129 offset0:32 offset1:48
	ds_read2_b64 v[178:181], v129 offset0:64 offset1:80
	;; [unrolled: 1-line block ×7, first 2 shown]
	s_waitcnt lgkmcnt(14)
	v_max_f64 v[130:131], v[130:131], v[130:131]
	v_max_f64 v[132:133], v[132:133], v[132:133]
	;; [unrolled: 1-line block ×3, first 2 shown]
	s_waitcnt lgkmcnt(8)
	v_max_f64 v[166:167], v[166:167], v[166:167]
	v_max_f64 v[136:137], v[136:137], v[136:137]
	;; [unrolled: 1-line block ×15, first 2 shown]
	v_min_f64 v[202:203], v[130:131], v[166:167]
	v_min_f64 v[204:205], v[132:133], v[166:167]
	;; [unrolled: 1-line block ×16, first 2 shown]
	s_waitcnt lgkmcnt(7)
	v_max_f64 v[170:171], v[170:171], v[170:171]
	v_max_f64 v[172:173], v[172:173], v[172:173]
	s_waitcnt lgkmcnt(6)
	v_max_f64 v[174:175], v[174:175], v[174:175]
	v_max_f64 v[176:177], v[176:177], v[176:177]
	s_waitcnt lgkmcnt(5)
	v_max_f64 v[178:179], v[178:179], v[178:179]
	v_max_f64 v[180:181], v[180:181], v[180:181]
	s_waitcnt lgkmcnt(4)
	v_max_f64 v[182:183], v[182:183], v[182:183]
	v_max_f64 v[184:185], v[184:185], v[184:185]
	s_waitcnt lgkmcnt(3)
	v_max_f64 v[186:187], v[186:187], v[186:187]
	v_max_f64 v[188:189], v[188:189], v[188:189]
	s_waitcnt lgkmcnt(2)
	v_max_f64 v[190:191], v[190:191], v[190:191]
	v_max_f64 v[192:193], v[192:193], v[192:193]
	s_waitcnt lgkmcnt(1)
	v_max_f64 v[194:195], v[194:195], v[194:195]
	v_max_f64 v[196:197], v[196:197], v[196:197]
	s_waitcnt lgkmcnt(0)
	v_max_f64 v[198:199], v[198:199], v[198:199]
	v_max_f64 v[200:201], v[200:201], v[200:201]
	v_min_f64 v[130:131], v[130:131], v[168:169]
	v_min_f64 v[132:133], v[132:133], v[168:169]
	;; [unrolled: 1-line block ×16, first 2 shown]
	s_add_i32 s4, s4, 8
	v_add_f64 v[126:127], v[126:127], v[202:203]
	v_add_f64 v[124:125], v[124:125], v[204:205]
	;; [unrolled: 1-line block ×15, first 2 shown]
	v_min_f64 v[202:203], v[170:171], v[166:167]
	v_min_f64 v[204:205], v[172:173], v[166:167]
	;; [unrolled: 1-line block ×16, first 2 shown]
	v_add_f64 v[62:63], v[62:63], v[130:131]
	v_add_f64 v[60:61], v[60:61], v[132:133]
	;; [unrolled: 1-line block ×16, first 2 shown]
	v_min_f64 v[130:131], v[170:171], v[168:169]
	v_min_f64 v[132:133], v[172:173], v[168:169]
	v_min_f64 v[134:135], v[174:175], v[168:169]
	v_min_f64 v[136:137], v[176:177], v[168:169]
	v_min_f64 v[138:139], v[178:179], v[168:169]
	v_min_f64 v[140:141], v[180:181], v[168:169]
	v_min_f64 v[142:143], v[182:183], v[168:169]
	v_min_f64 v[144:145], v[184:185], v[168:169]
	v_min_f64 v[146:147], v[186:187], v[168:169]
	v_min_f64 v[148:149], v[188:189], v[168:169]
	v_min_f64 v[150:151], v[190:191], v[168:169]
	v_min_f64 v[152:153], v[192:193], v[168:169]
	v_min_f64 v[158:159], v[194:195], v[168:169]
	v_min_f64 v[160:161], v[196:197], v[168:169]
	v_min_f64 v[162:163], v[198:199], v[168:169]
	v_min_f64 v[164:165], v[200:201], v[168:169]
	s_cmp_eq_u32 s4, 32
	v_add_f64 v[96:97], v[96:97], v[232:233]
	v_add_f64 v[94:95], v[94:95], v[202:203]
	;; [unrolled: 1-line block ×33, first 2 shown]
	s_cbranch_scc0 .LBB190_52
; %bb.53:
	s_load_dwordx2 s[4:5], s[0:1], 0x78
	s_load_dword s78, s[0:1], 0x58
	s_load_dword s33, s[0:1], 0x70
	v_add_u32_e32 v136, s22, v154
	v_add_u32_e32 v128, s2, v155
	s_waitcnt lgkmcnt(0)
	s_mul_i32 s1, s5, s3
	s_mul_hi_u32 s5, s4, s3
	s_mul_i32 s0, s4, s3
	s_add_i32 s1, s5, s1
	s_lshl_b64 s[0:1], s[0:1], 3
	s_add_u32 s74, s14, s0
	s_addc_u32 s75, s15, s1
	v_mad_i64_i32 v[130:131], s[0:1], v136, s78, 0
	v_cmp_gt_i32_e64 s[24:25], s73, v136
	v_lshl_add_u64 v[132:133], v[130:131], 3, s[76:77]
	v_mad_i64_i32 v[130:131], s[0:1], v136, s33, 0
	v_cmp_gt_i32_e64 s[2:3], s72, v128
	v_cndmask_b32_e64 v134, 0, 1, s[16:17]
	v_lshl_add_u64 v[130:131], v[130:131], 3, s[74:75]
	s_and_b64 s[6:7], s[24:25], s[2:3]
	v_ashrrev_i32_e32 v129, 31, v128
	v_cmp_ne_u32_e64 s[0:1], 1, v134
	s_and_saveexec_b64 s[4:5], s[6:7]
	s_cbranch_execz .LBB190_58
; %bb.54:
	s_and_b64 vcc, exec, s[0:1]
	s_cbranch_vccnz .LBB190_56
; %bb.55:
	v_lshl_add_u64 v[134:135], v[128:129], 3, v[132:133]
	global_load_dwordx2 v[134:135], v[134:135], off
	s_waitcnt vmcnt(0)
	v_mul_f64 v[134:135], s[70:71], v[134:135]
	s_branch .LBB190_57
.LBB190_56:
	v_mov_b64_e32 v[134:135], 0
.LBB190_57:
	v_add_f64 v[126:127], v[126:127], v[134:135]
	v_lshl_add_u64 v[134:135], v[128:129], 3, v[130:131]
	global_store_dwordx2 v[134:135], v[126:127], off
.LBB190_58:
	s_or_b64 exec, exec, s[4:5]
	v_add_u32_e32 v126, 4, v128
	v_cmp_gt_i32_e64 s[4:5], s72, v126
	s_and_b64 s[8:9], s[24:25], s[4:5]
	v_ashrrev_i32_e32 v127, 31, v126
	s_and_saveexec_b64 s[6:7], s[8:9]
	s_cbranch_execz .LBB190_63
; %bb.59:
	s_and_b64 vcc, exec, s[0:1]
	s_cbranch_vccnz .LBB190_61
; %bb.60:
	v_lshl_add_u64 v[134:135], v[126:127], 3, v[132:133]
	global_load_dwordx2 v[134:135], v[134:135], off
	s_waitcnt vmcnt(0)
	v_mul_f64 v[134:135], s[70:71], v[134:135]
	s_branch .LBB190_62
.LBB190_61:
	v_mov_b64_e32 v[134:135], 0
.LBB190_62:
	v_add_f64 v[124:125], v[124:125], v[134:135]
	v_lshl_add_u64 v[134:135], v[126:127], 3, v[130:131]
	global_store_dwordx2 v[134:135], v[124:125], off
.LBB190_63:
	s_or_b64 exec, exec, s[6:7]
	v_add_u32_e32 v124, 8, v128
	v_cmp_gt_i32_e64 s[6:7], s72, v124
	s_and_b64 s[10:11], s[24:25], s[6:7]
	v_ashrrev_i32_e32 v125, 31, v124
	;; [unrolled: 23-line block ×31, first 2 shown]
	s_and_saveexec_b64 s[24:25], s[80:81]
	s_cbranch_execz .LBB190_213
; %bb.209:
	s_and_b64 vcc, exec, s[0:1]
	s_cbranch_vccnz .LBB190_211
; %bb.210:
	v_lshl_add_u64 v[132:133], v[66:67], 3, v[132:133]
	global_load_dwordx2 v[132:133], v[132:133], off
	s_waitcnt vmcnt(0)
	v_mul_f64 v[132:133], s[70:71], v[132:133]
	s_branch .LBB190_212
.LBB190_211:
	v_mov_b64_e32 v[132:133], 0
.LBB190_212:
	v_add_f64 v[64:65], v[64:65], v[132:133]
	v_lshl_add_u64 v[130:131], v[66:67], 3, v[130:131]
	global_store_dwordx2 v[130:131], v[64:65], off
.LBB190_213:
	s_or_b64 exec, exec, s[24:25]
	v_add_u32_e32 v132, 64, v136
	v_cmp_gt_i32_e64 s[24:25], s73, v132
	v_mad_i64_i32 v[64:65], s[72:73], v132, s78, 0
	v_lshl_add_u64 v[130:131], v[64:65], 3, s[76:77]
	v_mad_i64_i32 v[64:65], s[72:73], v132, s33, 0
	v_lshl_add_u64 v[64:65], v[64:65], 3, s[74:75]
	s_and_b64 s[2:3], s[24:25], s[2:3]
	s_and_saveexec_b64 s[72:73], s[2:3]
	s_xor_b64 s[2:3], exec, s[72:73]
	s_cbranch_execnz .LBB190_246
; %bb.214:
	s_or_b64 exec, exec, s[2:3]
	s_and_b64 s[4:5], s[24:25], s[4:5]
	s_and_saveexec_b64 s[2:3], s[4:5]
	s_cbranch_execnz .LBB190_250
.LBB190_215:
	s_or_b64 exec, exec, s[2:3]
	s_and_b64 s[4:5], s[24:25], s[6:7]
	s_and_saveexec_b64 s[2:3], s[4:5]
	s_cbranch_execnz .LBB190_254
.LBB190_216:
	s_or_b64 exec, exec, s[2:3]
	s_and_b64 s[4:5], s[24:25], s[8:9]
	s_and_saveexec_b64 s[2:3], s[4:5]
	s_cbranch_execnz .LBB190_258
.LBB190_217:
	s_or_b64 exec, exec, s[2:3]
	s_and_b64 s[4:5], s[24:25], s[10:11]
	s_and_saveexec_b64 s[2:3], s[4:5]
	s_cbranch_execnz .LBB190_262
.LBB190_218:
	s_or_b64 exec, exec, s[2:3]
	s_and_b64 s[4:5], s[24:25], s[12:13]
	s_and_saveexec_b64 s[2:3], s[4:5]
	s_cbranch_execnz .LBB190_266
.LBB190_219:
	s_or_b64 exec, exec, s[2:3]
	s_and_b64 s[4:5], s[24:25], s[14:15]
	s_and_saveexec_b64 s[2:3], s[4:5]
	s_cbranch_execnz .LBB190_270
.LBB190_220:
	s_or_b64 exec, exec, s[2:3]
	s_and_b64 s[4:5], s[24:25], s[16:17]
	s_and_saveexec_b64 s[2:3], s[4:5]
	s_cbranch_execnz .LBB190_274
.LBB190_221:
	s_or_b64 exec, exec, s[2:3]
	s_and_b64 s[4:5], s[24:25], s[18:19]
	s_and_saveexec_b64 s[2:3], s[4:5]
	s_cbranch_execnz .LBB190_278
.LBB190_222:
	s_or_b64 exec, exec, s[2:3]
	s_and_b64 s[4:5], s[24:25], s[20:21]
	s_and_saveexec_b64 s[2:3], s[4:5]
	s_cbranch_execnz .LBB190_282
.LBB190_223:
	s_or_b64 exec, exec, s[2:3]
	s_and_b64 s[4:5], s[24:25], s[22:23]
	s_and_saveexec_b64 s[2:3], s[4:5]
	s_cbranch_execnz .LBB190_286
.LBB190_224:
	s_or_b64 exec, exec, s[2:3]
	s_and_b64 s[4:5], s[24:25], s[26:27]
	s_and_saveexec_b64 s[2:3], s[4:5]
	s_cbranch_execnz .LBB190_290
.LBB190_225:
	s_or_b64 exec, exec, s[2:3]
	s_and_b64 s[4:5], s[24:25], s[28:29]
	s_and_saveexec_b64 s[2:3], s[4:5]
	s_cbranch_execnz .LBB190_294
.LBB190_226:
	s_or_b64 exec, exec, s[2:3]
	s_and_b64 s[4:5], s[24:25], s[30:31]
	s_and_saveexec_b64 s[2:3], s[4:5]
	s_cbranch_execnz .LBB190_298
.LBB190_227:
	s_or_b64 exec, exec, s[2:3]
	s_and_b64 s[4:5], s[24:25], s[34:35]
	s_and_saveexec_b64 s[2:3], s[4:5]
	s_cbranch_execnz .LBB190_302
.LBB190_228:
	s_or_b64 exec, exec, s[2:3]
	s_and_b64 s[4:5], s[24:25], s[36:37]
	s_and_saveexec_b64 s[2:3], s[4:5]
	s_cbranch_execnz .LBB190_306
.LBB190_229:
	s_or_b64 exec, exec, s[2:3]
	s_and_b64 s[4:5], s[24:25], s[38:39]
	s_and_saveexec_b64 s[2:3], s[4:5]
	s_cbranch_execnz .LBB190_310
.LBB190_230:
	s_or_b64 exec, exec, s[2:3]
	s_and_b64 s[4:5], s[24:25], s[40:41]
	s_and_saveexec_b64 s[2:3], s[4:5]
	s_cbranch_execnz .LBB190_314
.LBB190_231:
	s_or_b64 exec, exec, s[2:3]
	s_and_b64 s[4:5], s[24:25], s[42:43]
	s_and_saveexec_b64 s[2:3], s[4:5]
	s_cbranch_execnz .LBB190_318
.LBB190_232:
	s_or_b64 exec, exec, s[2:3]
	s_and_b64 s[4:5], s[24:25], s[44:45]
	s_and_saveexec_b64 s[2:3], s[4:5]
	s_cbranch_execnz .LBB190_322
.LBB190_233:
	s_or_b64 exec, exec, s[2:3]
	s_and_b64 s[4:5], s[24:25], s[46:47]
	s_and_saveexec_b64 s[2:3], s[4:5]
	s_cbranch_execnz .LBB190_326
.LBB190_234:
	s_or_b64 exec, exec, s[2:3]
	s_and_b64 s[4:5], s[24:25], s[48:49]
	s_and_saveexec_b64 s[2:3], s[4:5]
	s_cbranch_execnz .LBB190_330
.LBB190_235:
	s_or_b64 exec, exec, s[2:3]
	s_and_b64 s[4:5], s[24:25], s[50:51]
	s_and_saveexec_b64 s[2:3], s[4:5]
	s_cbranch_execnz .LBB190_334
.LBB190_236:
	s_or_b64 exec, exec, s[2:3]
	s_and_b64 s[4:5], s[24:25], s[52:53]
	s_and_saveexec_b64 s[2:3], s[4:5]
	s_cbranch_execnz .LBB190_338
.LBB190_237:
	s_or_b64 exec, exec, s[2:3]
	s_and_b64 s[4:5], s[24:25], s[54:55]
	s_and_saveexec_b64 s[2:3], s[4:5]
	s_cbranch_execnz .LBB190_342
.LBB190_238:
	s_or_b64 exec, exec, s[2:3]
	s_and_b64 s[4:5], s[24:25], s[56:57]
	s_and_saveexec_b64 s[2:3], s[4:5]
	s_cbranch_execnz .LBB190_346
.LBB190_239:
	s_or_b64 exec, exec, s[2:3]
	s_and_b64 s[4:5], s[24:25], s[58:59]
	s_and_saveexec_b64 s[2:3], s[4:5]
	s_cbranch_execnz .LBB190_350
.LBB190_240:
	s_or_b64 exec, exec, s[2:3]
	s_and_b64 s[4:5], s[24:25], s[60:61]
	s_and_saveexec_b64 s[2:3], s[4:5]
	s_cbranch_execnz .LBB190_354
.LBB190_241:
	s_or_b64 exec, exec, s[2:3]
	s_and_b64 s[4:5], s[24:25], s[62:63]
	s_and_saveexec_b64 s[2:3], s[4:5]
	s_cbranch_execnz .LBB190_358
.LBB190_242:
	s_or_b64 exec, exec, s[2:3]
	s_and_b64 s[4:5], s[24:25], s[64:65]
	s_and_saveexec_b64 s[2:3], s[4:5]
	s_cbranch_execnz .LBB190_362
.LBB190_243:
	s_or_b64 exec, exec, s[2:3]
	s_and_b64 s[4:5], s[24:25], s[66:67]
	s_and_saveexec_b64 s[2:3], s[4:5]
	s_cbranch_execnz .LBB190_366
.LBB190_244:
	s_or_b64 exec, exec, s[2:3]
	s_and_b64 s[2:3], s[24:25], s[68:69]
	s_and_saveexec_b64 s[4:5], s[2:3]
	s_cbranch_execnz .LBB190_370
.LBB190_245:
	s_endpgm
.LBB190_246:
	s_and_b64 vcc, exec, s[0:1]
	s_cbranch_vccnz .LBB190_248
; %bb.247:
	v_lshl_add_u64 v[132:133], v[128:129], 3, v[130:131]
	global_load_dwordx2 v[132:133], v[132:133], off
	s_waitcnt vmcnt(0)
	v_mul_f64 v[132:133], s[70:71], v[132:133]
	s_branch .LBB190_249
.LBB190_248:
	v_mov_b64_e32 v[132:133], 0
.LBB190_249:
	v_add_f64 v[62:63], v[62:63], v[132:133]
	v_lshl_add_u64 v[128:129], v[128:129], 3, v[64:65]
	global_store_dwordx2 v[128:129], v[62:63], off
	s_or_b64 exec, exec, s[2:3]
	s_and_b64 s[4:5], s[24:25], s[4:5]
	s_and_saveexec_b64 s[2:3], s[4:5]
	s_cbranch_execz .LBB190_215
.LBB190_250:
	s_and_b64 vcc, exec, s[0:1]
	s_cbranch_vccnz .LBB190_252
; %bb.251:
	v_lshl_add_u64 v[62:63], v[126:127], 3, v[130:131]
	global_load_dwordx2 v[62:63], v[62:63], off
	s_waitcnt vmcnt(0)
	v_mul_f64 v[62:63], s[70:71], v[62:63]
	s_branch .LBB190_253
.LBB190_252:
	v_mov_b64_e32 v[62:63], 0
.LBB190_253:
	v_add_f64 v[60:61], v[60:61], v[62:63]
	v_lshl_add_u64 v[62:63], v[126:127], 3, v[64:65]
	global_store_dwordx2 v[62:63], v[60:61], off
	s_or_b64 exec, exec, s[2:3]
	s_and_b64 s[4:5], s[24:25], s[6:7]
	s_and_saveexec_b64 s[2:3], s[4:5]
	s_cbranch_execz .LBB190_216
.LBB190_254:
	s_and_b64 vcc, exec, s[0:1]
	s_cbranch_vccnz .LBB190_256
; %bb.255:
	v_lshl_add_u64 v[60:61], v[124:125], 3, v[130:131]
	global_load_dwordx2 v[60:61], v[60:61], off
	s_waitcnt vmcnt(0)
	v_mul_f64 v[60:61], s[70:71], v[60:61]
	s_branch .LBB190_257
.LBB190_256:
	v_mov_b64_e32 v[60:61], 0
.LBB190_257:
	v_add_f64 v[58:59], v[58:59], v[60:61]
	v_lshl_add_u64 v[60:61], v[124:125], 3, v[64:65]
	global_store_dwordx2 v[60:61], v[58:59], off
	s_or_b64 exec, exec, s[2:3]
	s_and_b64 s[4:5], s[24:25], s[8:9]
	s_and_saveexec_b64 s[2:3], s[4:5]
	s_cbranch_execz .LBB190_217
.LBB190_258:
	s_and_b64 vcc, exec, s[0:1]
	s_cbranch_vccnz .LBB190_260
; %bb.259:
	v_lshl_add_u64 v[58:59], v[122:123], 3, v[130:131]
	global_load_dwordx2 v[58:59], v[58:59], off
	s_waitcnt vmcnt(0)
	v_mul_f64 v[58:59], s[70:71], v[58:59]
	s_branch .LBB190_261
.LBB190_260:
	v_mov_b64_e32 v[58:59], 0
.LBB190_261:
	v_add_f64 v[56:57], v[56:57], v[58:59]
	v_lshl_add_u64 v[58:59], v[122:123], 3, v[64:65]
	global_store_dwordx2 v[58:59], v[56:57], off
	s_or_b64 exec, exec, s[2:3]
	s_and_b64 s[4:5], s[24:25], s[10:11]
	s_and_saveexec_b64 s[2:3], s[4:5]
	s_cbranch_execz .LBB190_218
.LBB190_262:
	s_and_b64 vcc, exec, s[0:1]
	s_cbranch_vccnz .LBB190_264
; %bb.263:
	v_lshl_add_u64 v[56:57], v[120:121], 3, v[130:131]
	global_load_dwordx2 v[56:57], v[56:57], off
	s_waitcnt vmcnt(0)
	v_mul_f64 v[56:57], s[70:71], v[56:57]
	s_branch .LBB190_265
.LBB190_264:
	v_mov_b64_e32 v[56:57], 0
.LBB190_265:
	v_add_f64 v[54:55], v[54:55], v[56:57]
	v_lshl_add_u64 v[56:57], v[120:121], 3, v[64:65]
	global_store_dwordx2 v[56:57], v[54:55], off
	s_or_b64 exec, exec, s[2:3]
	s_and_b64 s[4:5], s[24:25], s[12:13]
	s_and_saveexec_b64 s[2:3], s[4:5]
	s_cbranch_execz .LBB190_219
.LBB190_266:
	s_and_b64 vcc, exec, s[0:1]
	s_cbranch_vccnz .LBB190_268
; %bb.267:
	v_lshl_add_u64 v[54:55], v[118:119], 3, v[130:131]
	global_load_dwordx2 v[54:55], v[54:55], off
	s_waitcnt vmcnt(0)
	v_mul_f64 v[54:55], s[70:71], v[54:55]
	s_branch .LBB190_269
.LBB190_268:
	v_mov_b64_e32 v[54:55], 0
.LBB190_269:
	v_add_f64 v[52:53], v[52:53], v[54:55]
	v_lshl_add_u64 v[54:55], v[118:119], 3, v[64:65]
	global_store_dwordx2 v[54:55], v[52:53], off
	s_or_b64 exec, exec, s[2:3]
	s_and_b64 s[4:5], s[24:25], s[14:15]
	s_and_saveexec_b64 s[2:3], s[4:5]
	s_cbranch_execz .LBB190_220
.LBB190_270:
	s_and_b64 vcc, exec, s[0:1]
	s_cbranch_vccnz .LBB190_272
; %bb.271:
	v_lshl_add_u64 v[52:53], v[116:117], 3, v[130:131]
	global_load_dwordx2 v[52:53], v[52:53], off
	s_waitcnt vmcnt(0)
	v_mul_f64 v[52:53], s[70:71], v[52:53]
	s_branch .LBB190_273
.LBB190_272:
	v_mov_b64_e32 v[52:53], 0
.LBB190_273:
	v_add_f64 v[50:51], v[50:51], v[52:53]
	v_lshl_add_u64 v[52:53], v[116:117], 3, v[64:65]
	global_store_dwordx2 v[52:53], v[50:51], off
	s_or_b64 exec, exec, s[2:3]
	s_and_b64 s[4:5], s[24:25], s[16:17]
	s_and_saveexec_b64 s[2:3], s[4:5]
	s_cbranch_execz .LBB190_221
.LBB190_274:
	s_and_b64 vcc, exec, s[0:1]
	s_cbranch_vccnz .LBB190_276
; %bb.275:
	v_lshl_add_u64 v[50:51], v[114:115], 3, v[130:131]
	global_load_dwordx2 v[50:51], v[50:51], off
	s_waitcnt vmcnt(0)
	v_mul_f64 v[50:51], s[70:71], v[50:51]
	s_branch .LBB190_277
.LBB190_276:
	v_mov_b64_e32 v[50:51], 0
.LBB190_277:
	v_add_f64 v[48:49], v[48:49], v[50:51]
	v_lshl_add_u64 v[50:51], v[114:115], 3, v[64:65]
	global_store_dwordx2 v[50:51], v[48:49], off
	s_or_b64 exec, exec, s[2:3]
	s_and_b64 s[4:5], s[24:25], s[18:19]
	s_and_saveexec_b64 s[2:3], s[4:5]
	s_cbranch_execz .LBB190_222
.LBB190_278:
	s_and_b64 vcc, exec, s[0:1]
	s_cbranch_vccnz .LBB190_280
; %bb.279:
	v_lshl_add_u64 v[48:49], v[112:113], 3, v[130:131]
	global_load_dwordx2 v[48:49], v[48:49], off
	s_waitcnt vmcnt(0)
	v_mul_f64 v[48:49], s[70:71], v[48:49]
	s_branch .LBB190_281
.LBB190_280:
	v_mov_b64_e32 v[48:49], 0
.LBB190_281:
	v_add_f64 v[46:47], v[46:47], v[48:49]
	v_lshl_add_u64 v[48:49], v[112:113], 3, v[64:65]
	global_store_dwordx2 v[48:49], v[46:47], off
	s_or_b64 exec, exec, s[2:3]
	s_and_b64 s[4:5], s[24:25], s[20:21]
	s_and_saveexec_b64 s[2:3], s[4:5]
	s_cbranch_execz .LBB190_223
.LBB190_282:
	s_and_b64 vcc, exec, s[0:1]
	s_cbranch_vccnz .LBB190_284
; %bb.283:
	v_lshl_add_u64 v[46:47], v[110:111], 3, v[130:131]
	global_load_dwordx2 v[46:47], v[46:47], off
	s_waitcnt vmcnt(0)
	v_mul_f64 v[46:47], s[70:71], v[46:47]
	s_branch .LBB190_285
.LBB190_284:
	v_mov_b64_e32 v[46:47], 0
.LBB190_285:
	v_add_f64 v[44:45], v[44:45], v[46:47]
	v_lshl_add_u64 v[46:47], v[110:111], 3, v[64:65]
	global_store_dwordx2 v[46:47], v[44:45], off
	s_or_b64 exec, exec, s[2:3]
	s_and_b64 s[4:5], s[24:25], s[22:23]
	s_and_saveexec_b64 s[2:3], s[4:5]
	s_cbranch_execz .LBB190_224
.LBB190_286:
	s_and_b64 vcc, exec, s[0:1]
	s_cbranch_vccnz .LBB190_288
; %bb.287:
	v_lshl_add_u64 v[44:45], v[108:109], 3, v[130:131]
	global_load_dwordx2 v[44:45], v[44:45], off
	s_waitcnt vmcnt(0)
	v_mul_f64 v[44:45], s[70:71], v[44:45]
	s_branch .LBB190_289
.LBB190_288:
	v_mov_b64_e32 v[44:45], 0
.LBB190_289:
	v_add_f64 v[42:43], v[42:43], v[44:45]
	v_lshl_add_u64 v[44:45], v[108:109], 3, v[64:65]
	global_store_dwordx2 v[44:45], v[42:43], off
	s_or_b64 exec, exec, s[2:3]
	s_and_b64 s[4:5], s[24:25], s[26:27]
	s_and_saveexec_b64 s[2:3], s[4:5]
	s_cbranch_execz .LBB190_225
.LBB190_290:
	s_and_b64 vcc, exec, s[0:1]
	s_cbranch_vccnz .LBB190_292
; %bb.291:
	v_lshl_add_u64 v[42:43], v[106:107], 3, v[130:131]
	global_load_dwordx2 v[42:43], v[42:43], off
	s_waitcnt vmcnt(0)
	v_mul_f64 v[42:43], s[70:71], v[42:43]
	s_branch .LBB190_293
.LBB190_292:
	v_mov_b64_e32 v[42:43], 0
.LBB190_293:
	v_add_f64 v[40:41], v[40:41], v[42:43]
	v_lshl_add_u64 v[42:43], v[106:107], 3, v[64:65]
	global_store_dwordx2 v[42:43], v[40:41], off
	s_or_b64 exec, exec, s[2:3]
	s_and_b64 s[4:5], s[24:25], s[28:29]
	s_and_saveexec_b64 s[2:3], s[4:5]
	s_cbranch_execz .LBB190_226
.LBB190_294:
	s_and_b64 vcc, exec, s[0:1]
	s_cbranch_vccnz .LBB190_296
; %bb.295:
	v_lshl_add_u64 v[40:41], v[104:105], 3, v[130:131]
	global_load_dwordx2 v[40:41], v[40:41], off
	s_waitcnt vmcnt(0)
	v_mul_f64 v[40:41], s[70:71], v[40:41]
	s_branch .LBB190_297
.LBB190_296:
	v_mov_b64_e32 v[40:41], 0
.LBB190_297:
	v_add_f64 v[38:39], v[38:39], v[40:41]
	v_lshl_add_u64 v[40:41], v[104:105], 3, v[64:65]
	global_store_dwordx2 v[40:41], v[38:39], off
	s_or_b64 exec, exec, s[2:3]
	s_and_b64 s[4:5], s[24:25], s[30:31]
	s_and_saveexec_b64 s[2:3], s[4:5]
	s_cbranch_execz .LBB190_227
.LBB190_298:
	s_and_b64 vcc, exec, s[0:1]
	s_cbranch_vccnz .LBB190_300
; %bb.299:
	v_lshl_add_u64 v[38:39], v[102:103], 3, v[130:131]
	global_load_dwordx2 v[38:39], v[38:39], off
	s_waitcnt vmcnt(0)
	v_mul_f64 v[38:39], s[70:71], v[38:39]
	s_branch .LBB190_301
.LBB190_300:
	v_mov_b64_e32 v[38:39], 0
.LBB190_301:
	v_add_f64 v[36:37], v[36:37], v[38:39]
	v_lshl_add_u64 v[38:39], v[102:103], 3, v[64:65]
	global_store_dwordx2 v[38:39], v[36:37], off
	s_or_b64 exec, exec, s[2:3]
	s_and_b64 s[4:5], s[24:25], s[34:35]
	s_and_saveexec_b64 s[2:3], s[4:5]
	s_cbranch_execz .LBB190_228
.LBB190_302:
	s_and_b64 vcc, exec, s[0:1]
	s_cbranch_vccnz .LBB190_304
; %bb.303:
	v_lshl_add_u64 v[36:37], v[100:101], 3, v[130:131]
	global_load_dwordx2 v[36:37], v[36:37], off
	s_waitcnt vmcnt(0)
	v_mul_f64 v[36:37], s[70:71], v[36:37]
	s_branch .LBB190_305
.LBB190_304:
	v_mov_b64_e32 v[36:37], 0
.LBB190_305:
	v_add_f64 v[34:35], v[34:35], v[36:37]
	v_lshl_add_u64 v[36:37], v[100:101], 3, v[64:65]
	global_store_dwordx2 v[36:37], v[34:35], off
	s_or_b64 exec, exec, s[2:3]
	s_and_b64 s[4:5], s[24:25], s[36:37]
	s_and_saveexec_b64 s[2:3], s[4:5]
	s_cbranch_execz .LBB190_229
.LBB190_306:
	s_and_b64 vcc, exec, s[0:1]
	s_cbranch_vccnz .LBB190_308
; %bb.307:
	v_lshl_add_u64 v[34:35], v[98:99], 3, v[130:131]
	global_load_dwordx2 v[34:35], v[34:35], off
	s_waitcnt vmcnt(0)
	v_mul_f64 v[34:35], s[70:71], v[34:35]
	s_branch .LBB190_309
.LBB190_308:
	v_mov_b64_e32 v[34:35], 0
.LBB190_309:
	v_add_f64 v[32:33], v[32:33], v[34:35]
	v_lshl_add_u64 v[34:35], v[98:99], 3, v[64:65]
	global_store_dwordx2 v[34:35], v[32:33], off
	s_or_b64 exec, exec, s[2:3]
	s_and_b64 s[4:5], s[24:25], s[38:39]
	s_and_saveexec_b64 s[2:3], s[4:5]
	s_cbranch_execz .LBB190_230
.LBB190_310:
	s_and_b64 vcc, exec, s[0:1]
	s_cbranch_vccnz .LBB190_312
; %bb.311:
	v_lshl_add_u64 v[32:33], v[96:97], 3, v[130:131]
	global_load_dwordx2 v[32:33], v[32:33], off
	s_waitcnt vmcnt(0)
	v_mul_f64 v[32:33], s[70:71], v[32:33]
	s_branch .LBB190_313
.LBB190_312:
	v_mov_b64_e32 v[32:33], 0
.LBB190_313:
	v_add_f64 v[30:31], v[30:31], v[32:33]
	v_lshl_add_u64 v[32:33], v[96:97], 3, v[64:65]
	global_store_dwordx2 v[32:33], v[30:31], off
	s_or_b64 exec, exec, s[2:3]
	s_and_b64 s[4:5], s[24:25], s[40:41]
	s_and_saveexec_b64 s[2:3], s[4:5]
	s_cbranch_execz .LBB190_231
.LBB190_314:
	s_and_b64 vcc, exec, s[0:1]
	s_cbranch_vccnz .LBB190_316
; %bb.315:
	v_lshl_add_u64 v[30:31], v[94:95], 3, v[130:131]
	global_load_dwordx2 v[30:31], v[30:31], off
	s_waitcnt vmcnt(0)
	v_mul_f64 v[30:31], s[70:71], v[30:31]
	s_branch .LBB190_317
.LBB190_316:
	v_mov_b64_e32 v[30:31], 0
.LBB190_317:
	v_add_f64 v[28:29], v[28:29], v[30:31]
	v_lshl_add_u64 v[30:31], v[94:95], 3, v[64:65]
	global_store_dwordx2 v[30:31], v[28:29], off
	s_or_b64 exec, exec, s[2:3]
	s_and_b64 s[4:5], s[24:25], s[42:43]
	s_and_saveexec_b64 s[2:3], s[4:5]
	s_cbranch_execz .LBB190_232
.LBB190_318:
	s_and_b64 vcc, exec, s[0:1]
	s_cbranch_vccnz .LBB190_320
; %bb.319:
	v_lshl_add_u64 v[28:29], v[92:93], 3, v[130:131]
	global_load_dwordx2 v[28:29], v[28:29], off
	s_waitcnt vmcnt(0)
	v_mul_f64 v[28:29], s[70:71], v[28:29]
	s_branch .LBB190_321
.LBB190_320:
	v_mov_b64_e32 v[28:29], 0
.LBB190_321:
	v_add_f64 v[26:27], v[26:27], v[28:29]
	v_lshl_add_u64 v[28:29], v[92:93], 3, v[64:65]
	global_store_dwordx2 v[28:29], v[26:27], off
	s_or_b64 exec, exec, s[2:3]
	s_and_b64 s[4:5], s[24:25], s[44:45]
	s_and_saveexec_b64 s[2:3], s[4:5]
	s_cbranch_execz .LBB190_233
.LBB190_322:
	s_and_b64 vcc, exec, s[0:1]
	s_cbranch_vccnz .LBB190_324
; %bb.323:
	v_lshl_add_u64 v[26:27], v[90:91], 3, v[130:131]
	global_load_dwordx2 v[26:27], v[26:27], off
	s_waitcnt vmcnt(0)
	v_mul_f64 v[26:27], s[70:71], v[26:27]
	s_branch .LBB190_325
.LBB190_324:
	v_mov_b64_e32 v[26:27], 0
.LBB190_325:
	v_add_f64 v[24:25], v[24:25], v[26:27]
	v_lshl_add_u64 v[26:27], v[90:91], 3, v[64:65]
	global_store_dwordx2 v[26:27], v[24:25], off
	s_or_b64 exec, exec, s[2:3]
	s_and_b64 s[4:5], s[24:25], s[46:47]
	s_and_saveexec_b64 s[2:3], s[4:5]
	s_cbranch_execz .LBB190_234
.LBB190_326:
	s_and_b64 vcc, exec, s[0:1]
	s_cbranch_vccnz .LBB190_328
; %bb.327:
	v_lshl_add_u64 v[24:25], v[88:89], 3, v[130:131]
	global_load_dwordx2 v[24:25], v[24:25], off
	s_waitcnt vmcnt(0)
	v_mul_f64 v[24:25], s[70:71], v[24:25]
	s_branch .LBB190_329
.LBB190_328:
	v_mov_b64_e32 v[24:25], 0
.LBB190_329:
	v_add_f64 v[22:23], v[22:23], v[24:25]
	v_lshl_add_u64 v[24:25], v[88:89], 3, v[64:65]
	global_store_dwordx2 v[24:25], v[22:23], off
	s_or_b64 exec, exec, s[2:3]
	s_and_b64 s[4:5], s[24:25], s[48:49]
	s_and_saveexec_b64 s[2:3], s[4:5]
	s_cbranch_execz .LBB190_235
.LBB190_330:
	s_and_b64 vcc, exec, s[0:1]
	s_cbranch_vccnz .LBB190_332
; %bb.331:
	v_lshl_add_u64 v[22:23], v[86:87], 3, v[130:131]
	global_load_dwordx2 v[22:23], v[22:23], off
	s_waitcnt vmcnt(0)
	v_mul_f64 v[22:23], s[70:71], v[22:23]
	s_branch .LBB190_333
.LBB190_332:
	v_mov_b64_e32 v[22:23], 0
.LBB190_333:
	v_add_f64 v[20:21], v[20:21], v[22:23]
	v_lshl_add_u64 v[22:23], v[86:87], 3, v[64:65]
	global_store_dwordx2 v[22:23], v[20:21], off
	s_or_b64 exec, exec, s[2:3]
	s_and_b64 s[4:5], s[24:25], s[50:51]
	s_and_saveexec_b64 s[2:3], s[4:5]
	s_cbranch_execz .LBB190_236
.LBB190_334:
	s_and_b64 vcc, exec, s[0:1]
	s_cbranch_vccnz .LBB190_336
; %bb.335:
	v_lshl_add_u64 v[20:21], v[84:85], 3, v[130:131]
	global_load_dwordx2 v[20:21], v[20:21], off
	s_waitcnt vmcnt(0)
	v_mul_f64 v[20:21], s[70:71], v[20:21]
	s_branch .LBB190_337
.LBB190_336:
	v_mov_b64_e32 v[20:21], 0
.LBB190_337:
	v_add_f64 v[18:19], v[18:19], v[20:21]
	v_lshl_add_u64 v[20:21], v[84:85], 3, v[64:65]
	global_store_dwordx2 v[20:21], v[18:19], off
	s_or_b64 exec, exec, s[2:3]
	s_and_b64 s[4:5], s[24:25], s[52:53]
	s_and_saveexec_b64 s[2:3], s[4:5]
	s_cbranch_execz .LBB190_237
.LBB190_338:
	s_and_b64 vcc, exec, s[0:1]
	s_cbranch_vccnz .LBB190_340
; %bb.339:
	v_lshl_add_u64 v[18:19], v[82:83], 3, v[130:131]
	global_load_dwordx2 v[18:19], v[18:19], off
	s_waitcnt vmcnt(0)
	v_mul_f64 v[18:19], s[70:71], v[18:19]
	s_branch .LBB190_341
.LBB190_340:
	v_mov_b64_e32 v[18:19], 0
.LBB190_341:
	v_add_f64 v[16:17], v[16:17], v[18:19]
	v_lshl_add_u64 v[18:19], v[82:83], 3, v[64:65]
	global_store_dwordx2 v[18:19], v[16:17], off
	s_or_b64 exec, exec, s[2:3]
	s_and_b64 s[4:5], s[24:25], s[54:55]
	s_and_saveexec_b64 s[2:3], s[4:5]
	s_cbranch_execz .LBB190_238
.LBB190_342:
	s_and_b64 vcc, exec, s[0:1]
	s_cbranch_vccnz .LBB190_344
; %bb.343:
	v_lshl_add_u64 v[16:17], v[80:81], 3, v[130:131]
	global_load_dwordx2 v[16:17], v[16:17], off
	s_waitcnt vmcnt(0)
	v_mul_f64 v[16:17], s[70:71], v[16:17]
	s_branch .LBB190_345
.LBB190_344:
	v_mov_b64_e32 v[16:17], 0
.LBB190_345:
	v_add_f64 v[14:15], v[14:15], v[16:17]
	v_lshl_add_u64 v[16:17], v[80:81], 3, v[64:65]
	global_store_dwordx2 v[16:17], v[14:15], off
	s_or_b64 exec, exec, s[2:3]
	s_and_b64 s[4:5], s[24:25], s[56:57]
	s_and_saveexec_b64 s[2:3], s[4:5]
	s_cbranch_execz .LBB190_239
.LBB190_346:
	s_and_b64 vcc, exec, s[0:1]
	s_cbranch_vccnz .LBB190_348
; %bb.347:
	v_lshl_add_u64 v[14:15], v[78:79], 3, v[130:131]
	global_load_dwordx2 v[14:15], v[14:15], off
	s_waitcnt vmcnt(0)
	v_mul_f64 v[14:15], s[70:71], v[14:15]
	s_branch .LBB190_349
.LBB190_348:
	v_mov_b64_e32 v[14:15], 0
.LBB190_349:
	v_add_f64 v[12:13], v[12:13], v[14:15]
	v_lshl_add_u64 v[14:15], v[78:79], 3, v[64:65]
	global_store_dwordx2 v[14:15], v[12:13], off
	s_or_b64 exec, exec, s[2:3]
	s_and_b64 s[4:5], s[24:25], s[58:59]
	s_and_saveexec_b64 s[2:3], s[4:5]
	s_cbranch_execz .LBB190_240
.LBB190_350:
	s_and_b64 vcc, exec, s[0:1]
	s_cbranch_vccnz .LBB190_352
; %bb.351:
	v_lshl_add_u64 v[12:13], v[76:77], 3, v[130:131]
	global_load_dwordx2 v[12:13], v[12:13], off
	s_waitcnt vmcnt(0)
	v_mul_f64 v[12:13], s[70:71], v[12:13]
	s_branch .LBB190_353
.LBB190_352:
	v_mov_b64_e32 v[12:13], 0
.LBB190_353:
	v_add_f64 v[10:11], v[10:11], v[12:13]
	v_lshl_add_u64 v[12:13], v[76:77], 3, v[64:65]
	global_store_dwordx2 v[12:13], v[10:11], off
	s_or_b64 exec, exec, s[2:3]
	s_and_b64 s[4:5], s[24:25], s[60:61]
	s_and_saveexec_b64 s[2:3], s[4:5]
	s_cbranch_execz .LBB190_241
.LBB190_354:
	s_and_b64 vcc, exec, s[0:1]
	s_cbranch_vccnz .LBB190_356
; %bb.355:
	v_lshl_add_u64 v[10:11], v[74:75], 3, v[130:131]
	global_load_dwordx2 v[10:11], v[10:11], off
	s_waitcnt vmcnt(0)
	v_mul_f64 v[10:11], s[70:71], v[10:11]
	s_branch .LBB190_357
.LBB190_356:
	v_mov_b64_e32 v[10:11], 0
.LBB190_357:
	v_add_f64 v[8:9], v[8:9], v[10:11]
	v_lshl_add_u64 v[10:11], v[74:75], 3, v[64:65]
	global_store_dwordx2 v[10:11], v[8:9], off
	s_or_b64 exec, exec, s[2:3]
	s_and_b64 s[4:5], s[24:25], s[62:63]
	s_and_saveexec_b64 s[2:3], s[4:5]
	s_cbranch_execz .LBB190_242
.LBB190_358:
	s_and_b64 vcc, exec, s[0:1]
	s_cbranch_vccnz .LBB190_360
; %bb.359:
	v_lshl_add_u64 v[8:9], v[72:73], 3, v[130:131]
	global_load_dwordx2 v[8:9], v[8:9], off
	s_waitcnt vmcnt(0)
	v_mul_f64 v[8:9], s[70:71], v[8:9]
	s_branch .LBB190_361
.LBB190_360:
	v_mov_b64_e32 v[8:9], 0
.LBB190_361:
	v_add_f64 v[6:7], v[6:7], v[8:9]
	v_lshl_add_u64 v[8:9], v[72:73], 3, v[64:65]
	global_store_dwordx2 v[8:9], v[6:7], off
	s_or_b64 exec, exec, s[2:3]
	s_and_b64 s[4:5], s[24:25], s[64:65]
	s_and_saveexec_b64 s[2:3], s[4:5]
	s_cbranch_execz .LBB190_243
.LBB190_362:
	s_and_b64 vcc, exec, s[0:1]
	s_cbranch_vccnz .LBB190_364
; %bb.363:
	v_lshl_add_u64 v[6:7], v[70:71], 3, v[130:131]
	global_load_dwordx2 v[6:7], v[6:7], off
	s_waitcnt vmcnt(0)
	v_mul_f64 v[6:7], s[70:71], v[6:7]
	s_branch .LBB190_365
.LBB190_364:
	v_mov_b64_e32 v[6:7], 0
.LBB190_365:
	v_add_f64 v[4:5], v[4:5], v[6:7]
	v_lshl_add_u64 v[6:7], v[70:71], 3, v[64:65]
	global_store_dwordx2 v[6:7], v[4:5], off
	s_or_b64 exec, exec, s[2:3]
	s_and_b64 s[4:5], s[24:25], s[66:67]
	s_and_saveexec_b64 s[2:3], s[4:5]
	s_cbranch_execz .LBB190_244
.LBB190_366:
	s_and_b64 vcc, exec, s[0:1]
	s_cbranch_vccnz .LBB190_368
; %bb.367:
	v_lshl_add_u64 v[4:5], v[68:69], 3, v[130:131]
	global_load_dwordx2 v[4:5], v[4:5], off
	s_waitcnt vmcnt(0)
	v_mul_f64 v[4:5], s[70:71], v[4:5]
	s_branch .LBB190_369
.LBB190_368:
	v_mov_b64_e32 v[4:5], 0
.LBB190_369:
	v_add_f64 v[2:3], v[2:3], v[4:5]
	v_lshl_add_u64 v[4:5], v[68:69], 3, v[64:65]
	global_store_dwordx2 v[4:5], v[2:3], off
	s_or_b64 exec, exec, s[2:3]
	s_and_b64 s[2:3], s[24:25], s[68:69]
	s_and_saveexec_b64 s[4:5], s[2:3]
	s_cbranch_execz .LBB190_245
.LBB190_370:
	s_and_b64 vcc, exec, s[0:1]
	s_cbranch_vccnz .LBB190_372
; %bb.371:
	v_lshl_add_u64 v[2:3], v[66:67], 3, v[130:131]
	global_load_dwordx2 v[2:3], v[2:3], off
	s_waitcnt vmcnt(0)
	v_mul_f64 v[2:3], s[70:71], v[2:3]
	v_add_f64 v[0:1], v[0:1], v[2:3]
	v_lshl_add_u64 v[2:3], v[66:67], 3, v[64:65]
	global_store_dwordx2 v[2:3], v[0:1], off
	s_endpgm
.LBB190_372:
	v_mov_b64_e32 v[2:3], 0
	v_add_f64 v[0:1], v[0:1], v[2:3]
	v_lshl_add_u64 v[2:3], v[66:67], 3, v[64:65]
	global_store_dwordx2 v[2:3], v[0:1], off
	s_endpgm
	.section	.rodata,"a",@progbits
	.p2align	6, 0x0
	.amdhsa_kernel _ZN12_GLOBAL__N_120geam_min_plus_kernelIdddLi4ELi64ELi128ELi128ELi4ELi4ELi64ELi4ELi64ELc84ELc78ELb1ELb1ELb0EdKddEEviiiT16_PT17_ilS4_ilS2_S4_ilPT18_ili26rocblas_geam_ex_operation_
		.amdhsa_group_segment_fixed_size 16384
		.amdhsa_private_segment_fixed_size 0
		.amdhsa_kernarg_size 136
		.amdhsa_user_sgpr_count 2
		.amdhsa_user_sgpr_dispatch_ptr 0
		.amdhsa_user_sgpr_queue_ptr 0
		.amdhsa_user_sgpr_kernarg_segment_ptr 1
		.amdhsa_user_sgpr_dispatch_id 0
		.amdhsa_user_sgpr_kernarg_preload_length 0
		.amdhsa_user_sgpr_kernarg_preload_offset 0
		.amdhsa_user_sgpr_private_segment_size 0
		.amdhsa_uses_dynamic_stack 0
		.amdhsa_enable_private_segment 0
		.amdhsa_system_sgpr_workgroup_id_x 1
		.amdhsa_system_sgpr_workgroup_id_y 0
		.amdhsa_system_sgpr_workgroup_id_z 1
		.amdhsa_system_sgpr_workgroup_info 0
		.amdhsa_system_vgpr_workitem_id 1
		.amdhsa_next_free_vgpr 252
		.amdhsa_next_free_sgpr 82
		.amdhsa_accum_offset 252
		.amdhsa_reserve_vcc 1
		.amdhsa_float_round_mode_32 0
		.amdhsa_float_round_mode_16_64 0
		.amdhsa_float_denorm_mode_32 3
		.amdhsa_float_denorm_mode_16_64 3
		.amdhsa_dx10_clamp 1
		.amdhsa_ieee_mode 1
		.amdhsa_fp16_overflow 0
		.amdhsa_tg_split 0
		.amdhsa_exception_fp_ieee_invalid_op 0
		.amdhsa_exception_fp_denorm_src 0
		.amdhsa_exception_fp_ieee_div_zero 0
		.amdhsa_exception_fp_ieee_overflow 0
		.amdhsa_exception_fp_ieee_underflow 0
		.amdhsa_exception_fp_ieee_inexact 0
		.amdhsa_exception_int_div_zero 0
	.end_amdhsa_kernel
	.section	.text._ZN12_GLOBAL__N_120geam_min_plus_kernelIdddLi4ELi64ELi128ELi128ELi4ELi4ELi64ELi4ELi64ELc84ELc78ELb1ELb1ELb0EdKddEEviiiT16_PT17_ilS4_ilS2_S4_ilPT18_ili26rocblas_geam_ex_operation_,"axG",@progbits,_ZN12_GLOBAL__N_120geam_min_plus_kernelIdddLi4ELi64ELi128ELi128ELi4ELi4ELi64ELi4ELi64ELc84ELc78ELb1ELb1ELb0EdKddEEviiiT16_PT17_ilS4_ilS2_S4_ilPT18_ili26rocblas_geam_ex_operation_,comdat
.Lfunc_end190:
	.size	_ZN12_GLOBAL__N_120geam_min_plus_kernelIdddLi4ELi64ELi128ELi128ELi4ELi4ELi64ELi4ELi64ELc84ELc78ELb1ELb1ELb0EdKddEEviiiT16_PT17_ilS4_ilS2_S4_ilPT18_ili26rocblas_geam_ex_operation_, .Lfunc_end190-_ZN12_GLOBAL__N_120geam_min_plus_kernelIdddLi4ELi64ELi128ELi128ELi4ELi4ELi64ELi4ELi64ELc84ELc78ELb1ELb1ELb0EdKddEEviiiT16_PT17_ilS4_ilS2_S4_ilPT18_ili26rocblas_geam_ex_operation_
                                        ; -- End function
	.set _ZN12_GLOBAL__N_120geam_min_plus_kernelIdddLi4ELi64ELi128ELi128ELi4ELi4ELi64ELi4ELi64ELc84ELc78ELb1ELb1ELb0EdKddEEviiiT16_PT17_ilS4_ilS2_S4_ilPT18_ili26rocblas_geam_ex_operation_.num_vgpr, 252
	.set _ZN12_GLOBAL__N_120geam_min_plus_kernelIdddLi4ELi64ELi128ELi128ELi4ELi4ELi64ELi4ELi64ELc84ELc78ELb1ELb1ELb0EdKddEEviiiT16_PT17_ilS4_ilS2_S4_ilPT18_ili26rocblas_geam_ex_operation_.num_agpr, 0
	.set _ZN12_GLOBAL__N_120geam_min_plus_kernelIdddLi4ELi64ELi128ELi128ELi4ELi4ELi64ELi4ELi64ELc84ELc78ELb1ELb1ELb0EdKddEEviiiT16_PT17_ilS4_ilS2_S4_ilPT18_ili26rocblas_geam_ex_operation_.numbered_sgpr, 82
	.set _ZN12_GLOBAL__N_120geam_min_plus_kernelIdddLi4ELi64ELi128ELi128ELi4ELi4ELi64ELi4ELi64ELc84ELc78ELb1ELb1ELb0EdKddEEviiiT16_PT17_ilS4_ilS2_S4_ilPT18_ili26rocblas_geam_ex_operation_.num_named_barrier, 0
	.set _ZN12_GLOBAL__N_120geam_min_plus_kernelIdddLi4ELi64ELi128ELi128ELi4ELi4ELi64ELi4ELi64ELc84ELc78ELb1ELb1ELb0EdKddEEviiiT16_PT17_ilS4_ilS2_S4_ilPT18_ili26rocblas_geam_ex_operation_.private_seg_size, 0
	.set _ZN12_GLOBAL__N_120geam_min_plus_kernelIdddLi4ELi64ELi128ELi128ELi4ELi4ELi64ELi4ELi64ELc84ELc78ELb1ELb1ELb0EdKddEEviiiT16_PT17_ilS4_ilS2_S4_ilPT18_ili26rocblas_geam_ex_operation_.uses_vcc, 1
	.set _ZN12_GLOBAL__N_120geam_min_plus_kernelIdddLi4ELi64ELi128ELi128ELi4ELi4ELi64ELi4ELi64ELc84ELc78ELb1ELb1ELb0EdKddEEviiiT16_PT17_ilS4_ilS2_S4_ilPT18_ili26rocblas_geam_ex_operation_.uses_flat_scratch, 0
	.set _ZN12_GLOBAL__N_120geam_min_plus_kernelIdddLi4ELi64ELi128ELi128ELi4ELi4ELi64ELi4ELi64ELc84ELc78ELb1ELb1ELb0EdKddEEviiiT16_PT17_ilS4_ilS2_S4_ilPT18_ili26rocblas_geam_ex_operation_.has_dyn_sized_stack, 0
	.set _ZN12_GLOBAL__N_120geam_min_plus_kernelIdddLi4ELi64ELi128ELi128ELi4ELi4ELi64ELi4ELi64ELc84ELc78ELb1ELb1ELb0EdKddEEviiiT16_PT17_ilS4_ilS2_S4_ilPT18_ili26rocblas_geam_ex_operation_.has_recursion, 0
	.set _ZN12_GLOBAL__N_120geam_min_plus_kernelIdddLi4ELi64ELi128ELi128ELi4ELi4ELi64ELi4ELi64ELc84ELc78ELb1ELb1ELb0EdKddEEviiiT16_PT17_ilS4_ilS2_S4_ilPT18_ili26rocblas_geam_ex_operation_.has_indirect_call, 0
	.section	.AMDGPU.csdata,"",@progbits
; Kernel info:
; codeLenInByte = 14300
; TotalNumSgprs: 88
; NumVgprs: 252
; NumAgprs: 0
; TotalNumVgprs: 252
; ScratchSize: 0
; MemoryBound: 0
; FloatMode: 240
; IeeeMode: 1
; LDSByteSize: 16384 bytes/workgroup (compile time only)
; SGPRBlocks: 10
; VGPRBlocks: 31
; NumSGPRsForWavesPerEU: 88
; NumVGPRsForWavesPerEU: 252
; AccumOffset: 252
; Occupancy: 2
; WaveLimiterHint : 0
; COMPUTE_PGM_RSRC2:SCRATCH_EN: 0
; COMPUTE_PGM_RSRC2:USER_SGPR: 2
; COMPUTE_PGM_RSRC2:TRAP_HANDLER: 0
; COMPUTE_PGM_RSRC2:TGID_X_EN: 1
; COMPUTE_PGM_RSRC2:TGID_Y_EN: 0
; COMPUTE_PGM_RSRC2:TGID_Z_EN: 1
; COMPUTE_PGM_RSRC2:TIDIG_COMP_CNT: 1
; COMPUTE_PGM_RSRC3_GFX90A:ACCUM_OFFSET: 62
; COMPUTE_PGM_RSRC3_GFX90A:TG_SPLIT: 0
	.section	.text._ZN12_GLOBAL__N_120geam_min_plus_kernelIdddLi4ELi64ELi128ELi128ELi4ELi4ELi64ELi4ELi64ELc84ELc78ELb0ELb1ELb0EdKddEEviiiT16_PT17_ilS4_ilS2_S4_ilPT18_ili26rocblas_geam_ex_operation_,"axG",@progbits,_ZN12_GLOBAL__N_120geam_min_plus_kernelIdddLi4ELi64ELi128ELi128ELi4ELi4ELi64ELi4ELi64ELc84ELc78ELb0ELb1ELb0EdKddEEviiiT16_PT17_ilS4_ilS2_S4_ilPT18_ili26rocblas_geam_ex_operation_,comdat
	.globl	_ZN12_GLOBAL__N_120geam_min_plus_kernelIdddLi4ELi64ELi128ELi128ELi4ELi4ELi64ELi4ELi64ELc84ELc78ELb0ELb1ELb0EdKddEEviiiT16_PT17_ilS4_ilS2_S4_ilPT18_ili26rocblas_geam_ex_operation_ ; -- Begin function _ZN12_GLOBAL__N_120geam_min_plus_kernelIdddLi4ELi64ELi128ELi128ELi4ELi4ELi64ELi4ELi64ELc84ELc78ELb0ELb1ELb0EdKddEEviiiT16_PT17_ilS4_ilS2_S4_ilPT18_ili26rocblas_geam_ex_operation_
	.p2align	8
	.type	_ZN12_GLOBAL__N_120geam_min_plus_kernelIdddLi4ELi64ELi128ELi128ELi4ELi4ELi64ELi4ELi64ELc84ELc78ELb0ELb1ELb0EdKddEEviiiT16_PT17_ilS4_ilS2_S4_ilPT18_ili26rocblas_geam_ex_operation_,@function
_ZN12_GLOBAL__N_120geam_min_plus_kernelIdddLi4ELi64ELi128ELi128ELi4ELi4ELi64ELi4ELi64ELc84ELc78ELb0ELb1ELb0EdKddEEviiiT16_PT17_ilS4_ilS2_S4_ilPT18_ili26rocblas_geam_ex_operation_: ; @_ZN12_GLOBAL__N_120geam_min_plus_kernelIdddLi4ELi64ELi128ELi128ELi4ELi4ELi64ELi4ELi64ELc84ELc78ELb0ELb1ELb0EdKddEEviiiT16_PT17_ilS4_ilS2_S4_ilPT18_ili26rocblas_geam_ex_operation_
; %bb.0:
	s_load_dwordx4 s[16:19], s[0:1], 0x10
	s_load_dwordx4 s[4:7], s[0:1], 0x28
	s_mov_b64 s[20:21], 0
	s_waitcnt lgkmcnt(0)
	v_cmp_eq_f64_e64 s[8:9], s[16:17], 0
	s_and_b64 vcc, exec, s[8:9]
	s_cbranch_vccnz .LBB191_2
; %bb.1:
	s_mul_i32 s5, s5, s3
	s_mul_hi_u32 s10, s4, s3
	s_add_i32 s5, s10, s5
	s_mul_i32 s4, s4, s3
	s_lshl_b64 s[4:5], s[4:5], 3
	s_add_u32 s20, s18, s4
	s_addc_u32 s21, s19, s5
.LBB191_2:
	s_load_dwordx4 s[68:71], s[0:1], 0x40
	s_load_dwordx2 s[4:5], s[0:1], 0x50
	s_andn2_b64 vcc, exec, s[8:9]
	s_mov_b64 s[8:9], -1
	s_cbranch_vccnz .LBB191_4
; %bb.3:
	s_mov_b64 s[8:9], 0
.LBB191_4:
	s_mov_b64 s[76:77], 0
	s_andn2_b64 vcc, exec, s[8:9]
	s_mov_b64 s[22:23], 0
	s_cbranch_vccnz .LBB191_6
; %bb.5:
	s_waitcnt lgkmcnt(0)
	s_mul_i32 s8, s69, s3
	s_mul_hi_u32 s9, s68, s3
	s_add_i32 s9, s9, s8
	s_mul_i32 s8, s68, s3
	s_lshl_b64 s[8:9], s[8:9], 3
	s_add_u32 s22, s6, s8
	s_addc_u32 s23, s7, s9
.LBB191_6:
	s_load_dwordx4 s[12:15], s[0:1], 0x60
	s_waitcnt lgkmcnt(0)
	v_cmp_eq_f64_e64 s[6:7], s[70:71], 0
	v_cmp_neq_f64_e64 s[18:19], s[70:71], 0
	s_and_b64 vcc, exec, s[6:7]
	s_cbranch_vccnz .LBB191_8
; %bb.7:
	s_mul_i32 s6, s13, s3
	s_mul_hi_u32 s7, s12, s3
	s_add_i32 s7, s7, s6
	s_mul_i32 s6, s12, s3
	s_lshl_b64 s[6:7], s[6:7], 3
	s_add_u32 s76, s4, s6
	s_addc_u32 s77, s5, s7
.LBB191_8:
	s_load_dwordx4 s[72:75], s[0:1], 0x0
	s_load_dword s28, s[0:1], 0x20
	v_bfe_u32 v146, v0, 10, 10
	v_bfe_u32 v4, v0, 2, 8
	v_add_u32_e32 v137, v4, v146
	s_waitcnt lgkmcnt(0)
	s_add_i32 s4, s72, -1
	s_ashr_i32 s5, s4, 31
	s_lshr_b32 s5, s5, 25
	s_add_i32 s4, s4, s5
	s_ashr_i32 s4, s4, 7
	s_add_i32 s5, s4, 1
	v_cvt_f32_u32_e32 v1, s5
	s_not_b32 s4, s4
	v_and_b32_e32 v148, 3, v0
	v_cmp_le_i32_e32 vcc, s74, v148
	v_rcp_iflag_f32_e32 v1, v1
	v_cmp_eq_f64_e64 s[12:13], s[16:17], 0
	v_mov_b64_e32 v[2:3], 0
	v_mov_b64_e32 v[4:5], 0
	v_mul_f32_e32 v1, 0x4f7ffffe, v1
	v_cvt_u32_f32_e32 v1, v1
	s_nop 0
	v_readfirstlane_b32 s6, v1
	s_mul_i32 s4, s4, s6
	s_mul_hi_u32 s4, s6, s4
	s_add_i32 s6, s6, s4
	s_mul_hi_u32 s4, s2, s6
	s_mul_i32 s6, s4, s5
	s_sub_i32 s6, s2, s6
	s_add_i32 s7, s4, 1
	s_sub_i32 s8, s6, s5
	s_cmp_ge_u32 s6, s5
	s_cselect_b32 s4, s7, s4
	s_cselect_b32 s6, s8, s6
	s_add_i32 s7, s4, 1
	s_cmp_ge_u32 s6, s5
	s_cselect_b32 s8, s7, s4
	s_mul_i32 s4, s8, s5
	s_sub_i32 s2, s2, s4
	s_lshl_b32 s2, s2, 7
	s_add_i32 s27, s74, -1
	v_add_u32_e32 v136, s2, v137
	v_min_i32_e32 v6, s27, v148
	v_cmp_le_i32_e64 s[10:11], s72, v136
	v_ashrrev_i32_e32 v7, 31, v6
	s_or_b64 s[4:5], vcc, s[10:11]
	v_lshl_add_u64 v[8:9], v[6:7], 3, s[20:21]
	s_nor_b64 s[6:7], s[12:13], s[4:5]
	s_and_saveexec_b64 s[4:5], s[6:7]
	s_cbranch_execz .LBB191_10
; %bb.9:
	v_mad_i64_i32 v[4:5], s[6:7], v136, s28, 0
	v_lshl_add_u64 v[4:5], v[4:5], 3, v[8:9]
	global_load_dwordx2 v[4:5], v[4:5], off
	s_waitcnt vmcnt(0)
	v_mul_f64 v[4:5], s[16:17], v[4:5]
.LBB191_10:
	s_or_b64 exec, exec, s[4:5]
	v_add_u32_e32 v138, 64, v136
	v_cmp_le_i32_e64 s[4:5], s72, v138
	s_or_b64 s[6:7], vcc, s[4:5]
	s_nor_b64 s[24:25], s[12:13], s[6:7]
	s_and_saveexec_b64 s[6:7], s[24:25]
	s_cbranch_execz .LBB191_12
; %bb.11:
	v_mad_i64_i32 v[2:3], s[24:25], v138, s28, 0
	v_lshl_add_u64 v[2:3], v[2:3], 3, v[8:9]
	global_load_dwordx2 v[2:3], v[2:3], off
	s_waitcnt vmcnt(0)
	v_mul_f64 v[2:3], s[16:17], v[2:3]
.LBB191_12:
	s_or_b64 exec, exec, s[6:7]
	s_load_dword s29, s[0:1], 0x38
	s_lshl_b32 s26, s8, 7
	v_add_u32_e32 v139, s26, v137
	v_cmp_le_i32_e64 s[6:7], s73, v139
	s_or_b64 s[8:9], vcc, s[6:7]
	v_lshl_add_u64 v[10:11], v[6:7], 3, s[22:23]
	s_nor_b64 s[24:25], s[12:13], s[8:9]
	v_mov_b64_e32 v[6:7], 0
	v_mov_b64_e32 v[8:9], 0
	s_and_saveexec_b64 s[8:9], s[24:25]
	s_cbranch_execz .LBB191_14
; %bb.13:
	s_waitcnt lgkmcnt(0)
	v_mad_i64_i32 v[8:9], s[24:25], v139, s29, 0
	v_lshl_add_u64 v[8:9], v[8:9], 3, v[10:11]
	global_load_dwordx2 v[8:9], v[8:9], off
	s_waitcnt vmcnt(0)
	v_mul_f64 v[8:9], s[16:17], v[8:9]
.LBB191_14:
	s_or_b64 exec, exec, s[8:9]
	v_add_u32_e32 v140, 64, v139
	v_cmp_le_i32_e64 s[8:9], s73, v140
	s_or_b64 s[24:25], vcc, s[8:9]
	s_nor_b64 s[30:31], s[12:13], s[24:25]
	s_and_saveexec_b64 s[24:25], s[30:31]
	s_cbranch_execz .LBB191_16
; %bb.15:
	s_waitcnt lgkmcnt(0)
	v_mad_i64_i32 v[6:7], s[30:31], v140, s29, 0
	v_lshl_add_u64 v[6:7], v[6:7], 3, v[10:11]
	global_load_dwordx2 v[6:7], v[6:7], off
	s_waitcnt vmcnt(0)
	v_mul_f64 v[6:7], s[16:17], v[6:7]
.LBB191_16:
	s_or_b64 exec, exec, s[24:25]
	v_or_b32_e32 v1, 4, v148
	v_cmp_le_i32_e32 vcc, s74, v1
	v_min_i32_e32 v10, s27, v1
	v_ashrrev_i32_e32 v11, 31, v10
	s_or_b64 s[24:25], vcc, s[10:11]
	v_lshl_add_u64 v[12:13], v[10:11], 3, s[20:21]
	s_nor_b64 s[30:31], s[12:13], s[24:25]
	v_mov_b64_e32 v[128:129], 0
	v_mov_b64_e32 v[130:131], 0
	s_and_saveexec_b64 s[24:25], s[30:31]
	s_cbranch_execz .LBB191_18
; %bb.17:
	v_mad_i64_i32 v[14:15], s[30:31], v136, s28, 0
	v_lshl_add_u64 v[14:15], v[14:15], 3, v[12:13]
	global_load_dwordx2 v[14:15], v[14:15], off
	s_waitcnt vmcnt(0)
	v_mul_f64 v[130:131], s[16:17], v[14:15]
.LBB191_18:
	s_or_b64 exec, exec, s[24:25]
	s_or_b64 s[24:25], vcc, s[4:5]
	s_nor_b64 s[30:31], s[12:13], s[24:25]
	s_and_saveexec_b64 s[24:25], s[30:31]
	s_cbranch_execz .LBB191_20
; %bb.19:
	v_mad_i64_i32 v[14:15], s[30:31], v138, s28, 0
	v_lshl_add_u64 v[12:13], v[14:15], 3, v[12:13]
	global_load_dwordx2 v[12:13], v[12:13], off
	s_waitcnt vmcnt(0)
	v_mul_f64 v[128:129], s[16:17], v[12:13]
.LBB191_20:
	s_or_b64 exec, exec, s[24:25]
	s_or_b64 s[24:25], vcc, s[6:7]
	v_lshl_add_u64 v[10:11], v[10:11], 3, s[22:23]
	s_nor_b64 s[30:31], s[12:13], s[24:25]
	v_mov_b64_e32 v[132:133], 0
	v_mov_b64_e32 v[134:135], 0
	s_and_saveexec_b64 s[24:25], s[30:31]
	s_cbranch_execz .LBB191_22
; %bb.21:
	s_waitcnt lgkmcnt(0)
	v_mad_i64_i32 v[12:13], s[30:31], v139, s29, 0
	v_lshl_add_u64 v[12:13], v[12:13], 3, v[10:11]
	global_load_dwordx2 v[12:13], v[12:13], off
	s_waitcnt vmcnt(0)
	v_mul_f64 v[134:135], s[16:17], v[12:13]
.LBB191_22:
	s_or_b64 exec, exec, s[24:25]
	s_or_b64 s[24:25], vcc, s[8:9]
	v_and_b32_e32 v147, 0x3ff, v0
	s_nor_b64 s[30:31], s[12:13], s[24:25]
	s_and_saveexec_b64 s[24:25], s[30:31]
	s_cbranch_execz .LBB191_24
; %bb.23:
	s_waitcnt lgkmcnt(0)
	v_mad_i64_i32 v[0:1], s[30:31], v140, s29, 0
	v_lshl_add_u64 v[0:1], v[0:1], 3, v[10:11]
	global_load_dwordx2 v[0:1], v[0:1], off
	s_waitcnt vmcnt(0)
	v_mul_f64 v[132:133], s[16:17], v[0:1]
.LBB191_24:
	s_or_b64 exec, exec, s[24:25]
	v_lshlrev_b32_e32 v0, 5, v137
	v_lshl_or_b32 v150, v148, 3, v0
	v_lshlrev_b32_e32 v141, 5, v146
	ds_write2st64_b64 v150, v[4:5], v[2:3] offset1:4
	v_add_u32_e32 v151, 0x2000, v150
	ds_write2st64_b64 v150, v[8:9], v[6:7] offset0:16 offset1:20
	v_lshlrev_b32_e32 v152, 5, v147
	v_add_u32_e32 v153, 0x2000, v141
	v_mov_b64_e32 v[126:127], 0
	s_mov_b32 s24, 0
	v_mov_b64_e32 v[124:125], 0
	v_mov_b64_e32 v[122:123], 0
	;; [unrolled: 1-line block ×63, first 2 shown]
	s_waitcnt lgkmcnt(0)
	s_barrier
.LBB191_25:                             ; =>This Inner Loop Header: Depth=1
	v_add_u32_e32 v149, s24, v152
	v_add_u32_e32 v182, s24, v153
	ds_read2_b64 v[142:145], v149 offset1:16
	ds_read2_b64 v[154:157], v149 offset0:32 offset1:48
	ds_read2_b64 v[158:161], v149 offset0:64 offset1:80
	;; [unrolled: 1-line block ×7, first 2 shown]
	ds_read2st64_b64 v[182:185], v182 offset1:4
	v_add_u32_e32 v149, 0x800, v149
	ds_read2_b64 v[186:189], v149 offset1:16
	ds_read2_b64 v[190:193], v149 offset0:32 offset1:48
	ds_read2_b64 v[194:197], v149 offset0:64 offset1:80
	;; [unrolled: 1-line block ×7, first 2 shown]
	s_waitcnt lgkmcnt(14)
	v_max_f64 v[142:143], v[142:143], v[142:143]
	v_max_f64 v[144:145], v[144:145], v[144:145]
	;; [unrolled: 1-line block ×6, first 2 shown]
	s_waitcnt lgkmcnt(13)
	v_max_f64 v[162:163], v[162:163], v[162:163]
	v_max_f64 v[164:165], v[164:165], v[164:165]
	s_waitcnt lgkmcnt(12)
	v_max_f64 v[166:167], v[166:167], v[166:167]
	v_max_f64 v[168:169], v[168:169], v[168:169]
	s_waitcnt lgkmcnt(11)
	v_max_f64 v[170:171], v[170:171], v[170:171]
	v_max_f64 v[172:173], v[172:173], v[172:173]
	s_waitcnt lgkmcnt(10)
	v_max_f64 v[174:175], v[174:175], v[174:175]
	v_max_f64 v[176:177], v[176:177], v[176:177]
	s_waitcnt lgkmcnt(9)
	v_max_f64 v[178:179], v[178:179], v[178:179]
	v_max_f64 v[180:181], v[180:181], v[180:181]
	s_waitcnt lgkmcnt(8)
	v_max_f64 v[182:183], v[182:183], v[182:183]
	v_max_f64 v[184:185], v[184:185], v[184:185]
	s_waitcnt lgkmcnt(7)
	v_max_f64 v[186:187], v[186:187], v[186:187]
	v_max_f64 v[188:189], v[188:189], v[188:189]
	s_waitcnt lgkmcnt(6)
	v_max_f64 v[190:191], v[190:191], v[190:191]
	v_max_f64 v[192:193], v[192:193], v[192:193]
	s_waitcnt lgkmcnt(5)
	v_max_f64 v[194:195], v[194:195], v[194:195]
	v_max_f64 v[196:197], v[196:197], v[196:197]
	s_waitcnt lgkmcnt(4)
	v_max_f64 v[198:199], v[198:199], v[198:199]
	v_max_f64 v[200:201], v[200:201], v[200:201]
	s_waitcnt lgkmcnt(3)
	v_max_f64 v[202:203], v[202:203], v[202:203]
	v_max_f64 v[204:205], v[204:205], v[204:205]
	s_waitcnt lgkmcnt(2)
	v_max_f64 v[206:207], v[206:207], v[206:207]
	v_max_f64 v[208:209], v[208:209], v[208:209]
	s_waitcnt lgkmcnt(1)
	v_max_f64 v[210:211], v[210:211], v[210:211]
	v_max_f64 v[212:213], v[212:213], v[212:213]
	s_waitcnt lgkmcnt(0)
	v_max_f64 v[214:215], v[214:215], v[214:215]
	v_max_f64 v[216:217], v[216:217], v[216:217]
	v_min_f64 v[218:219], v[142:143], v[182:183]
	v_min_f64 v[220:221], v[144:145], v[182:183]
	;; [unrolled: 1-line block ×32, first 2 shown]
	s_add_i32 s24, s24, 8
	v_add_f64 v[62:63], v[62:63], v[142:143]
	v_add_f64 v[60:61], v[60:61], v[144:145]
	;; [unrolled: 1-line block ×16, first 2 shown]
	v_min_f64 v[142:143], v[186:187], v[182:183]
	v_min_f64 v[144:145], v[188:189], v[182:183]
	;; [unrolled: 1-line block ×32, first 2 shown]
	s_cmp_eq_u32 s24, 32
	v_add_f64 v[126:127], v[126:127], v[218:219]
	v_add_f64 v[124:125], v[124:125], v[220:221]
	;; [unrolled: 1-line block ×48, first 2 shown]
	s_cbranch_scc0 .LBB191_25
; %bb.26:
	v_lshlrev_b32_e32 v142, 3, v148
	v_lshl_or_b32 v137, v137, 5, v142
	s_cmp_gt_i32 s74, 8
	ds_write2st64_b64 v137, v[130:131], v[128:129] offset0:8 offset1:12
	ds_write2st64_b64 v137, v[134:135], v[132:133] offset0:24 offset1:28
	s_waitcnt lgkmcnt(0)
	s_barrier
	s_cbranch_scc1 .LBB191_28
; %bb.27:
	v_add_u32_e32 v149, 0x3000, v141
	s_cbranch_execz .LBB191_29
	s_branch .LBB191_51
.LBB191_28:
                                        ; implicit-def: $vgpr149
.LBB191_29:
	s_or_b64 s[10:11], s[10:11], s[12:13]
	s_or_b64 s[4:5], s[4:5], s[12:13]
	;; [unrolled: 1-line block ×4, first 2 shown]
	v_mad_i64_i32 v[128:129], s[12:13], v136, s28, 0
	v_mov_b32_e32 v136, 0x1000
	v_add_u32_e32 v154, 0x1000, v137
	v_add_u32_e32 v155, 0x3000, v137
	s_add_i32 s24, s74, -8
	v_mad_i64_i32 v[130:131], s[12:13], v138, s28, 0
	v_mad_i64_i32 v[132:133], s[12:13], v139, s29, 0
	;; [unrolled: 1-line block ×3, first 2 shown]
	v_lshl_add_u32 v156, v147, 5, v136
	v_add_u32_e32 v149, 0x3000, v141
	s_mov_b32 s25, 8
	s_mov_b32 s28, 0
.LBB191_30:                             ; =>This Loop Header: Depth=1
                                        ;     Child Loop BB191_39 Depth 2
                                        ;     Child Loop BB191_49 Depth 2
	v_or_b32_e32 v157, s25, v148
	v_min_i32_e32 v140, s27, v157
	v_cmp_le_i32_e32 vcc, s74, v157
	v_ashrrev_i32_e32 v141, 31, v140
	v_lshl_add_u64 v[142:143], v[140:141], 3, s[20:21]
	s_nor_b64 s[30:31], vcc, s[10:11]
	v_mov_b64_e32 v[136:137], 0
	v_mov_b64_e32 v[138:139], 0
	s_and_saveexec_b64 s[12:13], s[30:31]
	s_cbranch_execz .LBB191_32
; %bb.31:                               ;   in Loop: Header=BB191_30 Depth=1
	v_lshl_add_u64 v[138:139], v[128:129], 3, v[142:143]
	global_load_dwordx2 v[138:139], v[138:139], off
	s_waitcnt vmcnt(0)
	v_mul_f64 v[138:139], s[16:17], v[138:139]
.LBB191_32:                             ;   in Loop: Header=BB191_30 Depth=1
	s_or_b64 exec, exec, s[12:13]
	s_nor_b64 s[30:31], vcc, s[4:5]
	s_and_saveexec_b64 s[12:13], s[30:31]
	s_cbranch_execz .LBB191_34
; %bb.33:                               ;   in Loop: Header=BB191_30 Depth=1
	v_lshl_add_u64 v[136:137], v[130:131], 3, v[142:143]
	global_load_dwordx2 v[136:137], v[136:137], off
	s_waitcnt vmcnt(0)
	v_mul_f64 v[136:137], s[16:17], v[136:137]
.LBB191_34:                             ;   in Loop: Header=BB191_30 Depth=1
	s_or_b64 exec, exec, s[12:13]
	v_lshl_add_u64 v[144:145], v[140:141], 3, s[22:23]
	s_nor_b64 s[30:31], vcc, s[6:7]
	v_mov_b64_e32 v[140:141], 0
	v_mov_b64_e32 v[142:143], 0
	s_and_saveexec_b64 s[12:13], s[30:31]
	s_cbranch_execz .LBB191_36
; %bb.35:                               ;   in Loop: Header=BB191_30 Depth=1
	v_lshl_add_u64 v[142:143], v[132:133], 3, v[144:145]
	global_load_dwordx2 v[142:143], v[142:143], off
	s_waitcnt vmcnt(0)
	v_mul_f64 v[142:143], s[16:17], v[142:143]
.LBB191_36:                             ;   in Loop: Header=BB191_30 Depth=1
	s_or_b64 exec, exec, s[12:13]
	s_nor_b64 s[30:31], vcc, s[8:9]
	s_and_saveexec_b64 s[12:13], s[30:31]
	s_cbranch_execz .LBB191_38
; %bb.37:                               ;   in Loop: Header=BB191_30 Depth=1
	v_lshl_add_u64 v[140:141], v[134:135], 3, v[144:145]
	global_load_dwordx2 v[140:141], v[140:141], off
	s_waitcnt vmcnt(0)
	v_mul_f64 v[140:141], s[16:17], v[140:141]
.LBB191_38:                             ;   in Loop: Header=BB191_30 Depth=1
	s_or_b64 exec, exec, s[12:13]
	s_mov_b32 s12, 0
.LBB191_39:                             ;   Parent Loop BB191_30 Depth=1
                                        ; =>  This Inner Loop Header: Depth=2
	v_add_u32_e32 v144, s12, v156
	ds_read2_b64 v[158:161], v144 offset1:16
	ds_read2_b64 v[162:165], v144 offset0:32 offset1:48
	ds_read2_b64 v[166:169], v144 offset0:64 offset1:80
	ds_read2_b64 v[170:173], v144 offset0:96 offset1:112
	ds_read2_b64 v[174:177], v144 offset0:128 offset1:144
	ds_read2_b64 v[178:181], v144 offset0:160 offset1:176
	ds_read2_b64 v[182:185], v144 offset0:192 offset1:208
	ds_read2_b64 v[186:189], v144 offset0:224 offset1:240
	v_add_u32_e32 v144, 0x800, v144
	ds_read2_b64 v[190:193], v144 offset1:16
	ds_read2_b64 v[194:197], v144 offset0:32 offset1:48
	ds_read2_b64 v[198:201], v144 offset0:64 offset1:80
	;; [unrolled: 1-line block ×7, first 2 shown]
	v_add_u32_e32 v144, s12, v149
	ds_read2st64_b64 v[222:225], v144 offset1:4
	s_waitcnt lgkmcnt(14)
	v_max_f64 v[158:159], v[158:159], v[158:159]
	v_max_f64 v[160:161], v[160:161], v[160:161]
	;; [unrolled: 1-line block ×4, first 2 shown]
	s_waitcnt lgkmcnt(0)
	v_max_f64 v[144:145], v[222:223], v[222:223]
	v_min_f64 v[222:223], v[158:159], v[144:145]
	v_add_f64 v[126:127], v[126:127], v[222:223]
	v_min_f64 v[222:223], v[160:161], v[144:145]
	v_add_f64 v[124:125], v[124:125], v[222:223]
	;; [unrolled: 2-line block ×3, first 2 shown]
	v_min_f64 v[222:223], v[164:165], v[144:145]
	v_max_f64 v[166:167], v[166:167], v[166:167]
	v_add_f64 v[120:121], v[120:121], v[222:223]
	v_min_f64 v[222:223], v[166:167], v[144:145]
	v_max_f64 v[168:169], v[168:169], v[168:169]
	v_add_f64 v[118:119], v[118:119], v[222:223]
	;; [unrolled: 3-line block ×26, first 2 shown]
	v_min_f64 v[222:223], v[216:217], v[144:145]
	v_max_f64 v[218:219], v[218:219], v[218:219]
	v_max_f64 v[220:221], v[220:221], v[220:221]
	v_add_f64 v[68:69], v[68:69], v[222:223]
	v_min_f64 v[222:223], v[218:219], v[144:145]
	v_min_f64 v[144:145], v[220:221], v[144:145]
	v_add_f64 v[64:65], v[64:65], v[144:145]
	v_max_f64 v[144:145], v[224:225], v[224:225]
	v_min_f64 v[158:159], v[158:159], v[144:145]
	v_add_f64 v[62:63], v[62:63], v[158:159]
	v_min_f64 v[158:159], v[160:161], v[144:145]
	v_add_f64 v[60:61], v[60:61], v[158:159]
	;; [unrolled: 2-line block ×30, first 2 shown]
	v_min_f64 v[158:159], v[218:219], v[144:145]
	v_min_f64 v[144:145], v[220:221], v[144:145]
	s_add_i32 s12, s12, 8
	v_add_f64 v[66:67], v[66:67], v[222:223]
	v_add_f64 v[2:3], v[2:3], v[158:159]
	;; [unrolled: 1-line block ×3, first 2 shown]
	s_cmp_eq_u32 s12, 32
	s_cbranch_scc0 .LBB191_39
; %bb.40:                               ;   in Loop: Header=BB191_30 Depth=1
	ds_write2st64_b64 v150, v[138:139], v[136:137] offset1:4
	ds_write2st64_b64 v151, v[142:143], v[140:141] offset1:4
	v_or_b32_e32 v136, 4, v157
	v_min_i32_e32 v140, s27, v136
	v_cmp_le_i32_e32 vcc, s74, v136
	v_ashrrev_i32_e32 v141, 31, v140
	v_lshl_add_u64 v[142:143], v[140:141], 3, s[20:21]
	s_nor_b64 s[30:31], vcc, s[10:11]
	v_mov_b64_e32 v[136:137], 0
	v_mov_b64_e32 v[138:139], 0
	s_waitcnt lgkmcnt(0)
	s_barrier
	s_and_saveexec_b64 s[12:13], s[30:31]
	s_cbranch_execz .LBB191_42
; %bb.41:                               ;   in Loop: Header=BB191_30 Depth=1
	v_lshl_add_u64 v[138:139], v[128:129], 3, v[142:143]
	global_load_dwordx2 v[138:139], v[138:139], off
	s_waitcnt vmcnt(0)
	v_mul_f64 v[138:139], s[16:17], v[138:139]
.LBB191_42:                             ;   in Loop: Header=BB191_30 Depth=1
	s_or_b64 exec, exec, s[12:13]
	s_nor_b64 s[30:31], vcc, s[4:5]
	s_and_saveexec_b64 s[12:13], s[30:31]
	s_cbranch_execz .LBB191_44
; %bb.43:                               ;   in Loop: Header=BB191_30 Depth=1
	v_lshl_add_u64 v[136:137], v[130:131], 3, v[142:143]
	global_load_dwordx2 v[136:137], v[136:137], off
	s_waitcnt vmcnt(0)
	v_mul_f64 v[136:137], s[16:17], v[136:137]
.LBB191_44:                             ;   in Loop: Header=BB191_30 Depth=1
	s_or_b64 exec, exec, s[12:13]
	v_lshl_add_u64 v[144:145], v[140:141], 3, s[22:23]
	s_nor_b64 s[30:31], vcc, s[6:7]
	v_mov_b64_e32 v[140:141], 0
	v_mov_b64_e32 v[142:143], 0
	s_and_saveexec_b64 s[12:13], s[30:31]
	s_cbranch_execz .LBB191_46
; %bb.45:                               ;   in Loop: Header=BB191_30 Depth=1
	v_lshl_add_u64 v[142:143], v[132:133], 3, v[144:145]
	global_load_dwordx2 v[142:143], v[142:143], off
	s_waitcnt vmcnt(0)
	v_mul_f64 v[142:143], s[16:17], v[142:143]
.LBB191_46:                             ;   in Loop: Header=BB191_30 Depth=1
	s_or_b64 exec, exec, s[12:13]
	s_nor_b64 s[30:31], vcc, s[8:9]
	s_and_saveexec_b64 s[12:13], s[30:31]
	s_cbranch_execz .LBB191_48
; %bb.47:                               ;   in Loop: Header=BB191_30 Depth=1
	v_lshl_add_u64 v[140:141], v[134:135], 3, v[144:145]
	global_load_dwordx2 v[140:141], v[140:141], off
	s_waitcnt vmcnt(0)
	v_mul_f64 v[140:141], s[16:17], v[140:141]
.LBB191_48:                             ;   in Loop: Header=BB191_30 Depth=1
	s_or_b64 exec, exec, s[12:13]
	s_mov_b32 s12, 0
.LBB191_49:                             ;   Parent Loop BB191_30 Depth=1
                                        ; =>  This Inner Loop Header: Depth=2
	v_add_u32_e32 v144, s12, v152
	ds_read2_b64 v[158:161], v144 offset1:16
	ds_read2_b64 v[162:165], v144 offset0:32 offset1:48
	ds_read2_b64 v[166:169], v144 offset0:64 offset1:80
	;; [unrolled: 1-line block ×7, first 2 shown]
	v_add_u32_e32 v144, 0x800, v144
	ds_read2_b64 v[190:193], v144 offset1:16
	ds_read2_b64 v[194:197], v144 offset0:32 offset1:48
	ds_read2_b64 v[198:201], v144 offset0:64 offset1:80
	ds_read2_b64 v[202:205], v144 offset0:96 offset1:112
	ds_read2_b64 v[206:209], v144 offset0:128 offset1:144
	ds_read2_b64 v[210:213], v144 offset0:160 offset1:176
	ds_read2_b64 v[214:217], v144 offset0:192 offset1:208
	ds_read2_b64 v[218:221], v144 offset0:224 offset1:240
	v_add_u32_e32 v144, s12, v153
	ds_read2st64_b64 v[222:225], v144 offset1:4
	s_waitcnt lgkmcnt(14)
	v_max_f64 v[158:159], v[158:159], v[158:159]
	v_max_f64 v[160:161], v[160:161], v[160:161]
	;; [unrolled: 1-line block ×4, first 2 shown]
	s_waitcnt lgkmcnt(0)
	v_max_f64 v[144:145], v[222:223], v[222:223]
	v_min_f64 v[222:223], v[158:159], v[144:145]
	v_add_f64 v[126:127], v[126:127], v[222:223]
	v_min_f64 v[222:223], v[160:161], v[144:145]
	v_add_f64 v[124:125], v[124:125], v[222:223]
	;; [unrolled: 2-line block ×3, first 2 shown]
	v_min_f64 v[222:223], v[164:165], v[144:145]
	v_max_f64 v[166:167], v[166:167], v[166:167]
	v_add_f64 v[120:121], v[120:121], v[222:223]
	v_min_f64 v[222:223], v[166:167], v[144:145]
	v_max_f64 v[168:169], v[168:169], v[168:169]
	v_add_f64 v[118:119], v[118:119], v[222:223]
	;; [unrolled: 3-line block ×26, first 2 shown]
	v_min_f64 v[222:223], v[216:217], v[144:145]
	v_max_f64 v[218:219], v[218:219], v[218:219]
	v_max_f64 v[220:221], v[220:221], v[220:221]
	v_add_f64 v[68:69], v[68:69], v[222:223]
	v_min_f64 v[222:223], v[218:219], v[144:145]
	v_min_f64 v[144:145], v[220:221], v[144:145]
	v_add_f64 v[64:65], v[64:65], v[144:145]
	v_max_f64 v[144:145], v[224:225], v[224:225]
	v_min_f64 v[158:159], v[158:159], v[144:145]
	v_add_f64 v[62:63], v[62:63], v[158:159]
	v_min_f64 v[158:159], v[160:161], v[144:145]
	v_add_f64 v[60:61], v[60:61], v[158:159]
	;; [unrolled: 2-line block ×30, first 2 shown]
	v_min_f64 v[158:159], v[218:219], v[144:145]
	v_min_f64 v[144:145], v[220:221], v[144:145]
	s_add_i32 s12, s12, 8
	v_add_f64 v[66:67], v[66:67], v[222:223]
	v_add_f64 v[2:3], v[2:3], v[158:159]
	;; [unrolled: 1-line block ×3, first 2 shown]
	s_cmp_eq_u32 s12, 32
	s_cbranch_scc0 .LBB191_49
; %bb.50:                               ;   in Loop: Header=BB191_30 Depth=1
	s_add_i32 s25, s25, 8
	s_add_i32 s28, s28, 8
	s_cmp_ge_i32 s28, s24
	ds_write2st64_b64 v154, v[138:139], v[136:137] offset1:4
	ds_write2st64_b64 v155, v[142:143], v[140:141] offset1:4
	s_waitcnt lgkmcnt(0)
	s_barrier
	s_cbranch_scc0 .LBB191_30
.LBB191_51:
	v_mov_b32_e32 v128, 0x1000
	v_lshl_add_u32 v128, v147, 5, v128
	s_mov_b32 s4, 0
.LBB191_52:                             ; =>This Inner Loop Header: Depth=1
	v_add_u32_e32 v129, s4, v128
	v_add_u32_e32 v148, s4, v149
	ds_read2_b64 v[130:133], v129 offset1:16
	ds_read2_b64 v[134:137], v129 offset0:32 offset1:48
	ds_read2_b64 v[138:141], v129 offset0:64 offset1:80
	;; [unrolled: 1-line block ×7, first 2 shown]
	v_add_u32_e32 v129, 0x800, v129
	ds_read2st64_b64 v[166:169], v148 offset1:4
	ds_read2_b64 v[170:173], v129 offset1:16
	ds_read2_b64 v[174:177], v129 offset0:32 offset1:48
	ds_read2_b64 v[178:181], v129 offset0:64 offset1:80
	ds_read2_b64 v[182:185], v129 offset0:96 offset1:112
	ds_read2_b64 v[186:189], v129 offset0:128 offset1:144
	ds_read2_b64 v[190:193], v129 offset0:160 offset1:176
	ds_read2_b64 v[194:197], v129 offset0:192 offset1:208
	ds_read2_b64 v[198:201], v129 offset0:224 offset1:240
	s_waitcnt lgkmcnt(14)
	v_max_f64 v[130:131], v[130:131], v[130:131]
	v_max_f64 v[132:133], v[132:133], v[132:133]
	;; [unrolled: 1-line block ×3, first 2 shown]
	s_waitcnt lgkmcnt(8)
	v_max_f64 v[166:167], v[166:167], v[166:167]
	v_max_f64 v[136:137], v[136:137], v[136:137]
	;; [unrolled: 1-line block ×15, first 2 shown]
	v_min_f64 v[202:203], v[130:131], v[166:167]
	v_min_f64 v[204:205], v[132:133], v[166:167]
	v_min_f64 v[206:207], v[134:135], v[166:167]
	v_min_f64 v[208:209], v[136:137], v[166:167]
	v_min_f64 v[210:211], v[138:139], v[166:167]
	v_min_f64 v[212:213], v[140:141], v[166:167]
	v_min_f64 v[214:215], v[142:143], v[166:167]
	v_min_f64 v[216:217], v[144:145], v[166:167]
	v_min_f64 v[218:219], v[150:151], v[166:167]
	v_min_f64 v[220:221], v[152:153], v[166:167]
	v_min_f64 v[222:223], v[154:155], v[166:167]
	v_min_f64 v[224:225], v[156:157], v[166:167]
	v_min_f64 v[226:227], v[158:159], v[166:167]
	v_min_f64 v[228:229], v[160:161], v[166:167]
	v_min_f64 v[230:231], v[162:163], v[166:167]
	v_min_f64 v[232:233], v[164:165], v[166:167]
	s_waitcnt lgkmcnt(7)
	v_max_f64 v[170:171], v[170:171], v[170:171]
	v_max_f64 v[172:173], v[172:173], v[172:173]
	s_waitcnt lgkmcnt(6)
	v_max_f64 v[174:175], v[174:175], v[174:175]
	v_max_f64 v[176:177], v[176:177], v[176:177]
	;; [unrolled: 3-line block ×8, first 2 shown]
	v_min_f64 v[130:131], v[130:131], v[168:169]
	v_min_f64 v[132:133], v[132:133], v[168:169]
	;; [unrolled: 1-line block ×16, first 2 shown]
	s_add_i32 s4, s4, 8
	v_add_f64 v[126:127], v[126:127], v[202:203]
	v_add_f64 v[124:125], v[124:125], v[204:205]
	;; [unrolled: 1-line block ×15, first 2 shown]
	v_min_f64 v[202:203], v[170:171], v[166:167]
	v_min_f64 v[204:205], v[172:173], v[166:167]
	;; [unrolled: 1-line block ×16, first 2 shown]
	v_add_f64 v[62:63], v[62:63], v[130:131]
	v_add_f64 v[60:61], v[60:61], v[132:133]
	;; [unrolled: 1-line block ×16, first 2 shown]
	v_min_f64 v[130:131], v[170:171], v[168:169]
	v_min_f64 v[132:133], v[172:173], v[168:169]
	;; [unrolled: 1-line block ×16, first 2 shown]
	s_cmp_eq_u32 s4, 32
	v_add_f64 v[96:97], v[96:97], v[232:233]
	v_add_f64 v[94:95], v[94:95], v[202:203]
	;; [unrolled: 1-line block ×33, first 2 shown]
	s_cbranch_scc0 .LBB191_52
; %bb.53:
	s_load_dwordx2 s[4:5], s[0:1], 0x78
	s_load_dword s78, s[0:1], 0x58
	s_load_dword s33, s[0:1], 0x70
	v_add_u32_e32 v136, s26, v146
	v_add_u32_e32 v128, s2, v147
	s_waitcnt lgkmcnt(0)
	s_mul_i32 s1, s5, s3
	s_mul_hi_u32 s5, s4, s3
	s_mul_i32 s0, s4, s3
	s_add_i32 s1, s5, s1
	s_lshl_b64 s[0:1], s[0:1], 3
	s_add_u32 s74, s14, s0
	s_addc_u32 s75, s15, s1
	v_mad_i64_i32 v[130:131], s[0:1], v136, s78, 0
	v_cmp_gt_i32_e64 s[24:25], s73, v136
	v_lshl_add_u64 v[132:133], v[130:131], 3, s[76:77]
	v_mad_i64_i32 v[130:131], s[0:1], v136, s33, 0
	v_cmp_gt_i32_e64 s[2:3], s72, v128
	v_cndmask_b32_e64 v134, 0, 1, s[18:19]
	v_lshl_add_u64 v[130:131], v[130:131], 3, s[74:75]
	s_and_b64 s[6:7], s[24:25], s[2:3]
	v_ashrrev_i32_e32 v129, 31, v128
	v_cmp_ne_u32_e64 s[0:1], 1, v134
	s_and_saveexec_b64 s[4:5], s[6:7]
	s_cbranch_execz .LBB191_58
; %bb.54:
	s_and_b64 vcc, exec, s[0:1]
	s_cbranch_vccnz .LBB191_56
; %bb.55:
	v_lshl_add_u64 v[134:135], v[128:129], 3, v[132:133]
	global_load_dwordx2 v[134:135], v[134:135], off
	s_waitcnt vmcnt(0)
	v_mul_f64 v[134:135], s[70:71], v[134:135]
	s_branch .LBB191_57
.LBB191_56:
	v_mov_b64_e32 v[134:135], 0
.LBB191_57:
	v_add_f64 v[126:127], v[126:127], v[134:135]
	v_lshl_add_u64 v[134:135], v[128:129], 3, v[130:131]
	global_store_dwordx2 v[134:135], v[126:127], off
.LBB191_58:
	s_or_b64 exec, exec, s[4:5]
	v_add_u32_e32 v126, 4, v128
	v_cmp_gt_i32_e64 s[4:5], s72, v126
	s_and_b64 s[8:9], s[24:25], s[4:5]
	v_ashrrev_i32_e32 v127, 31, v126
	s_and_saveexec_b64 s[6:7], s[8:9]
	s_cbranch_execz .LBB191_63
; %bb.59:
	s_and_b64 vcc, exec, s[0:1]
	s_cbranch_vccnz .LBB191_61
; %bb.60:
	v_lshl_add_u64 v[134:135], v[126:127], 3, v[132:133]
	global_load_dwordx2 v[134:135], v[134:135], off
	s_waitcnt vmcnt(0)
	v_mul_f64 v[134:135], s[70:71], v[134:135]
	s_branch .LBB191_62
.LBB191_61:
	v_mov_b64_e32 v[134:135], 0
.LBB191_62:
	v_add_f64 v[124:125], v[124:125], v[134:135]
	v_lshl_add_u64 v[134:135], v[126:127], 3, v[130:131]
	global_store_dwordx2 v[134:135], v[124:125], off
.LBB191_63:
	s_or_b64 exec, exec, s[6:7]
	v_add_u32_e32 v124, 8, v128
	v_cmp_gt_i32_e64 s[6:7], s72, v124
	s_and_b64 s[10:11], s[24:25], s[6:7]
	v_ashrrev_i32_e32 v125, 31, v124
	;; [unrolled: 23-line block ×31, first 2 shown]
	s_and_saveexec_b64 s[24:25], s[80:81]
	s_cbranch_execz .LBB191_213
; %bb.209:
	s_and_b64 vcc, exec, s[0:1]
	s_cbranch_vccnz .LBB191_211
; %bb.210:
	v_lshl_add_u64 v[132:133], v[66:67], 3, v[132:133]
	global_load_dwordx2 v[132:133], v[132:133], off
	s_waitcnt vmcnt(0)
	v_mul_f64 v[132:133], s[70:71], v[132:133]
	s_branch .LBB191_212
.LBB191_211:
	v_mov_b64_e32 v[132:133], 0
.LBB191_212:
	v_add_f64 v[64:65], v[64:65], v[132:133]
	v_lshl_add_u64 v[130:131], v[66:67], 3, v[130:131]
	global_store_dwordx2 v[130:131], v[64:65], off
.LBB191_213:
	s_or_b64 exec, exec, s[24:25]
	v_add_u32_e32 v132, 64, v136
	v_cmp_gt_i32_e64 s[24:25], s73, v132
	v_mad_i64_i32 v[64:65], s[72:73], v132, s78, 0
	v_lshl_add_u64 v[130:131], v[64:65], 3, s[76:77]
	v_mad_i64_i32 v[64:65], s[72:73], v132, s33, 0
	v_lshl_add_u64 v[64:65], v[64:65], 3, s[74:75]
	s_and_b64 s[2:3], s[24:25], s[2:3]
	s_and_saveexec_b64 s[72:73], s[2:3]
	s_xor_b64 s[2:3], exec, s[72:73]
	s_cbranch_execnz .LBB191_246
; %bb.214:
	s_or_b64 exec, exec, s[2:3]
	s_and_b64 s[4:5], s[24:25], s[4:5]
	s_and_saveexec_b64 s[2:3], s[4:5]
	s_cbranch_execnz .LBB191_250
.LBB191_215:
	s_or_b64 exec, exec, s[2:3]
	s_and_b64 s[4:5], s[24:25], s[6:7]
	s_and_saveexec_b64 s[2:3], s[4:5]
	s_cbranch_execnz .LBB191_254
.LBB191_216:
	s_or_b64 exec, exec, s[2:3]
	s_and_b64 s[4:5], s[24:25], s[8:9]
	s_and_saveexec_b64 s[2:3], s[4:5]
	s_cbranch_execnz .LBB191_258
.LBB191_217:
	s_or_b64 exec, exec, s[2:3]
	s_and_b64 s[4:5], s[24:25], s[10:11]
	s_and_saveexec_b64 s[2:3], s[4:5]
	s_cbranch_execnz .LBB191_262
.LBB191_218:
	s_or_b64 exec, exec, s[2:3]
	s_and_b64 s[4:5], s[24:25], s[12:13]
	s_and_saveexec_b64 s[2:3], s[4:5]
	s_cbranch_execnz .LBB191_266
.LBB191_219:
	s_or_b64 exec, exec, s[2:3]
	s_and_b64 s[4:5], s[24:25], s[14:15]
	s_and_saveexec_b64 s[2:3], s[4:5]
	s_cbranch_execnz .LBB191_270
.LBB191_220:
	s_or_b64 exec, exec, s[2:3]
	s_and_b64 s[4:5], s[24:25], s[16:17]
	s_and_saveexec_b64 s[2:3], s[4:5]
	s_cbranch_execnz .LBB191_274
.LBB191_221:
	s_or_b64 exec, exec, s[2:3]
	s_and_b64 s[4:5], s[24:25], s[18:19]
	s_and_saveexec_b64 s[2:3], s[4:5]
	s_cbranch_execnz .LBB191_278
.LBB191_222:
	s_or_b64 exec, exec, s[2:3]
	s_and_b64 s[4:5], s[24:25], s[20:21]
	s_and_saveexec_b64 s[2:3], s[4:5]
	s_cbranch_execnz .LBB191_282
.LBB191_223:
	s_or_b64 exec, exec, s[2:3]
	s_and_b64 s[4:5], s[24:25], s[22:23]
	s_and_saveexec_b64 s[2:3], s[4:5]
	s_cbranch_execnz .LBB191_286
.LBB191_224:
	s_or_b64 exec, exec, s[2:3]
	s_and_b64 s[4:5], s[24:25], s[26:27]
	s_and_saveexec_b64 s[2:3], s[4:5]
	s_cbranch_execnz .LBB191_290
.LBB191_225:
	s_or_b64 exec, exec, s[2:3]
	s_and_b64 s[4:5], s[24:25], s[28:29]
	s_and_saveexec_b64 s[2:3], s[4:5]
	s_cbranch_execnz .LBB191_294
.LBB191_226:
	s_or_b64 exec, exec, s[2:3]
	s_and_b64 s[4:5], s[24:25], s[30:31]
	s_and_saveexec_b64 s[2:3], s[4:5]
	s_cbranch_execnz .LBB191_298
.LBB191_227:
	s_or_b64 exec, exec, s[2:3]
	s_and_b64 s[4:5], s[24:25], s[34:35]
	s_and_saveexec_b64 s[2:3], s[4:5]
	s_cbranch_execnz .LBB191_302
.LBB191_228:
	s_or_b64 exec, exec, s[2:3]
	s_and_b64 s[4:5], s[24:25], s[36:37]
	s_and_saveexec_b64 s[2:3], s[4:5]
	s_cbranch_execnz .LBB191_306
.LBB191_229:
	s_or_b64 exec, exec, s[2:3]
	s_and_b64 s[4:5], s[24:25], s[38:39]
	s_and_saveexec_b64 s[2:3], s[4:5]
	s_cbranch_execnz .LBB191_310
.LBB191_230:
	s_or_b64 exec, exec, s[2:3]
	s_and_b64 s[4:5], s[24:25], s[40:41]
	s_and_saveexec_b64 s[2:3], s[4:5]
	s_cbranch_execnz .LBB191_314
.LBB191_231:
	s_or_b64 exec, exec, s[2:3]
	s_and_b64 s[4:5], s[24:25], s[42:43]
	s_and_saveexec_b64 s[2:3], s[4:5]
	s_cbranch_execnz .LBB191_318
.LBB191_232:
	s_or_b64 exec, exec, s[2:3]
	s_and_b64 s[4:5], s[24:25], s[44:45]
	s_and_saveexec_b64 s[2:3], s[4:5]
	s_cbranch_execnz .LBB191_322
.LBB191_233:
	s_or_b64 exec, exec, s[2:3]
	s_and_b64 s[4:5], s[24:25], s[46:47]
	s_and_saveexec_b64 s[2:3], s[4:5]
	s_cbranch_execnz .LBB191_326
.LBB191_234:
	s_or_b64 exec, exec, s[2:3]
	s_and_b64 s[4:5], s[24:25], s[48:49]
	s_and_saveexec_b64 s[2:3], s[4:5]
	s_cbranch_execnz .LBB191_330
.LBB191_235:
	s_or_b64 exec, exec, s[2:3]
	s_and_b64 s[4:5], s[24:25], s[50:51]
	s_and_saveexec_b64 s[2:3], s[4:5]
	s_cbranch_execnz .LBB191_334
.LBB191_236:
	s_or_b64 exec, exec, s[2:3]
	s_and_b64 s[4:5], s[24:25], s[52:53]
	s_and_saveexec_b64 s[2:3], s[4:5]
	s_cbranch_execnz .LBB191_338
.LBB191_237:
	s_or_b64 exec, exec, s[2:3]
	s_and_b64 s[4:5], s[24:25], s[54:55]
	s_and_saveexec_b64 s[2:3], s[4:5]
	s_cbranch_execnz .LBB191_342
.LBB191_238:
	s_or_b64 exec, exec, s[2:3]
	s_and_b64 s[4:5], s[24:25], s[56:57]
	s_and_saveexec_b64 s[2:3], s[4:5]
	s_cbranch_execnz .LBB191_346
.LBB191_239:
	s_or_b64 exec, exec, s[2:3]
	s_and_b64 s[4:5], s[24:25], s[58:59]
	s_and_saveexec_b64 s[2:3], s[4:5]
	s_cbranch_execnz .LBB191_350
.LBB191_240:
	s_or_b64 exec, exec, s[2:3]
	s_and_b64 s[4:5], s[24:25], s[60:61]
	s_and_saveexec_b64 s[2:3], s[4:5]
	s_cbranch_execnz .LBB191_354
.LBB191_241:
	s_or_b64 exec, exec, s[2:3]
	s_and_b64 s[4:5], s[24:25], s[62:63]
	s_and_saveexec_b64 s[2:3], s[4:5]
	s_cbranch_execnz .LBB191_358
.LBB191_242:
	s_or_b64 exec, exec, s[2:3]
	s_and_b64 s[4:5], s[24:25], s[64:65]
	s_and_saveexec_b64 s[2:3], s[4:5]
	s_cbranch_execnz .LBB191_362
.LBB191_243:
	s_or_b64 exec, exec, s[2:3]
	s_and_b64 s[4:5], s[24:25], s[66:67]
	s_and_saveexec_b64 s[2:3], s[4:5]
	s_cbranch_execnz .LBB191_366
.LBB191_244:
	s_or_b64 exec, exec, s[2:3]
	s_and_b64 s[2:3], s[24:25], s[68:69]
	s_and_saveexec_b64 s[4:5], s[2:3]
	s_cbranch_execnz .LBB191_370
.LBB191_245:
	s_endpgm
.LBB191_246:
	s_and_b64 vcc, exec, s[0:1]
	s_cbranch_vccnz .LBB191_248
; %bb.247:
	v_lshl_add_u64 v[132:133], v[128:129], 3, v[130:131]
	global_load_dwordx2 v[132:133], v[132:133], off
	s_waitcnt vmcnt(0)
	v_mul_f64 v[132:133], s[70:71], v[132:133]
	s_branch .LBB191_249
.LBB191_248:
	v_mov_b64_e32 v[132:133], 0
.LBB191_249:
	v_add_f64 v[62:63], v[62:63], v[132:133]
	v_lshl_add_u64 v[128:129], v[128:129], 3, v[64:65]
	global_store_dwordx2 v[128:129], v[62:63], off
	s_or_b64 exec, exec, s[2:3]
	s_and_b64 s[4:5], s[24:25], s[4:5]
	s_and_saveexec_b64 s[2:3], s[4:5]
	s_cbranch_execz .LBB191_215
.LBB191_250:
	s_and_b64 vcc, exec, s[0:1]
	s_cbranch_vccnz .LBB191_252
; %bb.251:
	v_lshl_add_u64 v[62:63], v[126:127], 3, v[130:131]
	global_load_dwordx2 v[62:63], v[62:63], off
	s_waitcnt vmcnt(0)
	v_mul_f64 v[62:63], s[70:71], v[62:63]
	s_branch .LBB191_253
.LBB191_252:
	v_mov_b64_e32 v[62:63], 0
.LBB191_253:
	v_add_f64 v[60:61], v[60:61], v[62:63]
	v_lshl_add_u64 v[62:63], v[126:127], 3, v[64:65]
	global_store_dwordx2 v[62:63], v[60:61], off
	s_or_b64 exec, exec, s[2:3]
	s_and_b64 s[4:5], s[24:25], s[6:7]
	s_and_saveexec_b64 s[2:3], s[4:5]
	s_cbranch_execz .LBB191_216
.LBB191_254:
	s_and_b64 vcc, exec, s[0:1]
	s_cbranch_vccnz .LBB191_256
; %bb.255:
	v_lshl_add_u64 v[60:61], v[124:125], 3, v[130:131]
	global_load_dwordx2 v[60:61], v[60:61], off
	s_waitcnt vmcnt(0)
	v_mul_f64 v[60:61], s[70:71], v[60:61]
	s_branch .LBB191_257
.LBB191_256:
	v_mov_b64_e32 v[60:61], 0
.LBB191_257:
	v_add_f64 v[58:59], v[58:59], v[60:61]
	v_lshl_add_u64 v[60:61], v[124:125], 3, v[64:65]
	global_store_dwordx2 v[60:61], v[58:59], off
	s_or_b64 exec, exec, s[2:3]
	s_and_b64 s[4:5], s[24:25], s[8:9]
	s_and_saveexec_b64 s[2:3], s[4:5]
	s_cbranch_execz .LBB191_217
.LBB191_258:
	s_and_b64 vcc, exec, s[0:1]
	s_cbranch_vccnz .LBB191_260
; %bb.259:
	v_lshl_add_u64 v[58:59], v[122:123], 3, v[130:131]
	global_load_dwordx2 v[58:59], v[58:59], off
	s_waitcnt vmcnt(0)
	v_mul_f64 v[58:59], s[70:71], v[58:59]
	s_branch .LBB191_261
.LBB191_260:
	v_mov_b64_e32 v[58:59], 0
.LBB191_261:
	v_add_f64 v[56:57], v[56:57], v[58:59]
	v_lshl_add_u64 v[58:59], v[122:123], 3, v[64:65]
	global_store_dwordx2 v[58:59], v[56:57], off
	s_or_b64 exec, exec, s[2:3]
	s_and_b64 s[4:5], s[24:25], s[10:11]
	s_and_saveexec_b64 s[2:3], s[4:5]
	s_cbranch_execz .LBB191_218
.LBB191_262:
	s_and_b64 vcc, exec, s[0:1]
	s_cbranch_vccnz .LBB191_264
; %bb.263:
	v_lshl_add_u64 v[56:57], v[120:121], 3, v[130:131]
	global_load_dwordx2 v[56:57], v[56:57], off
	s_waitcnt vmcnt(0)
	v_mul_f64 v[56:57], s[70:71], v[56:57]
	s_branch .LBB191_265
.LBB191_264:
	v_mov_b64_e32 v[56:57], 0
.LBB191_265:
	v_add_f64 v[54:55], v[54:55], v[56:57]
	v_lshl_add_u64 v[56:57], v[120:121], 3, v[64:65]
	global_store_dwordx2 v[56:57], v[54:55], off
	s_or_b64 exec, exec, s[2:3]
	s_and_b64 s[4:5], s[24:25], s[12:13]
	s_and_saveexec_b64 s[2:3], s[4:5]
	s_cbranch_execz .LBB191_219
.LBB191_266:
	s_and_b64 vcc, exec, s[0:1]
	s_cbranch_vccnz .LBB191_268
; %bb.267:
	v_lshl_add_u64 v[54:55], v[118:119], 3, v[130:131]
	global_load_dwordx2 v[54:55], v[54:55], off
	s_waitcnt vmcnt(0)
	v_mul_f64 v[54:55], s[70:71], v[54:55]
	s_branch .LBB191_269
.LBB191_268:
	v_mov_b64_e32 v[54:55], 0
.LBB191_269:
	v_add_f64 v[52:53], v[52:53], v[54:55]
	v_lshl_add_u64 v[54:55], v[118:119], 3, v[64:65]
	global_store_dwordx2 v[54:55], v[52:53], off
	s_or_b64 exec, exec, s[2:3]
	s_and_b64 s[4:5], s[24:25], s[14:15]
	s_and_saveexec_b64 s[2:3], s[4:5]
	s_cbranch_execz .LBB191_220
.LBB191_270:
	s_and_b64 vcc, exec, s[0:1]
	s_cbranch_vccnz .LBB191_272
; %bb.271:
	v_lshl_add_u64 v[52:53], v[116:117], 3, v[130:131]
	global_load_dwordx2 v[52:53], v[52:53], off
	s_waitcnt vmcnt(0)
	v_mul_f64 v[52:53], s[70:71], v[52:53]
	s_branch .LBB191_273
.LBB191_272:
	v_mov_b64_e32 v[52:53], 0
.LBB191_273:
	v_add_f64 v[50:51], v[50:51], v[52:53]
	v_lshl_add_u64 v[52:53], v[116:117], 3, v[64:65]
	global_store_dwordx2 v[52:53], v[50:51], off
	s_or_b64 exec, exec, s[2:3]
	s_and_b64 s[4:5], s[24:25], s[16:17]
	s_and_saveexec_b64 s[2:3], s[4:5]
	s_cbranch_execz .LBB191_221
.LBB191_274:
	s_and_b64 vcc, exec, s[0:1]
	s_cbranch_vccnz .LBB191_276
; %bb.275:
	v_lshl_add_u64 v[50:51], v[114:115], 3, v[130:131]
	global_load_dwordx2 v[50:51], v[50:51], off
	s_waitcnt vmcnt(0)
	v_mul_f64 v[50:51], s[70:71], v[50:51]
	s_branch .LBB191_277
.LBB191_276:
	v_mov_b64_e32 v[50:51], 0
.LBB191_277:
	v_add_f64 v[48:49], v[48:49], v[50:51]
	v_lshl_add_u64 v[50:51], v[114:115], 3, v[64:65]
	global_store_dwordx2 v[50:51], v[48:49], off
	s_or_b64 exec, exec, s[2:3]
	s_and_b64 s[4:5], s[24:25], s[18:19]
	s_and_saveexec_b64 s[2:3], s[4:5]
	s_cbranch_execz .LBB191_222
.LBB191_278:
	s_and_b64 vcc, exec, s[0:1]
	s_cbranch_vccnz .LBB191_280
; %bb.279:
	v_lshl_add_u64 v[48:49], v[112:113], 3, v[130:131]
	global_load_dwordx2 v[48:49], v[48:49], off
	s_waitcnt vmcnt(0)
	v_mul_f64 v[48:49], s[70:71], v[48:49]
	s_branch .LBB191_281
.LBB191_280:
	v_mov_b64_e32 v[48:49], 0
.LBB191_281:
	v_add_f64 v[46:47], v[46:47], v[48:49]
	v_lshl_add_u64 v[48:49], v[112:113], 3, v[64:65]
	global_store_dwordx2 v[48:49], v[46:47], off
	s_or_b64 exec, exec, s[2:3]
	s_and_b64 s[4:5], s[24:25], s[20:21]
	s_and_saveexec_b64 s[2:3], s[4:5]
	s_cbranch_execz .LBB191_223
.LBB191_282:
	s_and_b64 vcc, exec, s[0:1]
	s_cbranch_vccnz .LBB191_284
; %bb.283:
	v_lshl_add_u64 v[46:47], v[110:111], 3, v[130:131]
	global_load_dwordx2 v[46:47], v[46:47], off
	s_waitcnt vmcnt(0)
	v_mul_f64 v[46:47], s[70:71], v[46:47]
	s_branch .LBB191_285
.LBB191_284:
	v_mov_b64_e32 v[46:47], 0
.LBB191_285:
	v_add_f64 v[44:45], v[44:45], v[46:47]
	v_lshl_add_u64 v[46:47], v[110:111], 3, v[64:65]
	global_store_dwordx2 v[46:47], v[44:45], off
	s_or_b64 exec, exec, s[2:3]
	s_and_b64 s[4:5], s[24:25], s[22:23]
	s_and_saveexec_b64 s[2:3], s[4:5]
	s_cbranch_execz .LBB191_224
.LBB191_286:
	s_and_b64 vcc, exec, s[0:1]
	s_cbranch_vccnz .LBB191_288
; %bb.287:
	v_lshl_add_u64 v[44:45], v[108:109], 3, v[130:131]
	global_load_dwordx2 v[44:45], v[44:45], off
	s_waitcnt vmcnt(0)
	v_mul_f64 v[44:45], s[70:71], v[44:45]
	s_branch .LBB191_289
.LBB191_288:
	v_mov_b64_e32 v[44:45], 0
.LBB191_289:
	v_add_f64 v[42:43], v[42:43], v[44:45]
	v_lshl_add_u64 v[44:45], v[108:109], 3, v[64:65]
	global_store_dwordx2 v[44:45], v[42:43], off
	s_or_b64 exec, exec, s[2:3]
	s_and_b64 s[4:5], s[24:25], s[26:27]
	s_and_saveexec_b64 s[2:3], s[4:5]
	s_cbranch_execz .LBB191_225
.LBB191_290:
	s_and_b64 vcc, exec, s[0:1]
	s_cbranch_vccnz .LBB191_292
; %bb.291:
	v_lshl_add_u64 v[42:43], v[106:107], 3, v[130:131]
	global_load_dwordx2 v[42:43], v[42:43], off
	s_waitcnt vmcnt(0)
	v_mul_f64 v[42:43], s[70:71], v[42:43]
	s_branch .LBB191_293
.LBB191_292:
	v_mov_b64_e32 v[42:43], 0
.LBB191_293:
	v_add_f64 v[40:41], v[40:41], v[42:43]
	v_lshl_add_u64 v[42:43], v[106:107], 3, v[64:65]
	global_store_dwordx2 v[42:43], v[40:41], off
	s_or_b64 exec, exec, s[2:3]
	s_and_b64 s[4:5], s[24:25], s[28:29]
	s_and_saveexec_b64 s[2:3], s[4:5]
	s_cbranch_execz .LBB191_226
.LBB191_294:
	s_and_b64 vcc, exec, s[0:1]
	s_cbranch_vccnz .LBB191_296
; %bb.295:
	v_lshl_add_u64 v[40:41], v[104:105], 3, v[130:131]
	global_load_dwordx2 v[40:41], v[40:41], off
	s_waitcnt vmcnt(0)
	v_mul_f64 v[40:41], s[70:71], v[40:41]
	s_branch .LBB191_297
.LBB191_296:
	v_mov_b64_e32 v[40:41], 0
.LBB191_297:
	v_add_f64 v[38:39], v[38:39], v[40:41]
	v_lshl_add_u64 v[40:41], v[104:105], 3, v[64:65]
	global_store_dwordx2 v[40:41], v[38:39], off
	s_or_b64 exec, exec, s[2:3]
	s_and_b64 s[4:5], s[24:25], s[30:31]
	s_and_saveexec_b64 s[2:3], s[4:5]
	s_cbranch_execz .LBB191_227
.LBB191_298:
	s_and_b64 vcc, exec, s[0:1]
	s_cbranch_vccnz .LBB191_300
; %bb.299:
	v_lshl_add_u64 v[38:39], v[102:103], 3, v[130:131]
	global_load_dwordx2 v[38:39], v[38:39], off
	s_waitcnt vmcnt(0)
	v_mul_f64 v[38:39], s[70:71], v[38:39]
	s_branch .LBB191_301
.LBB191_300:
	v_mov_b64_e32 v[38:39], 0
.LBB191_301:
	v_add_f64 v[36:37], v[36:37], v[38:39]
	v_lshl_add_u64 v[38:39], v[102:103], 3, v[64:65]
	global_store_dwordx2 v[38:39], v[36:37], off
	s_or_b64 exec, exec, s[2:3]
	s_and_b64 s[4:5], s[24:25], s[34:35]
	s_and_saveexec_b64 s[2:3], s[4:5]
	s_cbranch_execz .LBB191_228
.LBB191_302:
	s_and_b64 vcc, exec, s[0:1]
	s_cbranch_vccnz .LBB191_304
; %bb.303:
	v_lshl_add_u64 v[36:37], v[100:101], 3, v[130:131]
	global_load_dwordx2 v[36:37], v[36:37], off
	s_waitcnt vmcnt(0)
	v_mul_f64 v[36:37], s[70:71], v[36:37]
	s_branch .LBB191_305
.LBB191_304:
	v_mov_b64_e32 v[36:37], 0
.LBB191_305:
	v_add_f64 v[34:35], v[34:35], v[36:37]
	v_lshl_add_u64 v[36:37], v[100:101], 3, v[64:65]
	global_store_dwordx2 v[36:37], v[34:35], off
	s_or_b64 exec, exec, s[2:3]
	s_and_b64 s[4:5], s[24:25], s[36:37]
	s_and_saveexec_b64 s[2:3], s[4:5]
	s_cbranch_execz .LBB191_229
.LBB191_306:
	s_and_b64 vcc, exec, s[0:1]
	s_cbranch_vccnz .LBB191_308
; %bb.307:
	v_lshl_add_u64 v[34:35], v[98:99], 3, v[130:131]
	global_load_dwordx2 v[34:35], v[34:35], off
	s_waitcnt vmcnt(0)
	v_mul_f64 v[34:35], s[70:71], v[34:35]
	s_branch .LBB191_309
.LBB191_308:
	v_mov_b64_e32 v[34:35], 0
.LBB191_309:
	v_add_f64 v[32:33], v[32:33], v[34:35]
	v_lshl_add_u64 v[34:35], v[98:99], 3, v[64:65]
	global_store_dwordx2 v[34:35], v[32:33], off
	s_or_b64 exec, exec, s[2:3]
	s_and_b64 s[4:5], s[24:25], s[38:39]
	s_and_saveexec_b64 s[2:3], s[4:5]
	s_cbranch_execz .LBB191_230
.LBB191_310:
	s_and_b64 vcc, exec, s[0:1]
	s_cbranch_vccnz .LBB191_312
; %bb.311:
	v_lshl_add_u64 v[32:33], v[96:97], 3, v[130:131]
	global_load_dwordx2 v[32:33], v[32:33], off
	s_waitcnt vmcnt(0)
	v_mul_f64 v[32:33], s[70:71], v[32:33]
	s_branch .LBB191_313
.LBB191_312:
	v_mov_b64_e32 v[32:33], 0
.LBB191_313:
	v_add_f64 v[30:31], v[30:31], v[32:33]
	v_lshl_add_u64 v[32:33], v[96:97], 3, v[64:65]
	global_store_dwordx2 v[32:33], v[30:31], off
	s_or_b64 exec, exec, s[2:3]
	s_and_b64 s[4:5], s[24:25], s[40:41]
	s_and_saveexec_b64 s[2:3], s[4:5]
	s_cbranch_execz .LBB191_231
.LBB191_314:
	s_and_b64 vcc, exec, s[0:1]
	s_cbranch_vccnz .LBB191_316
; %bb.315:
	v_lshl_add_u64 v[30:31], v[94:95], 3, v[130:131]
	global_load_dwordx2 v[30:31], v[30:31], off
	s_waitcnt vmcnt(0)
	v_mul_f64 v[30:31], s[70:71], v[30:31]
	s_branch .LBB191_317
.LBB191_316:
	v_mov_b64_e32 v[30:31], 0
.LBB191_317:
	v_add_f64 v[28:29], v[28:29], v[30:31]
	v_lshl_add_u64 v[30:31], v[94:95], 3, v[64:65]
	global_store_dwordx2 v[30:31], v[28:29], off
	s_or_b64 exec, exec, s[2:3]
	s_and_b64 s[4:5], s[24:25], s[42:43]
	s_and_saveexec_b64 s[2:3], s[4:5]
	s_cbranch_execz .LBB191_232
.LBB191_318:
	s_and_b64 vcc, exec, s[0:1]
	s_cbranch_vccnz .LBB191_320
; %bb.319:
	v_lshl_add_u64 v[28:29], v[92:93], 3, v[130:131]
	global_load_dwordx2 v[28:29], v[28:29], off
	s_waitcnt vmcnt(0)
	v_mul_f64 v[28:29], s[70:71], v[28:29]
	s_branch .LBB191_321
.LBB191_320:
	v_mov_b64_e32 v[28:29], 0
.LBB191_321:
	v_add_f64 v[26:27], v[26:27], v[28:29]
	v_lshl_add_u64 v[28:29], v[92:93], 3, v[64:65]
	global_store_dwordx2 v[28:29], v[26:27], off
	s_or_b64 exec, exec, s[2:3]
	s_and_b64 s[4:5], s[24:25], s[44:45]
	s_and_saveexec_b64 s[2:3], s[4:5]
	s_cbranch_execz .LBB191_233
.LBB191_322:
	s_and_b64 vcc, exec, s[0:1]
	s_cbranch_vccnz .LBB191_324
; %bb.323:
	v_lshl_add_u64 v[26:27], v[90:91], 3, v[130:131]
	global_load_dwordx2 v[26:27], v[26:27], off
	s_waitcnt vmcnt(0)
	v_mul_f64 v[26:27], s[70:71], v[26:27]
	s_branch .LBB191_325
.LBB191_324:
	v_mov_b64_e32 v[26:27], 0
.LBB191_325:
	v_add_f64 v[24:25], v[24:25], v[26:27]
	v_lshl_add_u64 v[26:27], v[90:91], 3, v[64:65]
	global_store_dwordx2 v[26:27], v[24:25], off
	s_or_b64 exec, exec, s[2:3]
	s_and_b64 s[4:5], s[24:25], s[46:47]
	s_and_saveexec_b64 s[2:3], s[4:5]
	s_cbranch_execz .LBB191_234
.LBB191_326:
	s_and_b64 vcc, exec, s[0:1]
	s_cbranch_vccnz .LBB191_328
; %bb.327:
	v_lshl_add_u64 v[24:25], v[88:89], 3, v[130:131]
	global_load_dwordx2 v[24:25], v[24:25], off
	s_waitcnt vmcnt(0)
	v_mul_f64 v[24:25], s[70:71], v[24:25]
	s_branch .LBB191_329
.LBB191_328:
	v_mov_b64_e32 v[24:25], 0
.LBB191_329:
	v_add_f64 v[22:23], v[22:23], v[24:25]
	v_lshl_add_u64 v[24:25], v[88:89], 3, v[64:65]
	global_store_dwordx2 v[24:25], v[22:23], off
	s_or_b64 exec, exec, s[2:3]
	s_and_b64 s[4:5], s[24:25], s[48:49]
	s_and_saveexec_b64 s[2:3], s[4:5]
	s_cbranch_execz .LBB191_235
.LBB191_330:
	s_and_b64 vcc, exec, s[0:1]
	s_cbranch_vccnz .LBB191_332
; %bb.331:
	v_lshl_add_u64 v[22:23], v[86:87], 3, v[130:131]
	global_load_dwordx2 v[22:23], v[22:23], off
	s_waitcnt vmcnt(0)
	v_mul_f64 v[22:23], s[70:71], v[22:23]
	s_branch .LBB191_333
.LBB191_332:
	v_mov_b64_e32 v[22:23], 0
.LBB191_333:
	v_add_f64 v[20:21], v[20:21], v[22:23]
	v_lshl_add_u64 v[22:23], v[86:87], 3, v[64:65]
	global_store_dwordx2 v[22:23], v[20:21], off
	s_or_b64 exec, exec, s[2:3]
	s_and_b64 s[4:5], s[24:25], s[50:51]
	s_and_saveexec_b64 s[2:3], s[4:5]
	s_cbranch_execz .LBB191_236
.LBB191_334:
	s_and_b64 vcc, exec, s[0:1]
	s_cbranch_vccnz .LBB191_336
; %bb.335:
	v_lshl_add_u64 v[20:21], v[84:85], 3, v[130:131]
	global_load_dwordx2 v[20:21], v[20:21], off
	s_waitcnt vmcnt(0)
	v_mul_f64 v[20:21], s[70:71], v[20:21]
	s_branch .LBB191_337
.LBB191_336:
	v_mov_b64_e32 v[20:21], 0
.LBB191_337:
	v_add_f64 v[18:19], v[18:19], v[20:21]
	v_lshl_add_u64 v[20:21], v[84:85], 3, v[64:65]
	global_store_dwordx2 v[20:21], v[18:19], off
	s_or_b64 exec, exec, s[2:3]
	s_and_b64 s[4:5], s[24:25], s[52:53]
	s_and_saveexec_b64 s[2:3], s[4:5]
	s_cbranch_execz .LBB191_237
.LBB191_338:
	s_and_b64 vcc, exec, s[0:1]
	s_cbranch_vccnz .LBB191_340
; %bb.339:
	v_lshl_add_u64 v[18:19], v[82:83], 3, v[130:131]
	global_load_dwordx2 v[18:19], v[18:19], off
	s_waitcnt vmcnt(0)
	v_mul_f64 v[18:19], s[70:71], v[18:19]
	s_branch .LBB191_341
.LBB191_340:
	v_mov_b64_e32 v[18:19], 0
.LBB191_341:
	v_add_f64 v[16:17], v[16:17], v[18:19]
	v_lshl_add_u64 v[18:19], v[82:83], 3, v[64:65]
	global_store_dwordx2 v[18:19], v[16:17], off
	s_or_b64 exec, exec, s[2:3]
	s_and_b64 s[4:5], s[24:25], s[54:55]
	s_and_saveexec_b64 s[2:3], s[4:5]
	s_cbranch_execz .LBB191_238
.LBB191_342:
	s_and_b64 vcc, exec, s[0:1]
	s_cbranch_vccnz .LBB191_344
; %bb.343:
	v_lshl_add_u64 v[16:17], v[80:81], 3, v[130:131]
	global_load_dwordx2 v[16:17], v[16:17], off
	s_waitcnt vmcnt(0)
	v_mul_f64 v[16:17], s[70:71], v[16:17]
	s_branch .LBB191_345
.LBB191_344:
	v_mov_b64_e32 v[16:17], 0
.LBB191_345:
	v_add_f64 v[14:15], v[14:15], v[16:17]
	v_lshl_add_u64 v[16:17], v[80:81], 3, v[64:65]
	global_store_dwordx2 v[16:17], v[14:15], off
	s_or_b64 exec, exec, s[2:3]
	s_and_b64 s[4:5], s[24:25], s[56:57]
	s_and_saveexec_b64 s[2:3], s[4:5]
	s_cbranch_execz .LBB191_239
.LBB191_346:
	s_and_b64 vcc, exec, s[0:1]
	s_cbranch_vccnz .LBB191_348
; %bb.347:
	v_lshl_add_u64 v[14:15], v[78:79], 3, v[130:131]
	global_load_dwordx2 v[14:15], v[14:15], off
	s_waitcnt vmcnt(0)
	v_mul_f64 v[14:15], s[70:71], v[14:15]
	s_branch .LBB191_349
.LBB191_348:
	v_mov_b64_e32 v[14:15], 0
.LBB191_349:
	v_add_f64 v[12:13], v[12:13], v[14:15]
	v_lshl_add_u64 v[14:15], v[78:79], 3, v[64:65]
	global_store_dwordx2 v[14:15], v[12:13], off
	s_or_b64 exec, exec, s[2:3]
	s_and_b64 s[4:5], s[24:25], s[58:59]
	s_and_saveexec_b64 s[2:3], s[4:5]
	s_cbranch_execz .LBB191_240
.LBB191_350:
	s_and_b64 vcc, exec, s[0:1]
	s_cbranch_vccnz .LBB191_352
; %bb.351:
	v_lshl_add_u64 v[12:13], v[76:77], 3, v[130:131]
	global_load_dwordx2 v[12:13], v[12:13], off
	s_waitcnt vmcnt(0)
	v_mul_f64 v[12:13], s[70:71], v[12:13]
	s_branch .LBB191_353
.LBB191_352:
	v_mov_b64_e32 v[12:13], 0
.LBB191_353:
	v_add_f64 v[10:11], v[10:11], v[12:13]
	v_lshl_add_u64 v[12:13], v[76:77], 3, v[64:65]
	global_store_dwordx2 v[12:13], v[10:11], off
	s_or_b64 exec, exec, s[2:3]
	s_and_b64 s[4:5], s[24:25], s[60:61]
	s_and_saveexec_b64 s[2:3], s[4:5]
	s_cbranch_execz .LBB191_241
.LBB191_354:
	s_and_b64 vcc, exec, s[0:1]
	s_cbranch_vccnz .LBB191_356
; %bb.355:
	v_lshl_add_u64 v[10:11], v[74:75], 3, v[130:131]
	global_load_dwordx2 v[10:11], v[10:11], off
	s_waitcnt vmcnt(0)
	v_mul_f64 v[10:11], s[70:71], v[10:11]
	s_branch .LBB191_357
.LBB191_356:
	v_mov_b64_e32 v[10:11], 0
.LBB191_357:
	v_add_f64 v[8:9], v[8:9], v[10:11]
	v_lshl_add_u64 v[10:11], v[74:75], 3, v[64:65]
	global_store_dwordx2 v[10:11], v[8:9], off
	s_or_b64 exec, exec, s[2:3]
	s_and_b64 s[4:5], s[24:25], s[62:63]
	s_and_saveexec_b64 s[2:3], s[4:5]
	s_cbranch_execz .LBB191_242
.LBB191_358:
	s_and_b64 vcc, exec, s[0:1]
	s_cbranch_vccnz .LBB191_360
; %bb.359:
	v_lshl_add_u64 v[8:9], v[72:73], 3, v[130:131]
	global_load_dwordx2 v[8:9], v[8:9], off
	s_waitcnt vmcnt(0)
	v_mul_f64 v[8:9], s[70:71], v[8:9]
	s_branch .LBB191_361
.LBB191_360:
	v_mov_b64_e32 v[8:9], 0
.LBB191_361:
	v_add_f64 v[6:7], v[6:7], v[8:9]
	v_lshl_add_u64 v[8:9], v[72:73], 3, v[64:65]
	global_store_dwordx2 v[8:9], v[6:7], off
	s_or_b64 exec, exec, s[2:3]
	s_and_b64 s[4:5], s[24:25], s[64:65]
	s_and_saveexec_b64 s[2:3], s[4:5]
	s_cbranch_execz .LBB191_243
.LBB191_362:
	s_and_b64 vcc, exec, s[0:1]
	s_cbranch_vccnz .LBB191_364
; %bb.363:
	v_lshl_add_u64 v[6:7], v[70:71], 3, v[130:131]
	global_load_dwordx2 v[6:7], v[6:7], off
	s_waitcnt vmcnt(0)
	v_mul_f64 v[6:7], s[70:71], v[6:7]
	s_branch .LBB191_365
.LBB191_364:
	v_mov_b64_e32 v[6:7], 0
.LBB191_365:
	v_add_f64 v[4:5], v[4:5], v[6:7]
	v_lshl_add_u64 v[6:7], v[70:71], 3, v[64:65]
	global_store_dwordx2 v[6:7], v[4:5], off
	s_or_b64 exec, exec, s[2:3]
	s_and_b64 s[4:5], s[24:25], s[66:67]
	s_and_saveexec_b64 s[2:3], s[4:5]
	s_cbranch_execz .LBB191_244
.LBB191_366:
	s_and_b64 vcc, exec, s[0:1]
	s_cbranch_vccnz .LBB191_368
; %bb.367:
	v_lshl_add_u64 v[4:5], v[68:69], 3, v[130:131]
	global_load_dwordx2 v[4:5], v[4:5], off
	s_waitcnt vmcnt(0)
	v_mul_f64 v[4:5], s[70:71], v[4:5]
	s_branch .LBB191_369
.LBB191_368:
	v_mov_b64_e32 v[4:5], 0
.LBB191_369:
	v_add_f64 v[2:3], v[2:3], v[4:5]
	v_lshl_add_u64 v[4:5], v[68:69], 3, v[64:65]
	global_store_dwordx2 v[4:5], v[2:3], off
	s_or_b64 exec, exec, s[2:3]
	s_and_b64 s[2:3], s[24:25], s[68:69]
	s_and_saveexec_b64 s[4:5], s[2:3]
	s_cbranch_execz .LBB191_245
.LBB191_370:
	s_and_b64 vcc, exec, s[0:1]
	s_cbranch_vccnz .LBB191_372
; %bb.371:
	v_lshl_add_u64 v[2:3], v[66:67], 3, v[130:131]
	global_load_dwordx2 v[2:3], v[2:3], off
	s_waitcnt vmcnt(0)
	v_mul_f64 v[2:3], s[70:71], v[2:3]
	v_add_f64 v[0:1], v[0:1], v[2:3]
	v_lshl_add_u64 v[2:3], v[66:67], 3, v[64:65]
	global_store_dwordx2 v[2:3], v[0:1], off
	s_endpgm
.LBB191_372:
	v_mov_b64_e32 v[2:3], 0
	v_add_f64 v[0:1], v[0:1], v[2:3]
	v_lshl_add_u64 v[2:3], v[66:67], 3, v[64:65]
	global_store_dwordx2 v[2:3], v[0:1], off
	s_endpgm
	.section	.rodata,"a",@progbits
	.p2align	6, 0x0
	.amdhsa_kernel _ZN12_GLOBAL__N_120geam_min_plus_kernelIdddLi4ELi64ELi128ELi128ELi4ELi4ELi64ELi4ELi64ELc84ELc78ELb0ELb1ELb0EdKddEEviiiT16_PT17_ilS4_ilS2_S4_ilPT18_ili26rocblas_geam_ex_operation_
		.amdhsa_group_segment_fixed_size 16384
		.amdhsa_private_segment_fixed_size 0
		.amdhsa_kernarg_size 136
		.amdhsa_user_sgpr_count 2
		.amdhsa_user_sgpr_dispatch_ptr 0
		.amdhsa_user_sgpr_queue_ptr 0
		.amdhsa_user_sgpr_kernarg_segment_ptr 1
		.amdhsa_user_sgpr_dispatch_id 0
		.amdhsa_user_sgpr_kernarg_preload_length 0
		.amdhsa_user_sgpr_kernarg_preload_offset 0
		.amdhsa_user_sgpr_private_segment_size 0
		.amdhsa_uses_dynamic_stack 0
		.amdhsa_enable_private_segment 0
		.amdhsa_system_sgpr_workgroup_id_x 1
		.amdhsa_system_sgpr_workgroup_id_y 0
		.amdhsa_system_sgpr_workgroup_id_z 1
		.amdhsa_system_sgpr_workgroup_info 0
		.amdhsa_system_vgpr_workitem_id 1
		.amdhsa_next_free_vgpr 250
		.amdhsa_next_free_sgpr 82
		.amdhsa_accum_offset 252
		.amdhsa_reserve_vcc 1
		.amdhsa_float_round_mode_32 0
		.amdhsa_float_round_mode_16_64 0
		.amdhsa_float_denorm_mode_32 3
		.amdhsa_float_denorm_mode_16_64 3
		.amdhsa_dx10_clamp 1
		.amdhsa_ieee_mode 1
		.amdhsa_fp16_overflow 0
		.amdhsa_tg_split 0
		.amdhsa_exception_fp_ieee_invalid_op 0
		.amdhsa_exception_fp_denorm_src 0
		.amdhsa_exception_fp_ieee_div_zero 0
		.amdhsa_exception_fp_ieee_overflow 0
		.amdhsa_exception_fp_ieee_underflow 0
		.amdhsa_exception_fp_ieee_inexact 0
		.amdhsa_exception_int_div_zero 0
	.end_amdhsa_kernel
	.section	.text._ZN12_GLOBAL__N_120geam_min_plus_kernelIdddLi4ELi64ELi128ELi128ELi4ELi4ELi64ELi4ELi64ELc84ELc78ELb0ELb1ELb0EdKddEEviiiT16_PT17_ilS4_ilS2_S4_ilPT18_ili26rocblas_geam_ex_operation_,"axG",@progbits,_ZN12_GLOBAL__N_120geam_min_plus_kernelIdddLi4ELi64ELi128ELi128ELi4ELi4ELi64ELi4ELi64ELc84ELc78ELb0ELb1ELb0EdKddEEviiiT16_PT17_ilS4_ilS2_S4_ilPT18_ili26rocblas_geam_ex_operation_,comdat
.Lfunc_end191:
	.size	_ZN12_GLOBAL__N_120geam_min_plus_kernelIdddLi4ELi64ELi128ELi128ELi4ELi4ELi64ELi4ELi64ELc84ELc78ELb0ELb1ELb0EdKddEEviiiT16_PT17_ilS4_ilS2_S4_ilPT18_ili26rocblas_geam_ex_operation_, .Lfunc_end191-_ZN12_GLOBAL__N_120geam_min_plus_kernelIdddLi4ELi64ELi128ELi128ELi4ELi4ELi64ELi4ELi64ELc84ELc78ELb0ELb1ELb0EdKddEEviiiT16_PT17_ilS4_ilS2_S4_ilPT18_ili26rocblas_geam_ex_operation_
                                        ; -- End function
	.set _ZN12_GLOBAL__N_120geam_min_plus_kernelIdddLi4ELi64ELi128ELi128ELi4ELi4ELi64ELi4ELi64ELc84ELc78ELb0ELb1ELb0EdKddEEviiiT16_PT17_ilS4_ilS2_S4_ilPT18_ili26rocblas_geam_ex_operation_.num_vgpr, 250
	.set _ZN12_GLOBAL__N_120geam_min_plus_kernelIdddLi4ELi64ELi128ELi128ELi4ELi4ELi64ELi4ELi64ELc84ELc78ELb0ELb1ELb0EdKddEEviiiT16_PT17_ilS4_ilS2_S4_ilPT18_ili26rocblas_geam_ex_operation_.num_agpr, 0
	.set _ZN12_GLOBAL__N_120geam_min_plus_kernelIdddLi4ELi64ELi128ELi128ELi4ELi4ELi64ELi4ELi64ELc84ELc78ELb0ELb1ELb0EdKddEEviiiT16_PT17_ilS4_ilS2_S4_ilPT18_ili26rocblas_geam_ex_operation_.numbered_sgpr, 82
	.set _ZN12_GLOBAL__N_120geam_min_plus_kernelIdddLi4ELi64ELi128ELi128ELi4ELi4ELi64ELi4ELi64ELc84ELc78ELb0ELb1ELb0EdKddEEviiiT16_PT17_ilS4_ilS2_S4_ilPT18_ili26rocblas_geam_ex_operation_.num_named_barrier, 0
	.set _ZN12_GLOBAL__N_120geam_min_plus_kernelIdddLi4ELi64ELi128ELi128ELi4ELi4ELi64ELi4ELi64ELc84ELc78ELb0ELb1ELb0EdKddEEviiiT16_PT17_ilS4_ilS2_S4_ilPT18_ili26rocblas_geam_ex_operation_.private_seg_size, 0
	.set _ZN12_GLOBAL__N_120geam_min_plus_kernelIdddLi4ELi64ELi128ELi128ELi4ELi4ELi64ELi4ELi64ELc84ELc78ELb0ELb1ELb0EdKddEEviiiT16_PT17_ilS4_ilS2_S4_ilPT18_ili26rocblas_geam_ex_operation_.uses_vcc, 1
	.set _ZN12_GLOBAL__N_120geam_min_plus_kernelIdddLi4ELi64ELi128ELi128ELi4ELi4ELi64ELi4ELi64ELc84ELc78ELb0ELb1ELb0EdKddEEviiiT16_PT17_ilS4_ilS2_S4_ilPT18_ili26rocblas_geam_ex_operation_.uses_flat_scratch, 0
	.set _ZN12_GLOBAL__N_120geam_min_plus_kernelIdddLi4ELi64ELi128ELi128ELi4ELi4ELi64ELi4ELi64ELc84ELc78ELb0ELb1ELb0EdKddEEviiiT16_PT17_ilS4_ilS2_S4_ilPT18_ili26rocblas_geam_ex_operation_.has_dyn_sized_stack, 0
	.set _ZN12_GLOBAL__N_120geam_min_plus_kernelIdddLi4ELi64ELi128ELi128ELi4ELi4ELi64ELi4ELi64ELc84ELc78ELb0ELb1ELb0EdKddEEviiiT16_PT17_ilS4_ilS2_S4_ilPT18_ili26rocblas_geam_ex_operation_.has_recursion, 0
	.set _ZN12_GLOBAL__N_120geam_min_plus_kernelIdddLi4ELi64ELi128ELi128ELi4ELi4ELi64ELi4ELi64ELc84ELc78ELb0ELb1ELb0EdKddEEviiiT16_PT17_ilS4_ilS2_S4_ilPT18_ili26rocblas_geam_ex_operation_.has_indirect_call, 0
	.section	.AMDGPU.csdata,"",@progbits
; Kernel info:
; codeLenInByte = 14628
; TotalNumSgprs: 88
; NumVgprs: 250
; NumAgprs: 0
; TotalNumVgprs: 250
; ScratchSize: 0
; MemoryBound: 0
; FloatMode: 240
; IeeeMode: 1
; LDSByteSize: 16384 bytes/workgroup (compile time only)
; SGPRBlocks: 10
; VGPRBlocks: 31
; NumSGPRsForWavesPerEU: 88
; NumVGPRsForWavesPerEU: 250
; AccumOffset: 252
; Occupancy: 2
; WaveLimiterHint : 0
; COMPUTE_PGM_RSRC2:SCRATCH_EN: 0
; COMPUTE_PGM_RSRC2:USER_SGPR: 2
; COMPUTE_PGM_RSRC2:TRAP_HANDLER: 0
; COMPUTE_PGM_RSRC2:TGID_X_EN: 1
; COMPUTE_PGM_RSRC2:TGID_Y_EN: 0
; COMPUTE_PGM_RSRC2:TGID_Z_EN: 1
; COMPUTE_PGM_RSRC2:TIDIG_COMP_CNT: 1
; COMPUTE_PGM_RSRC3_GFX90A:ACCUM_OFFSET: 62
; COMPUTE_PGM_RSRC3_GFX90A:TG_SPLIT: 0
	.section	.text._ZN12_GLOBAL__N_120geam_min_plus_kernelIdddLi4ELi64ELi128ELi128ELi4ELi64ELi4ELi64ELi4ELc78ELc84ELb0ELb0ELb0EPKdS1_dEEviiiT16_PT17_ilS5_ilS3_S5_ilPT18_ili26rocblas_geam_ex_operation_,"axG",@progbits,_ZN12_GLOBAL__N_120geam_min_plus_kernelIdddLi4ELi64ELi128ELi128ELi4ELi64ELi4ELi64ELi4ELc78ELc84ELb0ELb0ELb0EPKdS1_dEEviiiT16_PT17_ilS5_ilS3_S5_ilPT18_ili26rocblas_geam_ex_operation_,comdat
	.globl	_ZN12_GLOBAL__N_120geam_min_plus_kernelIdddLi4ELi64ELi128ELi128ELi4ELi64ELi4ELi64ELi4ELc78ELc84ELb0ELb0ELb0EPKdS1_dEEviiiT16_PT17_ilS5_ilS3_S5_ilPT18_ili26rocblas_geam_ex_operation_ ; -- Begin function _ZN12_GLOBAL__N_120geam_min_plus_kernelIdddLi4ELi64ELi128ELi128ELi4ELi64ELi4ELi64ELi4ELc78ELc84ELb0ELb0ELb0EPKdS1_dEEviiiT16_PT17_ilS5_ilS3_S5_ilPT18_ili26rocblas_geam_ex_operation_
	.p2align	8
	.type	_ZN12_GLOBAL__N_120geam_min_plus_kernelIdddLi4ELi64ELi128ELi128ELi4ELi64ELi4ELi64ELi4ELc78ELc84ELb0ELb0ELb0EPKdS1_dEEviiiT16_PT17_ilS5_ilS3_S5_ilPT18_ili26rocblas_geam_ex_operation_,@function
_ZN12_GLOBAL__N_120geam_min_plus_kernelIdddLi4ELi64ELi128ELi128ELi4ELi64ELi4ELi64ELi4ELc78ELc84ELb0ELb0ELb0EPKdS1_dEEviiiT16_PT17_ilS5_ilS3_S5_ilPT18_ili26rocblas_geam_ex_operation_: ; @_ZN12_GLOBAL__N_120geam_min_plus_kernelIdddLi4ELi64ELi128ELi128ELi4ELi64ELi4ELi64ELi4ELc78ELc84ELb0ELb0ELb0EPKdS1_dEEviiiT16_PT17_ilS5_ilS3_S5_ilPT18_ili26rocblas_geam_ex_operation_
; %bb.0:
	s_load_dwordx4 s[4:7], s[0:1], 0x10
	s_load_dwordx4 s[8:11], s[0:1], 0x28
	;; [unrolled: 1-line block ×3, first 2 shown]
	s_mov_b32 s18, s3
	s_mov_b32 s19, 0
	s_lshl_b64 s[16:17], s[18:19], 3
	s_waitcnt lgkmcnt(0)
	s_add_u32 s4, s4, s16
	s_addc_u32 s5, s5, s17
	s_load_dwordx2 s[20:21], s[4:5], 0x0
	s_load_dwordx2 s[26:27], s[0:1], 0x50
	s_add_u32 s14, s14, s16
	s_addc_u32 s15, s15, s17
	s_mov_b64 s[22:23], 0
	s_waitcnt lgkmcnt(0)
	v_cmp_eq_f64_e64 s[4:5], s[20:21], 0
	s_and_b64 s[4:5], exec, s[4:5]
	v_cmp_neq_f64_e64 s[28:29], s[20:21], 0
	s_mov_b64 s[24:25], 0
	s_mov_b64 vcc, s[4:5]
	s_cbranch_vccnz .LBB192_2
; %bb.1:
	s_mul_i32 s3, s9, s18
	s_mul_hi_u32 s9, s8, s18
	s_add_i32 s9, s9, s3
	s_mul_i32 s8, s8, s18
	s_lshl_b64 s[8:9], s[8:9], 3
	s_add_u32 s24, s6, s8
	s_addc_u32 s25, s7, s9
.LBB192_2:
	s_load_dwordx2 s[16:17], s[14:15], 0x0
	v_cndmask_b32_e64 v1, 0, 1, s[28:29]
	v_cmp_ne_u32_e64 s[6:7], 1, v1
	s_andn2_b64 vcc, exec, s[28:29]
	s_cbranch_vccnz .LBB192_4
; %bb.3:
	s_mul_i32 s3, s13, s18
	s_mul_hi_u32 s8, s12, s18
	s_add_i32 s9, s8, s3
	s_mul_i32 s8, s12, s18
	s_lshl_b64 s[8:9], s[8:9], 3
	s_add_u32 s22, s10, s8
	s_addc_u32 s23, s11, s9
.LBB192_4:
	s_load_dwordx4 s[12:15], s[0:1], 0x60
	s_waitcnt lgkmcnt(0)
	v_cmp_eq_f64_e64 s[8:9], s[16:17], 0
	s_and_b64 s[8:9], exec, s[8:9]
	s_mov_b64 s[10:11], 0
	s_mov_b64 vcc, s[8:9]
	s_cbranch_vccnz .LBB192_6
; %bb.5:
	s_mul_i32 s3, s13, s18
	s_mul_hi_u32 s10, s12, s18
	s_add_i32 s11, s10, s3
	s_mul_i32 s10, s12, s18
	s_lshl_b64 s[10:11], s[10:11], 3
	s_add_u32 s10, s26, s10
	s_addc_u32 s11, s27, s11
.LBB192_6:
	s_load_dword s3, s[0:1], 0x0
	s_load_dword s19, s[0:1], 0x20
	v_and_b32_e32 v140, 0x3ff, v0
	v_bfe_u32 v141, v0, 10, 10
	v_mov_b64_e32 v[6:7], 0
	s_waitcnt lgkmcnt(0)
	s_add_i32 s3, s3, -1
	s_ashr_i32 s12, s3, 31
	s_lshr_b32 s12, s12, 25
	s_add_i32 s3, s3, s12
	s_ashr_i32 s3, s3, 7
	s_add_i32 s12, s3, 1
	v_cvt_f32_u32_e32 v1, s12
	s_not_b32 s3, s3
	s_ashr_i32 s26, s19, 31
	v_mov_b64_e32 v[8:9], 0
	v_rcp_iflag_f32_e32 v0, v1
	v_lshl_add_u32 v1, v141, 2, v140
	v_and_b32_e32 v143, 63, v1
	v_lshrrev_b32_e32 v142, 6, v1
	v_mul_f32_e32 v0, 0x4f7ffffe, v0
	v_cvt_u32_f32_e32 v0, v0
	v_mov_b64_e32 v[10:11], 0
	v_readfirstlane_b32 s13, v0
	s_mul_i32 s3, s3, s13
	s_mul_hi_u32 s3, s13, s3
	s_add_i32 s13, s13, s3
	s_mul_hi_u32 s3, s2, s13
	s_mul_i32 s13, s3, s12
	s_sub_i32 s13, s2, s13
	s_add_i32 s27, s3, 1
	s_sub_i32 s28, s13, s12
	s_cmp_ge_u32 s13, s12
	s_cselect_b32 s3, s27, s3
	s_cselect_b32 s13, s28, s13
	s_add_i32 s27, s3, 1
	s_cmp_ge_u32 s13, s12
	s_cselect_b32 s3, s27, s3
	s_mul_i32 s12, s3, s12
	s_sub_i32 s2, s2, s12
	s_lshl_b32 s12, s2, 7
	v_or_b32_e32 v0, s12, v143
	s_and_b64 vcc, exec, s[6:7]
	v_ashrrev_i32_e32 v1, 31, v0
	s_cbranch_vccnz .LBB192_8
; %bb.7:
	v_mad_i64_i32 v[2:3], s[28:29], s19, v142, 0
	v_lshl_add_u64 v[2:3], v[2:3], 3, s[24:25]
	v_lshl_add_u64 v[2:3], v[0:1], 3, v[2:3]
	global_load_dwordx2 v[4:5], v[2:3], off
	global_load_dwordx2 v[8:9], v[2:3], off offset:512
	s_waitcnt vmcnt(1)
	v_mul_f64 v[10:11], s[20:21], v[4:5]
	s_waitcnt vmcnt(0)
	v_mul_f64 v[8:9], s[20:21], v[8:9]
.LBB192_8:
	s_load_dword s27, s[0:1], 0x38
	s_lshl_b32 s13, s3, 7
	v_or_b32_e32 v2, s13, v143
	s_and_b64 vcc, exec, s[6:7]
	v_ashrrev_i32_e32 v3, 31, v2
	s_waitcnt lgkmcnt(0)
	s_ashr_i32 s28, s27, 31
	v_mov_b64_e32 v[12:13], 0
	s_cbranch_vccnz .LBB192_10
; %bb.9:
	v_mad_i64_i32 v[4:5], s[2:3], s27, v142, 0
	v_lshl_add_u64 v[4:5], v[4:5], 3, s[22:23]
	v_lshl_add_u64 v[4:5], v[2:3], 3, v[4:5]
	global_load_dwordx2 v[6:7], v[4:5], off
	global_load_dwordx2 v[14:15], v[4:5], off offset:512
	s_waitcnt vmcnt(1)
	v_mul_f64 v[12:13], s[20:21], v[6:7]
	s_waitcnt vmcnt(0)
	v_mul_f64 v[6:7], s[20:21], v[14:15]
.LBB192_10:
	v_mov_b64_e32 v[4:5], 0
	s_and_b64 vcc, exec, s[6:7]
	v_add_u32_e32 v144, 4, v142
	v_mov_b64_e32 v[134:135], 0
	v_mov_b64_e32 v[136:137], 0
	s_cbranch_vccnz .LBB192_12
; %bb.11:
	v_mad_i64_i32 v[14:15], s[2:3], s19, v144, 0
	v_lshl_add_u64 v[14:15], v[14:15], 3, s[24:25]
	v_lshl_add_u64 v[14:15], v[0:1], 3, v[14:15]
	global_load_dwordx2 v[16:17], v[14:15], off
	global_load_dwordx2 v[18:19], v[14:15], off offset:512
	s_waitcnt vmcnt(1)
	v_mul_f64 v[136:137], s[20:21], v[16:17]
	s_waitcnt vmcnt(0)
	v_mul_f64 v[134:135], s[20:21], v[18:19]
.LBB192_12:
	s_and_b64 vcc, exec, s[6:7]
	v_mov_b64_e32 v[138:139], 0
	s_cbranch_vccnz .LBB192_14
; %bb.13:
	v_mad_i64_i32 v[4:5], s[2:3], s27, v144, 0
	v_lshl_add_u64 v[4:5], v[4:5], 3, s[22:23]
	v_lshl_add_u64 v[4:5], v[2:3], 3, v[4:5]
	global_load_dwordx2 v[14:15], v[4:5], off
	global_load_dwordx2 v[16:17], v[4:5], off offset:512
	s_waitcnt vmcnt(1)
	v_mul_f64 v[138:139], s[20:21], v[14:15]
	s_waitcnt vmcnt(0)
	v_mul_f64 v[4:5], s[20:21], v[16:17]
.LBB192_14:
	v_lshlrev_b32_e32 v14, 5, v143
	v_lshl_add_u32 v145, v142, 3, v14
	v_lshlrev_b32_e32 v152, 5, v141
	ds_write2st64_b64 v145, v[10:11], v[8:9] offset1:4
	v_or_b32_e32 v146, 0x2000, v145
	ds_write2st64_b64 v145, v[12:13], v[6:7] offset0:16 offset1:20
	v_lshlrev_b32_e32 v147, 5, v140
	v_add_u32_e32 v148, 0x2000, v152
	v_mov_b64_e32 v[132:133], 0
	s_mov_b32 s2, 0
	v_mov_b64_e32 v[130:131], 0
	v_mov_b64_e32 v[128:129], 0
	;; [unrolled: 1-line block ×63, first 2 shown]
	s_waitcnt lgkmcnt(0)
	s_barrier
.LBB192_15:                             ; =>This Inner Loop Header: Depth=1
	v_add_u32_e32 v149, s2, v147
	v_add_u32_e32 v150, s2, v148
	ds_read2_b64 v[154:157], v149 offset1:16
	ds_read2_b64 v[158:161], v149 offset0:32 offset1:48
	ds_read2_b64 v[162:165], v149 offset0:64 offset1:80
	ds_read2_b64 v[166:169], v149 offset0:96 offset1:112
	ds_read2_b64 v[170:173], v149 offset0:128 offset1:144
	ds_read2_b64 v[174:177], v149 offset0:160 offset1:176
	ds_read2_b64 v[178:181], v149 offset0:192 offset1:208
	ds_read2_b64 v[182:185], v149 offset0:224 offset1:240
	ds_read2st64_b64 v[186:189], v150 offset1:4
	v_add_u32_e32 v149, 0x800, v149
	ds_read2_b64 v[190:193], v149 offset1:16
	ds_read2_b64 v[194:197], v149 offset0:32 offset1:48
	ds_read2_b64 v[198:201], v149 offset0:64 offset1:80
	;; [unrolled: 1-line block ×7, first 2 shown]
	s_waitcnt lgkmcnt(14)
	v_max_f64 v[150:151], v[154:155], v[154:155]
	v_max_f64 v[154:155], v[156:157], v[156:157]
	;; [unrolled: 1-line block ×6, first 2 shown]
	s_waitcnt lgkmcnt(13)
	v_max_f64 v[164:165], v[166:167], v[166:167]
	v_max_f64 v[166:167], v[168:169], v[168:169]
	s_waitcnt lgkmcnt(12)
	v_max_f64 v[168:169], v[170:171], v[170:171]
	v_max_f64 v[170:171], v[172:173], v[172:173]
	;; [unrolled: 3-line block ×14, first 2 shown]
	v_min_f64 v[220:221], v[150:151], v[184:185]
	v_min_f64 v[222:223], v[154:155], v[184:185]
	;; [unrolled: 1-line block ×32, first 2 shown]
	s_add_i32 s2, s2, 8
	v_add_f64 v[68:69], v[68:69], v[150:151]
	v_add_f64 v[66:67], v[66:67], v[154:155]
	;; [unrolled: 1-line block ×16, first 2 shown]
	v_min_f64 v[150:151], v[188:189], v[184:185]
	v_min_f64 v[154:155], v[190:191], v[184:185]
	;; [unrolled: 1-line block ×32, first 2 shown]
	s_cmp_eq_u32 s2, 32
	v_add_f64 v[132:133], v[132:133], v[220:221]
	v_add_f64 v[130:131], v[130:131], v[222:223]
	;; [unrolled: 1-line block ×48, first 2 shown]
	s_cbranch_scc0 .LBB192_15
; %bb.16:
	s_load_dword s6, s[0:1], 0x8
	v_lshlrev_b32_e32 v149, 3, v142
	v_lshl_add_u32 v150, v143, 5, v149
	ds_write2st64_b64 v150, v[136:137], v[134:135] offset0:8 offset1:12
	ds_write2st64_b64 v150, v[138:139], v[4:5] offset0:24 offset1:28
	s_waitcnt lgkmcnt(0)
	s_cmp_gt_i32 s6, 8
	s_barrier
	s_cbranch_scc1 .LBB192_18
; %bb.17:
	v_add_u32_e32 v143, 0x3000, v152
	s_cbranch_execz .LBB192_19
	s_branch .LBB192_41
.LBB192_18:
                                        ; implicit-def: $vgpr143
.LBB192_19:
	v_lshl_add_u64 v[134:135], v[0:1], 3, s[24:25]
	v_mov_b32_e32 v0, 0x1000
	v_or_b32_e32 v149, 0x1000, v150
	v_or_b32_e32 v150, 0x3000, v150
	s_add_i32 s6, s6, -8
	v_lshl_add_u64 v[136:137], v[2:3], 3, s[22:23]
	v_lshl_add_u32 v151, v140, 5, v0
	v_add_u32_e32 v143, 0x3000, v152
	s_mov_b32 s7, 8
	s_mov_b32 s22, 0
	;; [unrolled: 1-line block ×3, first 2 shown]
.LBB192_20:                             ; =>This Loop Header: Depth=1
                                        ;     Child Loop BB192_26 Depth 2
                                        ;     Child Loop BB192_33 Depth 2
	s_mov_b64 s[2:3], -1
	s_mov_b64 vcc, s[4:5]
                                        ; implicit-def: $vgpr0_vgpr1_vgpr2_vgpr3
	s_cbranch_vccnz .LBB192_35
; %bb.21:                               ;   in Loop: Header=BB192_20 Depth=1
	v_mov_b64_e32 v[138:139], 0
	s_andn2_b64 vcc, exec, s[2:3]
	v_add_u32_e32 v152, s7, v142
	s_cbranch_vccz .LBB192_36
.LBB192_22:                             ;   in Loop: Header=BB192_20 Depth=1
	s_mov_b64 s[2:3], -1
	s_mov_b64 vcc, s[4:5]
                                        ; implicit-def: $vgpr2_vgpr3_vgpr4_vgpr5
	s_cbranch_vccnz .LBB192_37
.LBB192_23:                             ;   in Loop: Header=BB192_20 Depth=1
	s_andn2_b64 vcc, exec, s[2:3]
	v_mov_b64_e32 v[4:5], 0
	s_cbranch_vccnz .LBB192_25
.LBB192_24:                             ;   in Loop: Header=BB192_20 Depth=1
	v_mad_u64_u32 v[2:3], s[2:3], v152, s27, 0
	v_mov_b32_e32 v4, v3
	v_mad_u64_u32 v[4:5], s[2:3], v152, s28, v[4:5]
	v_mov_b32_e32 v3, v4
	v_lshl_add_u64 v[2:3], v[2:3], 3, v[136:137]
	global_load_dwordx2 v[4:5], v[2:3], off
	global_load_dwordx2 v[152:153], v[2:3], off offset:512
	s_waitcnt vmcnt(1)
	v_mul_f64 v[2:3], s[20:21], v[4:5]
	s_waitcnt vmcnt(0)
	v_mul_f64 v[4:5], s[20:21], v[152:153]
.LBB192_25:                             ;   in Loop: Header=BB192_20 Depth=1
	s_mov_b32 s2, 0
.LBB192_26:                             ;   Parent Loop BB192_20 Depth=1
                                        ; =>  This Inner Loop Header: Depth=2
	v_add_u32_e32 v184, s2, v151
	v_add_u32_e32 v185, s2, v143
	ds_read2_b64 v[152:155], v184 offset1:16
	ds_read2_b64 v[156:159], v184 offset0:32 offset1:48
	ds_read2_b64 v[160:163], v184 offset0:64 offset1:80
	;; [unrolled: 1-line block ×7, first 2 shown]
	v_add_u32_e32 v216, 0x800, v184
	ds_read2st64_b64 v[184:187], v185 offset1:4
	ds_read2_b64 v[188:191], v216 offset1:16
	ds_read2_b64 v[192:195], v216 offset0:32 offset1:48
	ds_read2_b64 v[196:199], v216 offset0:64 offset1:80
	;; [unrolled: 1-line block ×7, first 2 shown]
	s_waitcnt lgkmcnt(14)
	v_max_f64 v[152:153], v[152:153], v[152:153]
	v_max_f64 v[154:155], v[154:155], v[154:155]
	;; [unrolled: 1-line block ×3, first 2 shown]
	s_waitcnt lgkmcnt(8)
	v_max_f64 v[184:185], v[184:185], v[184:185]
	v_max_f64 v[158:159], v[158:159], v[158:159]
	;; [unrolled: 1-line block ×15, first 2 shown]
	v_min_f64 v[220:221], v[152:153], v[184:185]
	v_min_f64 v[222:223], v[154:155], v[184:185]
	;; [unrolled: 1-line block ×16, first 2 shown]
	s_waitcnt lgkmcnt(7)
	v_max_f64 v[188:189], v[188:189], v[188:189]
	v_max_f64 v[190:191], v[190:191], v[190:191]
	s_waitcnt lgkmcnt(6)
	v_max_f64 v[192:193], v[192:193], v[192:193]
	v_max_f64 v[194:195], v[194:195], v[194:195]
	;; [unrolled: 3-line block ×8, first 2 shown]
	v_min_f64 v[152:153], v[152:153], v[186:187]
	v_min_f64 v[154:155], v[154:155], v[186:187]
	;; [unrolled: 1-line block ×16, first 2 shown]
	s_add_i32 s2, s2, 8
	v_add_f64 v[132:133], v[132:133], v[220:221]
	v_add_f64 v[130:131], v[130:131], v[222:223]
	;; [unrolled: 1-line block ×15, first 2 shown]
	v_min_f64 v[220:221], v[188:189], v[184:185]
	v_min_f64 v[222:223], v[190:191], v[184:185]
	;; [unrolled: 1-line block ×16, first 2 shown]
	v_add_f64 v[68:69], v[68:69], v[152:153]
	v_add_f64 v[66:67], v[66:67], v[154:155]
	;; [unrolled: 1-line block ×16, first 2 shown]
	v_min_f64 v[152:153], v[188:189], v[186:187]
	v_min_f64 v[154:155], v[190:191], v[186:187]
	;; [unrolled: 1-line block ×16, first 2 shown]
	s_cmp_eq_u32 s2, 32
	v_add_f64 v[102:103], v[102:103], v[250:251]
	v_add_f64 v[100:101], v[100:101], v[220:221]
	;; [unrolled: 1-line block ×33, first 2 shown]
	s_cbranch_scc0 .LBB192_26
; %bb.27:                               ;   in Loop: Header=BB192_20 Depth=1
	s_mov_b64 s[2:3], -1
	s_mov_b64 vcc, s[4:5]
	ds_write2st64_b64 v145, v[0:1], v[138:139] offset1:4
	ds_write2st64_b64 v146, v[2:3], v[4:5] offset1:4
	s_waitcnt lgkmcnt(0)
	s_barrier
                                        ; implicit-def: $vgpr0_vgpr1_vgpr2_vgpr3
	s_cbranch_vccnz .LBB192_38
; %bb.28:                               ;   in Loop: Header=BB192_20 Depth=1
	v_mov_b64_e32 v[138:139], 0
	s_andn2_b64 vcc, exec, s[2:3]
	v_add_u32_e32 v152, s7, v144
	s_cbranch_vccz .LBB192_39
.LBB192_29:                             ;   in Loop: Header=BB192_20 Depth=1
	s_mov_b64 s[2:3], -1
	s_mov_b64 vcc, s[4:5]
                                        ; implicit-def: $vgpr2_vgpr3_vgpr4_vgpr5
	s_cbranch_vccnz .LBB192_40
.LBB192_30:                             ;   in Loop: Header=BB192_20 Depth=1
	s_andn2_b64 vcc, exec, s[2:3]
	v_mov_b64_e32 v[4:5], 0
	s_cbranch_vccnz .LBB192_32
.LBB192_31:                             ;   in Loop: Header=BB192_20 Depth=1
	v_mad_u64_u32 v[2:3], s[2:3], v152, s27, 0
	v_mov_b32_e32 v4, v3
	v_mad_u64_u32 v[4:5], s[2:3], v152, s28, v[4:5]
	v_mov_b32_e32 v3, v4
	v_lshl_add_u64 v[2:3], v[2:3], 3, v[136:137]
	global_load_dwordx2 v[4:5], v[2:3], off
	global_load_dwordx2 v[152:153], v[2:3], off offset:512
	s_waitcnt vmcnt(1)
	v_mul_f64 v[2:3], s[20:21], v[4:5]
	s_waitcnt vmcnt(0)
	v_mul_f64 v[4:5], s[20:21], v[152:153]
.LBB192_32:                             ;   in Loop: Header=BB192_20 Depth=1
	s_mov_b32 s2, 0
.LBB192_33:                             ;   Parent Loop BB192_20 Depth=1
                                        ; =>  This Inner Loop Header: Depth=2
	v_add_u32_e32 v184, s2, v147
	v_add_u32_e32 v185, s2, v148
	ds_read2_b64 v[152:155], v184 offset1:16
	ds_read2_b64 v[156:159], v184 offset0:32 offset1:48
	ds_read2_b64 v[160:163], v184 offset0:64 offset1:80
	;; [unrolled: 1-line block ×7, first 2 shown]
	v_add_u32_e32 v216, 0x800, v184
	ds_read2st64_b64 v[184:187], v185 offset1:4
	ds_read2_b64 v[188:191], v216 offset1:16
	ds_read2_b64 v[192:195], v216 offset0:32 offset1:48
	ds_read2_b64 v[196:199], v216 offset0:64 offset1:80
	ds_read2_b64 v[200:203], v216 offset0:96 offset1:112
	ds_read2_b64 v[204:207], v216 offset0:128 offset1:144
	ds_read2_b64 v[208:211], v216 offset0:160 offset1:176
	ds_read2_b64 v[212:215], v216 offset0:192 offset1:208
	ds_read2_b64 v[216:219], v216 offset0:224 offset1:240
	s_waitcnt lgkmcnt(14)
	v_max_f64 v[152:153], v[152:153], v[152:153]
	v_max_f64 v[154:155], v[154:155], v[154:155]
	;; [unrolled: 1-line block ×3, first 2 shown]
	s_waitcnt lgkmcnt(8)
	v_max_f64 v[184:185], v[184:185], v[184:185]
	v_max_f64 v[158:159], v[158:159], v[158:159]
	;; [unrolled: 1-line block ×15, first 2 shown]
	v_min_f64 v[220:221], v[152:153], v[184:185]
	v_min_f64 v[222:223], v[154:155], v[184:185]
	;; [unrolled: 1-line block ×16, first 2 shown]
	s_waitcnt lgkmcnt(7)
	v_max_f64 v[188:189], v[188:189], v[188:189]
	v_max_f64 v[190:191], v[190:191], v[190:191]
	s_waitcnt lgkmcnt(6)
	v_max_f64 v[192:193], v[192:193], v[192:193]
	v_max_f64 v[194:195], v[194:195], v[194:195]
	;; [unrolled: 3-line block ×8, first 2 shown]
	v_min_f64 v[152:153], v[152:153], v[186:187]
	v_min_f64 v[154:155], v[154:155], v[186:187]
	v_min_f64 v[156:157], v[156:157], v[186:187]
	v_min_f64 v[158:159], v[158:159], v[186:187]
	v_min_f64 v[160:161], v[160:161], v[186:187]
	v_min_f64 v[162:163], v[162:163], v[186:187]
	v_min_f64 v[164:165], v[164:165], v[186:187]
	v_min_f64 v[166:167], v[166:167], v[186:187]
	v_min_f64 v[168:169], v[168:169], v[186:187]
	v_min_f64 v[170:171], v[170:171], v[186:187]
	v_min_f64 v[172:173], v[172:173], v[186:187]
	v_min_f64 v[174:175], v[174:175], v[186:187]
	v_min_f64 v[176:177], v[176:177], v[186:187]
	v_min_f64 v[178:179], v[178:179], v[186:187]
	v_min_f64 v[180:181], v[180:181], v[186:187]
	v_min_f64 v[182:183], v[182:183], v[186:187]
	s_add_i32 s2, s2, 8
	v_add_f64 v[132:133], v[132:133], v[220:221]
	v_add_f64 v[130:131], v[130:131], v[222:223]
	;; [unrolled: 1-line block ×15, first 2 shown]
	v_min_f64 v[220:221], v[188:189], v[184:185]
	v_min_f64 v[222:223], v[190:191], v[184:185]
	;; [unrolled: 1-line block ×16, first 2 shown]
	v_add_f64 v[68:69], v[68:69], v[152:153]
	v_add_f64 v[66:67], v[66:67], v[154:155]
	;; [unrolled: 1-line block ×16, first 2 shown]
	v_min_f64 v[152:153], v[188:189], v[186:187]
	v_min_f64 v[154:155], v[190:191], v[186:187]
	;; [unrolled: 1-line block ×16, first 2 shown]
	s_cmp_eq_u32 s2, 32
	v_add_f64 v[102:103], v[102:103], v[250:251]
	v_add_f64 v[100:101], v[100:101], v[220:221]
	;; [unrolled: 1-line block ×33, first 2 shown]
	s_cbranch_scc0 .LBB192_33
; %bb.34:                               ;   in Loop: Header=BB192_20 Depth=1
	s_add_i32 s7, s7, 8
	s_add_i32 s23, s23, 8
	s_cmp_ge_i32 s23, s6
	ds_write2st64_b64 v149, v[0:1], v[138:139] offset1:4
	ds_write2st64_b64 v150, v[2:3], v[4:5] offset1:4
	s_waitcnt lgkmcnt(0)
	s_barrier
	s_cbranch_scc0 .LBB192_20
	s_branch .LBB192_41
.LBB192_35:                             ;   in Loop: Header=BB192_20 Depth=1
	v_mov_b32_e32 v0, s22
	v_mov_b32_e32 v1, s22
	v_mov_b64_e32 v[138:139], 0
	v_add_u32_e32 v152, s7, v142
	s_cbranch_execnz .LBB192_22
.LBB192_36:                             ;   in Loop: Header=BB192_20 Depth=1
	v_mad_u64_u32 v[0:1], s[2:3], v152, s19, 0
	v_mov_b32_e32 v2, v1
	v_mad_u64_u32 v[2:3], s[2:3], v152, s26, v[2:3]
	v_mov_b32_e32 v1, v2
	v_lshl_add_u64 v[0:1], v[0:1], 3, v[134:135]
	global_load_dwordx2 v[2:3], v[0:1], off
	global_load_dwordx2 v[4:5], v[0:1], off offset:512
	s_waitcnt vmcnt(1)
	v_mul_f64 v[0:1], s[20:21], v[2:3]
	s_waitcnt vmcnt(0)
	v_mul_f64 v[138:139], s[20:21], v[4:5]
	s_mov_b64 s[2:3], -1
	s_mov_b64 vcc, s[4:5]
                                        ; implicit-def: $vgpr2_vgpr3_vgpr4_vgpr5
	s_cbranch_vccz .LBB192_23
.LBB192_37:                             ;   in Loop: Header=BB192_20 Depth=1
	v_mov_b32_e32 v2, s22
	v_mov_b32_e32 v3, s22
	v_mov_b64_e32 v[4:5], 0
	s_cbranch_execz .LBB192_24
	s_branch .LBB192_25
.LBB192_38:                             ;   in Loop: Header=BB192_20 Depth=1
	v_mov_b32_e32 v0, s22
	v_mov_b32_e32 v1, s22
	v_mov_b64_e32 v[138:139], 0
	v_add_u32_e32 v152, s7, v144
	s_cbranch_execnz .LBB192_29
.LBB192_39:                             ;   in Loop: Header=BB192_20 Depth=1
	v_mad_u64_u32 v[0:1], s[2:3], v152, s19, 0
	v_mov_b32_e32 v2, v1
	v_mad_u64_u32 v[2:3], s[2:3], v152, s26, v[2:3]
	v_mov_b32_e32 v1, v2
	v_lshl_add_u64 v[0:1], v[0:1], 3, v[134:135]
	global_load_dwordx2 v[2:3], v[0:1], off
	global_load_dwordx2 v[4:5], v[0:1], off offset:512
	s_waitcnt vmcnt(1)
	v_mul_f64 v[0:1], s[20:21], v[2:3]
	s_waitcnt vmcnt(0)
	v_mul_f64 v[138:139], s[20:21], v[4:5]
	s_mov_b64 s[2:3], -1
	s_mov_b64 vcc, s[4:5]
                                        ; implicit-def: $vgpr2_vgpr3_vgpr4_vgpr5
	s_cbranch_vccz .LBB192_30
.LBB192_40:                             ;   in Loop: Header=BB192_20 Depth=1
	v_mov_b32_e32 v2, s22
	v_mov_b32_e32 v3, s22
	v_mov_b64_e32 v[4:5], 0
	s_cbranch_execz .LBB192_31
	s_branch .LBB192_32
.LBB192_41:
	v_mov_b32_e32 v0, 0x1000
	v_lshl_add_u32 v0, v140, 5, v0
	s_mov_b32 s2, 0
.LBB192_42:                             ; =>This Inner Loop Header: Depth=1
	v_add_u32_e32 v1, s2, v0
	v_add_u32_e32 v138, s2, v143
	ds_read2_b64 v[2:5], v1 offset1:16
	ds_read2_b64 v[134:137], v1 offset0:32 offset1:48
	ds_read2_b64 v[144:147], v1 offset0:64 offset1:80
	;; [unrolled: 1-line block ×7, first 2 shown]
	v_add_u32_e32 v1, 0x800, v1
	ds_read2st64_b64 v[168:171], v138 offset1:4
	ds_read2_b64 v[172:175], v1 offset1:16
	ds_read2_b64 v[176:179], v1 offset0:32 offset1:48
	ds_read2_b64 v[180:183], v1 offset0:64 offset1:80
	;; [unrolled: 1-line block ×7, first 2 shown]
	s_waitcnt lgkmcnt(14)
	v_max_f64 v[2:3], v[2:3], v[2:3]
	v_max_f64 v[4:5], v[4:5], v[4:5]
	;; [unrolled: 1-line block ×3, first 2 shown]
	s_waitcnt lgkmcnt(8)
	v_max_f64 v[138:139], v[168:169], v[168:169]
	v_max_f64 v[136:137], v[136:137], v[136:137]
	;; [unrolled: 1-line block ×15, first 2 shown]
	v_min_f64 v[170:171], v[2:3], v[138:139]
	v_min_f64 v[204:205], v[4:5], v[138:139]
	;; [unrolled: 1-line block ×16, first 2 shown]
	s_waitcnt lgkmcnt(7)
	v_max_f64 v[172:173], v[172:173], v[172:173]
	v_max_f64 v[174:175], v[174:175], v[174:175]
	s_waitcnt lgkmcnt(6)
	v_max_f64 v[176:177], v[176:177], v[176:177]
	v_max_f64 v[178:179], v[178:179], v[178:179]
	;; [unrolled: 3-line block ×8, first 2 shown]
	v_min_f64 v[2:3], v[2:3], v[168:169]
	v_min_f64 v[4:5], v[4:5], v[168:169]
	;; [unrolled: 1-line block ×16, first 2 shown]
	s_add_i32 s2, s2, 8
	v_add_f64 v[132:133], v[132:133], v[170:171]
	v_add_f64 v[130:131], v[130:131], v[204:205]
	;; [unrolled: 1-line block ×15, first 2 shown]
	v_min_f64 v[170:171], v[172:173], v[138:139]
	v_min_f64 v[204:205], v[174:175], v[138:139]
	;; [unrolled: 1-line block ×16, first 2 shown]
	v_add_f64 v[68:69], v[68:69], v[2:3]
	v_add_f64 v[66:67], v[66:67], v[4:5]
	;; [unrolled: 1-line block ×16, first 2 shown]
	v_min_f64 v[2:3], v[172:173], v[168:169]
	v_min_f64 v[4:5], v[174:175], v[168:169]
	;; [unrolled: 1-line block ×16, first 2 shown]
	s_cmp_eq_u32 s2, 32
	v_add_f64 v[102:103], v[102:103], v[232:233]
	v_add_f64 v[100:101], v[100:101], v[170:171]
	;; [unrolled: 1-line block ×33, first 2 shown]
	s_cbranch_scc0 .LBB192_42
; %bb.43:
	s_load_dwordx2 s[2:3], s[0:1], 0x78
	s_load_dword s4, s[0:1], 0x58
	s_load_dword s5, s[0:1], 0x70
	v_add_u32_e32 v170, s13, v141
	v_add_u32_e32 v134, s12, v140
	s_waitcnt lgkmcnt(0)
	s_mul_i32 s1, s3, s18
	s_mul_hi_u32 s3, s2, s18
	s_mul_i32 s0, s2, s18
	s_add_i32 s1, s3, s1
	s_lshl_b64 s[0:1], s[0:1], 3
	s_add_u32 s0, s14, s0
	s_addc_u32 s1, s15, s1
	v_mad_i64_i32 v[2:3], s[2:3], v170, s5, 0
	v_add_u32_e32 v0, 4, v134
	v_lshl_add_u64 v[138:139], v[2:3], 3, s[0:1]
	v_mad_i64_i32 v[2:3], s[2:3], v170, s4, 0
	v_ashrrev_i32_e32 v135, 31, v134
	v_ashrrev_i32_e32 v1, 31, v0
	s_mov_b64 s[2:3], -1
	s_mov_b64 vcc, s[8:9]
	s_cbranch_vccz .LBB192_45
; %bb.44:
	v_add_f64 v[4:5], v[132:133], 0
	v_lshl_add_u64 v[136:137], v[134:135], 3, v[138:139]
	s_mov_b64 s[2:3], 0
	global_store_dwordx2 v[136:137], v[4:5], off
.LBB192_45:
	v_lshl_add_u64 v[146:147], v[2:3], 3, s[10:11]
	v_mov_b64_e32 v[4:5], 0
	s_andn2_b64 vcc, exec, s[2:3]
	v_lshlrev_b64 v[136:137], 3, v[134:135]
	s_cbranch_vccnz .LBB192_47
; %bb.46:
	v_lshl_add_u64 v[2:3], v[146:147], 0, v[136:137]
	global_load_dwordx2 v[2:3], v[2:3], off
	v_lshl_add_u64 v[4:5], v[138:139], 0, v[136:137]
	s_waitcnt vmcnt(0)
	v_fmac_f64_e32 v[132:133], s[16:17], v[2:3]
	global_store_dwordx2 v[4:5], v[132:133], off
	v_lshl_add_u64 v[2:3], v[0:1], 3, v[146:147]
	global_load_dwordx2 v[2:3], v[2:3], off
	s_waitcnt vmcnt(0)
	v_mul_f64 v[4:5], s[16:17], v[2:3]
.LBB192_47:
	v_add_u32_e32 v132, 8, v134
	v_add_u32_e32 v2, 12, v134
	v_ashrrev_i32_e32 v133, 31, v132
	v_ashrrev_i32_e32 v3, 31, v2
	v_add_f64 v[4:5], v[130:131], v[4:5]
	v_lshl_add_u64 v[130:131], v[0:1], 3, v[138:139]
	s_mov_b64 s[2:3], -1
	s_mov_b64 vcc, s[8:9]
	global_store_dwordx2 v[130:131], v[4:5], off
	s_cbranch_vccz .LBB192_49
; %bb.48:
	v_add_f64 v[4:5], v[128:129], 0
	v_lshl_add_u64 v[130:131], v[132:133], 3, v[138:139]
	s_mov_b64 s[2:3], 0
	global_store_dwordx2 v[130:131], v[4:5], off
.LBB192_49:
	v_mov_b64_e32 v[140:141], 0
	s_andn2_b64 vcc, exec, s[2:3]
	v_lshlrev_b64 v[130:131], 3, v[132:133]
	s_cbranch_vccnz .LBB192_51
; %bb.50:
	v_lshl_add_u64 v[4:5], v[146:147], 0, v[130:131]
	global_load_dwordx2 v[4:5], v[4:5], off
	v_lshl_add_u64 v[140:141], v[138:139], 0, v[130:131]
	s_waitcnt vmcnt(0)
	v_fmac_f64_e32 v[128:129], s[16:17], v[4:5]
	global_store_dwordx2 v[140:141], v[128:129], off
	v_lshl_add_u64 v[4:5], v[2:3], 3, v[146:147]
	global_load_dwordx2 v[4:5], v[4:5], off
	s_waitcnt vmcnt(0)
	v_mul_f64 v[140:141], s[16:17], v[4:5]
.LBB192_51:
	v_add_u32_e32 v128, 16, v134
	v_add_u32_e32 v4, 20, v134
	v_ashrrev_i32_e32 v129, 31, v128
	v_ashrrev_i32_e32 v5, 31, v4
	v_add_f64 v[126:127], v[126:127], v[140:141]
	v_lshl_add_u64 v[140:141], v[2:3], 3, v[138:139]
	s_mov_b64 s[2:3], -1
	s_mov_b64 vcc, s[8:9]
	global_store_dwordx2 v[140:141], v[126:127], off
	s_cbranch_vccz .LBB192_53
; %bb.52:
	v_add_f64 v[126:127], v[124:125], 0
	v_lshl_add_u64 v[140:141], v[128:129], 3, v[138:139]
	s_mov_b64 s[2:3], 0
	global_store_dwordx2 v[140:141], v[126:127], off
.LBB192_53:
	;; [unrolled: 32-line block ×15, first 2 shown]
	v_mov_b64_e32 v[168:169], 0
	s_andn2_b64 vcc, exec, s[2:3]
	v_lshlrev_b64 v[74:75], 3, v[78:79]
	s_cbranch_vccnz .LBB192_107
; %bb.106:
	v_lshl_add_u64 v[168:169], v[146:147], 0, v[74:75]
	global_load_dwordx2 v[168:169], v[168:169], off
	v_lshl_add_u64 v[172:173], v[138:139], 0, v[74:75]
	s_waitcnt vmcnt(0)
	v_fmac_f64_e32 v[72:73], s[16:17], v[168:169]
	global_store_dwordx2 v[172:173], v[72:73], off
	v_lshl_add_u64 v[72:73], v[76:77], 3, v[146:147]
	global_load_dwordx2 v[72:73], v[72:73], off
	s_waitcnt vmcnt(0)
	v_mul_f64 v[168:169], s[16:17], v[72:73]
.LBB192_107:
	v_add_f64 v[70:71], v[70:71], v[168:169]
	v_lshl_add_u64 v[72:73], v[76:77], 3, v[138:139]
	global_store_dwordx2 v[72:73], v[70:71], off
	v_add_u32_e32 v72, 64, v170
	v_mad_i64_i32 v[70:71], s[2:3], v72, s5, 0
	v_lshl_add_u64 v[70:71], v[70:71], 3, s[0:1]
	v_mad_i64_i32 v[72:73], s[0:1], v72, s4, 0
	s_mov_b64 s[0:1], -1
	s_mov_b64 vcc, s[8:9]
	s_cbranch_vccz .LBB192_109
; %bb.108:
	v_add_f64 v[138:139], v[68:69], 0
	v_lshl_add_u64 v[134:135], v[134:135], 3, v[70:71]
	s_mov_b64 s[0:1], 0
	global_store_dwordx2 v[134:135], v[138:139], off
.LBB192_109:
	v_lshl_add_u64 v[72:73], v[72:73], 3, s[10:11]
	s_andn2_b64 vcc, exec, s[0:1]
	v_mov_b64_e32 v[134:135], 0
	s_cbranch_vccnz .LBB192_111
; %bb.110:
	v_lshl_add_u64 v[134:135], v[72:73], 0, v[136:137]
	global_load_dwordx2 v[134:135], v[134:135], off
	v_lshl_add_u64 v[136:137], v[70:71], 0, v[136:137]
	s_waitcnt vmcnt(0)
	v_fmac_f64_e32 v[68:69], s[16:17], v[134:135]
	global_store_dwordx2 v[136:137], v[68:69], off
	v_lshl_add_u64 v[68:69], v[0:1], 3, v[72:73]
	global_load_dwordx2 v[68:69], v[68:69], off
	s_waitcnt vmcnt(0)
	v_mul_f64 v[134:135], s[16:17], v[68:69]
.LBB192_111:
	v_add_f64 v[66:67], v[66:67], v[134:135]
	v_lshl_add_u64 v[0:1], v[0:1], 3, v[70:71]
	s_mov_b64 s[0:1], -1
	s_mov_b64 vcc, s[8:9]
	global_store_dwordx2 v[0:1], v[66:67], off
	s_cbranch_vccz .LBB192_113
; %bb.112:
	v_add_f64 v[0:1], v[64:65], 0
	v_lshl_add_u64 v[66:67], v[132:133], 3, v[70:71]
	s_mov_b64 s[0:1], 0
	global_store_dwordx2 v[66:67], v[0:1], off
.LBB192_113:
	s_andn2_b64 vcc, exec, s[0:1]
	v_mov_b64_e32 v[0:1], 0
	s_cbranch_vccnz .LBB192_115
; %bb.114:
	v_lshl_add_u64 v[0:1], v[72:73], 0, v[130:131]
	global_load_dwordx2 v[0:1], v[0:1], off
	v_lshl_add_u64 v[66:67], v[70:71], 0, v[130:131]
	s_waitcnt vmcnt(0)
	v_fmac_f64_e32 v[64:65], s[16:17], v[0:1]
	global_store_dwordx2 v[66:67], v[64:65], off
	v_lshl_add_u64 v[0:1], v[2:3], 3, v[72:73]
	global_load_dwordx2 v[0:1], v[0:1], off
	s_waitcnt vmcnt(0)
	v_mul_f64 v[0:1], s[16:17], v[0:1]
.LBB192_115:
	v_add_f64 v[0:1], v[62:63], v[0:1]
	v_lshl_add_u64 v[2:3], v[2:3], 3, v[70:71]
	s_mov_b64 s[0:1], -1
	s_mov_b64 vcc, s[8:9]
	global_store_dwordx2 v[2:3], v[0:1], off
	s_cbranch_vccz .LBB192_117
; %bb.116:
	v_add_f64 v[0:1], v[60:61], 0
	v_lshl_add_u64 v[2:3], v[128:129], 3, v[70:71]
	s_mov_b64 s[0:1], 0
	global_store_dwordx2 v[2:3], v[0:1], off
.LBB192_117:
	;; [unrolled: 27-line block ×14, first 2 shown]
	s_andn2_b64 vcc, exec, s[0:1]
	v_mov_b64_e32 v[0:1], 0
	s_cbranch_vccnz .LBB192_167
; %bb.166:
	v_lshl_add_u64 v[0:1], v[72:73], 0, v[166:167]
	global_load_dwordx2 v[0:1], v[0:1], off
	v_lshl_add_u64 v[2:3], v[70:71], 0, v[166:167]
	s_waitcnt vmcnt(0)
	v_fmac_f64_e32 v[12:13], s[16:17], v[0:1]
	global_store_dwordx2 v[2:3], v[12:13], off
	v_lshl_add_u64 v[0:1], v[80:81], 3, v[72:73]
	global_load_dwordx2 v[0:1], v[0:1], off
	s_waitcnt vmcnt(0)
	v_mul_f64 v[0:1], s[16:17], v[0:1]
.LBB192_167:
	v_add_f64 v[0:1], v[10:11], v[0:1]
	v_lshl_add_u64 v[2:3], v[80:81], 3, v[70:71]
	s_mov_b64 s[0:1], -1
	s_mov_b64 vcc, s[8:9]
	global_store_dwordx2 v[2:3], v[0:1], off
	s_cbranch_vccnz .LBB192_170
; %bb.168:
	s_andn2_b64 vcc, exec, s[0:1]
	v_mov_b64_e32 v[0:1], 0
	s_cbranch_vccz .LBB192_171
.LBB192_169:
	v_add_f64 v[0:1], v[6:7], v[0:1]
	v_lshl_add_u64 v[2:3], v[76:77], 3, v[70:71]
	global_store_dwordx2 v[2:3], v[0:1], off
	s_endpgm
.LBB192_170:
	v_add_f64 v[0:1], v[8:9], 0
	v_lshl_add_u64 v[2:3], v[78:79], 3, v[70:71]
	global_store_dwordx2 v[2:3], v[0:1], off
	v_mov_b64_e32 v[0:1], 0
	s_cbranch_execnz .LBB192_169
.LBB192_171:
	v_lshl_add_u64 v[0:1], v[72:73], 0, v[74:75]
	global_load_dwordx2 v[0:1], v[0:1], off
	v_lshl_add_u64 v[2:3], v[70:71], 0, v[74:75]
	s_waitcnt vmcnt(0)
	v_fmac_f64_e32 v[8:9], s[16:17], v[0:1]
	global_store_dwordx2 v[2:3], v[8:9], off
	v_lshl_add_u64 v[0:1], v[76:77], 3, v[72:73]
	global_load_dwordx2 v[0:1], v[0:1], off
	s_waitcnt vmcnt(0)
	v_mul_f64 v[0:1], s[16:17], v[0:1]
	v_add_f64 v[0:1], v[6:7], v[0:1]
	v_lshl_add_u64 v[2:3], v[76:77], 3, v[70:71]
	global_store_dwordx2 v[2:3], v[0:1], off
	s_endpgm
	.section	.rodata,"a",@progbits
	.p2align	6, 0x0
	.amdhsa_kernel _ZN12_GLOBAL__N_120geam_min_plus_kernelIdddLi4ELi64ELi128ELi128ELi4ELi64ELi4ELi64ELi4ELc78ELc84ELb0ELb0ELb0EPKdS1_dEEviiiT16_PT17_ilS5_ilS3_S5_ilPT18_ili26rocblas_geam_ex_operation_
		.amdhsa_group_segment_fixed_size 16384
		.amdhsa_private_segment_fixed_size 0
		.amdhsa_kernarg_size 136
		.amdhsa_user_sgpr_count 2
		.amdhsa_user_sgpr_dispatch_ptr 0
		.amdhsa_user_sgpr_queue_ptr 0
		.amdhsa_user_sgpr_kernarg_segment_ptr 1
		.amdhsa_user_sgpr_dispatch_id 0
		.amdhsa_user_sgpr_kernarg_preload_length 0
		.amdhsa_user_sgpr_kernarg_preload_offset 0
		.amdhsa_user_sgpr_private_segment_size 0
		.amdhsa_uses_dynamic_stack 0
		.amdhsa_enable_private_segment 0
		.amdhsa_system_sgpr_workgroup_id_x 1
		.amdhsa_system_sgpr_workgroup_id_y 0
		.amdhsa_system_sgpr_workgroup_id_z 1
		.amdhsa_system_sgpr_workgroup_info 0
		.amdhsa_system_vgpr_workitem_id 1
		.amdhsa_next_free_vgpr 252
		.amdhsa_next_free_sgpr 30
		.amdhsa_accum_offset 252
		.amdhsa_reserve_vcc 1
		.amdhsa_float_round_mode_32 0
		.amdhsa_float_round_mode_16_64 0
		.amdhsa_float_denorm_mode_32 3
		.amdhsa_float_denorm_mode_16_64 3
		.amdhsa_dx10_clamp 1
		.amdhsa_ieee_mode 1
		.amdhsa_fp16_overflow 0
		.amdhsa_tg_split 0
		.amdhsa_exception_fp_ieee_invalid_op 0
		.amdhsa_exception_fp_denorm_src 0
		.amdhsa_exception_fp_ieee_div_zero 0
		.amdhsa_exception_fp_ieee_overflow 0
		.amdhsa_exception_fp_ieee_underflow 0
		.amdhsa_exception_fp_ieee_inexact 0
		.amdhsa_exception_int_div_zero 0
	.end_amdhsa_kernel
	.section	.text._ZN12_GLOBAL__N_120geam_min_plus_kernelIdddLi4ELi64ELi128ELi128ELi4ELi64ELi4ELi64ELi4ELc78ELc84ELb0ELb0ELb0EPKdS1_dEEviiiT16_PT17_ilS5_ilS3_S5_ilPT18_ili26rocblas_geam_ex_operation_,"axG",@progbits,_ZN12_GLOBAL__N_120geam_min_plus_kernelIdddLi4ELi64ELi128ELi128ELi4ELi64ELi4ELi64ELi4ELc78ELc84ELb0ELb0ELb0EPKdS1_dEEviiiT16_PT17_ilS5_ilS3_S5_ilPT18_ili26rocblas_geam_ex_operation_,comdat
.Lfunc_end192:
	.size	_ZN12_GLOBAL__N_120geam_min_plus_kernelIdddLi4ELi64ELi128ELi128ELi4ELi64ELi4ELi64ELi4ELc78ELc84ELb0ELb0ELb0EPKdS1_dEEviiiT16_PT17_ilS5_ilS3_S5_ilPT18_ili26rocblas_geam_ex_operation_, .Lfunc_end192-_ZN12_GLOBAL__N_120geam_min_plus_kernelIdddLi4ELi64ELi128ELi128ELi4ELi64ELi4ELi64ELi4ELc78ELc84ELb0ELb0ELb0EPKdS1_dEEviiiT16_PT17_ilS5_ilS3_S5_ilPT18_ili26rocblas_geam_ex_operation_
                                        ; -- End function
	.set _ZN12_GLOBAL__N_120geam_min_plus_kernelIdddLi4ELi64ELi128ELi128ELi4ELi64ELi4ELi64ELi4ELc78ELc84ELb0ELb0ELb0EPKdS1_dEEviiiT16_PT17_ilS5_ilS3_S5_ilPT18_ili26rocblas_geam_ex_operation_.num_vgpr, 252
	.set _ZN12_GLOBAL__N_120geam_min_plus_kernelIdddLi4ELi64ELi128ELi128ELi4ELi64ELi4ELi64ELi4ELc78ELc84ELb0ELb0ELb0EPKdS1_dEEviiiT16_PT17_ilS5_ilS3_S5_ilPT18_ili26rocblas_geam_ex_operation_.num_agpr, 0
	.set _ZN12_GLOBAL__N_120geam_min_plus_kernelIdddLi4ELi64ELi128ELi128ELi4ELi64ELi4ELi64ELi4ELc78ELc84ELb0ELb0ELb0EPKdS1_dEEviiiT16_PT17_ilS5_ilS3_S5_ilPT18_ili26rocblas_geam_ex_operation_.numbered_sgpr, 30
	.set _ZN12_GLOBAL__N_120geam_min_plus_kernelIdddLi4ELi64ELi128ELi128ELi4ELi64ELi4ELi64ELi4ELc78ELc84ELb0ELb0ELb0EPKdS1_dEEviiiT16_PT17_ilS5_ilS3_S5_ilPT18_ili26rocblas_geam_ex_operation_.num_named_barrier, 0
	.set _ZN12_GLOBAL__N_120geam_min_plus_kernelIdddLi4ELi64ELi128ELi128ELi4ELi64ELi4ELi64ELi4ELc78ELc84ELb0ELb0ELb0EPKdS1_dEEviiiT16_PT17_ilS5_ilS3_S5_ilPT18_ili26rocblas_geam_ex_operation_.private_seg_size, 0
	.set _ZN12_GLOBAL__N_120geam_min_plus_kernelIdddLi4ELi64ELi128ELi128ELi4ELi64ELi4ELi64ELi4ELc78ELc84ELb0ELb0ELb0EPKdS1_dEEviiiT16_PT17_ilS5_ilS3_S5_ilPT18_ili26rocblas_geam_ex_operation_.uses_vcc, 1
	.set _ZN12_GLOBAL__N_120geam_min_plus_kernelIdddLi4ELi64ELi128ELi128ELi4ELi64ELi4ELi64ELi4ELc78ELc84ELb0ELb0ELb0EPKdS1_dEEviiiT16_PT17_ilS5_ilS3_S5_ilPT18_ili26rocblas_geam_ex_operation_.uses_flat_scratch, 0
	.set _ZN12_GLOBAL__N_120geam_min_plus_kernelIdddLi4ELi64ELi128ELi128ELi4ELi64ELi4ELi64ELi4ELc78ELc84ELb0ELb0ELb0EPKdS1_dEEviiiT16_PT17_ilS5_ilS3_S5_ilPT18_ili26rocblas_geam_ex_operation_.has_dyn_sized_stack, 0
	.set _ZN12_GLOBAL__N_120geam_min_plus_kernelIdddLi4ELi64ELi128ELi128ELi4ELi64ELi4ELi64ELi4ELc78ELc84ELb0ELb0ELb0EPKdS1_dEEviiiT16_PT17_ilS5_ilS3_S5_ilPT18_ili26rocblas_geam_ex_operation_.has_recursion, 0
	.set _ZN12_GLOBAL__N_120geam_min_plus_kernelIdddLi4ELi64ELi128ELi128ELi4ELi64ELi4ELi64ELi4ELc78ELc84ELb0ELb0ELb0EPKdS1_dEEviiiT16_PT17_ilS5_ilS3_S5_ilPT18_ili26rocblas_geam_ex_operation_.has_indirect_call, 0
	.section	.AMDGPU.csdata,"",@progbits
; Kernel info:
; codeLenInByte = 13088
; TotalNumSgprs: 36
; NumVgprs: 252
; NumAgprs: 0
; TotalNumVgprs: 252
; ScratchSize: 0
; MemoryBound: 0
; FloatMode: 240
; IeeeMode: 1
; LDSByteSize: 16384 bytes/workgroup (compile time only)
; SGPRBlocks: 4
; VGPRBlocks: 31
; NumSGPRsForWavesPerEU: 36
; NumVGPRsForWavesPerEU: 252
; AccumOffset: 252
; Occupancy: 2
; WaveLimiterHint : 1
; COMPUTE_PGM_RSRC2:SCRATCH_EN: 0
; COMPUTE_PGM_RSRC2:USER_SGPR: 2
; COMPUTE_PGM_RSRC2:TRAP_HANDLER: 0
; COMPUTE_PGM_RSRC2:TGID_X_EN: 1
; COMPUTE_PGM_RSRC2:TGID_Y_EN: 0
; COMPUTE_PGM_RSRC2:TGID_Z_EN: 1
; COMPUTE_PGM_RSRC2:TIDIG_COMP_CNT: 1
; COMPUTE_PGM_RSRC3_GFX90A:ACCUM_OFFSET: 62
; COMPUTE_PGM_RSRC3_GFX90A:TG_SPLIT: 0
	.section	.text._ZN12_GLOBAL__N_120geam_min_plus_kernelIdddLi4ELi64ELi128ELi128ELi4ELi64ELi4ELi64ELi4ELc78ELc84ELb1ELb0ELb0EdKddEEviiiT16_PT17_ilS4_ilS2_S4_ilPT18_ili26rocblas_geam_ex_operation_,"axG",@progbits,_ZN12_GLOBAL__N_120geam_min_plus_kernelIdddLi4ELi64ELi128ELi128ELi4ELi64ELi4ELi64ELi4ELc78ELc84ELb1ELb0ELb0EdKddEEviiiT16_PT17_ilS4_ilS2_S4_ilPT18_ili26rocblas_geam_ex_operation_,comdat
	.globl	_ZN12_GLOBAL__N_120geam_min_plus_kernelIdddLi4ELi64ELi128ELi128ELi4ELi64ELi4ELi64ELi4ELc78ELc84ELb1ELb0ELb0EdKddEEviiiT16_PT17_ilS4_ilS2_S4_ilPT18_ili26rocblas_geam_ex_operation_ ; -- Begin function _ZN12_GLOBAL__N_120geam_min_plus_kernelIdddLi4ELi64ELi128ELi128ELi4ELi64ELi4ELi64ELi4ELc78ELc84ELb1ELb0ELb0EdKddEEviiiT16_PT17_ilS4_ilS2_S4_ilPT18_ili26rocblas_geam_ex_operation_
	.p2align	8
	.type	_ZN12_GLOBAL__N_120geam_min_plus_kernelIdddLi4ELi64ELi128ELi128ELi4ELi64ELi4ELi64ELi4ELc78ELc84ELb1ELb0ELb0EdKddEEviiiT16_PT17_ilS4_ilS2_S4_ilPT18_ili26rocblas_geam_ex_operation_,@function
_ZN12_GLOBAL__N_120geam_min_plus_kernelIdddLi4ELi64ELi128ELi128ELi4ELi64ELi4ELi64ELi4ELc78ELc84ELb1ELb0ELb0EdKddEEviiiT16_PT17_ilS4_ilS2_S4_ilPT18_ili26rocblas_geam_ex_operation_: ; @_ZN12_GLOBAL__N_120geam_min_plus_kernelIdddLi4ELi64ELi128ELi128ELi4ELi64ELi4ELi64ELi4ELc78ELc84ELb1ELb0ELb0EdKddEEviiiT16_PT17_ilS4_ilS2_S4_ilPT18_ili26rocblas_geam_ex_operation_
; %bb.0:
	s_load_dwordx4 s[4:7], s[0:1], 0x10
	s_load_dwordx4 s[8:11], s[0:1], 0x28
	s_mov_b64 s[14:15], 0
	s_waitcnt lgkmcnt(0)
	v_cmp_eq_f64_e64 s[12:13], s[4:5], 0
	s_and_b64 vcc, exec, s[12:13]
	s_cbranch_vccnz .LBB193_2
; %bb.1:
	s_mul_i32 s4, s9, s3
	s_mul_hi_u32 s5, s8, s3
	s_add_i32 s5, s5, s4
	s_mul_i32 s4, s8, s3
	s_lshl_b64 s[4:5], s[4:5], 3
	s_add_u32 s14, s6, s4
	s_addc_u32 s15, s7, s5
.LBB193_2:
	s_load_dwordx4 s[4:7], s[0:1], 0x40
	s_load_dwordx2 s[18:19], s[0:1], 0x50
	s_andn2_b64 vcc, exec, s[12:13]
	s_mov_b64 s[8:9], -1
	s_cbranch_vccnz .LBB193_4
; %bb.3:
	s_mov_b64 s[8:9], 0
.LBB193_4:
	s_mov_b64 s[12:13], 0
	s_andn2_b64 vcc, exec, s[8:9]
	s_mov_b64 s[16:17], 0
	s_cbranch_vccnz .LBB193_6
; %bb.5:
	s_waitcnt lgkmcnt(0)
	s_mul_i32 s5, s5, s3
	s_mul_hi_u32 s8, s4, s3
	s_add_i32 s5, s8, s5
	s_mul_i32 s4, s4, s3
	s_lshl_b64 s[4:5], s[4:5], 3
	s_add_u32 s16, s10, s4
	s_addc_u32 s17, s11, s5
.LBB193_6:
	s_load_dwordx4 s[8:11], s[0:1], 0x60
	s_waitcnt lgkmcnt(0)
	v_cmp_eq_f64_e64 s[4:5], s[6:7], 0
	s_and_b64 s[4:5], exec, s[4:5]
	s_mov_b64 vcc, s[4:5]
	s_cbranch_vccnz .LBB193_8
; %bb.7:
	s_mul_i32 s9, s9, s3
	s_mul_hi_u32 s12, s8, s3
	s_add_i32 s9, s12, s9
	s_mul_i32 s8, s8, s3
	s_lshl_b64 s[8:9], s[8:9], 3
	s_add_u32 s12, s18, s8
	s_addc_u32 s13, s19, s9
.LBB193_8:
	s_load_dword s8, s[0:1], 0x0
	s_load_dword s19, s[0:1], 0x20
	;; [unrolled: 1-line block ×3, first 2 shown]
	v_and_b32_e32 v140, 0x3ff, v0
	v_bfe_u32 v141, v0, 10, 10
	s_waitcnt lgkmcnt(0)
	s_add_i32 s8, s8, -1
	s_ashr_i32 s9, s8, 31
	s_lshr_b32 s9, s9, 25
	s_add_i32 s8, s8, s9
	s_ashr_i32 s8, s8, 7
	s_add_i32 s9, s8, 1
	v_cvt_f32_u32_e32 v1, s9
	s_not_b32 s8, s8
	s_ashr_i32 s21, s19, 31
	s_ashr_i32 s22, s20, 31
	v_rcp_iflag_f32_e32 v0, v1
	v_lshl_add_u32 v1, v141, 2, v140
	v_and_b32_e32 v143, 63, v1
	v_lshrrev_b32_e32 v142, 6, v1
	v_mul_f32_e32 v0, 0x4f7ffffe, v0
	v_cvt_u32_f32_e32 v0, v0
	v_add_u32_e32 v146, 4, v142
	v_lshlrev_b32_e32 v152, 5, v141
	v_mov_b64_e32 v[126:127], 0
	v_readfirstlane_b32 s18, v0
	s_mul_i32 s8, s8, s18
	s_mul_hi_u32 s8, s18, s8
	s_add_i32 s18, s18, s8
	s_mul_hi_u32 s8, s2, s18
	s_mul_i32 s18, s8, s9
	s_sub_i32 s18, s2, s18
	s_add_i32 s23, s8, 1
	s_sub_i32 s24, s18, s9
	s_cmp_ge_u32 s18, s9
	s_cselect_b32 s8, s23, s8
	s_cselect_b32 s18, s24, s18
	s_add_i32 s23, s8, 1
	s_cmp_ge_u32 s18, s9
	s_cselect_b32 s8, s23, s8
	s_mul_i32 s9, s8, s9
	s_lshl_b32 s18, s8, 7
	s_sub_i32 s2, s2, s9
	v_or_b32_e32 v130, s18, v143
	s_lshl_b32 s2, s2, 7
	v_mad_i64_i32 v[2:3], s[8:9], s20, v142, 0
	v_ashrrev_i32_e32 v131, 31, v130
	v_or_b32_e32 v128, s2, v143
	v_lshl_add_u64 v[2:3], v[2:3], 3, s[16:17]
	v_lshlrev_b64 v[4:5], 3, v[130:131]
	v_mad_i64_i32 v[0:1], s[8:9], s19, v142, 0
	v_ashrrev_i32_e32 v129, 31, v128
	v_lshl_add_u64 v[2:3], v[2:3], 0, v[4:5]
	v_lshl_add_u64 v[0:1], v[0:1], 3, s[14:15]
	global_load_dwordx2 v[6:7], v[2:3], off
	global_load_dwordx2 v[8:9], v[2:3], off offset:512
	v_lshlrev_b64 v[2:3], 3, v[128:129]
	v_lshl_add_u64 v[0:1], v[0:1], 0, v[2:3]
	global_load_dwordx2 v[10:11], v[0:1], off
	global_load_dwordx2 v[12:13], v[0:1], off offset:512
	v_lshlrev_b32_e32 v0, 5, v143
	v_lshl_add_u32 v147, v142, 3, v0
	v_mad_i64_i32 v[0:1], s[24:25], s19, v146, 0
	v_mad_i64_i32 v[14:15], s[24:25], s20, v146, 0
	v_lshl_add_u64 v[0:1], v[0:1], 3, s[14:15]
	v_lshl_add_u64 v[14:15], v[14:15], 3, s[16:17]
	;; [unrolled: 1-line block ×4, first 2 shown]
	global_load_dwordx2 v[132:133], v[4:5], off
	global_load_dwordx2 v[134:135], v[4:5], off offset:512
	global_load_dwordx2 v[136:137], v[0:1], off
	global_load_dwordx2 v[138:139], v[0:1], off offset:512
	s_mov_b32 s8, 0
	v_mov_b64_e32 v[124:125], 0
	v_mov_b64_e32 v[122:123], 0
	;; [unrolled: 1-line block ×20, first 2 shown]
	v_lshlrev_b32_e32 v144, 5, v140
	v_add_u32_e32 v145, 0x2000, v152
	v_or_b32_e32 v148, 0x2000, v147
	v_mov_b64_e32 v[86:87], 0
	v_mov_b64_e32 v[82:83], 0
	;; [unrolled: 1-line block ×29, first 2 shown]
	s_waitcnt vmcnt(6)
	ds_write2st64_b64 v147, v[6:7], v[8:9] offset0:16 offset1:20
	s_waitcnt vmcnt(4)
	ds_write2st64_b64 v147, v[10:11], v[12:13] offset1:4
	v_mov_b64_e32 v[26:27], 0
	v_mov_b64_e32 v[24:25], 0
	v_mov_b64_e32 v[22:23], 0
	v_mov_b64_e32 v[20:21], 0
	v_mov_b64_e32 v[18:19], 0
	v_mov_b64_e32 v[16:17], 0
	v_mov_b64_e32 v[14:15], 0
	v_mov_b64_e32 v[12:13], 0
	v_mov_b64_e32 v[10:11], 0
	v_mov_b64_e32 v[8:9], 0
	v_mov_b64_e32 v[6:7], 0
	v_mov_b64_e32 v[4:5], 0
	v_mov_b64_e32 v[2:3], 0
	v_mov_b64_e32 v[0:1], 0
	s_waitcnt lgkmcnt(0)
	s_barrier
.LBB193_9:                              ; =>This Inner Loop Header: Depth=1
	v_add_u32_e32 v149, s8, v144
	v_add_u32_e32 v150, s8, v145
	ds_read2_b64 v[154:157], v149 offset1:16
	ds_read2_b64 v[158:161], v149 offset0:32 offset1:48
	ds_read2_b64 v[162:165], v149 offset0:64 offset1:80
	;; [unrolled: 1-line block ×7, first 2 shown]
	ds_read2st64_b64 v[186:189], v150 offset1:4
	v_add_u32_e32 v149, 0x800, v149
	ds_read2_b64 v[190:193], v149 offset1:16
	ds_read2_b64 v[194:197], v149 offset0:32 offset1:48
	ds_read2_b64 v[198:201], v149 offset0:64 offset1:80
	;; [unrolled: 1-line block ×7, first 2 shown]
	s_waitcnt lgkmcnt(14)
	v_max_f64 v[150:151], v[154:155], v[154:155]
	v_max_f64 v[154:155], v[156:157], v[156:157]
	;; [unrolled: 1-line block ×6, first 2 shown]
	s_waitcnt lgkmcnt(13)
	v_max_f64 v[164:165], v[166:167], v[166:167]
	v_max_f64 v[166:167], v[168:169], v[168:169]
	s_waitcnt lgkmcnt(12)
	v_max_f64 v[168:169], v[170:171], v[170:171]
	v_max_f64 v[170:171], v[172:173], v[172:173]
	;; [unrolled: 3-line block ×14, first 2 shown]
	v_min_f64 v[220:221], v[150:151], v[184:185]
	v_min_f64 v[222:223], v[154:155], v[184:185]
	;; [unrolled: 1-line block ×32, first 2 shown]
	s_add_i32 s8, s8, 8
	v_add_f64 v[62:63], v[62:63], v[150:151]
	v_add_f64 v[60:61], v[60:61], v[154:155]
	;; [unrolled: 1-line block ×16, first 2 shown]
	v_min_f64 v[150:151], v[188:189], v[184:185]
	v_min_f64 v[154:155], v[190:191], v[184:185]
	;; [unrolled: 1-line block ×32, first 2 shown]
	s_cmp_eq_u32 s8, 32
	v_add_f64 v[126:127], v[126:127], v[220:221]
	v_add_f64 v[124:125], v[124:125], v[222:223]
	;; [unrolled: 1-line block ×48, first 2 shown]
	s_cbranch_scc0 .LBB193_9
; %bb.10:
	s_load_dword s23, s[0:1], 0x8
	v_lshlrev_b32_e32 v149, 3, v142
	v_lshl_add_u32 v150, v143, 5, v149
	s_waitcnt vmcnt(0)
	ds_write2st64_b64 v150, v[136:137], v[138:139] offset0:8 offset1:12
	ds_write2st64_b64 v150, v[132:133], v[134:135] offset0:24 offset1:28
	s_waitcnt lgkmcnt(0)
	s_cmp_gt_i32 s23, 8
	s_barrier
	s_cbranch_scc1 .LBB193_12
; %bb.11:
	v_add_u32_e32 v143, 0x3000, v152
	s_cbranch_execz .LBB193_13
	s_branch .LBB193_19
.LBB193_12:
                                        ; implicit-def: $vgpr143
.LBB193_13:
	v_mov_b32_e32 v132, 0x1000
	v_or_b32_e32 v149, 0x1000, v150
	v_or_b32_e32 v150, 0x3000, v150
	s_add_i32 s8, s23, -8
	v_lshl_add_u32 v151, v140, 5, v132
	v_lshl_add_u64 v[128:129], v[128:129], 3, s[14:15]
	v_lshl_add_u64 v[130:131], v[130:131], 3, s[16:17]
	v_add_u32_e32 v143, 0x3000, v152
	s_mov_b32 s9, 8
	s_mov_b32 s14, 0
.LBB193_14:                             ; =>This Loop Header: Depth=1
                                        ;     Child Loop BB193_15 Depth 2
                                        ;     Child Loop BB193_17 Depth 2
	v_add_u32_e32 v139, s9, v142
	v_mad_u64_u32 v[132:133], s[16:17], v139, s19, 0
	v_mad_u64_u32 v[136:137], s[16:17], v139, s20, 0
	v_mov_b32_e32 v134, v133
	v_mov_b32_e32 v138, v137
	v_mad_u64_u32 v[134:135], s[16:17], v139, s21, v[134:135]
	v_mad_u64_u32 v[138:139], s[16:17], v139, s22, v[138:139]
	v_mov_b32_e32 v133, v134
	v_mov_b32_e32 v137, v138
	v_lshl_add_u64 v[134:135], v[132:133], 3, v[128:129]
	v_lshl_add_u64 v[138:139], v[136:137], 3, v[130:131]
	global_load_dwordx2 v[132:133], v[134:135], off
	s_nop 0
	global_load_dwordx2 v[134:135], v[134:135], off offset:512
	s_nop 0
	global_load_dwordx2 v[136:137], v[138:139], off
	s_nop 0
	global_load_dwordx2 v[138:139], v[138:139], off offset:512
	s_mov_b32 s15, 0
.LBB193_15:                             ;   Parent Loop BB193_14 Depth=1
                                        ; =>  This Inner Loop Header: Depth=2
	v_add_u32_e32 v184, s15, v151
	v_add_u32_e32 v185, s15, v143
	ds_read2_b64 v[152:155], v184 offset1:16
	ds_read2_b64 v[156:159], v184 offset0:32 offset1:48
	ds_read2_b64 v[160:163], v184 offset0:64 offset1:80
	;; [unrolled: 1-line block ×7, first 2 shown]
	v_add_u32_e32 v216, 0x800, v184
	ds_read2st64_b64 v[184:187], v185 offset1:4
	ds_read2_b64 v[188:191], v216 offset1:16
	ds_read2_b64 v[192:195], v216 offset0:32 offset1:48
	ds_read2_b64 v[196:199], v216 offset0:64 offset1:80
	;; [unrolled: 1-line block ×7, first 2 shown]
	s_waitcnt lgkmcnt(14)
	v_max_f64 v[152:153], v[152:153], v[152:153]
	v_max_f64 v[154:155], v[154:155], v[154:155]
	;; [unrolled: 1-line block ×3, first 2 shown]
	s_waitcnt lgkmcnt(8)
	v_max_f64 v[184:185], v[184:185], v[184:185]
	v_max_f64 v[158:159], v[158:159], v[158:159]
	;; [unrolled: 1-line block ×15, first 2 shown]
	v_min_f64 v[220:221], v[152:153], v[184:185]
	v_min_f64 v[222:223], v[154:155], v[184:185]
	;; [unrolled: 1-line block ×16, first 2 shown]
	s_waitcnt lgkmcnt(7)
	v_max_f64 v[188:189], v[188:189], v[188:189]
	v_max_f64 v[190:191], v[190:191], v[190:191]
	s_waitcnt lgkmcnt(6)
	v_max_f64 v[192:193], v[192:193], v[192:193]
	v_max_f64 v[194:195], v[194:195], v[194:195]
	;; [unrolled: 3-line block ×8, first 2 shown]
	v_min_f64 v[152:153], v[152:153], v[186:187]
	v_min_f64 v[154:155], v[154:155], v[186:187]
	;; [unrolled: 1-line block ×16, first 2 shown]
	s_add_i32 s15, s15, 8
	v_add_f64 v[126:127], v[126:127], v[220:221]
	v_add_f64 v[124:125], v[124:125], v[222:223]
	;; [unrolled: 1-line block ×15, first 2 shown]
	v_min_f64 v[220:221], v[188:189], v[184:185]
	v_min_f64 v[222:223], v[190:191], v[184:185]
	;; [unrolled: 1-line block ×16, first 2 shown]
	v_add_f64 v[62:63], v[62:63], v[152:153]
	v_add_f64 v[60:61], v[60:61], v[154:155]
	;; [unrolled: 1-line block ×16, first 2 shown]
	v_min_f64 v[152:153], v[188:189], v[186:187]
	v_min_f64 v[154:155], v[190:191], v[186:187]
	;; [unrolled: 1-line block ×16, first 2 shown]
	s_cmp_eq_u32 s15, 32
	v_add_f64 v[96:97], v[96:97], v[250:251]
	v_add_f64 v[94:95], v[94:95], v[220:221]
	;; [unrolled: 1-line block ×33, first 2 shown]
	s_cbranch_scc0 .LBB193_15
; %bb.16:                               ;   in Loop: Header=BB193_14 Depth=1
	s_waitcnt vmcnt(2)
	ds_write2st64_b64 v147, v[132:133], v[134:135] offset1:4
	s_waitcnt vmcnt(0)
	ds_write2st64_b64 v148, v[136:137], v[138:139] offset1:4
	v_add_u32_e32 v139, s9, v146
	v_mad_u64_u32 v[132:133], s[16:17], v139, s19, 0
	v_mad_u64_u32 v[136:137], s[16:17], v139, s20, 0
	v_mov_b32_e32 v134, v133
	v_mov_b32_e32 v138, v137
	v_mad_u64_u32 v[134:135], s[16:17], v139, s21, v[134:135]
	v_mad_u64_u32 v[138:139], s[16:17], v139, s22, v[138:139]
	v_mov_b32_e32 v133, v134
	v_mov_b32_e32 v137, v138
	v_lshl_add_u64 v[134:135], v[132:133], 3, v[128:129]
	v_lshl_add_u64 v[138:139], v[136:137], 3, v[130:131]
	s_waitcnt lgkmcnt(0)
	s_barrier
	global_load_dwordx2 v[132:133], v[134:135], off
	s_nop 0
	global_load_dwordx2 v[134:135], v[134:135], off offset:512
	s_nop 0
	global_load_dwordx2 v[136:137], v[138:139], off
	s_nop 0
	global_load_dwordx2 v[138:139], v[138:139], off offset:512
	s_mov_b32 s15, 0
.LBB193_17:                             ;   Parent Loop BB193_14 Depth=1
                                        ; =>  This Inner Loop Header: Depth=2
	v_add_u32_e32 v184, s15, v144
	v_add_u32_e32 v185, s15, v145
	ds_read2_b64 v[152:155], v184 offset1:16
	ds_read2_b64 v[156:159], v184 offset0:32 offset1:48
	ds_read2_b64 v[160:163], v184 offset0:64 offset1:80
	;; [unrolled: 1-line block ×7, first 2 shown]
	v_add_u32_e32 v216, 0x800, v184
	ds_read2st64_b64 v[184:187], v185 offset1:4
	ds_read2_b64 v[188:191], v216 offset1:16
	ds_read2_b64 v[192:195], v216 offset0:32 offset1:48
	ds_read2_b64 v[196:199], v216 offset0:64 offset1:80
	;; [unrolled: 1-line block ×7, first 2 shown]
	s_waitcnt lgkmcnt(14)
	v_max_f64 v[152:153], v[152:153], v[152:153]
	v_max_f64 v[154:155], v[154:155], v[154:155]
	;; [unrolled: 1-line block ×3, first 2 shown]
	s_waitcnt lgkmcnt(8)
	v_max_f64 v[184:185], v[184:185], v[184:185]
	v_max_f64 v[158:159], v[158:159], v[158:159]
	;; [unrolled: 1-line block ×15, first 2 shown]
	v_min_f64 v[220:221], v[152:153], v[184:185]
	v_min_f64 v[222:223], v[154:155], v[184:185]
	;; [unrolled: 1-line block ×16, first 2 shown]
	s_waitcnt lgkmcnt(7)
	v_max_f64 v[188:189], v[188:189], v[188:189]
	v_max_f64 v[190:191], v[190:191], v[190:191]
	s_waitcnt lgkmcnt(6)
	v_max_f64 v[192:193], v[192:193], v[192:193]
	v_max_f64 v[194:195], v[194:195], v[194:195]
	;; [unrolled: 3-line block ×8, first 2 shown]
	v_min_f64 v[152:153], v[152:153], v[186:187]
	v_min_f64 v[154:155], v[154:155], v[186:187]
	;; [unrolled: 1-line block ×16, first 2 shown]
	s_add_i32 s15, s15, 8
	v_add_f64 v[126:127], v[126:127], v[220:221]
	v_add_f64 v[124:125], v[124:125], v[222:223]
	;; [unrolled: 1-line block ×15, first 2 shown]
	v_min_f64 v[220:221], v[188:189], v[184:185]
	v_min_f64 v[222:223], v[190:191], v[184:185]
	;; [unrolled: 1-line block ×16, first 2 shown]
	v_add_f64 v[62:63], v[62:63], v[152:153]
	v_add_f64 v[60:61], v[60:61], v[154:155]
	;; [unrolled: 1-line block ×16, first 2 shown]
	v_min_f64 v[152:153], v[188:189], v[186:187]
	v_min_f64 v[154:155], v[190:191], v[186:187]
	;; [unrolled: 1-line block ×16, first 2 shown]
	s_cmp_eq_u32 s15, 32
	v_add_f64 v[96:97], v[96:97], v[250:251]
	v_add_f64 v[94:95], v[94:95], v[220:221]
	;; [unrolled: 1-line block ×33, first 2 shown]
	s_cbranch_scc0 .LBB193_17
; %bb.18:                               ;   in Loop: Header=BB193_14 Depth=1
	s_add_i32 s9, s9, 8
	s_add_i32 s14, s14, 8
	s_cmp_ge_i32 s14, s8
	s_waitcnt vmcnt(2)
	ds_write2st64_b64 v149, v[132:133], v[134:135] offset1:4
	s_waitcnt vmcnt(0)
	ds_write2st64_b64 v150, v[136:137], v[138:139] offset1:4
	s_waitcnt lgkmcnt(0)
	s_barrier
	s_cbranch_scc0 .LBB193_14
.LBB193_19:
	v_mov_b32_e32 v128, 0x1000
	v_lshl_add_u32 v128, v140, 5, v128
	s_mov_b32 s8, 0
.LBB193_20:                             ; =>This Inner Loop Header: Depth=1
	v_add_u32_e32 v129, s8, v128
	v_add_u32_e32 v138, s8, v143
	ds_read2_b64 v[130:133], v129 offset1:16
	ds_read2_b64 v[134:137], v129 offset0:32 offset1:48
	ds_read2_b64 v[144:147], v129 offset0:64 offset1:80
	;; [unrolled: 1-line block ×7, first 2 shown]
	v_add_u32_e32 v129, 0x800, v129
	ds_read2st64_b64 v[168:171], v138 offset1:4
	ds_read2_b64 v[172:175], v129 offset1:16
	ds_read2_b64 v[176:179], v129 offset0:32 offset1:48
	ds_read2_b64 v[180:183], v129 offset0:64 offset1:80
	;; [unrolled: 1-line block ×7, first 2 shown]
	s_waitcnt lgkmcnt(14)
	v_max_f64 v[130:131], v[130:131], v[130:131]
	v_max_f64 v[132:133], v[132:133], v[132:133]
	;; [unrolled: 1-line block ×3, first 2 shown]
	s_waitcnt lgkmcnt(8)
	v_max_f64 v[138:139], v[168:169], v[168:169]
	v_max_f64 v[136:137], v[136:137], v[136:137]
	;; [unrolled: 1-line block ×15, first 2 shown]
	v_min_f64 v[170:171], v[130:131], v[138:139]
	v_min_f64 v[204:205], v[132:133], v[138:139]
	v_min_f64 v[206:207], v[134:135], v[138:139]
	v_min_f64 v[208:209], v[136:137], v[138:139]
	v_min_f64 v[210:211], v[144:145], v[138:139]
	v_min_f64 v[212:213], v[146:147], v[138:139]
	v_min_f64 v[214:215], v[148:149], v[138:139]
	v_min_f64 v[216:217], v[150:151], v[138:139]
	v_min_f64 v[218:219], v[152:153], v[138:139]
	v_min_f64 v[220:221], v[154:155], v[138:139]
	v_min_f64 v[222:223], v[156:157], v[138:139]
	v_min_f64 v[224:225], v[158:159], v[138:139]
	v_min_f64 v[226:227], v[160:161], v[138:139]
	v_min_f64 v[228:229], v[162:163], v[138:139]
	v_min_f64 v[230:231], v[164:165], v[138:139]
	v_min_f64 v[232:233], v[166:167], v[138:139]
	s_waitcnt lgkmcnt(7)
	v_max_f64 v[172:173], v[172:173], v[172:173]
	v_max_f64 v[174:175], v[174:175], v[174:175]
	s_waitcnt lgkmcnt(6)
	v_max_f64 v[176:177], v[176:177], v[176:177]
	v_max_f64 v[178:179], v[178:179], v[178:179]
	;; [unrolled: 3-line block ×8, first 2 shown]
	v_min_f64 v[130:131], v[130:131], v[168:169]
	v_min_f64 v[132:133], v[132:133], v[168:169]
	;; [unrolled: 1-line block ×16, first 2 shown]
	s_add_i32 s8, s8, 8
	v_add_f64 v[126:127], v[126:127], v[170:171]
	v_add_f64 v[124:125], v[124:125], v[204:205]
	;; [unrolled: 1-line block ×15, first 2 shown]
	v_min_f64 v[170:171], v[172:173], v[138:139]
	v_min_f64 v[204:205], v[174:175], v[138:139]
	;; [unrolled: 1-line block ×16, first 2 shown]
	v_add_f64 v[62:63], v[62:63], v[130:131]
	v_add_f64 v[60:61], v[60:61], v[132:133]
	;; [unrolled: 1-line block ×16, first 2 shown]
	v_min_f64 v[130:131], v[172:173], v[168:169]
	v_min_f64 v[132:133], v[174:175], v[168:169]
	;; [unrolled: 1-line block ×16, first 2 shown]
	s_cmp_eq_u32 s8, 32
	v_add_f64 v[96:97], v[96:97], v[232:233]
	v_add_f64 v[94:95], v[94:95], v[170:171]
	;; [unrolled: 1-line block ×33, first 2 shown]
	s_cbranch_scc0 .LBB193_20
; %bb.21:
	s_load_dwordx2 s[14:15], s[0:1], 0x78
	s_load_dword s8, s[0:1], 0x58
	s_load_dword s9, s[0:1], 0x70
	v_add_u32_e32 v170, s18, v141
	v_add_u32_e32 v130, s2, v140
	s_waitcnt lgkmcnt(0)
	s_mul_i32 s1, s15, s3
	s_mul_hi_u32 s15, s14, s3
	s_mul_i32 s0, s14, s3
	s_add_i32 s1, s15, s1
	s_lshl_b64 s[0:1], s[0:1], 3
	s_add_u32 s0, s10, s0
	s_addc_u32 s1, s11, s1
	v_mad_i64_i32 v[132:133], s[2:3], v170, s9, 0
	v_add_u32_e32 v128, 4, v130
	v_lshl_add_u64 v[138:139], v[132:133], 3, s[0:1]
	v_mad_i64_i32 v[132:133], s[2:3], v170, s8, 0
	v_ashrrev_i32_e32 v131, 31, v130
	v_ashrrev_i32_e32 v129, 31, v128
	s_mov_b64 s[2:3], -1
	s_mov_b64 vcc, s[4:5]
	s_cbranch_vccz .LBB193_23
; %bb.22:
	v_add_f64 v[134:135], v[126:127], 0
	v_lshl_add_u64 v[136:137], v[130:131], 3, v[138:139]
	s_mov_b64 s[2:3], 0
	global_store_dwordx2 v[136:137], v[134:135], off
.LBB193_23:
	v_lshl_add_u64 v[146:147], v[132:133], 3, s[12:13]
	v_mov_b64_e32 v[136:137], 0
	s_andn2_b64 vcc, exec, s[2:3]
	v_lshlrev_b64 v[134:135], 3, v[130:131]
	s_cbranch_vccnz .LBB193_25
; %bb.24:
	v_lshl_add_u64 v[132:133], v[146:147], 0, v[134:135]
	global_load_dwordx2 v[132:133], v[132:133], off
	v_lshl_add_u64 v[136:137], v[138:139], 0, v[134:135]
	s_waitcnt vmcnt(0)
	v_fmac_f64_e32 v[126:127], s[6:7], v[132:133]
	global_store_dwordx2 v[136:137], v[126:127], off
	v_lshl_add_u64 v[126:127], v[128:129], 3, v[146:147]
	global_load_dwordx2 v[126:127], v[126:127], off
	s_waitcnt vmcnt(0)
	v_mul_f64 v[136:137], s[6:7], v[126:127]
.LBB193_25:
	v_add_u32_e32 v132, 8, v130
	v_add_u32_e32 v126, 12, v130
	v_ashrrev_i32_e32 v133, 31, v132
	v_ashrrev_i32_e32 v127, 31, v126
	v_add_f64 v[124:125], v[124:125], v[136:137]
	v_lshl_add_u64 v[136:137], v[128:129], 3, v[138:139]
	s_mov_b64 s[2:3], -1
	s_mov_b64 vcc, s[4:5]
	global_store_dwordx2 v[136:137], v[124:125], off
	s_cbranch_vccz .LBB193_27
; %bb.26:
	v_add_f64 v[124:125], v[122:123], 0
	v_lshl_add_u64 v[136:137], v[132:133], 3, v[138:139]
	s_mov_b64 s[2:3], 0
	global_store_dwordx2 v[136:137], v[124:125], off
.LBB193_27:
	v_mov_b64_e32 v[140:141], 0
	s_andn2_b64 vcc, exec, s[2:3]
	v_lshlrev_b64 v[136:137], 3, v[132:133]
	s_cbranch_vccnz .LBB193_29
; %bb.28:
	v_lshl_add_u64 v[124:125], v[146:147], 0, v[136:137]
	global_load_dwordx2 v[124:125], v[124:125], off
	v_lshl_add_u64 v[140:141], v[138:139], 0, v[136:137]
	s_waitcnt vmcnt(0)
	v_fmac_f64_e32 v[122:123], s[6:7], v[124:125]
	global_store_dwordx2 v[140:141], v[122:123], off
	v_lshl_add_u64 v[122:123], v[126:127], 3, v[146:147]
	global_load_dwordx2 v[122:123], v[122:123], off
	s_waitcnt vmcnt(0)
	v_mul_f64 v[140:141], s[6:7], v[122:123]
.LBB193_29:
	v_add_u32_e32 v124, 16, v130
	v_add_u32_e32 v122, 20, v130
	v_ashrrev_i32_e32 v125, 31, v124
	v_ashrrev_i32_e32 v123, 31, v122
	v_add_f64 v[120:121], v[120:121], v[140:141]
	v_lshl_add_u64 v[140:141], v[126:127], 3, v[138:139]
	s_mov_b64 s[2:3], -1
	s_mov_b64 vcc, s[4:5]
	global_store_dwordx2 v[140:141], v[120:121], off
	s_cbranch_vccz .LBB193_31
; %bb.30:
	v_add_f64 v[120:121], v[118:119], 0
	v_lshl_add_u64 v[140:141], v[124:125], 3, v[138:139]
	s_mov_b64 s[2:3], 0
	global_store_dwordx2 v[140:141], v[120:121], off
.LBB193_31:
	;; [unrolled: 32-line block ×15, first 2 shown]
	v_mov_b64_e32 v[168:169], 0
	s_andn2_b64 vcc, exec, s[2:3]
	v_lshlrev_b64 v[68:69], 3, v[72:73]
	s_cbranch_vccnz .LBB193_85
; %bb.84:
	v_lshl_add_u64 v[168:169], v[146:147], 0, v[68:69]
	global_load_dwordx2 v[168:169], v[168:169], off
	v_lshl_add_u64 v[172:173], v[138:139], 0, v[68:69]
	s_waitcnt vmcnt(0)
	v_fmac_f64_e32 v[66:67], s[6:7], v[168:169]
	global_store_dwordx2 v[172:173], v[66:67], off
	v_lshl_add_u64 v[66:67], v[70:71], 3, v[146:147]
	global_load_dwordx2 v[66:67], v[66:67], off
	s_waitcnt vmcnt(0)
	v_mul_f64 v[168:169], s[6:7], v[66:67]
.LBB193_85:
	v_add_f64 v[64:65], v[64:65], v[168:169]
	v_lshl_add_u64 v[66:67], v[70:71], 3, v[138:139]
	global_store_dwordx2 v[66:67], v[64:65], off
	v_add_u32_e32 v66, 64, v170
	v_mad_i64_i32 v[64:65], s[2:3], v66, s9, 0
	v_lshl_add_u64 v[64:65], v[64:65], 3, s[0:1]
	v_mad_i64_i32 v[66:67], s[0:1], v66, s8, 0
	s_mov_b64 s[0:1], -1
	s_mov_b64 vcc, s[4:5]
	s_cbranch_vccz .LBB193_87
; %bb.86:
	v_add_f64 v[138:139], v[62:63], 0
	v_lshl_add_u64 v[130:131], v[130:131], 3, v[64:65]
	s_mov_b64 s[0:1], 0
	global_store_dwordx2 v[130:131], v[138:139], off
.LBB193_87:
	v_lshl_add_u64 v[66:67], v[66:67], 3, s[12:13]
	s_andn2_b64 vcc, exec, s[0:1]
	v_mov_b64_e32 v[130:131], 0
	s_cbranch_vccnz .LBB193_89
; %bb.88:
	v_lshl_add_u64 v[130:131], v[66:67], 0, v[134:135]
	global_load_dwordx2 v[130:131], v[130:131], off
	v_lshl_add_u64 v[134:135], v[64:65], 0, v[134:135]
	s_waitcnt vmcnt(0)
	v_fmac_f64_e32 v[62:63], s[6:7], v[130:131]
	global_store_dwordx2 v[134:135], v[62:63], off
	v_lshl_add_u64 v[62:63], v[128:129], 3, v[66:67]
	global_load_dwordx2 v[62:63], v[62:63], off
	s_waitcnt vmcnt(0)
	v_mul_f64 v[130:131], s[6:7], v[62:63]
.LBB193_89:
	v_add_f64 v[60:61], v[60:61], v[130:131]
	v_lshl_add_u64 v[62:63], v[128:129], 3, v[64:65]
	s_mov_b64 s[0:1], -1
	s_mov_b64 vcc, s[4:5]
	global_store_dwordx2 v[62:63], v[60:61], off
	s_cbranch_vccz .LBB193_91
; %bb.90:
	v_add_f64 v[60:61], v[58:59], 0
	v_lshl_add_u64 v[62:63], v[132:133], 3, v[64:65]
	s_mov_b64 s[0:1], 0
	global_store_dwordx2 v[62:63], v[60:61], off
.LBB193_91:
	s_andn2_b64 vcc, exec, s[0:1]
	v_mov_b64_e32 v[60:61], 0
	s_cbranch_vccnz .LBB193_93
; %bb.92:
	v_lshl_add_u64 v[60:61], v[66:67], 0, v[136:137]
	global_load_dwordx2 v[60:61], v[60:61], off
	v_lshl_add_u64 v[62:63], v[64:65], 0, v[136:137]
	s_waitcnt vmcnt(0)
	v_fmac_f64_e32 v[58:59], s[6:7], v[60:61]
	global_store_dwordx2 v[62:63], v[58:59], off
	v_lshl_add_u64 v[58:59], v[126:127], 3, v[66:67]
	global_load_dwordx2 v[58:59], v[58:59], off
	s_waitcnt vmcnt(0)
	v_mul_f64 v[60:61], s[6:7], v[58:59]
.LBB193_93:
	v_add_f64 v[56:57], v[56:57], v[60:61]
	v_lshl_add_u64 v[58:59], v[126:127], 3, v[64:65]
	s_mov_b64 s[0:1], -1
	s_mov_b64 vcc, s[4:5]
	global_store_dwordx2 v[58:59], v[56:57], off
	s_cbranch_vccz .LBB193_95
; %bb.94:
	v_add_f64 v[56:57], v[54:55], 0
	v_lshl_add_u64 v[58:59], v[124:125], 3, v[64:65]
	s_mov_b64 s[0:1], 0
	global_store_dwordx2 v[58:59], v[56:57], off
.LBB193_95:
	;; [unrolled: 27-line block ×14, first 2 shown]
	s_andn2_b64 vcc, exec, s[0:1]
	v_mov_b64_e32 v[8:9], 0
	s_cbranch_vccnz .LBB193_145
; %bb.144:
	v_lshl_add_u64 v[8:9], v[66:67], 0, v[166:167]
	global_load_dwordx2 v[8:9], v[8:9], off
	v_lshl_add_u64 v[10:11], v[64:65], 0, v[166:167]
	s_waitcnt vmcnt(0)
	v_fmac_f64_e32 v[6:7], s[6:7], v[8:9]
	global_store_dwordx2 v[10:11], v[6:7], off
	v_lshl_add_u64 v[6:7], v[74:75], 3, v[66:67]
	global_load_dwordx2 v[6:7], v[6:7], off
	s_waitcnt vmcnt(0)
	v_mul_f64 v[8:9], s[6:7], v[6:7]
.LBB193_145:
	v_add_f64 v[4:5], v[4:5], v[8:9]
	v_lshl_add_u64 v[6:7], v[74:75], 3, v[64:65]
	s_mov_b64 s[0:1], -1
	s_mov_b64 vcc, s[4:5]
	global_store_dwordx2 v[6:7], v[4:5], off
	s_cbranch_vccnz .LBB193_148
; %bb.146:
	s_andn2_b64 vcc, exec, s[0:1]
	v_mov_b64_e32 v[4:5], 0
	s_cbranch_vccz .LBB193_149
.LBB193_147:
	v_add_f64 v[0:1], v[0:1], v[4:5]
	v_lshl_add_u64 v[2:3], v[70:71], 3, v[64:65]
	global_store_dwordx2 v[2:3], v[0:1], off
	s_endpgm
.LBB193_148:
	v_add_f64 v[4:5], v[2:3], 0
	v_lshl_add_u64 v[6:7], v[72:73], 3, v[64:65]
	global_store_dwordx2 v[6:7], v[4:5], off
	v_mov_b64_e32 v[4:5], 0
	s_cbranch_execnz .LBB193_147
.LBB193_149:
	v_lshl_add_u64 v[4:5], v[66:67], 0, v[68:69]
	global_load_dwordx2 v[4:5], v[4:5], off
	v_lshl_add_u64 v[6:7], v[64:65], 0, v[68:69]
	s_waitcnt vmcnt(0)
	v_fmac_f64_e32 v[2:3], s[6:7], v[4:5]
	global_store_dwordx2 v[6:7], v[2:3], off
	v_lshl_add_u64 v[2:3], v[70:71], 3, v[66:67]
	global_load_dwordx2 v[2:3], v[2:3], off
	s_waitcnt vmcnt(0)
	v_mul_f64 v[4:5], s[6:7], v[2:3]
	v_add_f64 v[0:1], v[0:1], v[4:5]
	v_lshl_add_u64 v[2:3], v[70:71], 3, v[64:65]
	global_store_dwordx2 v[2:3], v[0:1], off
	s_endpgm
	.section	.rodata,"a",@progbits
	.p2align	6, 0x0
	.amdhsa_kernel _ZN12_GLOBAL__N_120geam_min_plus_kernelIdddLi4ELi64ELi128ELi128ELi4ELi64ELi4ELi64ELi4ELc78ELc84ELb1ELb0ELb0EdKddEEviiiT16_PT17_ilS4_ilS2_S4_ilPT18_ili26rocblas_geam_ex_operation_
		.amdhsa_group_segment_fixed_size 16384
		.amdhsa_private_segment_fixed_size 0
		.amdhsa_kernarg_size 136
		.amdhsa_user_sgpr_count 2
		.amdhsa_user_sgpr_dispatch_ptr 0
		.amdhsa_user_sgpr_queue_ptr 0
		.amdhsa_user_sgpr_kernarg_segment_ptr 1
		.amdhsa_user_sgpr_dispatch_id 0
		.amdhsa_user_sgpr_kernarg_preload_length 0
		.amdhsa_user_sgpr_kernarg_preload_offset 0
		.amdhsa_user_sgpr_private_segment_size 0
		.amdhsa_uses_dynamic_stack 0
		.amdhsa_enable_private_segment 0
		.amdhsa_system_sgpr_workgroup_id_x 1
		.amdhsa_system_sgpr_workgroup_id_y 0
		.amdhsa_system_sgpr_workgroup_id_z 1
		.amdhsa_system_sgpr_workgroup_info 0
		.amdhsa_system_vgpr_workitem_id 1
		.amdhsa_next_free_vgpr 252
		.amdhsa_next_free_sgpr 26
		.amdhsa_accum_offset 252
		.amdhsa_reserve_vcc 1
		.amdhsa_float_round_mode_32 0
		.amdhsa_float_round_mode_16_64 0
		.amdhsa_float_denorm_mode_32 3
		.amdhsa_float_denorm_mode_16_64 3
		.amdhsa_dx10_clamp 1
		.amdhsa_ieee_mode 1
		.amdhsa_fp16_overflow 0
		.amdhsa_tg_split 0
		.amdhsa_exception_fp_ieee_invalid_op 0
		.amdhsa_exception_fp_denorm_src 0
		.amdhsa_exception_fp_ieee_div_zero 0
		.amdhsa_exception_fp_ieee_overflow 0
		.amdhsa_exception_fp_ieee_underflow 0
		.amdhsa_exception_fp_ieee_inexact 0
		.amdhsa_exception_int_div_zero 0
	.end_amdhsa_kernel
	.section	.text._ZN12_GLOBAL__N_120geam_min_plus_kernelIdddLi4ELi64ELi128ELi128ELi4ELi64ELi4ELi64ELi4ELc78ELc84ELb1ELb0ELb0EdKddEEviiiT16_PT17_ilS4_ilS2_S4_ilPT18_ili26rocblas_geam_ex_operation_,"axG",@progbits,_ZN12_GLOBAL__N_120geam_min_plus_kernelIdddLi4ELi64ELi128ELi128ELi4ELi64ELi4ELi64ELi4ELc78ELc84ELb1ELb0ELb0EdKddEEviiiT16_PT17_ilS4_ilS2_S4_ilPT18_ili26rocblas_geam_ex_operation_,comdat
.Lfunc_end193:
	.size	_ZN12_GLOBAL__N_120geam_min_plus_kernelIdddLi4ELi64ELi128ELi128ELi4ELi64ELi4ELi64ELi4ELc78ELc84ELb1ELb0ELb0EdKddEEviiiT16_PT17_ilS4_ilS2_S4_ilPT18_ili26rocblas_geam_ex_operation_, .Lfunc_end193-_ZN12_GLOBAL__N_120geam_min_plus_kernelIdddLi4ELi64ELi128ELi128ELi4ELi64ELi4ELi64ELi4ELc78ELc84ELb1ELb0ELb0EdKddEEviiiT16_PT17_ilS4_ilS2_S4_ilPT18_ili26rocblas_geam_ex_operation_
                                        ; -- End function
	.set _ZN12_GLOBAL__N_120geam_min_plus_kernelIdddLi4ELi64ELi128ELi128ELi4ELi64ELi4ELi64ELi4ELc78ELc84ELb1ELb0ELb0EdKddEEviiiT16_PT17_ilS4_ilS2_S4_ilPT18_ili26rocblas_geam_ex_operation_.num_vgpr, 252
	.set _ZN12_GLOBAL__N_120geam_min_plus_kernelIdddLi4ELi64ELi128ELi128ELi4ELi64ELi4ELi64ELi4ELc78ELc84ELb1ELb0ELb0EdKddEEviiiT16_PT17_ilS4_ilS2_S4_ilPT18_ili26rocblas_geam_ex_operation_.num_agpr, 0
	.set _ZN12_GLOBAL__N_120geam_min_plus_kernelIdddLi4ELi64ELi128ELi128ELi4ELi64ELi4ELi64ELi4ELc78ELc84ELb1ELb0ELb0EdKddEEviiiT16_PT17_ilS4_ilS2_S4_ilPT18_ili26rocblas_geam_ex_operation_.numbered_sgpr, 26
	.set _ZN12_GLOBAL__N_120geam_min_plus_kernelIdddLi4ELi64ELi128ELi128ELi4ELi64ELi4ELi64ELi4ELc78ELc84ELb1ELb0ELb0EdKddEEviiiT16_PT17_ilS4_ilS2_S4_ilPT18_ili26rocblas_geam_ex_operation_.num_named_barrier, 0
	.set _ZN12_GLOBAL__N_120geam_min_plus_kernelIdddLi4ELi64ELi128ELi128ELi4ELi64ELi4ELi64ELi4ELc78ELc84ELb1ELb0ELb0EdKddEEviiiT16_PT17_ilS4_ilS2_S4_ilPT18_ili26rocblas_geam_ex_operation_.private_seg_size, 0
	.set _ZN12_GLOBAL__N_120geam_min_plus_kernelIdddLi4ELi64ELi128ELi128ELi4ELi64ELi4ELi64ELi4ELc78ELc84ELb1ELb0ELb0EdKddEEviiiT16_PT17_ilS4_ilS2_S4_ilPT18_ili26rocblas_geam_ex_operation_.uses_vcc, 1
	.set _ZN12_GLOBAL__N_120geam_min_plus_kernelIdddLi4ELi64ELi128ELi128ELi4ELi64ELi4ELi64ELi4ELc78ELc84ELb1ELb0ELb0EdKddEEviiiT16_PT17_ilS4_ilS2_S4_ilPT18_ili26rocblas_geam_ex_operation_.uses_flat_scratch, 0
	.set _ZN12_GLOBAL__N_120geam_min_plus_kernelIdddLi4ELi64ELi128ELi128ELi4ELi64ELi4ELi64ELi4ELc78ELc84ELb1ELb0ELb0EdKddEEviiiT16_PT17_ilS4_ilS2_S4_ilPT18_ili26rocblas_geam_ex_operation_.has_dyn_sized_stack, 0
	.set _ZN12_GLOBAL__N_120geam_min_plus_kernelIdddLi4ELi64ELi128ELi128ELi4ELi64ELi4ELi64ELi4ELc78ELc84ELb1ELb0ELb0EdKddEEviiiT16_PT17_ilS4_ilS2_S4_ilPT18_ili26rocblas_geam_ex_operation_.has_recursion, 0
	.set _ZN12_GLOBAL__N_120geam_min_plus_kernelIdddLi4ELi64ELi128ELi128ELi4ELi64ELi4ELi64ELi4ELc78ELc84ELb1ELb0ELb0EdKddEEviiiT16_PT17_ilS4_ilS2_S4_ilPT18_ili26rocblas_geam_ex_operation_.has_indirect_call, 0
	.section	.AMDGPU.csdata,"",@progbits
; Kernel info:
; codeLenInByte = 12632
; TotalNumSgprs: 32
; NumVgprs: 252
; NumAgprs: 0
; TotalNumVgprs: 252
; ScratchSize: 0
; MemoryBound: 0
; FloatMode: 240
; IeeeMode: 1
; LDSByteSize: 16384 bytes/workgroup (compile time only)
; SGPRBlocks: 3
; VGPRBlocks: 31
; NumSGPRsForWavesPerEU: 32
; NumVGPRsForWavesPerEU: 252
; AccumOffset: 252
; Occupancy: 2
; WaveLimiterHint : 1
; COMPUTE_PGM_RSRC2:SCRATCH_EN: 0
; COMPUTE_PGM_RSRC2:USER_SGPR: 2
; COMPUTE_PGM_RSRC2:TRAP_HANDLER: 0
; COMPUTE_PGM_RSRC2:TGID_X_EN: 1
; COMPUTE_PGM_RSRC2:TGID_Y_EN: 0
; COMPUTE_PGM_RSRC2:TGID_Z_EN: 1
; COMPUTE_PGM_RSRC2:TIDIG_COMP_CNT: 1
; COMPUTE_PGM_RSRC3_GFX90A:ACCUM_OFFSET: 62
; COMPUTE_PGM_RSRC3_GFX90A:TG_SPLIT: 0
	.section	.text._ZN12_GLOBAL__N_120geam_min_plus_kernelIdddLi4ELi64ELi128ELi128ELi4ELi64ELi4ELi64ELi4ELc78ELc84ELb0ELb0ELb0EdKddEEviiiT16_PT17_ilS4_ilS2_S4_ilPT18_ili26rocblas_geam_ex_operation_,"axG",@progbits,_ZN12_GLOBAL__N_120geam_min_plus_kernelIdddLi4ELi64ELi128ELi128ELi4ELi64ELi4ELi64ELi4ELc78ELc84ELb0ELb0ELb0EdKddEEviiiT16_PT17_ilS4_ilS2_S4_ilPT18_ili26rocblas_geam_ex_operation_,comdat
	.globl	_ZN12_GLOBAL__N_120geam_min_plus_kernelIdddLi4ELi64ELi128ELi128ELi4ELi64ELi4ELi64ELi4ELc78ELc84ELb0ELb0ELb0EdKddEEviiiT16_PT17_ilS4_ilS2_S4_ilPT18_ili26rocblas_geam_ex_operation_ ; -- Begin function _ZN12_GLOBAL__N_120geam_min_plus_kernelIdddLi4ELi64ELi128ELi128ELi4ELi64ELi4ELi64ELi4ELc78ELc84ELb0ELb0ELb0EdKddEEviiiT16_PT17_ilS4_ilS2_S4_ilPT18_ili26rocblas_geam_ex_operation_
	.p2align	8
	.type	_ZN12_GLOBAL__N_120geam_min_plus_kernelIdddLi4ELi64ELi128ELi128ELi4ELi64ELi4ELi64ELi4ELc78ELc84ELb0ELb0ELb0EdKddEEviiiT16_PT17_ilS4_ilS2_S4_ilPT18_ili26rocblas_geam_ex_operation_,@function
_ZN12_GLOBAL__N_120geam_min_plus_kernelIdddLi4ELi64ELi128ELi128ELi4ELi64ELi4ELi64ELi4ELc78ELc84ELb0ELb0ELb0EdKddEEviiiT16_PT17_ilS4_ilS2_S4_ilPT18_ili26rocblas_geam_ex_operation_: ; @_ZN12_GLOBAL__N_120geam_min_plus_kernelIdddLi4ELi64ELi128ELi128ELi4ELi64ELi4ELi64ELi4ELc78ELc84ELb0ELb0ELb0EdKddEEviiiT16_PT17_ilS4_ilS2_S4_ilPT18_ili26rocblas_geam_ex_operation_
; %bb.0:
	s_load_dwordx4 s[16:19], s[0:1], 0x10
	s_load_dwordx4 s[12:15], s[0:1], 0x28
	s_mov_b64 s[20:21], 0
	s_waitcnt lgkmcnt(0)
	v_cmp_eq_f64_e64 s[22:23], s[16:17], 0
	s_and_b64 s[4:5], exec, s[22:23]
	s_mov_b64 vcc, s[4:5]
	s_cbranch_vccnz .LBB194_2
; %bb.1:
	s_mul_i32 s6, s13, s3
	s_mul_hi_u32 s7, s12, s3
	s_add_i32 s7, s7, s6
	s_mul_i32 s6, s12, s3
	s_lshl_b64 s[6:7], s[6:7], 3
	s_add_u32 s20, s18, s6
	s_addc_u32 s21, s19, s7
.LBB194_2:
	s_load_dwordx4 s[8:11], s[0:1], 0x40
	s_load_dwordx2 s[6:7], s[0:1], 0x50
	s_andn2_b64 vcc, exec, s[22:23]
	s_mov_b64 s[12:13], -1
	s_cbranch_vccnz .LBB194_4
; %bb.3:
	s_mov_b64 s[12:13], 0
.LBB194_4:
	s_mov_b64 s[18:19], 0
	s_andn2_b64 vcc, exec, s[12:13]
	s_mov_b64 s[22:23], 0
	s_cbranch_vccnz .LBB194_6
; %bb.5:
	s_waitcnt lgkmcnt(0)
	s_mul_i32 s9, s9, s3
	s_mul_hi_u32 s12, s8, s3
	s_add_i32 s9, s12, s9
	s_mul_i32 s8, s8, s3
	s_lshl_b64 s[8:9], s[8:9], 3
	s_add_u32 s22, s14, s8
	s_addc_u32 s23, s15, s9
.LBB194_6:
	s_load_dwordx4 s[12:15], s[0:1], 0x60
	s_waitcnt lgkmcnt(0)
	v_cmp_eq_f64_e64 s[8:9], s[10:11], 0
	s_and_b64 s[8:9], exec, s[8:9]
	v_cmp_neq_f64_e64 s[24:25], s[16:17], 0
	s_mov_b64 vcc, s[8:9]
	s_cbranch_vccnz .LBB194_8
; %bb.7:
	s_mul_i32 s13, s13, s3
	s_mul_hi_u32 s18, s12, s3
	s_add_i32 s13, s18, s13
	s_mul_i32 s12, s12, s3
	s_lshl_b64 s[12:13], s[12:13], 3
	s_add_u32 s18, s6, s12
	s_addc_u32 s19, s7, s13
.LBB194_8:
	s_load_dword s6, s[0:1], 0x0
	s_load_dword s13, s[0:1], 0x20
	v_and_b32_e32 v140, 0x3ff, v0
	v_bfe_u32 v141, v0, 10, 10
	v_lshl_add_u32 v2, v141, 2, v140
	s_waitcnt lgkmcnt(0)
	s_add_i32 s6, s6, -1
	s_ashr_i32 s7, s6, 31
	s_lshr_b32 s7, s7, 25
	s_add_i32 s6, s6, s7
	s_ashr_i32 s6, s6, 7
	s_add_i32 s7, s6, 1
	v_cvt_f32_u32_e32 v1, s7
	s_not_b32 s6, s6
	s_ashr_i32 s26, s13, 31
	v_and_b32_e32 v143, 63, v2
	v_rcp_iflag_f32_e32 v0, v1
	v_cndmask_b32_e64 v1, 0, 1, s[24:25]
	v_mov_b64_e32 v[6:7], 0
	v_lshrrev_b32_e32 v142, 6, v2
	v_mul_f32_e32 v0, 0x4f7ffffe, v0
	v_cvt_u32_f32_e32 v0, v0
	v_mov_b64_e32 v[8:9], 0
	v_mov_b64_e32 v[10:11], 0
	v_readfirstlane_b32 s12, v0
	s_mul_i32 s6, s6, s12
	s_mul_hi_u32 s6, s12, s6
	s_add_i32 s12, s12, s6
	s_mul_hi_u32 s6, s2, s12
	s_mul_i32 s12, s6, s7
	s_sub_i32 s12, s2, s12
	s_add_i32 s27, s6, 1
	s_sub_i32 s28, s12, s7
	s_cmp_ge_u32 s12, s7
	s_cselect_b32 s6, s27, s6
	s_cselect_b32 s12, s28, s12
	s_add_i32 s27, s6, 1
	s_cmp_ge_u32 s12, s7
	s_cselect_b32 s12, s27, s6
	s_mul_i32 s6, s12, s7
	s_sub_i32 s2, s2, s6
	s_lshl_b32 s2, s2, 7
	v_or_b32_e32 v0, s2, v143
	v_cmp_ne_u32_e64 s[6:7], 1, v1
	s_andn2_b64 vcc, exec, s[24:25]
	v_ashrrev_i32_e32 v1, 31, v0
	s_cbranch_vccnz .LBB194_10
; %bb.9:
	v_mad_i64_i32 v[2:3], s[24:25], s13, v142, 0
	v_lshl_add_u64 v[2:3], v[2:3], 3, s[20:21]
	v_lshl_add_u64 v[2:3], v[0:1], 3, v[2:3]
	global_load_dwordx2 v[4:5], v[2:3], off
	global_load_dwordx2 v[8:9], v[2:3], off offset:512
	s_waitcnt vmcnt(1)
	v_mul_f64 v[10:11], s[16:17], v[4:5]
	s_waitcnt vmcnt(0)
	v_mul_f64 v[8:9], s[16:17], v[8:9]
.LBB194_10:
	s_load_dword s24, s[0:1], 0x38
	s_lshl_b32 s12, s12, 7
	v_or_b32_e32 v2, s12, v143
	s_and_b64 vcc, exec, s[6:7]
	v_ashrrev_i32_e32 v3, 31, v2
	s_waitcnt lgkmcnt(0)
	s_ashr_i32 s25, s24, 31
	v_mov_b64_e32 v[12:13], 0
	s_cbranch_vccnz .LBB194_12
; %bb.11:
	v_mad_i64_i32 v[4:5], s[28:29], s24, v142, 0
	v_lshl_add_u64 v[4:5], v[4:5], 3, s[22:23]
	v_lshl_add_u64 v[4:5], v[2:3], 3, v[4:5]
	global_load_dwordx2 v[6:7], v[4:5], off
	global_load_dwordx2 v[14:15], v[4:5], off offset:512
	s_waitcnt vmcnt(1)
	v_mul_f64 v[12:13], s[16:17], v[6:7]
	s_waitcnt vmcnt(0)
	v_mul_f64 v[6:7], s[16:17], v[14:15]
.LBB194_12:
	v_mov_b64_e32 v[4:5], 0
	s_and_b64 vcc, exec, s[6:7]
	v_add_u32_e32 v144, 4, v142
	v_mov_b64_e32 v[134:135], 0
	v_mov_b64_e32 v[136:137], 0
	s_cbranch_vccnz .LBB194_14
; %bb.13:
	v_mad_i64_i32 v[14:15], s[28:29], s13, v144, 0
	v_lshl_add_u64 v[14:15], v[14:15], 3, s[20:21]
	v_lshl_add_u64 v[14:15], v[0:1], 3, v[14:15]
	global_load_dwordx2 v[16:17], v[14:15], off
	global_load_dwordx2 v[18:19], v[14:15], off offset:512
	s_waitcnt vmcnt(1)
	v_mul_f64 v[136:137], s[16:17], v[16:17]
	s_waitcnt vmcnt(0)
	v_mul_f64 v[134:135], s[16:17], v[18:19]
.LBB194_14:
	s_and_b64 vcc, exec, s[6:7]
	v_mov_b64_e32 v[138:139], 0
	s_cbranch_vccnz .LBB194_16
; %bb.15:
	v_mad_i64_i32 v[4:5], s[6:7], s24, v144, 0
	v_lshl_add_u64 v[4:5], v[4:5], 3, s[22:23]
	v_lshl_add_u64 v[4:5], v[2:3], 3, v[4:5]
	global_load_dwordx2 v[14:15], v[4:5], off
	global_load_dwordx2 v[16:17], v[4:5], off offset:512
	s_waitcnt vmcnt(1)
	v_mul_f64 v[138:139], s[16:17], v[14:15]
	s_waitcnt vmcnt(0)
	v_mul_f64 v[4:5], s[16:17], v[16:17]
.LBB194_16:
	v_lshlrev_b32_e32 v14, 5, v143
	v_lshl_add_u32 v145, v142, 3, v14
	v_lshlrev_b32_e32 v152, 5, v141
	ds_write2st64_b64 v145, v[10:11], v[8:9] offset1:4
	v_or_b32_e32 v146, 0x2000, v145
	ds_write2st64_b64 v145, v[12:13], v[6:7] offset0:16 offset1:20
	v_lshlrev_b32_e32 v147, 5, v140
	v_add_u32_e32 v148, 0x2000, v152
	v_mov_b64_e32 v[132:133], 0
	s_mov_b32 s6, 0
	v_mov_b64_e32 v[130:131], 0
	v_mov_b64_e32 v[128:129], 0
	;; [unrolled: 1-line block ×63, first 2 shown]
	s_waitcnt lgkmcnt(0)
	s_barrier
.LBB194_17:                             ; =>This Inner Loop Header: Depth=1
	v_add_u32_e32 v149, s6, v147
	v_add_u32_e32 v150, s6, v148
	ds_read2_b64 v[154:157], v149 offset1:16
	ds_read2_b64 v[158:161], v149 offset0:32 offset1:48
	ds_read2_b64 v[162:165], v149 offset0:64 offset1:80
	;; [unrolled: 1-line block ×7, first 2 shown]
	ds_read2st64_b64 v[186:189], v150 offset1:4
	v_add_u32_e32 v149, 0x800, v149
	ds_read2_b64 v[190:193], v149 offset1:16
	ds_read2_b64 v[194:197], v149 offset0:32 offset1:48
	ds_read2_b64 v[198:201], v149 offset0:64 offset1:80
	;; [unrolled: 1-line block ×7, first 2 shown]
	s_waitcnt lgkmcnt(14)
	v_max_f64 v[150:151], v[154:155], v[154:155]
	v_max_f64 v[154:155], v[156:157], v[156:157]
	;; [unrolled: 1-line block ×6, first 2 shown]
	s_waitcnt lgkmcnt(13)
	v_max_f64 v[164:165], v[166:167], v[166:167]
	v_max_f64 v[166:167], v[168:169], v[168:169]
	s_waitcnt lgkmcnt(12)
	v_max_f64 v[168:169], v[170:171], v[170:171]
	v_max_f64 v[170:171], v[172:173], v[172:173]
	s_waitcnt lgkmcnt(11)
	v_max_f64 v[172:173], v[174:175], v[174:175]
	v_max_f64 v[174:175], v[176:177], v[176:177]
	s_waitcnt lgkmcnt(10)
	v_max_f64 v[176:177], v[178:179], v[178:179]
	v_max_f64 v[178:179], v[180:181], v[180:181]
	s_waitcnt lgkmcnt(9)
	v_max_f64 v[180:181], v[182:183], v[182:183]
	v_max_f64 v[182:183], v[184:185], v[184:185]
	s_waitcnt lgkmcnt(8)
	v_max_f64 v[184:185], v[186:187], v[186:187]
	v_max_f64 v[186:187], v[188:189], v[188:189]
	s_waitcnt lgkmcnt(7)
	v_max_f64 v[188:189], v[190:191], v[190:191]
	v_max_f64 v[190:191], v[192:193], v[192:193]
	s_waitcnt lgkmcnt(6)
	v_max_f64 v[192:193], v[194:195], v[194:195]
	v_max_f64 v[194:195], v[196:197], v[196:197]
	s_waitcnt lgkmcnt(5)
	v_max_f64 v[196:197], v[198:199], v[198:199]
	v_max_f64 v[198:199], v[200:201], v[200:201]
	s_waitcnt lgkmcnt(4)
	v_max_f64 v[200:201], v[202:203], v[202:203]
	v_max_f64 v[202:203], v[204:205], v[204:205]
	s_waitcnt lgkmcnt(3)
	v_max_f64 v[204:205], v[206:207], v[206:207]
	v_max_f64 v[206:207], v[208:209], v[208:209]
	s_waitcnt lgkmcnt(2)
	v_max_f64 v[208:209], v[210:211], v[210:211]
	v_max_f64 v[210:211], v[212:213], v[212:213]
	s_waitcnt lgkmcnt(1)
	v_max_f64 v[212:213], v[214:215], v[214:215]
	v_max_f64 v[214:215], v[216:217], v[216:217]
	s_waitcnt lgkmcnt(0)
	v_max_f64 v[216:217], v[218:219], v[218:219]
	v_max_f64 v[218:219], v[220:221], v[220:221]
	v_min_f64 v[220:221], v[150:151], v[184:185]
	v_min_f64 v[222:223], v[154:155], v[184:185]
	;; [unrolled: 1-line block ×32, first 2 shown]
	s_add_i32 s6, s6, 8
	v_add_f64 v[68:69], v[68:69], v[150:151]
	v_add_f64 v[66:67], v[66:67], v[154:155]
	;; [unrolled: 1-line block ×16, first 2 shown]
	v_min_f64 v[150:151], v[188:189], v[184:185]
	v_min_f64 v[154:155], v[190:191], v[184:185]
	;; [unrolled: 1-line block ×32, first 2 shown]
	s_cmp_eq_u32 s6, 32
	v_add_f64 v[132:133], v[132:133], v[220:221]
	v_add_f64 v[130:131], v[130:131], v[222:223]
	;; [unrolled: 1-line block ×48, first 2 shown]
	s_cbranch_scc0 .LBB194_17
; %bb.18:
	s_load_dword s27, s[0:1], 0x8
	v_lshlrev_b32_e32 v149, 3, v142
	v_lshl_add_u32 v150, v143, 5, v149
	ds_write2st64_b64 v150, v[136:137], v[134:135] offset0:8 offset1:12
	ds_write2st64_b64 v150, v[138:139], v[4:5] offset0:24 offset1:28
	s_waitcnt lgkmcnt(0)
	s_cmp_gt_i32 s27, 8
	s_barrier
	s_cbranch_scc1 .LBB194_20
; %bb.19:
	v_add_u32_e32 v143, 0x3000, v152
	s_cbranch_execz .LBB194_21
	s_branch .LBB194_43
.LBB194_20:
                                        ; implicit-def: $vgpr143
.LBB194_21:
	v_lshl_add_u64 v[134:135], v[0:1], 3, s[20:21]
	v_mov_b32_e32 v0, 0x1000
	v_or_b32_e32 v149, 0x1000, v150
	v_or_b32_e32 v150, 0x3000, v150
	s_add_i32 s27, s27, -8
	v_lshl_add_u64 v[136:137], v[2:3], 3, s[22:23]
	v_lshl_add_u32 v151, v140, 5, v0
	v_add_u32_e32 v143, 0x3000, v152
	s_mov_b32 s20, 8
	s_mov_b32 s21, 0
	;; [unrolled: 1-line block ×3, first 2 shown]
.LBB194_22:                             ; =>This Loop Header: Depth=1
                                        ;     Child Loop BB194_28 Depth 2
                                        ;     Child Loop BB194_35 Depth 2
	s_mov_b64 s[6:7], -1
	s_mov_b64 vcc, s[4:5]
                                        ; implicit-def: $vgpr0_vgpr1_vgpr2_vgpr3
	s_cbranch_vccnz .LBB194_37
; %bb.23:                               ;   in Loop: Header=BB194_22 Depth=1
	v_mov_b64_e32 v[138:139], 0
	s_andn2_b64 vcc, exec, s[6:7]
	v_add_u32_e32 v152, s20, v142
	s_cbranch_vccz .LBB194_38
.LBB194_24:                             ;   in Loop: Header=BB194_22 Depth=1
	s_mov_b64 s[6:7], -1
	s_mov_b64 vcc, s[4:5]
                                        ; implicit-def: $vgpr2_vgpr3_vgpr4_vgpr5
	s_cbranch_vccnz .LBB194_39
.LBB194_25:                             ;   in Loop: Header=BB194_22 Depth=1
	s_andn2_b64 vcc, exec, s[6:7]
	v_mov_b64_e32 v[4:5], 0
	s_cbranch_vccnz .LBB194_27
.LBB194_26:                             ;   in Loop: Header=BB194_22 Depth=1
	v_mad_u64_u32 v[2:3], s[6:7], v152, s24, 0
	v_mov_b32_e32 v4, v3
	v_mad_u64_u32 v[4:5], s[6:7], v152, s25, v[4:5]
	v_mov_b32_e32 v3, v4
	v_lshl_add_u64 v[2:3], v[2:3], 3, v[136:137]
	global_load_dwordx2 v[4:5], v[2:3], off
	global_load_dwordx2 v[152:153], v[2:3], off offset:512
	s_waitcnt vmcnt(1)
	v_mul_f64 v[2:3], s[16:17], v[4:5]
	s_waitcnt vmcnt(0)
	v_mul_f64 v[4:5], s[16:17], v[152:153]
.LBB194_27:                             ;   in Loop: Header=BB194_22 Depth=1
	s_mov_b32 s6, 0
.LBB194_28:                             ;   Parent Loop BB194_22 Depth=1
                                        ; =>  This Inner Loop Header: Depth=2
	v_add_u32_e32 v184, s6, v151
	v_add_u32_e32 v185, s6, v143
	ds_read2_b64 v[152:155], v184 offset1:16
	ds_read2_b64 v[156:159], v184 offset0:32 offset1:48
	ds_read2_b64 v[160:163], v184 offset0:64 offset1:80
	;; [unrolled: 1-line block ×7, first 2 shown]
	v_add_u32_e32 v216, 0x800, v184
	ds_read2st64_b64 v[184:187], v185 offset1:4
	ds_read2_b64 v[188:191], v216 offset1:16
	ds_read2_b64 v[192:195], v216 offset0:32 offset1:48
	ds_read2_b64 v[196:199], v216 offset0:64 offset1:80
	;; [unrolled: 1-line block ×7, first 2 shown]
	s_waitcnt lgkmcnt(14)
	v_max_f64 v[152:153], v[152:153], v[152:153]
	v_max_f64 v[154:155], v[154:155], v[154:155]
	;; [unrolled: 1-line block ×3, first 2 shown]
	s_waitcnt lgkmcnt(8)
	v_max_f64 v[184:185], v[184:185], v[184:185]
	v_max_f64 v[158:159], v[158:159], v[158:159]
	v_max_f64 v[160:161], v[160:161], v[160:161]
	v_max_f64 v[162:163], v[162:163], v[162:163]
	v_max_f64 v[164:165], v[164:165], v[164:165]
	v_max_f64 v[166:167], v[166:167], v[166:167]
	v_max_f64 v[168:169], v[168:169], v[168:169]
	v_max_f64 v[170:171], v[170:171], v[170:171]
	v_max_f64 v[172:173], v[172:173], v[172:173]
	v_max_f64 v[174:175], v[174:175], v[174:175]
	v_max_f64 v[176:177], v[176:177], v[176:177]
	v_max_f64 v[178:179], v[178:179], v[178:179]
	v_max_f64 v[180:181], v[180:181], v[180:181]
	v_max_f64 v[182:183], v[182:183], v[182:183]
	v_max_f64 v[186:187], v[186:187], v[186:187]
	v_min_f64 v[220:221], v[152:153], v[184:185]
	v_min_f64 v[222:223], v[154:155], v[184:185]
	;; [unrolled: 1-line block ×16, first 2 shown]
	s_waitcnt lgkmcnt(7)
	v_max_f64 v[188:189], v[188:189], v[188:189]
	v_max_f64 v[190:191], v[190:191], v[190:191]
	s_waitcnt lgkmcnt(6)
	v_max_f64 v[192:193], v[192:193], v[192:193]
	v_max_f64 v[194:195], v[194:195], v[194:195]
	s_waitcnt lgkmcnt(5)
	v_max_f64 v[196:197], v[196:197], v[196:197]
	v_max_f64 v[198:199], v[198:199], v[198:199]
	s_waitcnt lgkmcnt(4)
	v_max_f64 v[200:201], v[200:201], v[200:201]
	v_max_f64 v[202:203], v[202:203], v[202:203]
	s_waitcnt lgkmcnt(3)
	v_max_f64 v[204:205], v[204:205], v[204:205]
	v_max_f64 v[206:207], v[206:207], v[206:207]
	s_waitcnt lgkmcnt(2)
	v_max_f64 v[208:209], v[208:209], v[208:209]
	v_max_f64 v[210:211], v[210:211], v[210:211]
	s_waitcnt lgkmcnt(1)
	v_max_f64 v[212:213], v[212:213], v[212:213]
	v_max_f64 v[214:215], v[214:215], v[214:215]
	s_waitcnt lgkmcnt(0)
	v_max_f64 v[216:217], v[216:217], v[216:217]
	v_max_f64 v[218:219], v[218:219], v[218:219]
	v_min_f64 v[152:153], v[152:153], v[186:187]
	v_min_f64 v[154:155], v[154:155], v[186:187]
	;; [unrolled: 1-line block ×16, first 2 shown]
	s_add_i32 s6, s6, 8
	v_add_f64 v[132:133], v[132:133], v[220:221]
	v_add_f64 v[130:131], v[130:131], v[222:223]
	;; [unrolled: 1-line block ×15, first 2 shown]
	v_min_f64 v[220:221], v[188:189], v[184:185]
	v_min_f64 v[222:223], v[190:191], v[184:185]
	;; [unrolled: 1-line block ×16, first 2 shown]
	v_add_f64 v[68:69], v[68:69], v[152:153]
	v_add_f64 v[66:67], v[66:67], v[154:155]
	v_add_f64 v[64:65], v[64:65], v[156:157]
	v_add_f64 v[62:63], v[62:63], v[158:159]
	v_add_f64 v[60:61], v[60:61], v[160:161]
	v_add_f64 v[58:59], v[58:59], v[162:163]
	v_add_f64 v[56:57], v[56:57], v[164:165]
	v_add_f64 v[54:55], v[54:55], v[166:167]
	v_add_f64 v[52:53], v[52:53], v[168:169]
	v_add_f64 v[50:51], v[50:51], v[170:171]
	v_add_f64 v[48:49], v[48:49], v[172:173]
	v_add_f64 v[46:47], v[46:47], v[174:175]
	v_add_f64 v[44:45], v[44:45], v[176:177]
	v_add_f64 v[42:43], v[42:43], v[178:179]
	v_add_f64 v[40:41], v[40:41], v[180:181]
	v_add_f64 v[38:39], v[38:39], v[182:183]
	v_min_f64 v[152:153], v[188:189], v[186:187]
	v_min_f64 v[154:155], v[190:191], v[186:187]
	;; [unrolled: 1-line block ×16, first 2 shown]
	s_cmp_eq_u32 s6, 32
	v_add_f64 v[102:103], v[102:103], v[250:251]
	v_add_f64 v[100:101], v[100:101], v[220:221]
	;; [unrolled: 1-line block ×33, first 2 shown]
	s_cbranch_scc0 .LBB194_28
; %bb.29:                               ;   in Loop: Header=BB194_22 Depth=1
	s_mov_b64 s[6:7], -1
	s_mov_b64 vcc, s[4:5]
	ds_write2st64_b64 v145, v[0:1], v[138:139] offset1:4
	ds_write2st64_b64 v146, v[2:3], v[4:5] offset1:4
	s_waitcnt lgkmcnt(0)
	s_barrier
                                        ; implicit-def: $vgpr0_vgpr1_vgpr2_vgpr3
	s_cbranch_vccnz .LBB194_40
; %bb.30:                               ;   in Loop: Header=BB194_22 Depth=1
	v_mov_b64_e32 v[138:139], 0
	s_andn2_b64 vcc, exec, s[6:7]
	v_add_u32_e32 v152, s20, v144
	s_cbranch_vccz .LBB194_41
.LBB194_31:                             ;   in Loop: Header=BB194_22 Depth=1
	s_mov_b64 s[6:7], -1
	s_mov_b64 vcc, s[4:5]
                                        ; implicit-def: $vgpr2_vgpr3_vgpr4_vgpr5
	s_cbranch_vccnz .LBB194_42
.LBB194_32:                             ;   in Loop: Header=BB194_22 Depth=1
	s_andn2_b64 vcc, exec, s[6:7]
	v_mov_b64_e32 v[4:5], 0
	s_cbranch_vccnz .LBB194_34
.LBB194_33:                             ;   in Loop: Header=BB194_22 Depth=1
	v_mad_u64_u32 v[2:3], s[6:7], v152, s24, 0
	v_mov_b32_e32 v4, v3
	v_mad_u64_u32 v[4:5], s[6:7], v152, s25, v[4:5]
	v_mov_b32_e32 v3, v4
	v_lshl_add_u64 v[2:3], v[2:3], 3, v[136:137]
	global_load_dwordx2 v[4:5], v[2:3], off
	global_load_dwordx2 v[152:153], v[2:3], off offset:512
	s_waitcnt vmcnt(1)
	v_mul_f64 v[2:3], s[16:17], v[4:5]
	s_waitcnt vmcnt(0)
	v_mul_f64 v[4:5], s[16:17], v[152:153]
.LBB194_34:                             ;   in Loop: Header=BB194_22 Depth=1
	s_mov_b32 s6, 0
.LBB194_35:                             ;   Parent Loop BB194_22 Depth=1
                                        ; =>  This Inner Loop Header: Depth=2
	v_add_u32_e32 v184, s6, v147
	v_add_u32_e32 v185, s6, v148
	ds_read2_b64 v[152:155], v184 offset1:16
	ds_read2_b64 v[156:159], v184 offset0:32 offset1:48
	ds_read2_b64 v[160:163], v184 offset0:64 offset1:80
	;; [unrolled: 1-line block ×7, first 2 shown]
	v_add_u32_e32 v216, 0x800, v184
	ds_read2st64_b64 v[184:187], v185 offset1:4
	ds_read2_b64 v[188:191], v216 offset1:16
	ds_read2_b64 v[192:195], v216 offset0:32 offset1:48
	ds_read2_b64 v[196:199], v216 offset0:64 offset1:80
	;; [unrolled: 1-line block ×7, first 2 shown]
	s_waitcnt lgkmcnt(14)
	v_max_f64 v[152:153], v[152:153], v[152:153]
	v_max_f64 v[154:155], v[154:155], v[154:155]
	;; [unrolled: 1-line block ×3, first 2 shown]
	s_waitcnt lgkmcnt(8)
	v_max_f64 v[184:185], v[184:185], v[184:185]
	v_max_f64 v[158:159], v[158:159], v[158:159]
	;; [unrolled: 1-line block ×15, first 2 shown]
	v_min_f64 v[220:221], v[152:153], v[184:185]
	v_min_f64 v[222:223], v[154:155], v[184:185]
	;; [unrolled: 1-line block ×16, first 2 shown]
	s_waitcnt lgkmcnt(7)
	v_max_f64 v[188:189], v[188:189], v[188:189]
	v_max_f64 v[190:191], v[190:191], v[190:191]
	s_waitcnt lgkmcnt(6)
	v_max_f64 v[192:193], v[192:193], v[192:193]
	v_max_f64 v[194:195], v[194:195], v[194:195]
	;; [unrolled: 3-line block ×8, first 2 shown]
	v_min_f64 v[152:153], v[152:153], v[186:187]
	v_min_f64 v[154:155], v[154:155], v[186:187]
	;; [unrolled: 1-line block ×16, first 2 shown]
	s_add_i32 s6, s6, 8
	v_add_f64 v[132:133], v[132:133], v[220:221]
	v_add_f64 v[130:131], v[130:131], v[222:223]
	;; [unrolled: 1-line block ×15, first 2 shown]
	v_min_f64 v[220:221], v[188:189], v[184:185]
	v_min_f64 v[222:223], v[190:191], v[184:185]
	;; [unrolled: 1-line block ×16, first 2 shown]
	v_add_f64 v[68:69], v[68:69], v[152:153]
	v_add_f64 v[66:67], v[66:67], v[154:155]
	;; [unrolled: 1-line block ×16, first 2 shown]
	v_min_f64 v[152:153], v[188:189], v[186:187]
	v_min_f64 v[154:155], v[190:191], v[186:187]
	;; [unrolled: 1-line block ×16, first 2 shown]
	s_cmp_eq_u32 s6, 32
	v_add_f64 v[102:103], v[102:103], v[250:251]
	v_add_f64 v[100:101], v[100:101], v[220:221]
	;; [unrolled: 1-line block ×33, first 2 shown]
	s_cbranch_scc0 .LBB194_35
; %bb.36:                               ;   in Loop: Header=BB194_22 Depth=1
	s_add_i32 s20, s20, 8
	s_add_i32 s22, s22, 8
	s_cmp_ge_i32 s22, s27
	ds_write2st64_b64 v149, v[0:1], v[138:139] offset1:4
	ds_write2st64_b64 v150, v[2:3], v[4:5] offset1:4
	s_waitcnt lgkmcnt(0)
	s_barrier
	s_cbranch_scc0 .LBB194_22
	s_branch .LBB194_43
.LBB194_37:                             ;   in Loop: Header=BB194_22 Depth=1
	v_mov_b32_e32 v0, s21
	v_mov_b32_e32 v1, s21
	v_mov_b64_e32 v[138:139], 0
	v_add_u32_e32 v152, s20, v142
	s_cbranch_execnz .LBB194_24
.LBB194_38:                             ;   in Loop: Header=BB194_22 Depth=1
	v_mad_u64_u32 v[0:1], s[6:7], v152, s13, 0
	v_mov_b32_e32 v2, v1
	v_mad_u64_u32 v[2:3], s[6:7], v152, s26, v[2:3]
	v_mov_b32_e32 v1, v2
	v_lshl_add_u64 v[0:1], v[0:1], 3, v[134:135]
	global_load_dwordx2 v[2:3], v[0:1], off
	global_load_dwordx2 v[4:5], v[0:1], off offset:512
	s_waitcnt vmcnt(1)
	v_mul_f64 v[0:1], s[16:17], v[2:3]
	s_waitcnt vmcnt(0)
	v_mul_f64 v[138:139], s[16:17], v[4:5]
	s_mov_b64 s[6:7], -1
	s_mov_b64 vcc, s[4:5]
                                        ; implicit-def: $vgpr2_vgpr3_vgpr4_vgpr5
	s_cbranch_vccz .LBB194_25
.LBB194_39:                             ;   in Loop: Header=BB194_22 Depth=1
	v_mov_b32_e32 v2, s21
	v_mov_b32_e32 v3, s21
	v_mov_b64_e32 v[4:5], 0
	s_cbranch_execz .LBB194_26
	s_branch .LBB194_27
.LBB194_40:                             ;   in Loop: Header=BB194_22 Depth=1
	v_mov_b32_e32 v0, s21
	v_mov_b32_e32 v1, s21
	v_mov_b64_e32 v[138:139], 0
	v_add_u32_e32 v152, s20, v144
	s_cbranch_execnz .LBB194_31
.LBB194_41:                             ;   in Loop: Header=BB194_22 Depth=1
	v_mad_u64_u32 v[0:1], s[6:7], v152, s13, 0
	v_mov_b32_e32 v2, v1
	v_mad_u64_u32 v[2:3], s[6:7], v152, s26, v[2:3]
	v_mov_b32_e32 v1, v2
	v_lshl_add_u64 v[0:1], v[0:1], 3, v[134:135]
	global_load_dwordx2 v[2:3], v[0:1], off
	global_load_dwordx2 v[4:5], v[0:1], off offset:512
	s_waitcnt vmcnt(1)
	v_mul_f64 v[0:1], s[16:17], v[2:3]
	s_waitcnt vmcnt(0)
	v_mul_f64 v[138:139], s[16:17], v[4:5]
	s_mov_b64 s[6:7], -1
	s_mov_b64 vcc, s[4:5]
                                        ; implicit-def: $vgpr2_vgpr3_vgpr4_vgpr5
	s_cbranch_vccz .LBB194_32
.LBB194_42:                             ;   in Loop: Header=BB194_22 Depth=1
	v_mov_b32_e32 v2, s21
	v_mov_b32_e32 v3, s21
	v_mov_b64_e32 v[4:5], 0
	s_cbranch_execz .LBB194_33
	s_branch .LBB194_34
.LBB194_43:
	v_mov_b32_e32 v0, 0x1000
	v_lshl_add_u32 v0, v140, 5, v0
	s_mov_b32 s4, 0
.LBB194_44:                             ; =>This Inner Loop Header: Depth=1
	v_add_u32_e32 v1, s4, v0
	v_add_u32_e32 v138, s4, v143
	ds_read2_b64 v[2:5], v1 offset1:16
	ds_read2_b64 v[134:137], v1 offset0:32 offset1:48
	ds_read2_b64 v[144:147], v1 offset0:64 offset1:80
	;; [unrolled: 1-line block ×7, first 2 shown]
	v_add_u32_e32 v1, 0x800, v1
	ds_read2st64_b64 v[168:171], v138 offset1:4
	ds_read2_b64 v[172:175], v1 offset1:16
	ds_read2_b64 v[176:179], v1 offset0:32 offset1:48
	ds_read2_b64 v[180:183], v1 offset0:64 offset1:80
	;; [unrolled: 1-line block ×7, first 2 shown]
	s_waitcnt lgkmcnt(14)
	v_max_f64 v[2:3], v[2:3], v[2:3]
	v_max_f64 v[4:5], v[4:5], v[4:5]
	;; [unrolled: 1-line block ×3, first 2 shown]
	s_waitcnt lgkmcnt(8)
	v_max_f64 v[138:139], v[168:169], v[168:169]
	v_max_f64 v[136:137], v[136:137], v[136:137]
	;; [unrolled: 1-line block ×15, first 2 shown]
	v_min_f64 v[170:171], v[2:3], v[138:139]
	v_min_f64 v[204:205], v[4:5], v[138:139]
	;; [unrolled: 1-line block ×16, first 2 shown]
	s_waitcnt lgkmcnt(7)
	v_max_f64 v[172:173], v[172:173], v[172:173]
	v_max_f64 v[174:175], v[174:175], v[174:175]
	s_waitcnt lgkmcnt(6)
	v_max_f64 v[176:177], v[176:177], v[176:177]
	v_max_f64 v[178:179], v[178:179], v[178:179]
	;; [unrolled: 3-line block ×8, first 2 shown]
	v_min_f64 v[2:3], v[2:3], v[168:169]
	v_min_f64 v[4:5], v[4:5], v[168:169]
	;; [unrolled: 1-line block ×16, first 2 shown]
	s_add_i32 s4, s4, 8
	v_add_f64 v[132:133], v[132:133], v[170:171]
	v_add_f64 v[130:131], v[130:131], v[204:205]
	;; [unrolled: 1-line block ×15, first 2 shown]
	v_min_f64 v[170:171], v[172:173], v[138:139]
	v_min_f64 v[204:205], v[174:175], v[138:139]
	;; [unrolled: 1-line block ×16, first 2 shown]
	v_add_f64 v[68:69], v[68:69], v[2:3]
	v_add_f64 v[66:67], v[66:67], v[4:5]
	;; [unrolled: 1-line block ×16, first 2 shown]
	v_min_f64 v[2:3], v[172:173], v[168:169]
	v_min_f64 v[4:5], v[174:175], v[168:169]
	;; [unrolled: 1-line block ×16, first 2 shown]
	s_cmp_eq_u32 s4, 32
	v_add_f64 v[102:103], v[102:103], v[232:233]
	v_add_f64 v[100:101], v[100:101], v[170:171]
	;; [unrolled: 1-line block ×33, first 2 shown]
	s_cbranch_scc0 .LBB194_44
; %bb.45:
	s_load_dwordx2 s[6:7], s[0:1], 0x78
	s_load_dword s4, s[0:1], 0x58
	s_load_dword s5, s[0:1], 0x70
	v_add_u32_e32 v170, s12, v141
	v_add_u32_e32 v134, s2, v140
	s_waitcnt lgkmcnt(0)
	s_mul_i32 s1, s7, s3
	s_mul_hi_u32 s7, s6, s3
	s_mul_i32 s0, s6, s3
	s_add_i32 s1, s7, s1
	s_lshl_b64 s[0:1], s[0:1], 3
	s_add_u32 s0, s14, s0
	s_addc_u32 s1, s15, s1
	v_mad_i64_i32 v[2:3], s[2:3], v170, s5, 0
	v_add_u32_e32 v0, 4, v134
	v_lshl_add_u64 v[138:139], v[2:3], 3, s[0:1]
	v_mad_i64_i32 v[2:3], s[2:3], v170, s4, 0
	v_ashrrev_i32_e32 v135, 31, v134
	v_ashrrev_i32_e32 v1, 31, v0
	s_mov_b64 s[2:3], -1
	s_mov_b64 vcc, s[8:9]
	s_cbranch_vccz .LBB194_47
; %bb.46:
	v_add_f64 v[4:5], v[132:133], 0
	v_lshl_add_u64 v[136:137], v[134:135], 3, v[138:139]
	s_mov_b64 s[2:3], 0
	global_store_dwordx2 v[136:137], v[4:5], off
.LBB194_47:
	v_lshl_add_u64 v[146:147], v[2:3], 3, s[18:19]
	v_mov_b64_e32 v[4:5], 0
	s_andn2_b64 vcc, exec, s[2:3]
	v_lshlrev_b64 v[136:137], 3, v[134:135]
	s_cbranch_vccnz .LBB194_49
; %bb.48:
	v_lshl_add_u64 v[2:3], v[146:147], 0, v[136:137]
	global_load_dwordx2 v[2:3], v[2:3], off
	v_lshl_add_u64 v[4:5], v[138:139], 0, v[136:137]
	s_waitcnt vmcnt(0)
	v_fmac_f64_e32 v[132:133], s[10:11], v[2:3]
	global_store_dwordx2 v[4:5], v[132:133], off
	v_lshl_add_u64 v[2:3], v[0:1], 3, v[146:147]
	global_load_dwordx2 v[2:3], v[2:3], off
	s_waitcnt vmcnt(0)
	v_mul_f64 v[4:5], s[10:11], v[2:3]
.LBB194_49:
	v_add_u32_e32 v132, 8, v134
	v_add_u32_e32 v2, 12, v134
	v_ashrrev_i32_e32 v133, 31, v132
	v_ashrrev_i32_e32 v3, 31, v2
	v_add_f64 v[4:5], v[130:131], v[4:5]
	v_lshl_add_u64 v[130:131], v[0:1], 3, v[138:139]
	s_mov_b64 s[2:3], -1
	s_mov_b64 vcc, s[8:9]
	global_store_dwordx2 v[130:131], v[4:5], off
	s_cbranch_vccz .LBB194_51
; %bb.50:
	v_add_f64 v[4:5], v[128:129], 0
	v_lshl_add_u64 v[130:131], v[132:133], 3, v[138:139]
	s_mov_b64 s[2:3], 0
	global_store_dwordx2 v[130:131], v[4:5], off
.LBB194_51:
	v_mov_b64_e32 v[140:141], 0
	s_andn2_b64 vcc, exec, s[2:3]
	v_lshlrev_b64 v[130:131], 3, v[132:133]
	s_cbranch_vccnz .LBB194_53
; %bb.52:
	v_lshl_add_u64 v[4:5], v[146:147], 0, v[130:131]
	global_load_dwordx2 v[4:5], v[4:5], off
	v_lshl_add_u64 v[140:141], v[138:139], 0, v[130:131]
	s_waitcnt vmcnt(0)
	v_fmac_f64_e32 v[128:129], s[10:11], v[4:5]
	global_store_dwordx2 v[140:141], v[128:129], off
	v_lshl_add_u64 v[4:5], v[2:3], 3, v[146:147]
	global_load_dwordx2 v[4:5], v[4:5], off
	s_waitcnt vmcnt(0)
	v_mul_f64 v[140:141], s[10:11], v[4:5]
.LBB194_53:
	v_add_u32_e32 v128, 16, v134
	v_add_u32_e32 v4, 20, v134
	v_ashrrev_i32_e32 v129, 31, v128
	v_ashrrev_i32_e32 v5, 31, v4
	v_add_f64 v[126:127], v[126:127], v[140:141]
	v_lshl_add_u64 v[140:141], v[2:3], 3, v[138:139]
	s_mov_b64 s[2:3], -1
	s_mov_b64 vcc, s[8:9]
	global_store_dwordx2 v[140:141], v[126:127], off
	s_cbranch_vccz .LBB194_55
; %bb.54:
	v_add_f64 v[126:127], v[124:125], 0
	v_lshl_add_u64 v[140:141], v[128:129], 3, v[138:139]
	s_mov_b64 s[2:3], 0
	global_store_dwordx2 v[140:141], v[126:127], off
.LBB194_55:
	;; [unrolled: 32-line block ×15, first 2 shown]
	v_mov_b64_e32 v[168:169], 0
	s_andn2_b64 vcc, exec, s[2:3]
	v_lshlrev_b64 v[74:75], 3, v[78:79]
	s_cbranch_vccnz .LBB194_109
; %bb.108:
	v_lshl_add_u64 v[168:169], v[146:147], 0, v[74:75]
	global_load_dwordx2 v[168:169], v[168:169], off
	v_lshl_add_u64 v[172:173], v[138:139], 0, v[74:75]
	s_waitcnt vmcnt(0)
	v_fmac_f64_e32 v[72:73], s[10:11], v[168:169]
	global_store_dwordx2 v[172:173], v[72:73], off
	v_lshl_add_u64 v[72:73], v[76:77], 3, v[146:147]
	global_load_dwordx2 v[72:73], v[72:73], off
	s_waitcnt vmcnt(0)
	v_mul_f64 v[168:169], s[10:11], v[72:73]
.LBB194_109:
	v_add_f64 v[70:71], v[70:71], v[168:169]
	v_lshl_add_u64 v[72:73], v[76:77], 3, v[138:139]
	global_store_dwordx2 v[72:73], v[70:71], off
	v_add_u32_e32 v72, 64, v170
	v_mad_i64_i32 v[70:71], s[2:3], v72, s5, 0
	v_lshl_add_u64 v[70:71], v[70:71], 3, s[0:1]
	v_mad_i64_i32 v[72:73], s[0:1], v72, s4, 0
	s_mov_b64 s[0:1], -1
	s_mov_b64 vcc, s[8:9]
	s_cbranch_vccz .LBB194_111
; %bb.110:
	v_add_f64 v[138:139], v[68:69], 0
	v_lshl_add_u64 v[134:135], v[134:135], 3, v[70:71]
	s_mov_b64 s[0:1], 0
	global_store_dwordx2 v[134:135], v[138:139], off
.LBB194_111:
	v_lshl_add_u64 v[72:73], v[72:73], 3, s[18:19]
	s_andn2_b64 vcc, exec, s[0:1]
	v_mov_b64_e32 v[134:135], 0
	s_cbranch_vccnz .LBB194_113
; %bb.112:
	v_lshl_add_u64 v[134:135], v[72:73], 0, v[136:137]
	global_load_dwordx2 v[134:135], v[134:135], off
	v_lshl_add_u64 v[136:137], v[70:71], 0, v[136:137]
	s_waitcnt vmcnt(0)
	v_fmac_f64_e32 v[68:69], s[10:11], v[134:135]
	global_store_dwordx2 v[136:137], v[68:69], off
	v_lshl_add_u64 v[68:69], v[0:1], 3, v[72:73]
	global_load_dwordx2 v[68:69], v[68:69], off
	s_waitcnt vmcnt(0)
	v_mul_f64 v[134:135], s[10:11], v[68:69]
.LBB194_113:
	v_add_f64 v[66:67], v[66:67], v[134:135]
	v_lshl_add_u64 v[0:1], v[0:1], 3, v[70:71]
	s_mov_b64 s[0:1], -1
	s_mov_b64 vcc, s[8:9]
	global_store_dwordx2 v[0:1], v[66:67], off
	s_cbranch_vccz .LBB194_115
; %bb.114:
	v_add_f64 v[0:1], v[64:65], 0
	v_lshl_add_u64 v[66:67], v[132:133], 3, v[70:71]
	s_mov_b64 s[0:1], 0
	global_store_dwordx2 v[66:67], v[0:1], off
.LBB194_115:
	s_andn2_b64 vcc, exec, s[0:1]
	v_mov_b64_e32 v[0:1], 0
	s_cbranch_vccnz .LBB194_117
; %bb.116:
	v_lshl_add_u64 v[0:1], v[72:73], 0, v[130:131]
	global_load_dwordx2 v[0:1], v[0:1], off
	v_lshl_add_u64 v[66:67], v[70:71], 0, v[130:131]
	s_waitcnt vmcnt(0)
	v_fmac_f64_e32 v[64:65], s[10:11], v[0:1]
	global_store_dwordx2 v[66:67], v[64:65], off
	v_lshl_add_u64 v[0:1], v[2:3], 3, v[72:73]
	global_load_dwordx2 v[0:1], v[0:1], off
	s_waitcnt vmcnt(0)
	v_mul_f64 v[0:1], s[10:11], v[0:1]
.LBB194_117:
	v_add_f64 v[0:1], v[62:63], v[0:1]
	v_lshl_add_u64 v[2:3], v[2:3], 3, v[70:71]
	s_mov_b64 s[0:1], -1
	s_mov_b64 vcc, s[8:9]
	global_store_dwordx2 v[2:3], v[0:1], off
	s_cbranch_vccz .LBB194_119
; %bb.118:
	v_add_f64 v[0:1], v[60:61], 0
	v_lshl_add_u64 v[2:3], v[128:129], 3, v[70:71]
	s_mov_b64 s[0:1], 0
	global_store_dwordx2 v[2:3], v[0:1], off
.LBB194_119:
	;; [unrolled: 27-line block ×14, first 2 shown]
	s_andn2_b64 vcc, exec, s[0:1]
	v_mov_b64_e32 v[0:1], 0
	s_cbranch_vccnz .LBB194_169
; %bb.168:
	v_lshl_add_u64 v[0:1], v[72:73], 0, v[166:167]
	global_load_dwordx2 v[0:1], v[0:1], off
	v_lshl_add_u64 v[2:3], v[70:71], 0, v[166:167]
	s_waitcnt vmcnt(0)
	v_fmac_f64_e32 v[12:13], s[10:11], v[0:1]
	global_store_dwordx2 v[2:3], v[12:13], off
	v_lshl_add_u64 v[0:1], v[80:81], 3, v[72:73]
	global_load_dwordx2 v[0:1], v[0:1], off
	s_waitcnt vmcnt(0)
	v_mul_f64 v[0:1], s[10:11], v[0:1]
.LBB194_169:
	v_add_f64 v[0:1], v[10:11], v[0:1]
	v_lshl_add_u64 v[2:3], v[80:81], 3, v[70:71]
	s_mov_b64 s[0:1], -1
	s_mov_b64 vcc, s[8:9]
	global_store_dwordx2 v[2:3], v[0:1], off
	s_cbranch_vccnz .LBB194_172
; %bb.170:
	s_andn2_b64 vcc, exec, s[0:1]
	v_mov_b64_e32 v[0:1], 0
	s_cbranch_vccz .LBB194_173
.LBB194_171:
	v_add_f64 v[0:1], v[6:7], v[0:1]
	v_lshl_add_u64 v[2:3], v[76:77], 3, v[70:71]
	global_store_dwordx2 v[2:3], v[0:1], off
	s_endpgm
.LBB194_172:
	v_add_f64 v[0:1], v[8:9], 0
	v_lshl_add_u64 v[2:3], v[78:79], 3, v[70:71]
	global_store_dwordx2 v[2:3], v[0:1], off
	v_mov_b64_e32 v[0:1], 0
	s_cbranch_execnz .LBB194_171
.LBB194_173:
	v_lshl_add_u64 v[0:1], v[72:73], 0, v[74:75]
	global_load_dwordx2 v[0:1], v[0:1], off
	v_lshl_add_u64 v[2:3], v[70:71], 0, v[74:75]
	s_waitcnt vmcnt(0)
	v_fmac_f64_e32 v[8:9], s[10:11], v[0:1]
	global_store_dwordx2 v[2:3], v[8:9], off
	v_lshl_add_u64 v[0:1], v[76:77], 3, v[72:73]
	global_load_dwordx2 v[0:1], v[0:1], off
	s_waitcnt vmcnt(0)
	v_mul_f64 v[0:1], s[10:11], v[0:1]
	v_add_f64 v[0:1], v[6:7], v[0:1]
	v_lshl_add_u64 v[2:3], v[76:77], 3, v[70:71]
	global_store_dwordx2 v[2:3], v[0:1], off
	s_endpgm
	.section	.rodata,"a",@progbits
	.p2align	6, 0x0
	.amdhsa_kernel _ZN12_GLOBAL__N_120geam_min_plus_kernelIdddLi4ELi64ELi128ELi128ELi4ELi64ELi4ELi64ELi4ELc78ELc84ELb0ELb0ELb0EdKddEEviiiT16_PT17_ilS4_ilS2_S4_ilPT18_ili26rocblas_geam_ex_operation_
		.amdhsa_group_segment_fixed_size 16384
		.amdhsa_private_segment_fixed_size 0
		.amdhsa_kernarg_size 136
		.amdhsa_user_sgpr_count 2
		.amdhsa_user_sgpr_dispatch_ptr 0
		.amdhsa_user_sgpr_queue_ptr 0
		.amdhsa_user_sgpr_kernarg_segment_ptr 1
		.amdhsa_user_sgpr_dispatch_id 0
		.amdhsa_user_sgpr_kernarg_preload_length 0
		.amdhsa_user_sgpr_kernarg_preload_offset 0
		.amdhsa_user_sgpr_private_segment_size 0
		.amdhsa_uses_dynamic_stack 0
		.amdhsa_enable_private_segment 0
		.amdhsa_system_sgpr_workgroup_id_x 1
		.amdhsa_system_sgpr_workgroup_id_y 0
		.amdhsa_system_sgpr_workgroup_id_z 1
		.amdhsa_system_sgpr_workgroup_info 0
		.amdhsa_system_vgpr_workitem_id 1
		.amdhsa_next_free_vgpr 252
		.amdhsa_next_free_sgpr 30
		.amdhsa_accum_offset 252
		.amdhsa_reserve_vcc 1
		.amdhsa_float_round_mode_32 0
		.amdhsa_float_round_mode_16_64 0
		.amdhsa_float_denorm_mode_32 3
		.amdhsa_float_denorm_mode_16_64 3
		.amdhsa_dx10_clamp 1
		.amdhsa_ieee_mode 1
		.amdhsa_fp16_overflow 0
		.amdhsa_tg_split 0
		.amdhsa_exception_fp_ieee_invalid_op 0
		.amdhsa_exception_fp_denorm_src 0
		.amdhsa_exception_fp_ieee_div_zero 0
		.amdhsa_exception_fp_ieee_overflow 0
		.amdhsa_exception_fp_ieee_underflow 0
		.amdhsa_exception_fp_ieee_inexact 0
		.amdhsa_exception_int_div_zero 0
	.end_amdhsa_kernel
	.section	.text._ZN12_GLOBAL__N_120geam_min_plus_kernelIdddLi4ELi64ELi128ELi128ELi4ELi64ELi4ELi64ELi4ELc78ELc84ELb0ELb0ELb0EdKddEEviiiT16_PT17_ilS4_ilS2_S4_ilPT18_ili26rocblas_geam_ex_operation_,"axG",@progbits,_ZN12_GLOBAL__N_120geam_min_plus_kernelIdddLi4ELi64ELi128ELi128ELi4ELi64ELi4ELi64ELi4ELc78ELc84ELb0ELb0ELb0EdKddEEviiiT16_PT17_ilS4_ilS2_S4_ilPT18_ili26rocblas_geam_ex_operation_,comdat
.Lfunc_end194:
	.size	_ZN12_GLOBAL__N_120geam_min_plus_kernelIdddLi4ELi64ELi128ELi128ELi4ELi64ELi4ELi64ELi4ELc78ELc84ELb0ELb0ELb0EdKddEEviiiT16_PT17_ilS4_ilS2_S4_ilPT18_ili26rocblas_geam_ex_operation_, .Lfunc_end194-_ZN12_GLOBAL__N_120geam_min_plus_kernelIdddLi4ELi64ELi128ELi128ELi4ELi64ELi4ELi64ELi4ELc78ELc84ELb0ELb0ELb0EdKddEEviiiT16_PT17_ilS4_ilS2_S4_ilPT18_ili26rocblas_geam_ex_operation_
                                        ; -- End function
	.set _ZN12_GLOBAL__N_120geam_min_plus_kernelIdddLi4ELi64ELi128ELi128ELi4ELi64ELi4ELi64ELi4ELc78ELc84ELb0ELb0ELb0EdKddEEviiiT16_PT17_ilS4_ilS2_S4_ilPT18_ili26rocblas_geam_ex_operation_.num_vgpr, 252
	.set _ZN12_GLOBAL__N_120geam_min_plus_kernelIdddLi4ELi64ELi128ELi128ELi4ELi64ELi4ELi64ELi4ELc78ELc84ELb0ELb0ELb0EdKddEEviiiT16_PT17_ilS4_ilS2_S4_ilPT18_ili26rocblas_geam_ex_operation_.num_agpr, 0
	.set _ZN12_GLOBAL__N_120geam_min_plus_kernelIdddLi4ELi64ELi128ELi128ELi4ELi64ELi4ELi64ELi4ELc78ELc84ELb0ELb0ELb0EdKddEEviiiT16_PT17_ilS4_ilS2_S4_ilPT18_ili26rocblas_geam_ex_operation_.numbered_sgpr, 30
	.set _ZN12_GLOBAL__N_120geam_min_plus_kernelIdddLi4ELi64ELi128ELi128ELi4ELi64ELi4ELi64ELi4ELc78ELc84ELb0ELb0ELb0EdKddEEviiiT16_PT17_ilS4_ilS2_S4_ilPT18_ili26rocblas_geam_ex_operation_.num_named_barrier, 0
	.set _ZN12_GLOBAL__N_120geam_min_plus_kernelIdddLi4ELi64ELi128ELi128ELi4ELi64ELi4ELi64ELi4ELc78ELc84ELb0ELb0ELb0EdKddEEviiiT16_PT17_ilS4_ilS2_S4_ilPT18_ili26rocblas_geam_ex_operation_.private_seg_size, 0
	.set _ZN12_GLOBAL__N_120geam_min_plus_kernelIdddLi4ELi64ELi128ELi128ELi4ELi64ELi4ELi64ELi4ELc78ELc84ELb0ELb0ELb0EdKddEEviiiT16_PT17_ilS4_ilS2_S4_ilPT18_ili26rocblas_geam_ex_operation_.uses_vcc, 1
	.set _ZN12_GLOBAL__N_120geam_min_plus_kernelIdddLi4ELi64ELi128ELi128ELi4ELi64ELi4ELi64ELi4ELc78ELc84ELb0ELb0ELb0EdKddEEviiiT16_PT17_ilS4_ilS2_S4_ilPT18_ili26rocblas_geam_ex_operation_.uses_flat_scratch, 0
	.set _ZN12_GLOBAL__N_120geam_min_plus_kernelIdddLi4ELi64ELi128ELi128ELi4ELi64ELi4ELi64ELi4ELc78ELc84ELb0ELb0ELb0EdKddEEviiiT16_PT17_ilS4_ilS2_S4_ilPT18_ili26rocblas_geam_ex_operation_.has_dyn_sized_stack, 0
	.set _ZN12_GLOBAL__N_120geam_min_plus_kernelIdddLi4ELi64ELi128ELi128ELi4ELi64ELi4ELi64ELi4ELc78ELc84ELb0ELb0ELb0EdKddEEviiiT16_PT17_ilS4_ilS2_S4_ilPT18_ili26rocblas_geam_ex_operation_.has_recursion, 0
	.set _ZN12_GLOBAL__N_120geam_min_plus_kernelIdddLi4ELi64ELi128ELi128ELi4ELi64ELi4ELi64ELi4ELc78ELc84ELb0ELb0ELb0EdKddEEviiiT16_PT17_ilS4_ilS2_S4_ilPT18_ili26rocblas_geam_ex_operation_.has_indirect_call, 0
	.section	.AMDGPU.csdata,"",@progbits
; Kernel info:
; codeLenInByte = 13060
; TotalNumSgprs: 36
; NumVgprs: 252
; NumAgprs: 0
; TotalNumVgprs: 252
; ScratchSize: 0
; MemoryBound: 0
; FloatMode: 240
; IeeeMode: 1
; LDSByteSize: 16384 bytes/workgroup (compile time only)
; SGPRBlocks: 4
; VGPRBlocks: 31
; NumSGPRsForWavesPerEU: 36
; NumVGPRsForWavesPerEU: 252
; AccumOffset: 252
; Occupancy: 2
; WaveLimiterHint : 1
; COMPUTE_PGM_RSRC2:SCRATCH_EN: 0
; COMPUTE_PGM_RSRC2:USER_SGPR: 2
; COMPUTE_PGM_RSRC2:TRAP_HANDLER: 0
; COMPUTE_PGM_RSRC2:TGID_X_EN: 1
; COMPUTE_PGM_RSRC2:TGID_Y_EN: 0
; COMPUTE_PGM_RSRC2:TGID_Z_EN: 1
; COMPUTE_PGM_RSRC2:TIDIG_COMP_CNT: 1
; COMPUTE_PGM_RSRC3_GFX90A:ACCUM_OFFSET: 62
; COMPUTE_PGM_RSRC3_GFX90A:TG_SPLIT: 0
	.section	.text._ZN12_GLOBAL__N_120geam_min_plus_kernelIdddLi4ELi64ELi128ELi128ELi4ELi64ELi4ELi64ELi4ELc78ELc84ELb0ELb1ELb0EPKdS1_dEEviiiT16_PT17_ilS5_ilS3_S5_ilPT18_ili26rocblas_geam_ex_operation_,"axG",@progbits,_ZN12_GLOBAL__N_120geam_min_plus_kernelIdddLi4ELi64ELi128ELi128ELi4ELi64ELi4ELi64ELi4ELc78ELc84ELb0ELb1ELb0EPKdS1_dEEviiiT16_PT17_ilS5_ilS3_S5_ilPT18_ili26rocblas_geam_ex_operation_,comdat
	.globl	_ZN12_GLOBAL__N_120geam_min_plus_kernelIdddLi4ELi64ELi128ELi128ELi4ELi64ELi4ELi64ELi4ELc78ELc84ELb0ELb1ELb0EPKdS1_dEEviiiT16_PT17_ilS5_ilS3_S5_ilPT18_ili26rocblas_geam_ex_operation_ ; -- Begin function _ZN12_GLOBAL__N_120geam_min_plus_kernelIdddLi4ELi64ELi128ELi128ELi4ELi64ELi4ELi64ELi4ELc78ELc84ELb0ELb1ELb0EPKdS1_dEEviiiT16_PT17_ilS5_ilS3_S5_ilPT18_ili26rocblas_geam_ex_operation_
	.p2align	8
	.type	_ZN12_GLOBAL__N_120geam_min_plus_kernelIdddLi4ELi64ELi128ELi128ELi4ELi64ELi4ELi64ELi4ELc78ELc84ELb0ELb1ELb0EPKdS1_dEEviiiT16_PT17_ilS5_ilS3_S5_ilPT18_ili26rocblas_geam_ex_operation_,@function
_ZN12_GLOBAL__N_120geam_min_plus_kernelIdddLi4ELi64ELi128ELi128ELi4ELi64ELi4ELi64ELi4ELc78ELc84ELb0ELb1ELb0EPKdS1_dEEviiiT16_PT17_ilS5_ilS3_S5_ilPT18_ili26rocblas_geam_ex_operation_: ; @_ZN12_GLOBAL__N_120geam_min_plus_kernelIdddLi4ELi64ELi128ELi128ELi4ELi64ELi4ELi64ELi4ELc78ELc84ELb0ELb1ELb0EPKdS1_dEEviiiT16_PT17_ilS5_ilS3_S5_ilPT18_ili26rocblas_geam_ex_operation_
; %bb.0:
	s_load_dwordx4 s[12:15], s[0:1], 0x10
	s_load_dwordx4 s[4:7], s[0:1], 0x28
	;; [unrolled: 1-line block ×3, first 2 shown]
	s_mov_b32 s16, s3
	s_mov_b32 s17, 0
	s_lshl_b64 s[20:21], s[16:17], 3
	s_waitcnt lgkmcnt(0)
	s_add_u32 s12, s12, s20
	s_addc_u32 s13, s13, s21
	s_load_dwordx2 s[18:19], s[12:13], 0x0
	s_load_dwordx2 s[24:25], s[0:1], 0x50
	s_add_u32 s10, s10, s20
	s_addc_u32 s11, s11, s21
	s_mov_b64 s[20:21], 0
	s_waitcnt lgkmcnt(0)
	v_cmp_eq_f64_e64 s[22:23], s[18:19], 0
	v_cmp_neq_f64_e64 s[12:13], s[18:19], 0
	s_and_b64 vcc, exec, s[22:23]
	s_mov_b64 s[22:23], 0
	s_cbranch_vccnz .LBB195_2
; %bb.1:
	s_mul_i32 s3, s5, s16
	s_mul_hi_u32 s5, s4, s16
	s_add_i32 s5, s5, s3
	s_mul_i32 s4, s4, s16
	s_lshl_b64 s[4:5], s[4:5], 3
	s_add_u32 s22, s14, s4
	s_addc_u32 s23, s15, s5
.LBB195_2:
	s_load_dwordx2 s[70:71], s[10:11], 0x0
	s_andn2_b64 vcc, exec, s[12:13]
	s_cbranch_vccnz .LBB195_4
; %bb.3:
	s_mul_i32 s3, s9, s16
	s_mul_hi_u32 s4, s8, s16
	s_add_i32 s5, s4, s3
	s_mul_i32 s4, s8, s16
	s_lshl_b64 s[4:5], s[4:5], 3
	s_add_u32 s20, s6, s4
	s_addc_u32 s21, s7, s5
.LBB195_4:
	s_load_dwordx4 s[8:11], s[0:1], 0x60
	s_waitcnt lgkmcnt(0)
	v_cmp_eq_f64_e64 s[4:5], s[70:71], 0
	s_mov_b64 s[76:77], 0
	v_cmp_neq_f64_e64 s[12:13], s[70:71], 0
	s_and_b64 vcc, exec, s[4:5]
	s_cbranch_vccnz .LBB195_6
; %bb.5:
	s_mul_i32 s3, s9, s16
	s_mul_hi_u32 s4, s8, s16
	s_add_i32 s5, s4, s3
	s_mul_i32 s4, s8, s16
	s_lshl_b64 s[4:5], s[4:5], 3
	s_add_u32 s76, s24, s4
	s_addc_u32 s77, s25, s5
.LBB195_6:
	s_load_dwordx4 s[72:75], s[0:1], 0x0
	s_load_dword s27, s[0:1], 0x20
	v_and_b32_e32 v142, 0x3ff, v0
	v_bfe_u32 v143, v0, 10, 10
	v_lshl_add_u32 v0, v143, 2, v142
	s_waitcnt lgkmcnt(0)
	s_add_i32 s3, s72, -1
	s_ashr_i32 s4, s3, 31
	s_lshr_b32 s4, s4, 25
	s_add_i32 s3, s3, s4
	s_ashr_i32 s3, s3, 7
	s_add_i32 s4, s3, 1
	v_cvt_f32_u32_e32 v1, s4
	s_not_b32 s3, s3
	v_lshrrev_b32_e32 v144, 6, v0
	v_and_b32_e32 v140, 63, v0
	v_rcp_iflag_f32_e32 v1, v1
	v_cmp_le_i32_e32 vcc, s74, v144
	v_cmp_eq_f64_e64 s[14:15], s[18:19], 0
	v_mul_f32_e32 v1, 0x4f7ffffe, v1
	v_cvt_u32_f32_e32 v1, v1
	s_nop 0
	v_readfirstlane_b32 s5, v1
	s_mul_i32 s3, s3, s5
	s_mul_hi_u32 s3, s5, s3
	s_add_i32 s5, s5, s3
	s_mul_hi_u32 s3, s2, s5
	s_mul_i32 s5, s3, s4
	s_sub_i32 s5, s2, s5
	s_add_i32 s6, s3, 1
	s_sub_i32 s7, s5, s4
	s_cmp_ge_u32 s5, s4
	s_cselect_b32 s3, s6, s3
	s_cselect_b32 s5, s7, s5
	s_add_i32 s6, s3, 1
	s_cmp_ge_u32 s5, s4
	s_cselect_b32 s8, s6, s3
	s_mul_i32 s3, s8, s4
	s_add_i32 s28, s74, -1
	s_sub_i32 s2, s2, s3
	v_min_i32_e32 v6, s28, v144
	s_lshl_b32 s17, s2, 7
	v_or_b32_e32 v128, s17, v140
	v_mad_i64_i32 v[2:3], s[2:3], s27, v6, 0
	v_cmp_le_i32_e64 s[2:3], s72, v128
	s_or_b64 s[4:5], s[2:3], vcc
	v_mov_b64_e32 v[0:1], 0
	v_lshl_add_u64 v[4:5], v[2:3], 3, s[22:23]
	s_nor_b64 s[6:7], s[14:15], s[4:5]
	v_ashrrev_i32_e32 v129, 31, v128
	v_mov_b64_e32 v[2:3], 0
	s_and_saveexec_b64 s[4:5], s[6:7]
	s_cbranch_execz .LBB195_8
; %bb.7:
	v_lshl_add_u64 v[2:3], v[128:129], 3, v[4:5]
	global_load_dwordx2 v[2:3], v[2:3], off
	s_waitcnt vmcnt(0)
	v_mul_f64 v[2:3], s[18:19], v[2:3]
.LBB195_8:
	s_or_b64 exec, exec, s[4:5]
	v_or_b32_e32 v7, 64, v128
	v_cmp_le_i32_e64 s[4:5], s72, v7
	s_or_b64 s[6:7], s[4:5], vcc
	s_nor_b64 s[24:25], s[14:15], s[6:7]
	s_and_saveexec_b64 s[6:7], s[24:25]
	s_cbranch_execz .LBB195_10
; %bb.9:
	v_lshl_add_u64 v[0:1], v[128:129], 3, v[4:5]
	global_load_dwordx2 v[0:1], v[0:1], off offset:512
	s_waitcnt vmcnt(0)
	v_mul_f64 v[0:1], s[18:19], v[0:1]
.LBB195_10:
	s_or_b64 exec, exec, s[6:7]
	s_load_dword s29, s[0:1], 0x38
	s_lshl_b32 s26, s8, 7
	v_or_b32_e32 v130, s26, v140
	v_cmp_le_i32_e64 s[6:7], s73, v130
	v_ashrrev_i32_e32 v131, 31, v130
	s_waitcnt lgkmcnt(0)
	v_mad_i64_i32 v[4:5], s[8:9], s29, v6, 0
	s_or_b64 s[8:9], s[6:7], vcc
	v_lshl_add_u64 v[8:9], v[4:5], 3, s[20:21]
	s_nor_b64 s[24:25], s[14:15], s[8:9]
	v_mov_b64_e32 v[4:5], 0
	v_mov_b64_e32 v[6:7], 0
	s_and_saveexec_b64 s[8:9], s[24:25]
	s_cbranch_execz .LBB195_12
; %bb.11:
	v_lshl_add_u64 v[6:7], v[130:131], 3, v[8:9]
	global_load_dwordx2 v[6:7], v[6:7], off
	s_waitcnt vmcnt(0)
	v_mul_f64 v[6:7], s[18:19], v[6:7]
.LBB195_12:
	s_or_b64 exec, exec, s[8:9]
	v_or_b32_e32 v10, 64, v130
	v_cmp_le_i32_e64 s[8:9], s73, v10
	s_or_b64 s[24:25], s[8:9], vcc
	s_nor_b64 s[30:31], s[14:15], s[24:25]
	s_and_saveexec_b64 s[24:25], s[30:31]
	s_cbranch_execz .LBB195_14
; %bb.13:
	v_lshl_add_u64 v[4:5], v[130:131], 3, v[8:9]
	global_load_dwordx2 v[4:5], v[4:5], off offset:512
	s_waitcnt vmcnt(0)
	v_mul_f64 v[4:5], s[18:19], v[4:5]
.LBB195_14:
	s_or_b64 exec, exec, s[24:25]
	v_add_u32_e32 v8, 4, v144
	v_min_i32_e32 v10, s28, v8
	v_cmp_le_i32_e32 vcc, s74, v8
	v_mad_i64_i32 v[8:9], s[24:25], s27, v10, 0
	s_or_b64 s[24:25], s[2:3], vcc
	v_lshl_add_u64 v[8:9], v[8:9], 3, s[22:23]
	s_nor_b64 s[30:31], s[14:15], s[24:25]
	v_mov_b64_e32 v[132:133], 0
	v_mov_b64_e32 v[134:135], 0
	s_and_saveexec_b64 s[24:25], s[30:31]
	s_cbranch_execz .LBB195_16
; %bb.15:
	v_lshl_add_u64 v[12:13], v[128:129], 3, v[8:9]
	global_load_dwordx2 v[12:13], v[12:13], off
	s_waitcnt vmcnt(0)
	v_mul_f64 v[134:135], s[18:19], v[12:13]
.LBB195_16:
	s_or_b64 exec, exec, s[24:25]
	s_or_b64 s[24:25], s[4:5], vcc
	s_nor_b64 s[30:31], s[14:15], s[24:25]
	s_and_saveexec_b64 s[24:25], s[30:31]
	s_cbranch_execz .LBB195_18
; %bb.17:
	v_lshl_add_u64 v[8:9], v[128:129], 3, v[8:9]
	global_load_dwordx2 v[8:9], v[8:9], off offset:512
	s_waitcnt vmcnt(0)
	v_mul_f64 v[132:133], s[18:19], v[8:9]
.LBB195_18:
	s_or_b64 exec, exec, s[24:25]
	v_mad_i64_i32 v[8:9], s[24:25], s29, v10, 0
	s_or_b64 s[24:25], s[6:7], vcc
	v_lshl_add_u64 v[8:9], v[8:9], 3, s[20:21]
	s_nor_b64 s[30:31], s[14:15], s[24:25]
	v_mov_b64_e32 v[136:137], 0
	v_mov_b64_e32 v[138:139], 0
	s_and_saveexec_b64 s[24:25], s[30:31]
	s_cbranch_execz .LBB195_20
; %bb.19:
	v_lshl_add_u64 v[10:11], v[130:131], 3, v[8:9]
	global_load_dwordx2 v[10:11], v[10:11], off
	s_waitcnt vmcnt(0)
	v_mul_f64 v[138:139], s[18:19], v[10:11]
.LBB195_20:
	s_or_b64 exec, exec, s[24:25]
	s_or_b64 s[24:25], s[8:9], vcc
	s_nor_b64 s[30:31], s[14:15], s[24:25]
	s_and_saveexec_b64 s[24:25], s[30:31]
	s_cbranch_execz .LBB195_22
; %bb.21:
	v_lshl_add_u64 v[8:9], v[130:131], 3, v[8:9]
	global_load_dwordx2 v[8:9], v[8:9], off offset:512
	s_waitcnt vmcnt(0)
	v_mul_f64 v[136:137], s[18:19], v[8:9]
.LBB195_22:
	s_or_b64 exec, exec, s[24:25]
	v_lshlrev_b32_e32 v8, 5, v140
	v_lshl_add_u32 v146, v144, 3, v8
	v_lshlrev_b32_e32 v141, 5, v143
	ds_write2st64_b64 v146, v[2:3], v[0:1] offset1:4
	v_or_b32_e32 v147, 0x2000, v146
	ds_write2st64_b64 v146, v[6:7], v[4:5] offset0:16 offset1:20
	v_lshlrev_b32_e32 v148, 5, v142
	v_add_u32_e32 v149, 0x2000, v141
	v_mov_b64_e32 v[126:127], 0
	s_mov_b32 s24, 0
	v_mov_b64_e32 v[124:125], 0
	v_mov_b64_e32 v[122:123], 0
	;; [unrolled: 1-line block ×63, first 2 shown]
	s_waitcnt lgkmcnt(0)
	s_barrier
.LBB195_23:                             ; =>This Inner Loop Header: Depth=1
	v_add_u32_e32 v145, s24, v148
	v_add_u32_e32 v182, s24, v149
	ds_read2_b64 v[150:153], v145 offset1:16
	ds_read2_b64 v[154:157], v145 offset0:32 offset1:48
	ds_read2_b64 v[158:161], v145 offset0:64 offset1:80
	ds_read2_b64 v[162:165], v145 offset0:96 offset1:112
	ds_read2_b64 v[166:169], v145 offset0:128 offset1:144
	ds_read2_b64 v[170:173], v145 offset0:160 offset1:176
	ds_read2_b64 v[174:177], v145 offset0:192 offset1:208
	ds_read2_b64 v[178:181], v145 offset0:224 offset1:240
	ds_read2st64_b64 v[182:185], v182 offset1:4
	v_add_u32_e32 v145, 0x800, v145
	ds_read2_b64 v[186:189], v145 offset1:16
	ds_read2_b64 v[190:193], v145 offset0:32 offset1:48
	ds_read2_b64 v[194:197], v145 offset0:64 offset1:80
	ds_read2_b64 v[198:201], v145 offset0:96 offset1:112
	ds_read2_b64 v[202:205], v145 offset0:128 offset1:144
	ds_read2_b64 v[206:209], v145 offset0:160 offset1:176
	ds_read2_b64 v[210:213], v145 offset0:192 offset1:208
	ds_read2_b64 v[214:217], v145 offset0:224 offset1:240
	s_waitcnt lgkmcnt(14)
	v_max_f64 v[150:151], v[150:151], v[150:151]
	v_max_f64 v[152:153], v[152:153], v[152:153]
	;; [unrolled: 1-line block ×6, first 2 shown]
	s_waitcnt lgkmcnt(13)
	v_max_f64 v[162:163], v[162:163], v[162:163]
	v_max_f64 v[164:165], v[164:165], v[164:165]
	s_waitcnt lgkmcnt(12)
	v_max_f64 v[166:167], v[166:167], v[166:167]
	v_max_f64 v[168:169], v[168:169], v[168:169]
	;; [unrolled: 3-line block ×14, first 2 shown]
	v_min_f64 v[218:219], v[150:151], v[182:183]
	v_min_f64 v[220:221], v[152:153], v[182:183]
	;; [unrolled: 1-line block ×32, first 2 shown]
	s_add_i32 s24, s24, 8
	v_add_f64 v[62:63], v[62:63], v[150:151]
	v_add_f64 v[60:61], v[60:61], v[152:153]
	;; [unrolled: 1-line block ×16, first 2 shown]
	v_min_f64 v[150:151], v[186:187], v[182:183]
	v_min_f64 v[152:153], v[188:189], v[182:183]
	;; [unrolled: 1-line block ×32, first 2 shown]
	s_cmp_eq_u32 s24, 32
	v_add_f64 v[126:127], v[126:127], v[218:219]
	v_add_f64 v[124:125], v[124:125], v[220:221]
	;; [unrolled: 1-line block ×48, first 2 shown]
	s_cbranch_scc0 .LBB195_23
; %bb.24:
	v_lshlrev_b32_e32 v145, 3, v144
	v_lshl_add_u32 v140, v140, 5, v145
	s_cmp_gt_i32 s74, 8
	ds_write2st64_b64 v140, v[134:135], v[132:133] offset0:8 offset1:12
	ds_write2st64_b64 v140, v[138:139], v[136:137] offset0:24 offset1:28
	s_waitcnt lgkmcnt(0)
	s_barrier
	s_cbranch_scc1 .LBB195_26
; %bb.25:
	v_add_u32_e32 v145, 0x3000, v141
	s_cbranch_execz .LBB195_27
	s_branch .LBB195_49
.LBB195_26:
                                        ; implicit-def: $vgpr145
.LBB195_27:
	v_mov_b32_e32 v132, 0x1000
	v_or_b32_e32 v150, 0x1000, v140
	v_or_b32_e32 v151, 0x3000, v140
	s_add_i32 s30, s74, -8
	v_lshl_add_u32 v152, v142, 5, v132
	v_add_u32_e32 v145, 0x3000, v141
	s_mov_b32 s31, 8
	s_mov_b32 s33, 0
.LBB195_28:                             ; =>This Loop Header: Depth=1
                                        ;     Child Loop BB195_37 Depth 2
                                        ;     Child Loop BB195_47 Depth 2
	v_add_u32_e32 v132, s31, v144
	v_min_i32_e32 v138, s28, v132
	v_cmp_le_i32_e32 vcc, s74, v132
	v_mad_i64_i32 v[132:133], s[24:25], v138, s27, 0
	v_lshl_add_u64 v[134:135], v[132:133], 3, s[22:23]
	s_or_b64 s[24:25], s[2:3], vcc
	s_nor_b64 s[34:35], s[14:15], s[24:25]
	v_mov_b64_e32 v[132:133], 0
	v_lshl_add_u64 v[136:137], v[128:129], 3, v[134:135]
	v_mov_b64_e32 v[134:135], 0
	s_and_saveexec_b64 s[24:25], s[34:35]
	s_cbranch_execz .LBB195_30
; %bb.29:                               ;   in Loop: Header=BB195_28 Depth=1
	global_load_dwordx2 v[134:135], v[136:137], off
	s_waitcnt vmcnt(0)
	v_mul_f64 v[134:135], s[18:19], v[134:135]
.LBB195_30:                             ;   in Loop: Header=BB195_28 Depth=1
	s_or_b64 exec, exec, s[24:25]
	s_or_b64 s[24:25], s[4:5], vcc
	s_nor_b64 s[34:35], s[14:15], s[24:25]
	s_and_saveexec_b64 s[24:25], s[34:35]
	s_cbranch_execz .LBB195_32
; %bb.31:                               ;   in Loop: Header=BB195_28 Depth=1
	global_load_dwordx2 v[132:133], v[136:137], off offset:512
	s_waitcnt vmcnt(0)
	v_mul_f64 v[132:133], s[18:19], v[132:133]
.LBB195_32:                             ;   in Loop: Header=BB195_28 Depth=1
	s_or_b64 exec, exec, s[24:25]
	v_mad_i64_i32 v[136:137], s[24:25], v138, s29, 0
	v_lshl_add_u64 v[138:139], v[136:137], 3, s[20:21]
	s_or_b64 s[24:25], s[6:7], vcc
	s_nor_b64 s[34:35], s[14:15], s[24:25]
	v_mov_b64_e32 v[136:137], 0
	v_lshl_add_u64 v[140:141], v[130:131], 3, v[138:139]
	v_mov_b64_e32 v[138:139], 0
	s_and_saveexec_b64 s[24:25], s[34:35]
	s_cbranch_execz .LBB195_34
; %bb.33:                               ;   in Loop: Header=BB195_28 Depth=1
	global_load_dwordx2 v[138:139], v[140:141], off
	s_waitcnt vmcnt(0)
	v_mul_f64 v[138:139], s[18:19], v[138:139]
.LBB195_34:                             ;   in Loop: Header=BB195_28 Depth=1
	s_or_b64 exec, exec, s[24:25]
	s_or_b64 s[24:25], s[8:9], vcc
	s_nor_b64 s[34:35], s[14:15], s[24:25]
	s_and_saveexec_b64 s[24:25], s[34:35]
	s_cbranch_execz .LBB195_36
; %bb.35:                               ;   in Loop: Header=BB195_28 Depth=1
	global_load_dwordx2 v[136:137], v[140:141], off offset:512
	s_waitcnt vmcnt(0)
	v_mul_f64 v[136:137], s[18:19], v[136:137]
.LBB195_36:                             ;   in Loop: Header=BB195_28 Depth=1
	s_or_b64 exec, exec, s[24:25]
	s_mov_b32 s24, 0
.LBB195_37:                             ;   Parent Loop BB195_28 Depth=1
                                        ; =>  This Inner Loop Header: Depth=2
	v_add_u32_e32 v140, s24, v152
	v_add_u32_e32 v141, s24, v145
	ds_read2_b64 v[154:157], v140 offset1:16
	ds_read2_b64 v[158:161], v140 offset0:32 offset1:48
	ds_read2_b64 v[162:165], v140 offset0:64 offset1:80
	ds_read2_b64 v[166:169], v140 offset0:96 offset1:112
	ds_read2_b64 v[170:173], v140 offset0:128 offset1:144
	ds_read2_b64 v[174:177], v140 offset0:160 offset1:176
	ds_read2_b64 v[178:181], v140 offset0:192 offset1:208
	ds_read2_b64 v[182:185], v140 offset0:224 offset1:240
	v_add_u32_e32 v140, 0x800, v140
	ds_read2st64_b64 v[186:189], v141 offset1:4
	ds_read2_b64 v[190:193], v140 offset1:16
	ds_read2_b64 v[194:197], v140 offset0:32 offset1:48
	ds_read2_b64 v[198:201], v140 offset0:64 offset1:80
	;; [unrolled: 1-line block ×7, first 2 shown]
	s_waitcnt lgkmcnt(14)
	v_max_f64 v[154:155], v[154:155], v[154:155]
	v_max_f64 v[156:157], v[156:157], v[156:157]
	;; [unrolled: 1-line block ×3, first 2 shown]
	s_waitcnt lgkmcnt(8)
	v_max_f64 v[140:141], v[186:187], v[186:187]
	v_max_f64 v[160:161], v[160:161], v[160:161]
	;; [unrolled: 1-line block ×15, first 2 shown]
	v_min_f64 v[188:189], v[154:155], v[140:141]
	v_min_f64 v[222:223], v[156:157], v[140:141]
	;; [unrolled: 1-line block ×16, first 2 shown]
	s_waitcnt lgkmcnt(7)
	v_max_f64 v[190:191], v[190:191], v[190:191]
	v_max_f64 v[192:193], v[192:193], v[192:193]
	s_waitcnt lgkmcnt(6)
	v_max_f64 v[194:195], v[194:195], v[194:195]
	v_max_f64 v[196:197], v[196:197], v[196:197]
	;; [unrolled: 3-line block ×8, first 2 shown]
	v_min_f64 v[154:155], v[154:155], v[186:187]
	v_min_f64 v[156:157], v[156:157], v[186:187]
	;; [unrolled: 1-line block ×16, first 2 shown]
	s_add_i32 s24, s24, 8
	v_add_f64 v[126:127], v[126:127], v[188:189]
	v_add_f64 v[124:125], v[124:125], v[222:223]
	v_add_f64 v[122:123], v[122:123], v[224:225]
	v_add_f64 v[120:121], v[120:121], v[226:227]
	v_add_f64 v[118:119], v[118:119], v[228:229]
	v_add_f64 v[116:117], v[116:117], v[230:231]
	v_add_f64 v[114:115], v[114:115], v[232:233]
	v_add_f64 v[112:113], v[112:113], v[234:235]
	v_add_f64 v[110:111], v[110:111], v[236:237]
	v_add_f64 v[108:109], v[108:109], v[238:239]
	v_add_f64 v[106:107], v[106:107], v[240:241]
	v_add_f64 v[104:105], v[104:105], v[242:243]
	v_add_f64 v[102:103], v[102:103], v[244:245]
	v_add_f64 v[100:101], v[100:101], v[246:247]
	v_add_f64 v[98:99], v[98:99], v[248:249]
	v_min_f64 v[188:189], v[190:191], v[140:141]
	v_min_f64 v[222:223], v[192:193], v[140:141]
	;; [unrolled: 1-line block ×16, first 2 shown]
	v_add_f64 v[62:63], v[62:63], v[154:155]
	v_add_f64 v[60:61], v[60:61], v[156:157]
	;; [unrolled: 1-line block ×16, first 2 shown]
	v_min_f64 v[154:155], v[190:191], v[186:187]
	v_min_f64 v[156:157], v[192:193], v[186:187]
	;; [unrolled: 1-line block ×16, first 2 shown]
	s_cmp_eq_u32 s24, 32
	v_add_f64 v[96:97], v[96:97], v[250:251]
	v_add_f64 v[94:95], v[94:95], v[188:189]
	;; [unrolled: 1-line block ×33, first 2 shown]
	s_cbranch_scc0 .LBB195_37
; %bb.38:                               ;   in Loop: Header=BB195_28 Depth=1
	ds_write2st64_b64 v146, v[134:135], v[132:133] offset1:4
	ds_write2st64_b64 v147, v[138:139], v[136:137] offset1:4
	v_add3_u32 v132, v144, s31, 4
	v_min_i32_e32 v138, s28, v132
	v_cmp_le_i32_e32 vcc, s74, v132
	v_mad_i64_i32 v[132:133], s[24:25], v138, s27, 0
	v_lshl_add_u64 v[134:135], v[132:133], 3, s[22:23]
	s_or_b64 s[24:25], s[2:3], vcc
	s_nor_b64 s[34:35], s[14:15], s[24:25]
	v_mov_b64_e32 v[132:133], 0
	v_lshl_add_u64 v[136:137], v[128:129], 3, v[134:135]
	v_mov_b64_e32 v[134:135], 0
	s_waitcnt lgkmcnt(0)
	s_barrier
	s_and_saveexec_b64 s[24:25], s[34:35]
	s_cbranch_execz .LBB195_40
; %bb.39:                               ;   in Loop: Header=BB195_28 Depth=1
	global_load_dwordx2 v[134:135], v[136:137], off
	s_waitcnt vmcnt(0)
	v_mul_f64 v[134:135], s[18:19], v[134:135]
.LBB195_40:                             ;   in Loop: Header=BB195_28 Depth=1
	s_or_b64 exec, exec, s[24:25]
	s_or_b64 s[24:25], s[4:5], vcc
	s_nor_b64 s[34:35], s[14:15], s[24:25]
	s_and_saveexec_b64 s[24:25], s[34:35]
	s_cbranch_execz .LBB195_42
; %bb.41:                               ;   in Loop: Header=BB195_28 Depth=1
	global_load_dwordx2 v[132:133], v[136:137], off offset:512
	s_waitcnt vmcnt(0)
	v_mul_f64 v[132:133], s[18:19], v[132:133]
.LBB195_42:                             ;   in Loop: Header=BB195_28 Depth=1
	s_or_b64 exec, exec, s[24:25]
	v_mad_i64_i32 v[136:137], s[24:25], v138, s29, 0
	v_lshl_add_u64 v[138:139], v[136:137], 3, s[20:21]
	s_or_b64 s[24:25], s[6:7], vcc
	s_nor_b64 s[34:35], s[14:15], s[24:25]
	v_mov_b64_e32 v[136:137], 0
	v_lshl_add_u64 v[140:141], v[130:131], 3, v[138:139]
	v_mov_b64_e32 v[138:139], 0
	s_and_saveexec_b64 s[24:25], s[34:35]
	s_cbranch_execz .LBB195_44
; %bb.43:                               ;   in Loop: Header=BB195_28 Depth=1
	global_load_dwordx2 v[138:139], v[140:141], off
	s_waitcnt vmcnt(0)
	v_mul_f64 v[138:139], s[18:19], v[138:139]
.LBB195_44:                             ;   in Loop: Header=BB195_28 Depth=1
	s_or_b64 exec, exec, s[24:25]
	s_or_b64 s[24:25], s[8:9], vcc
	s_nor_b64 s[34:35], s[14:15], s[24:25]
	s_and_saveexec_b64 s[24:25], s[34:35]
	s_cbranch_execz .LBB195_46
; %bb.45:                               ;   in Loop: Header=BB195_28 Depth=1
	global_load_dwordx2 v[136:137], v[140:141], off offset:512
	s_waitcnt vmcnt(0)
	v_mul_f64 v[136:137], s[18:19], v[136:137]
.LBB195_46:                             ;   in Loop: Header=BB195_28 Depth=1
	s_or_b64 exec, exec, s[24:25]
	s_mov_b32 s24, 0
.LBB195_47:                             ;   Parent Loop BB195_28 Depth=1
                                        ; =>  This Inner Loop Header: Depth=2
	v_add_u32_e32 v140, s24, v148
	v_add_u32_e32 v141, s24, v149
	ds_read2_b64 v[154:157], v140 offset1:16
	ds_read2_b64 v[158:161], v140 offset0:32 offset1:48
	ds_read2_b64 v[162:165], v140 offset0:64 offset1:80
	;; [unrolled: 1-line block ×7, first 2 shown]
	v_add_u32_e32 v140, 0x800, v140
	ds_read2st64_b64 v[186:189], v141 offset1:4
	ds_read2_b64 v[190:193], v140 offset1:16
	ds_read2_b64 v[194:197], v140 offset0:32 offset1:48
	ds_read2_b64 v[198:201], v140 offset0:64 offset1:80
	;; [unrolled: 1-line block ×7, first 2 shown]
	s_waitcnt lgkmcnt(14)
	v_max_f64 v[154:155], v[154:155], v[154:155]
	v_max_f64 v[156:157], v[156:157], v[156:157]
	;; [unrolled: 1-line block ×3, first 2 shown]
	s_waitcnt lgkmcnt(8)
	v_max_f64 v[140:141], v[186:187], v[186:187]
	v_max_f64 v[160:161], v[160:161], v[160:161]
	v_max_f64 v[162:163], v[162:163], v[162:163]
	v_max_f64 v[164:165], v[164:165], v[164:165]
	v_max_f64 v[166:167], v[166:167], v[166:167]
	v_max_f64 v[168:169], v[168:169], v[168:169]
	v_max_f64 v[170:171], v[170:171], v[170:171]
	v_max_f64 v[172:173], v[172:173], v[172:173]
	v_max_f64 v[174:175], v[174:175], v[174:175]
	v_max_f64 v[176:177], v[176:177], v[176:177]
	v_max_f64 v[178:179], v[178:179], v[178:179]
	v_max_f64 v[180:181], v[180:181], v[180:181]
	v_max_f64 v[182:183], v[182:183], v[182:183]
	v_max_f64 v[184:185], v[184:185], v[184:185]
	v_max_f64 v[186:187], v[188:189], v[188:189]
	v_min_f64 v[188:189], v[154:155], v[140:141]
	v_min_f64 v[222:223], v[156:157], v[140:141]
	;; [unrolled: 1-line block ×16, first 2 shown]
	s_waitcnt lgkmcnt(7)
	v_max_f64 v[190:191], v[190:191], v[190:191]
	v_max_f64 v[192:193], v[192:193], v[192:193]
	s_waitcnt lgkmcnt(6)
	v_max_f64 v[194:195], v[194:195], v[194:195]
	v_max_f64 v[196:197], v[196:197], v[196:197]
	;; [unrolled: 3-line block ×8, first 2 shown]
	v_min_f64 v[154:155], v[154:155], v[186:187]
	v_min_f64 v[156:157], v[156:157], v[186:187]
	;; [unrolled: 1-line block ×16, first 2 shown]
	s_add_i32 s24, s24, 8
	v_add_f64 v[126:127], v[126:127], v[188:189]
	v_add_f64 v[124:125], v[124:125], v[222:223]
	;; [unrolled: 1-line block ×15, first 2 shown]
	v_min_f64 v[188:189], v[190:191], v[140:141]
	v_min_f64 v[222:223], v[192:193], v[140:141]
	;; [unrolled: 1-line block ×16, first 2 shown]
	v_add_f64 v[62:63], v[62:63], v[154:155]
	v_add_f64 v[60:61], v[60:61], v[156:157]
	;; [unrolled: 1-line block ×16, first 2 shown]
	v_min_f64 v[154:155], v[190:191], v[186:187]
	v_min_f64 v[156:157], v[192:193], v[186:187]
	;; [unrolled: 1-line block ×16, first 2 shown]
	s_cmp_eq_u32 s24, 32
	v_add_f64 v[96:97], v[96:97], v[250:251]
	v_add_f64 v[94:95], v[94:95], v[188:189]
	v_add_f64 v[92:93], v[92:93], v[222:223]
	v_add_f64 v[90:91], v[90:91], v[224:225]
	v_add_f64 v[88:89], v[88:89], v[226:227]
	v_add_f64 v[86:87], v[86:87], v[228:229]
	v_add_f64 v[84:85], v[84:85], v[230:231]
	v_add_f64 v[82:83], v[82:83], v[232:233]
	v_add_f64 v[80:81], v[80:81], v[234:235]
	v_add_f64 v[78:79], v[78:79], v[236:237]
	v_add_f64 v[76:77], v[76:77], v[238:239]
	v_add_f64 v[74:75], v[74:75], v[240:241]
	v_add_f64 v[72:73], v[72:73], v[242:243]
	v_add_f64 v[70:71], v[70:71], v[244:245]
	v_add_f64 v[68:69], v[68:69], v[246:247]
	v_add_f64 v[66:67], v[66:67], v[248:249]
	v_add_f64 v[64:65], v[64:65], v[140:141]
	v_add_f64 v[30:31], v[30:31], v[154:155]
	v_add_f64 v[28:29], v[28:29], v[156:157]
	v_add_f64 v[26:27], v[26:27], v[158:159]
	v_add_f64 v[24:25], v[24:25], v[160:161]
	v_add_f64 v[22:23], v[22:23], v[162:163]
	v_add_f64 v[20:21], v[20:21], v[164:165]
	v_add_f64 v[18:19], v[18:19], v[166:167]
	v_add_f64 v[16:17], v[16:17], v[168:169]
	v_add_f64 v[14:15], v[14:15], v[170:171]
	v_add_f64 v[12:13], v[12:13], v[172:173]
	v_add_f64 v[10:11], v[10:11], v[174:175]
	v_add_f64 v[8:9], v[8:9], v[176:177]
	v_add_f64 v[6:7], v[6:7], v[178:179]
	v_add_f64 v[4:5], v[4:5], v[180:181]
	v_add_f64 v[2:3], v[2:3], v[182:183]
	v_add_f64 v[0:1], v[0:1], v[184:185]
	s_cbranch_scc0 .LBB195_47
; %bb.48:                               ;   in Loop: Header=BB195_28 Depth=1
	s_add_i32 s31, s31, 8
	s_add_i32 s33, s33, 8
	s_cmp_ge_i32 s33, s30
	ds_write2st64_b64 v150, v[134:135], v[132:133] offset1:4
	ds_write2st64_b64 v151, v[138:139], v[136:137] offset1:4
	s_waitcnt lgkmcnt(0)
	s_barrier
	s_cbranch_scc0 .LBB195_28
.LBB195_49:
	v_mov_b32_e32 v128, 0x1000
	v_lshl_add_u32 v128, v142, 5, v128
	s_mov_b32 s2, 0
.LBB195_50:                             ; =>This Inner Loop Header: Depth=1
	v_add_u32_e32 v129, s2, v128
	v_add_u32_e32 v144, s2, v145
	ds_read2_b64 v[130:133], v129 offset1:16
	ds_read2_b64 v[134:137], v129 offset0:32 offset1:48
	ds_read2_b64 v[138:141], v129 offset0:64 offset1:80
	;; [unrolled: 1-line block ×7, first 2 shown]
	v_add_u32_e32 v129, 0x800, v129
	ds_read2st64_b64 v[166:169], v144 offset1:4
	ds_read2_b64 v[170:173], v129 offset1:16
	ds_read2_b64 v[174:177], v129 offset0:32 offset1:48
	ds_read2_b64 v[178:181], v129 offset0:64 offset1:80
	;; [unrolled: 1-line block ×7, first 2 shown]
	s_waitcnt lgkmcnt(14)
	v_max_f64 v[130:131], v[130:131], v[130:131]
	v_max_f64 v[132:133], v[132:133], v[132:133]
	v_max_f64 v[134:135], v[134:135], v[134:135]
	s_waitcnt lgkmcnt(8)
	v_max_f64 v[166:167], v[166:167], v[166:167]
	v_max_f64 v[136:137], v[136:137], v[136:137]
	;; [unrolled: 1-line block ×15, first 2 shown]
	v_min_f64 v[202:203], v[130:131], v[166:167]
	v_min_f64 v[204:205], v[132:133], v[166:167]
	;; [unrolled: 1-line block ×16, first 2 shown]
	s_waitcnt lgkmcnt(7)
	v_max_f64 v[170:171], v[170:171], v[170:171]
	v_max_f64 v[172:173], v[172:173], v[172:173]
	s_waitcnt lgkmcnt(6)
	v_max_f64 v[174:175], v[174:175], v[174:175]
	v_max_f64 v[176:177], v[176:177], v[176:177]
	;; [unrolled: 3-line block ×8, first 2 shown]
	v_min_f64 v[130:131], v[130:131], v[168:169]
	v_min_f64 v[132:133], v[132:133], v[168:169]
	v_min_f64 v[134:135], v[134:135], v[168:169]
	v_min_f64 v[136:137], v[136:137], v[168:169]
	v_min_f64 v[138:139], v[138:139], v[168:169]
	v_min_f64 v[140:141], v[140:141], v[168:169]
	v_min_f64 v[146:147], v[146:147], v[168:169]
	v_min_f64 v[148:149], v[148:149], v[168:169]
	v_min_f64 v[150:151], v[150:151], v[168:169]
	v_min_f64 v[152:153], v[152:153], v[168:169]
	v_min_f64 v[154:155], v[154:155], v[168:169]
	v_min_f64 v[156:157], v[156:157], v[168:169]
	v_min_f64 v[158:159], v[158:159], v[168:169]
	v_min_f64 v[160:161], v[160:161], v[168:169]
	v_min_f64 v[162:163], v[162:163], v[168:169]
	v_min_f64 v[164:165], v[164:165], v[168:169]
	s_add_i32 s2, s2, 8
	v_add_f64 v[126:127], v[126:127], v[202:203]
	v_add_f64 v[124:125], v[124:125], v[204:205]
	v_add_f64 v[122:123], v[122:123], v[206:207]
	v_add_f64 v[120:121], v[120:121], v[208:209]
	v_add_f64 v[118:119], v[118:119], v[210:211]
	v_add_f64 v[116:117], v[116:117], v[212:213]
	v_add_f64 v[114:115], v[114:115], v[214:215]
	v_add_f64 v[112:113], v[112:113], v[216:217]
	v_add_f64 v[110:111], v[110:111], v[218:219]
	v_add_f64 v[108:109], v[108:109], v[220:221]
	v_add_f64 v[106:107], v[106:107], v[222:223]
	v_add_f64 v[104:105], v[104:105], v[224:225]
	v_add_f64 v[102:103], v[102:103], v[226:227]
	v_add_f64 v[100:101], v[100:101], v[228:229]
	v_add_f64 v[98:99], v[98:99], v[230:231]
	v_min_f64 v[202:203], v[170:171], v[166:167]
	v_min_f64 v[204:205], v[172:173], v[166:167]
	;; [unrolled: 1-line block ×16, first 2 shown]
	v_add_f64 v[62:63], v[62:63], v[130:131]
	v_add_f64 v[60:61], v[60:61], v[132:133]
	;; [unrolled: 1-line block ×16, first 2 shown]
	v_min_f64 v[130:131], v[170:171], v[168:169]
	v_min_f64 v[132:133], v[172:173], v[168:169]
	;; [unrolled: 1-line block ×16, first 2 shown]
	s_cmp_eq_u32 s2, 32
	v_add_f64 v[96:97], v[96:97], v[232:233]
	v_add_f64 v[94:95], v[94:95], v[202:203]
	;; [unrolled: 1-line block ×33, first 2 shown]
	s_cbranch_scc0 .LBB195_50
; %bb.51:
	s_load_dwordx2 s[2:3], s[0:1], 0x78
	s_load_dword s78, s[0:1], 0x58
	s_load_dword s33, s[0:1], 0x70
	v_add_u32_e32 v136, s26, v143
	v_add_u32_e32 v128, s17, v142
	s_waitcnt lgkmcnt(0)
	s_mul_i32 s1, s3, s16
	s_mul_hi_u32 s3, s2, s16
	s_mul_i32 s0, s2, s16
	s_add_i32 s1, s3, s1
	s_lshl_b64 s[0:1], s[0:1], 3
	s_add_u32 s74, s10, s0
	s_addc_u32 s75, s11, s1
	v_mad_i64_i32 v[130:131], s[0:1], v136, s78, 0
	v_cmp_gt_i32_e64 s[24:25], s73, v136
	v_lshl_add_u64 v[132:133], v[130:131], 3, s[76:77]
	v_mad_i64_i32 v[130:131], s[0:1], v136, s33, 0
	v_cmp_gt_i32_e64 s[2:3], s72, v128
	v_cndmask_b32_e64 v134, 0, 1, s[12:13]
	v_lshl_add_u64 v[130:131], v[130:131], 3, s[74:75]
	s_and_b64 s[6:7], s[24:25], s[2:3]
	v_ashrrev_i32_e32 v129, 31, v128
	v_cmp_ne_u32_e64 s[0:1], 1, v134
	s_and_saveexec_b64 s[4:5], s[6:7]
	s_cbranch_execz .LBB195_56
; %bb.52:
	s_and_b64 vcc, exec, s[0:1]
	s_cbranch_vccnz .LBB195_54
; %bb.53:
	v_lshl_add_u64 v[134:135], v[128:129], 3, v[132:133]
	global_load_dwordx2 v[134:135], v[134:135], off
	s_waitcnt vmcnt(0)
	v_mul_f64 v[134:135], s[70:71], v[134:135]
	s_branch .LBB195_55
.LBB195_54:
	v_mov_b64_e32 v[134:135], 0
.LBB195_55:
	v_add_f64 v[126:127], v[126:127], v[134:135]
	v_lshl_add_u64 v[134:135], v[128:129], 3, v[130:131]
	global_store_dwordx2 v[134:135], v[126:127], off
.LBB195_56:
	s_or_b64 exec, exec, s[4:5]
	v_add_u32_e32 v126, 4, v128
	v_cmp_gt_i32_e64 s[4:5], s72, v126
	s_and_b64 s[8:9], s[24:25], s[4:5]
	v_ashrrev_i32_e32 v127, 31, v126
	s_and_saveexec_b64 s[6:7], s[8:9]
	s_cbranch_execz .LBB195_61
; %bb.57:
	s_and_b64 vcc, exec, s[0:1]
	s_cbranch_vccnz .LBB195_59
; %bb.58:
	v_lshl_add_u64 v[134:135], v[126:127], 3, v[132:133]
	global_load_dwordx2 v[134:135], v[134:135], off
	s_waitcnt vmcnt(0)
	v_mul_f64 v[134:135], s[70:71], v[134:135]
	s_branch .LBB195_60
.LBB195_59:
	v_mov_b64_e32 v[134:135], 0
.LBB195_60:
	v_add_f64 v[124:125], v[124:125], v[134:135]
	v_lshl_add_u64 v[134:135], v[126:127], 3, v[130:131]
	global_store_dwordx2 v[134:135], v[124:125], off
.LBB195_61:
	s_or_b64 exec, exec, s[6:7]
	v_add_u32_e32 v124, 8, v128
	v_cmp_gt_i32_e64 s[6:7], s72, v124
	s_and_b64 s[10:11], s[24:25], s[6:7]
	v_ashrrev_i32_e32 v125, 31, v124
	;; [unrolled: 23-line block ×31, first 2 shown]
	s_and_saveexec_b64 s[24:25], s[80:81]
	s_cbranch_execz .LBB195_211
; %bb.207:
	s_and_b64 vcc, exec, s[0:1]
	s_cbranch_vccnz .LBB195_209
; %bb.208:
	v_lshl_add_u64 v[132:133], v[66:67], 3, v[132:133]
	global_load_dwordx2 v[132:133], v[132:133], off
	s_waitcnt vmcnt(0)
	v_mul_f64 v[132:133], s[70:71], v[132:133]
	s_branch .LBB195_210
.LBB195_209:
	v_mov_b64_e32 v[132:133], 0
.LBB195_210:
	v_add_f64 v[64:65], v[64:65], v[132:133]
	v_lshl_add_u64 v[130:131], v[66:67], 3, v[130:131]
	global_store_dwordx2 v[130:131], v[64:65], off
.LBB195_211:
	s_or_b64 exec, exec, s[24:25]
	v_add_u32_e32 v132, 64, v136
	v_cmp_gt_i32_e64 s[24:25], s73, v132
	v_mad_i64_i32 v[64:65], s[72:73], v132, s78, 0
	v_lshl_add_u64 v[130:131], v[64:65], 3, s[76:77]
	v_mad_i64_i32 v[64:65], s[72:73], v132, s33, 0
	v_lshl_add_u64 v[64:65], v[64:65], 3, s[74:75]
	s_and_b64 s[2:3], s[24:25], s[2:3]
	s_and_saveexec_b64 s[72:73], s[2:3]
	s_xor_b64 s[2:3], exec, s[72:73]
	s_cbranch_execnz .LBB195_244
; %bb.212:
	s_or_b64 exec, exec, s[2:3]
	s_and_b64 s[4:5], s[24:25], s[4:5]
	s_and_saveexec_b64 s[2:3], s[4:5]
	s_cbranch_execnz .LBB195_248
.LBB195_213:
	s_or_b64 exec, exec, s[2:3]
	s_and_b64 s[4:5], s[24:25], s[6:7]
	s_and_saveexec_b64 s[2:3], s[4:5]
	s_cbranch_execnz .LBB195_252
.LBB195_214:
	s_or_b64 exec, exec, s[2:3]
	s_and_b64 s[4:5], s[24:25], s[8:9]
	s_and_saveexec_b64 s[2:3], s[4:5]
	s_cbranch_execnz .LBB195_256
.LBB195_215:
	s_or_b64 exec, exec, s[2:3]
	s_and_b64 s[4:5], s[24:25], s[10:11]
	s_and_saveexec_b64 s[2:3], s[4:5]
	s_cbranch_execnz .LBB195_260
.LBB195_216:
	s_or_b64 exec, exec, s[2:3]
	s_and_b64 s[4:5], s[24:25], s[12:13]
	s_and_saveexec_b64 s[2:3], s[4:5]
	s_cbranch_execnz .LBB195_264
.LBB195_217:
	s_or_b64 exec, exec, s[2:3]
	s_and_b64 s[4:5], s[24:25], s[14:15]
	s_and_saveexec_b64 s[2:3], s[4:5]
	s_cbranch_execnz .LBB195_268
.LBB195_218:
	s_or_b64 exec, exec, s[2:3]
	s_and_b64 s[4:5], s[24:25], s[16:17]
	s_and_saveexec_b64 s[2:3], s[4:5]
	s_cbranch_execnz .LBB195_272
.LBB195_219:
	s_or_b64 exec, exec, s[2:3]
	s_and_b64 s[4:5], s[24:25], s[18:19]
	s_and_saveexec_b64 s[2:3], s[4:5]
	s_cbranch_execnz .LBB195_276
.LBB195_220:
	s_or_b64 exec, exec, s[2:3]
	s_and_b64 s[4:5], s[24:25], s[20:21]
	s_and_saveexec_b64 s[2:3], s[4:5]
	s_cbranch_execnz .LBB195_280
.LBB195_221:
	s_or_b64 exec, exec, s[2:3]
	s_and_b64 s[4:5], s[24:25], s[22:23]
	s_and_saveexec_b64 s[2:3], s[4:5]
	s_cbranch_execnz .LBB195_284
.LBB195_222:
	s_or_b64 exec, exec, s[2:3]
	s_and_b64 s[4:5], s[24:25], s[26:27]
	s_and_saveexec_b64 s[2:3], s[4:5]
	s_cbranch_execnz .LBB195_288
.LBB195_223:
	s_or_b64 exec, exec, s[2:3]
	s_and_b64 s[4:5], s[24:25], s[28:29]
	s_and_saveexec_b64 s[2:3], s[4:5]
	s_cbranch_execnz .LBB195_292
.LBB195_224:
	s_or_b64 exec, exec, s[2:3]
	s_and_b64 s[4:5], s[24:25], s[30:31]
	s_and_saveexec_b64 s[2:3], s[4:5]
	s_cbranch_execnz .LBB195_296
.LBB195_225:
	s_or_b64 exec, exec, s[2:3]
	s_and_b64 s[4:5], s[24:25], s[34:35]
	s_and_saveexec_b64 s[2:3], s[4:5]
	s_cbranch_execnz .LBB195_300
.LBB195_226:
	s_or_b64 exec, exec, s[2:3]
	s_and_b64 s[4:5], s[24:25], s[36:37]
	s_and_saveexec_b64 s[2:3], s[4:5]
	s_cbranch_execnz .LBB195_304
.LBB195_227:
	s_or_b64 exec, exec, s[2:3]
	s_and_b64 s[4:5], s[24:25], s[38:39]
	s_and_saveexec_b64 s[2:3], s[4:5]
	s_cbranch_execnz .LBB195_308
.LBB195_228:
	s_or_b64 exec, exec, s[2:3]
	s_and_b64 s[4:5], s[24:25], s[40:41]
	s_and_saveexec_b64 s[2:3], s[4:5]
	s_cbranch_execnz .LBB195_312
.LBB195_229:
	s_or_b64 exec, exec, s[2:3]
	s_and_b64 s[4:5], s[24:25], s[42:43]
	s_and_saveexec_b64 s[2:3], s[4:5]
	s_cbranch_execnz .LBB195_316
.LBB195_230:
	s_or_b64 exec, exec, s[2:3]
	s_and_b64 s[4:5], s[24:25], s[44:45]
	s_and_saveexec_b64 s[2:3], s[4:5]
	s_cbranch_execnz .LBB195_320
.LBB195_231:
	s_or_b64 exec, exec, s[2:3]
	s_and_b64 s[4:5], s[24:25], s[46:47]
	s_and_saveexec_b64 s[2:3], s[4:5]
	s_cbranch_execnz .LBB195_324
.LBB195_232:
	s_or_b64 exec, exec, s[2:3]
	s_and_b64 s[4:5], s[24:25], s[48:49]
	s_and_saveexec_b64 s[2:3], s[4:5]
	s_cbranch_execnz .LBB195_328
.LBB195_233:
	s_or_b64 exec, exec, s[2:3]
	s_and_b64 s[4:5], s[24:25], s[50:51]
	s_and_saveexec_b64 s[2:3], s[4:5]
	s_cbranch_execnz .LBB195_332
.LBB195_234:
	s_or_b64 exec, exec, s[2:3]
	s_and_b64 s[4:5], s[24:25], s[52:53]
	s_and_saveexec_b64 s[2:3], s[4:5]
	s_cbranch_execnz .LBB195_336
.LBB195_235:
	s_or_b64 exec, exec, s[2:3]
	s_and_b64 s[4:5], s[24:25], s[54:55]
	s_and_saveexec_b64 s[2:3], s[4:5]
	s_cbranch_execnz .LBB195_340
.LBB195_236:
	s_or_b64 exec, exec, s[2:3]
	s_and_b64 s[4:5], s[24:25], s[56:57]
	s_and_saveexec_b64 s[2:3], s[4:5]
	s_cbranch_execnz .LBB195_344
.LBB195_237:
	s_or_b64 exec, exec, s[2:3]
	s_and_b64 s[4:5], s[24:25], s[58:59]
	s_and_saveexec_b64 s[2:3], s[4:5]
	s_cbranch_execnz .LBB195_348
.LBB195_238:
	s_or_b64 exec, exec, s[2:3]
	s_and_b64 s[4:5], s[24:25], s[60:61]
	s_and_saveexec_b64 s[2:3], s[4:5]
	s_cbranch_execnz .LBB195_352
.LBB195_239:
	s_or_b64 exec, exec, s[2:3]
	s_and_b64 s[4:5], s[24:25], s[62:63]
	s_and_saveexec_b64 s[2:3], s[4:5]
	s_cbranch_execnz .LBB195_356
.LBB195_240:
	s_or_b64 exec, exec, s[2:3]
	s_and_b64 s[4:5], s[24:25], s[64:65]
	s_and_saveexec_b64 s[2:3], s[4:5]
	s_cbranch_execnz .LBB195_360
.LBB195_241:
	s_or_b64 exec, exec, s[2:3]
	s_and_b64 s[4:5], s[24:25], s[66:67]
	s_and_saveexec_b64 s[2:3], s[4:5]
	s_cbranch_execnz .LBB195_364
.LBB195_242:
	s_or_b64 exec, exec, s[2:3]
	s_and_b64 s[2:3], s[24:25], s[68:69]
	s_and_saveexec_b64 s[4:5], s[2:3]
	s_cbranch_execnz .LBB195_368
.LBB195_243:
	s_endpgm
.LBB195_244:
	s_and_b64 vcc, exec, s[0:1]
	s_cbranch_vccnz .LBB195_246
; %bb.245:
	v_lshl_add_u64 v[132:133], v[128:129], 3, v[130:131]
	global_load_dwordx2 v[132:133], v[132:133], off
	s_waitcnt vmcnt(0)
	v_mul_f64 v[132:133], s[70:71], v[132:133]
	s_branch .LBB195_247
.LBB195_246:
	v_mov_b64_e32 v[132:133], 0
.LBB195_247:
	v_add_f64 v[62:63], v[62:63], v[132:133]
	v_lshl_add_u64 v[128:129], v[128:129], 3, v[64:65]
	global_store_dwordx2 v[128:129], v[62:63], off
	s_or_b64 exec, exec, s[2:3]
	s_and_b64 s[4:5], s[24:25], s[4:5]
	s_and_saveexec_b64 s[2:3], s[4:5]
	s_cbranch_execz .LBB195_213
.LBB195_248:
	s_and_b64 vcc, exec, s[0:1]
	s_cbranch_vccnz .LBB195_250
; %bb.249:
	v_lshl_add_u64 v[62:63], v[126:127], 3, v[130:131]
	global_load_dwordx2 v[62:63], v[62:63], off
	s_waitcnt vmcnt(0)
	v_mul_f64 v[62:63], s[70:71], v[62:63]
	s_branch .LBB195_251
.LBB195_250:
	v_mov_b64_e32 v[62:63], 0
.LBB195_251:
	v_add_f64 v[60:61], v[60:61], v[62:63]
	v_lshl_add_u64 v[62:63], v[126:127], 3, v[64:65]
	global_store_dwordx2 v[62:63], v[60:61], off
	s_or_b64 exec, exec, s[2:3]
	s_and_b64 s[4:5], s[24:25], s[6:7]
	s_and_saveexec_b64 s[2:3], s[4:5]
	s_cbranch_execz .LBB195_214
.LBB195_252:
	s_and_b64 vcc, exec, s[0:1]
	s_cbranch_vccnz .LBB195_254
; %bb.253:
	v_lshl_add_u64 v[60:61], v[124:125], 3, v[130:131]
	global_load_dwordx2 v[60:61], v[60:61], off
	s_waitcnt vmcnt(0)
	v_mul_f64 v[60:61], s[70:71], v[60:61]
	s_branch .LBB195_255
.LBB195_254:
	v_mov_b64_e32 v[60:61], 0
.LBB195_255:
	v_add_f64 v[58:59], v[58:59], v[60:61]
	v_lshl_add_u64 v[60:61], v[124:125], 3, v[64:65]
	global_store_dwordx2 v[60:61], v[58:59], off
	s_or_b64 exec, exec, s[2:3]
	s_and_b64 s[4:5], s[24:25], s[8:9]
	s_and_saveexec_b64 s[2:3], s[4:5]
	s_cbranch_execz .LBB195_215
.LBB195_256:
	s_and_b64 vcc, exec, s[0:1]
	s_cbranch_vccnz .LBB195_258
; %bb.257:
	v_lshl_add_u64 v[58:59], v[122:123], 3, v[130:131]
	global_load_dwordx2 v[58:59], v[58:59], off
	s_waitcnt vmcnt(0)
	v_mul_f64 v[58:59], s[70:71], v[58:59]
	s_branch .LBB195_259
.LBB195_258:
	v_mov_b64_e32 v[58:59], 0
.LBB195_259:
	v_add_f64 v[56:57], v[56:57], v[58:59]
	v_lshl_add_u64 v[58:59], v[122:123], 3, v[64:65]
	global_store_dwordx2 v[58:59], v[56:57], off
	s_or_b64 exec, exec, s[2:3]
	s_and_b64 s[4:5], s[24:25], s[10:11]
	s_and_saveexec_b64 s[2:3], s[4:5]
	s_cbranch_execz .LBB195_216
.LBB195_260:
	s_and_b64 vcc, exec, s[0:1]
	s_cbranch_vccnz .LBB195_262
; %bb.261:
	v_lshl_add_u64 v[56:57], v[120:121], 3, v[130:131]
	global_load_dwordx2 v[56:57], v[56:57], off
	s_waitcnt vmcnt(0)
	v_mul_f64 v[56:57], s[70:71], v[56:57]
	s_branch .LBB195_263
.LBB195_262:
	v_mov_b64_e32 v[56:57], 0
.LBB195_263:
	v_add_f64 v[54:55], v[54:55], v[56:57]
	v_lshl_add_u64 v[56:57], v[120:121], 3, v[64:65]
	global_store_dwordx2 v[56:57], v[54:55], off
	s_or_b64 exec, exec, s[2:3]
	s_and_b64 s[4:5], s[24:25], s[12:13]
	s_and_saveexec_b64 s[2:3], s[4:5]
	s_cbranch_execz .LBB195_217
.LBB195_264:
	s_and_b64 vcc, exec, s[0:1]
	s_cbranch_vccnz .LBB195_266
; %bb.265:
	v_lshl_add_u64 v[54:55], v[118:119], 3, v[130:131]
	global_load_dwordx2 v[54:55], v[54:55], off
	s_waitcnt vmcnt(0)
	v_mul_f64 v[54:55], s[70:71], v[54:55]
	s_branch .LBB195_267
.LBB195_266:
	v_mov_b64_e32 v[54:55], 0
.LBB195_267:
	v_add_f64 v[52:53], v[52:53], v[54:55]
	v_lshl_add_u64 v[54:55], v[118:119], 3, v[64:65]
	global_store_dwordx2 v[54:55], v[52:53], off
	s_or_b64 exec, exec, s[2:3]
	s_and_b64 s[4:5], s[24:25], s[14:15]
	s_and_saveexec_b64 s[2:3], s[4:5]
	s_cbranch_execz .LBB195_218
.LBB195_268:
	s_and_b64 vcc, exec, s[0:1]
	s_cbranch_vccnz .LBB195_270
; %bb.269:
	v_lshl_add_u64 v[52:53], v[116:117], 3, v[130:131]
	global_load_dwordx2 v[52:53], v[52:53], off
	s_waitcnt vmcnt(0)
	v_mul_f64 v[52:53], s[70:71], v[52:53]
	s_branch .LBB195_271
.LBB195_270:
	v_mov_b64_e32 v[52:53], 0
.LBB195_271:
	v_add_f64 v[50:51], v[50:51], v[52:53]
	v_lshl_add_u64 v[52:53], v[116:117], 3, v[64:65]
	global_store_dwordx2 v[52:53], v[50:51], off
	s_or_b64 exec, exec, s[2:3]
	s_and_b64 s[4:5], s[24:25], s[16:17]
	s_and_saveexec_b64 s[2:3], s[4:5]
	s_cbranch_execz .LBB195_219
.LBB195_272:
	s_and_b64 vcc, exec, s[0:1]
	s_cbranch_vccnz .LBB195_274
; %bb.273:
	v_lshl_add_u64 v[50:51], v[114:115], 3, v[130:131]
	global_load_dwordx2 v[50:51], v[50:51], off
	s_waitcnt vmcnt(0)
	v_mul_f64 v[50:51], s[70:71], v[50:51]
	s_branch .LBB195_275
.LBB195_274:
	v_mov_b64_e32 v[50:51], 0
.LBB195_275:
	v_add_f64 v[48:49], v[48:49], v[50:51]
	v_lshl_add_u64 v[50:51], v[114:115], 3, v[64:65]
	global_store_dwordx2 v[50:51], v[48:49], off
	s_or_b64 exec, exec, s[2:3]
	s_and_b64 s[4:5], s[24:25], s[18:19]
	s_and_saveexec_b64 s[2:3], s[4:5]
	s_cbranch_execz .LBB195_220
.LBB195_276:
	s_and_b64 vcc, exec, s[0:1]
	s_cbranch_vccnz .LBB195_278
; %bb.277:
	v_lshl_add_u64 v[48:49], v[112:113], 3, v[130:131]
	global_load_dwordx2 v[48:49], v[48:49], off
	s_waitcnt vmcnt(0)
	v_mul_f64 v[48:49], s[70:71], v[48:49]
	s_branch .LBB195_279
.LBB195_278:
	v_mov_b64_e32 v[48:49], 0
.LBB195_279:
	v_add_f64 v[46:47], v[46:47], v[48:49]
	v_lshl_add_u64 v[48:49], v[112:113], 3, v[64:65]
	global_store_dwordx2 v[48:49], v[46:47], off
	s_or_b64 exec, exec, s[2:3]
	s_and_b64 s[4:5], s[24:25], s[20:21]
	s_and_saveexec_b64 s[2:3], s[4:5]
	s_cbranch_execz .LBB195_221
.LBB195_280:
	s_and_b64 vcc, exec, s[0:1]
	s_cbranch_vccnz .LBB195_282
; %bb.281:
	v_lshl_add_u64 v[46:47], v[110:111], 3, v[130:131]
	global_load_dwordx2 v[46:47], v[46:47], off
	s_waitcnt vmcnt(0)
	v_mul_f64 v[46:47], s[70:71], v[46:47]
	s_branch .LBB195_283
.LBB195_282:
	v_mov_b64_e32 v[46:47], 0
.LBB195_283:
	v_add_f64 v[44:45], v[44:45], v[46:47]
	v_lshl_add_u64 v[46:47], v[110:111], 3, v[64:65]
	global_store_dwordx2 v[46:47], v[44:45], off
	s_or_b64 exec, exec, s[2:3]
	s_and_b64 s[4:5], s[24:25], s[22:23]
	s_and_saveexec_b64 s[2:3], s[4:5]
	s_cbranch_execz .LBB195_222
.LBB195_284:
	s_and_b64 vcc, exec, s[0:1]
	s_cbranch_vccnz .LBB195_286
; %bb.285:
	v_lshl_add_u64 v[44:45], v[108:109], 3, v[130:131]
	global_load_dwordx2 v[44:45], v[44:45], off
	s_waitcnt vmcnt(0)
	v_mul_f64 v[44:45], s[70:71], v[44:45]
	s_branch .LBB195_287
.LBB195_286:
	v_mov_b64_e32 v[44:45], 0
.LBB195_287:
	v_add_f64 v[42:43], v[42:43], v[44:45]
	v_lshl_add_u64 v[44:45], v[108:109], 3, v[64:65]
	global_store_dwordx2 v[44:45], v[42:43], off
	s_or_b64 exec, exec, s[2:3]
	s_and_b64 s[4:5], s[24:25], s[26:27]
	s_and_saveexec_b64 s[2:3], s[4:5]
	s_cbranch_execz .LBB195_223
.LBB195_288:
	s_and_b64 vcc, exec, s[0:1]
	s_cbranch_vccnz .LBB195_290
; %bb.289:
	v_lshl_add_u64 v[42:43], v[106:107], 3, v[130:131]
	global_load_dwordx2 v[42:43], v[42:43], off
	s_waitcnt vmcnt(0)
	v_mul_f64 v[42:43], s[70:71], v[42:43]
	s_branch .LBB195_291
.LBB195_290:
	v_mov_b64_e32 v[42:43], 0
.LBB195_291:
	v_add_f64 v[40:41], v[40:41], v[42:43]
	v_lshl_add_u64 v[42:43], v[106:107], 3, v[64:65]
	global_store_dwordx2 v[42:43], v[40:41], off
	s_or_b64 exec, exec, s[2:3]
	s_and_b64 s[4:5], s[24:25], s[28:29]
	s_and_saveexec_b64 s[2:3], s[4:5]
	s_cbranch_execz .LBB195_224
.LBB195_292:
	s_and_b64 vcc, exec, s[0:1]
	s_cbranch_vccnz .LBB195_294
; %bb.293:
	v_lshl_add_u64 v[40:41], v[104:105], 3, v[130:131]
	global_load_dwordx2 v[40:41], v[40:41], off
	s_waitcnt vmcnt(0)
	v_mul_f64 v[40:41], s[70:71], v[40:41]
	s_branch .LBB195_295
.LBB195_294:
	v_mov_b64_e32 v[40:41], 0
.LBB195_295:
	v_add_f64 v[38:39], v[38:39], v[40:41]
	v_lshl_add_u64 v[40:41], v[104:105], 3, v[64:65]
	global_store_dwordx2 v[40:41], v[38:39], off
	s_or_b64 exec, exec, s[2:3]
	s_and_b64 s[4:5], s[24:25], s[30:31]
	s_and_saveexec_b64 s[2:3], s[4:5]
	s_cbranch_execz .LBB195_225
.LBB195_296:
	s_and_b64 vcc, exec, s[0:1]
	s_cbranch_vccnz .LBB195_298
; %bb.297:
	v_lshl_add_u64 v[38:39], v[102:103], 3, v[130:131]
	global_load_dwordx2 v[38:39], v[38:39], off
	s_waitcnt vmcnt(0)
	v_mul_f64 v[38:39], s[70:71], v[38:39]
	s_branch .LBB195_299
.LBB195_298:
	v_mov_b64_e32 v[38:39], 0
.LBB195_299:
	v_add_f64 v[36:37], v[36:37], v[38:39]
	v_lshl_add_u64 v[38:39], v[102:103], 3, v[64:65]
	global_store_dwordx2 v[38:39], v[36:37], off
	s_or_b64 exec, exec, s[2:3]
	s_and_b64 s[4:5], s[24:25], s[34:35]
	s_and_saveexec_b64 s[2:3], s[4:5]
	s_cbranch_execz .LBB195_226
.LBB195_300:
	s_and_b64 vcc, exec, s[0:1]
	s_cbranch_vccnz .LBB195_302
; %bb.301:
	v_lshl_add_u64 v[36:37], v[100:101], 3, v[130:131]
	global_load_dwordx2 v[36:37], v[36:37], off
	s_waitcnt vmcnt(0)
	v_mul_f64 v[36:37], s[70:71], v[36:37]
	s_branch .LBB195_303
.LBB195_302:
	v_mov_b64_e32 v[36:37], 0
.LBB195_303:
	v_add_f64 v[34:35], v[34:35], v[36:37]
	v_lshl_add_u64 v[36:37], v[100:101], 3, v[64:65]
	global_store_dwordx2 v[36:37], v[34:35], off
	s_or_b64 exec, exec, s[2:3]
	s_and_b64 s[4:5], s[24:25], s[36:37]
	s_and_saveexec_b64 s[2:3], s[4:5]
	s_cbranch_execz .LBB195_227
.LBB195_304:
	s_and_b64 vcc, exec, s[0:1]
	s_cbranch_vccnz .LBB195_306
; %bb.305:
	v_lshl_add_u64 v[34:35], v[98:99], 3, v[130:131]
	global_load_dwordx2 v[34:35], v[34:35], off
	s_waitcnt vmcnt(0)
	v_mul_f64 v[34:35], s[70:71], v[34:35]
	s_branch .LBB195_307
.LBB195_306:
	v_mov_b64_e32 v[34:35], 0
.LBB195_307:
	v_add_f64 v[32:33], v[32:33], v[34:35]
	v_lshl_add_u64 v[34:35], v[98:99], 3, v[64:65]
	global_store_dwordx2 v[34:35], v[32:33], off
	s_or_b64 exec, exec, s[2:3]
	s_and_b64 s[4:5], s[24:25], s[38:39]
	s_and_saveexec_b64 s[2:3], s[4:5]
	s_cbranch_execz .LBB195_228
.LBB195_308:
	s_and_b64 vcc, exec, s[0:1]
	s_cbranch_vccnz .LBB195_310
; %bb.309:
	v_lshl_add_u64 v[32:33], v[96:97], 3, v[130:131]
	global_load_dwordx2 v[32:33], v[32:33], off
	s_waitcnt vmcnt(0)
	v_mul_f64 v[32:33], s[70:71], v[32:33]
	s_branch .LBB195_311
.LBB195_310:
	v_mov_b64_e32 v[32:33], 0
.LBB195_311:
	v_add_f64 v[30:31], v[30:31], v[32:33]
	v_lshl_add_u64 v[32:33], v[96:97], 3, v[64:65]
	global_store_dwordx2 v[32:33], v[30:31], off
	s_or_b64 exec, exec, s[2:3]
	s_and_b64 s[4:5], s[24:25], s[40:41]
	s_and_saveexec_b64 s[2:3], s[4:5]
	s_cbranch_execz .LBB195_229
.LBB195_312:
	s_and_b64 vcc, exec, s[0:1]
	s_cbranch_vccnz .LBB195_314
; %bb.313:
	v_lshl_add_u64 v[30:31], v[94:95], 3, v[130:131]
	global_load_dwordx2 v[30:31], v[30:31], off
	s_waitcnt vmcnt(0)
	v_mul_f64 v[30:31], s[70:71], v[30:31]
	s_branch .LBB195_315
.LBB195_314:
	v_mov_b64_e32 v[30:31], 0
.LBB195_315:
	v_add_f64 v[28:29], v[28:29], v[30:31]
	v_lshl_add_u64 v[30:31], v[94:95], 3, v[64:65]
	global_store_dwordx2 v[30:31], v[28:29], off
	s_or_b64 exec, exec, s[2:3]
	s_and_b64 s[4:5], s[24:25], s[42:43]
	s_and_saveexec_b64 s[2:3], s[4:5]
	s_cbranch_execz .LBB195_230
.LBB195_316:
	s_and_b64 vcc, exec, s[0:1]
	s_cbranch_vccnz .LBB195_318
; %bb.317:
	v_lshl_add_u64 v[28:29], v[92:93], 3, v[130:131]
	global_load_dwordx2 v[28:29], v[28:29], off
	s_waitcnt vmcnt(0)
	v_mul_f64 v[28:29], s[70:71], v[28:29]
	s_branch .LBB195_319
.LBB195_318:
	v_mov_b64_e32 v[28:29], 0
.LBB195_319:
	v_add_f64 v[26:27], v[26:27], v[28:29]
	v_lshl_add_u64 v[28:29], v[92:93], 3, v[64:65]
	global_store_dwordx2 v[28:29], v[26:27], off
	s_or_b64 exec, exec, s[2:3]
	s_and_b64 s[4:5], s[24:25], s[44:45]
	s_and_saveexec_b64 s[2:3], s[4:5]
	s_cbranch_execz .LBB195_231
.LBB195_320:
	s_and_b64 vcc, exec, s[0:1]
	s_cbranch_vccnz .LBB195_322
; %bb.321:
	v_lshl_add_u64 v[26:27], v[90:91], 3, v[130:131]
	global_load_dwordx2 v[26:27], v[26:27], off
	s_waitcnt vmcnt(0)
	v_mul_f64 v[26:27], s[70:71], v[26:27]
	s_branch .LBB195_323
.LBB195_322:
	v_mov_b64_e32 v[26:27], 0
.LBB195_323:
	v_add_f64 v[24:25], v[24:25], v[26:27]
	v_lshl_add_u64 v[26:27], v[90:91], 3, v[64:65]
	global_store_dwordx2 v[26:27], v[24:25], off
	s_or_b64 exec, exec, s[2:3]
	s_and_b64 s[4:5], s[24:25], s[46:47]
	s_and_saveexec_b64 s[2:3], s[4:5]
	s_cbranch_execz .LBB195_232
.LBB195_324:
	s_and_b64 vcc, exec, s[0:1]
	s_cbranch_vccnz .LBB195_326
; %bb.325:
	v_lshl_add_u64 v[24:25], v[88:89], 3, v[130:131]
	global_load_dwordx2 v[24:25], v[24:25], off
	s_waitcnt vmcnt(0)
	v_mul_f64 v[24:25], s[70:71], v[24:25]
	s_branch .LBB195_327
.LBB195_326:
	v_mov_b64_e32 v[24:25], 0
.LBB195_327:
	v_add_f64 v[22:23], v[22:23], v[24:25]
	v_lshl_add_u64 v[24:25], v[88:89], 3, v[64:65]
	global_store_dwordx2 v[24:25], v[22:23], off
	s_or_b64 exec, exec, s[2:3]
	s_and_b64 s[4:5], s[24:25], s[48:49]
	s_and_saveexec_b64 s[2:3], s[4:5]
	s_cbranch_execz .LBB195_233
.LBB195_328:
	s_and_b64 vcc, exec, s[0:1]
	s_cbranch_vccnz .LBB195_330
; %bb.329:
	v_lshl_add_u64 v[22:23], v[86:87], 3, v[130:131]
	global_load_dwordx2 v[22:23], v[22:23], off
	s_waitcnt vmcnt(0)
	v_mul_f64 v[22:23], s[70:71], v[22:23]
	s_branch .LBB195_331
.LBB195_330:
	v_mov_b64_e32 v[22:23], 0
.LBB195_331:
	v_add_f64 v[20:21], v[20:21], v[22:23]
	v_lshl_add_u64 v[22:23], v[86:87], 3, v[64:65]
	global_store_dwordx2 v[22:23], v[20:21], off
	s_or_b64 exec, exec, s[2:3]
	s_and_b64 s[4:5], s[24:25], s[50:51]
	s_and_saveexec_b64 s[2:3], s[4:5]
	s_cbranch_execz .LBB195_234
.LBB195_332:
	s_and_b64 vcc, exec, s[0:1]
	s_cbranch_vccnz .LBB195_334
; %bb.333:
	v_lshl_add_u64 v[20:21], v[84:85], 3, v[130:131]
	global_load_dwordx2 v[20:21], v[20:21], off
	s_waitcnt vmcnt(0)
	v_mul_f64 v[20:21], s[70:71], v[20:21]
	s_branch .LBB195_335
.LBB195_334:
	v_mov_b64_e32 v[20:21], 0
.LBB195_335:
	v_add_f64 v[18:19], v[18:19], v[20:21]
	v_lshl_add_u64 v[20:21], v[84:85], 3, v[64:65]
	global_store_dwordx2 v[20:21], v[18:19], off
	s_or_b64 exec, exec, s[2:3]
	s_and_b64 s[4:5], s[24:25], s[52:53]
	s_and_saveexec_b64 s[2:3], s[4:5]
	s_cbranch_execz .LBB195_235
.LBB195_336:
	s_and_b64 vcc, exec, s[0:1]
	s_cbranch_vccnz .LBB195_338
; %bb.337:
	v_lshl_add_u64 v[18:19], v[82:83], 3, v[130:131]
	global_load_dwordx2 v[18:19], v[18:19], off
	s_waitcnt vmcnt(0)
	v_mul_f64 v[18:19], s[70:71], v[18:19]
	s_branch .LBB195_339
.LBB195_338:
	v_mov_b64_e32 v[18:19], 0
.LBB195_339:
	v_add_f64 v[16:17], v[16:17], v[18:19]
	v_lshl_add_u64 v[18:19], v[82:83], 3, v[64:65]
	global_store_dwordx2 v[18:19], v[16:17], off
	s_or_b64 exec, exec, s[2:3]
	s_and_b64 s[4:5], s[24:25], s[54:55]
	s_and_saveexec_b64 s[2:3], s[4:5]
	s_cbranch_execz .LBB195_236
.LBB195_340:
	s_and_b64 vcc, exec, s[0:1]
	s_cbranch_vccnz .LBB195_342
; %bb.341:
	v_lshl_add_u64 v[16:17], v[80:81], 3, v[130:131]
	global_load_dwordx2 v[16:17], v[16:17], off
	s_waitcnt vmcnt(0)
	v_mul_f64 v[16:17], s[70:71], v[16:17]
	s_branch .LBB195_343
.LBB195_342:
	v_mov_b64_e32 v[16:17], 0
.LBB195_343:
	v_add_f64 v[14:15], v[14:15], v[16:17]
	v_lshl_add_u64 v[16:17], v[80:81], 3, v[64:65]
	global_store_dwordx2 v[16:17], v[14:15], off
	s_or_b64 exec, exec, s[2:3]
	s_and_b64 s[4:5], s[24:25], s[56:57]
	s_and_saveexec_b64 s[2:3], s[4:5]
	s_cbranch_execz .LBB195_237
.LBB195_344:
	s_and_b64 vcc, exec, s[0:1]
	s_cbranch_vccnz .LBB195_346
; %bb.345:
	v_lshl_add_u64 v[14:15], v[78:79], 3, v[130:131]
	global_load_dwordx2 v[14:15], v[14:15], off
	s_waitcnt vmcnt(0)
	v_mul_f64 v[14:15], s[70:71], v[14:15]
	s_branch .LBB195_347
.LBB195_346:
	v_mov_b64_e32 v[14:15], 0
.LBB195_347:
	v_add_f64 v[12:13], v[12:13], v[14:15]
	v_lshl_add_u64 v[14:15], v[78:79], 3, v[64:65]
	global_store_dwordx2 v[14:15], v[12:13], off
	s_or_b64 exec, exec, s[2:3]
	s_and_b64 s[4:5], s[24:25], s[58:59]
	s_and_saveexec_b64 s[2:3], s[4:5]
	s_cbranch_execz .LBB195_238
.LBB195_348:
	s_and_b64 vcc, exec, s[0:1]
	s_cbranch_vccnz .LBB195_350
; %bb.349:
	v_lshl_add_u64 v[12:13], v[76:77], 3, v[130:131]
	global_load_dwordx2 v[12:13], v[12:13], off
	s_waitcnt vmcnt(0)
	v_mul_f64 v[12:13], s[70:71], v[12:13]
	s_branch .LBB195_351
.LBB195_350:
	v_mov_b64_e32 v[12:13], 0
.LBB195_351:
	v_add_f64 v[10:11], v[10:11], v[12:13]
	v_lshl_add_u64 v[12:13], v[76:77], 3, v[64:65]
	global_store_dwordx2 v[12:13], v[10:11], off
	s_or_b64 exec, exec, s[2:3]
	s_and_b64 s[4:5], s[24:25], s[60:61]
	s_and_saveexec_b64 s[2:3], s[4:5]
	s_cbranch_execz .LBB195_239
.LBB195_352:
	s_and_b64 vcc, exec, s[0:1]
	s_cbranch_vccnz .LBB195_354
; %bb.353:
	v_lshl_add_u64 v[10:11], v[74:75], 3, v[130:131]
	global_load_dwordx2 v[10:11], v[10:11], off
	s_waitcnt vmcnt(0)
	v_mul_f64 v[10:11], s[70:71], v[10:11]
	s_branch .LBB195_355
.LBB195_354:
	v_mov_b64_e32 v[10:11], 0
.LBB195_355:
	v_add_f64 v[8:9], v[8:9], v[10:11]
	v_lshl_add_u64 v[10:11], v[74:75], 3, v[64:65]
	global_store_dwordx2 v[10:11], v[8:9], off
	s_or_b64 exec, exec, s[2:3]
	s_and_b64 s[4:5], s[24:25], s[62:63]
	s_and_saveexec_b64 s[2:3], s[4:5]
	s_cbranch_execz .LBB195_240
.LBB195_356:
	s_and_b64 vcc, exec, s[0:1]
	s_cbranch_vccnz .LBB195_358
; %bb.357:
	v_lshl_add_u64 v[8:9], v[72:73], 3, v[130:131]
	global_load_dwordx2 v[8:9], v[8:9], off
	s_waitcnt vmcnt(0)
	v_mul_f64 v[8:9], s[70:71], v[8:9]
	s_branch .LBB195_359
.LBB195_358:
	v_mov_b64_e32 v[8:9], 0
.LBB195_359:
	v_add_f64 v[6:7], v[6:7], v[8:9]
	v_lshl_add_u64 v[8:9], v[72:73], 3, v[64:65]
	global_store_dwordx2 v[8:9], v[6:7], off
	s_or_b64 exec, exec, s[2:3]
	s_and_b64 s[4:5], s[24:25], s[64:65]
	s_and_saveexec_b64 s[2:3], s[4:5]
	s_cbranch_execz .LBB195_241
.LBB195_360:
	s_and_b64 vcc, exec, s[0:1]
	s_cbranch_vccnz .LBB195_362
; %bb.361:
	v_lshl_add_u64 v[6:7], v[70:71], 3, v[130:131]
	global_load_dwordx2 v[6:7], v[6:7], off
	s_waitcnt vmcnt(0)
	v_mul_f64 v[6:7], s[70:71], v[6:7]
	s_branch .LBB195_363
.LBB195_362:
	v_mov_b64_e32 v[6:7], 0
.LBB195_363:
	v_add_f64 v[4:5], v[4:5], v[6:7]
	v_lshl_add_u64 v[6:7], v[70:71], 3, v[64:65]
	global_store_dwordx2 v[6:7], v[4:5], off
	s_or_b64 exec, exec, s[2:3]
	s_and_b64 s[4:5], s[24:25], s[66:67]
	s_and_saveexec_b64 s[2:3], s[4:5]
	s_cbranch_execz .LBB195_242
.LBB195_364:
	s_and_b64 vcc, exec, s[0:1]
	s_cbranch_vccnz .LBB195_366
; %bb.365:
	v_lshl_add_u64 v[4:5], v[68:69], 3, v[130:131]
	global_load_dwordx2 v[4:5], v[4:5], off
	s_waitcnt vmcnt(0)
	v_mul_f64 v[4:5], s[70:71], v[4:5]
	s_branch .LBB195_367
.LBB195_366:
	v_mov_b64_e32 v[4:5], 0
.LBB195_367:
	v_add_f64 v[2:3], v[2:3], v[4:5]
	v_lshl_add_u64 v[4:5], v[68:69], 3, v[64:65]
	global_store_dwordx2 v[4:5], v[2:3], off
	s_or_b64 exec, exec, s[2:3]
	s_and_b64 s[2:3], s[24:25], s[68:69]
	s_and_saveexec_b64 s[4:5], s[2:3]
	s_cbranch_execz .LBB195_243
.LBB195_368:
	s_and_b64 vcc, exec, s[0:1]
	s_cbranch_vccnz .LBB195_370
; %bb.369:
	v_lshl_add_u64 v[2:3], v[66:67], 3, v[130:131]
	global_load_dwordx2 v[2:3], v[2:3], off
	s_waitcnt vmcnt(0)
	v_mul_f64 v[2:3], s[70:71], v[2:3]
	v_add_f64 v[0:1], v[0:1], v[2:3]
	v_lshl_add_u64 v[2:3], v[66:67], 3, v[64:65]
	global_store_dwordx2 v[2:3], v[0:1], off
	s_endpgm
.LBB195_370:
	v_mov_b64_e32 v[2:3], 0
	v_add_f64 v[0:1], v[0:1], v[2:3]
	v_lshl_add_u64 v[2:3], v[66:67], 3, v[64:65]
	global_store_dwordx2 v[2:3], v[0:1], off
	s_endpgm
	.section	.rodata,"a",@progbits
	.p2align	6, 0x0
	.amdhsa_kernel _ZN12_GLOBAL__N_120geam_min_plus_kernelIdddLi4ELi64ELi128ELi128ELi4ELi64ELi4ELi64ELi4ELc78ELc84ELb0ELb1ELb0EPKdS1_dEEviiiT16_PT17_ilS5_ilS3_S5_ilPT18_ili26rocblas_geam_ex_operation_
		.amdhsa_group_segment_fixed_size 16384
		.amdhsa_private_segment_fixed_size 0
		.amdhsa_kernarg_size 136
		.amdhsa_user_sgpr_count 2
		.amdhsa_user_sgpr_dispatch_ptr 0
		.amdhsa_user_sgpr_queue_ptr 0
		.amdhsa_user_sgpr_kernarg_segment_ptr 1
		.amdhsa_user_sgpr_dispatch_id 0
		.amdhsa_user_sgpr_kernarg_preload_length 0
		.amdhsa_user_sgpr_kernarg_preload_offset 0
		.amdhsa_user_sgpr_private_segment_size 0
		.amdhsa_uses_dynamic_stack 0
		.amdhsa_enable_private_segment 0
		.amdhsa_system_sgpr_workgroup_id_x 1
		.amdhsa_system_sgpr_workgroup_id_y 0
		.amdhsa_system_sgpr_workgroup_id_z 1
		.amdhsa_system_sgpr_workgroup_info 0
		.amdhsa_system_vgpr_workitem_id 1
		.amdhsa_next_free_vgpr 252
		.amdhsa_next_free_sgpr 82
		.amdhsa_accum_offset 252
		.amdhsa_reserve_vcc 1
		.amdhsa_float_round_mode_32 0
		.amdhsa_float_round_mode_16_64 0
		.amdhsa_float_denorm_mode_32 3
		.amdhsa_float_denorm_mode_16_64 3
		.amdhsa_dx10_clamp 1
		.amdhsa_ieee_mode 1
		.amdhsa_fp16_overflow 0
		.amdhsa_tg_split 0
		.amdhsa_exception_fp_ieee_invalid_op 0
		.amdhsa_exception_fp_denorm_src 0
		.amdhsa_exception_fp_ieee_div_zero 0
		.amdhsa_exception_fp_ieee_overflow 0
		.amdhsa_exception_fp_ieee_underflow 0
		.amdhsa_exception_fp_ieee_inexact 0
		.amdhsa_exception_int_div_zero 0
	.end_amdhsa_kernel
	.section	.text._ZN12_GLOBAL__N_120geam_min_plus_kernelIdddLi4ELi64ELi128ELi128ELi4ELi64ELi4ELi64ELi4ELc78ELc84ELb0ELb1ELb0EPKdS1_dEEviiiT16_PT17_ilS5_ilS3_S5_ilPT18_ili26rocblas_geam_ex_operation_,"axG",@progbits,_ZN12_GLOBAL__N_120geam_min_plus_kernelIdddLi4ELi64ELi128ELi128ELi4ELi64ELi4ELi64ELi4ELc78ELc84ELb0ELb1ELb0EPKdS1_dEEviiiT16_PT17_ilS5_ilS3_S5_ilPT18_ili26rocblas_geam_ex_operation_,comdat
.Lfunc_end195:
	.size	_ZN12_GLOBAL__N_120geam_min_plus_kernelIdddLi4ELi64ELi128ELi128ELi4ELi64ELi4ELi64ELi4ELc78ELc84ELb0ELb1ELb0EPKdS1_dEEviiiT16_PT17_ilS5_ilS3_S5_ilPT18_ili26rocblas_geam_ex_operation_, .Lfunc_end195-_ZN12_GLOBAL__N_120geam_min_plus_kernelIdddLi4ELi64ELi128ELi128ELi4ELi64ELi4ELi64ELi4ELc78ELc84ELb0ELb1ELb0EPKdS1_dEEviiiT16_PT17_ilS5_ilS3_S5_ilPT18_ili26rocblas_geam_ex_operation_
                                        ; -- End function
	.set _ZN12_GLOBAL__N_120geam_min_plus_kernelIdddLi4ELi64ELi128ELi128ELi4ELi64ELi4ELi64ELi4ELc78ELc84ELb0ELb1ELb0EPKdS1_dEEviiiT16_PT17_ilS5_ilS3_S5_ilPT18_ili26rocblas_geam_ex_operation_.num_vgpr, 252
	.set _ZN12_GLOBAL__N_120geam_min_plus_kernelIdddLi4ELi64ELi128ELi128ELi4ELi64ELi4ELi64ELi4ELc78ELc84ELb0ELb1ELb0EPKdS1_dEEviiiT16_PT17_ilS5_ilS3_S5_ilPT18_ili26rocblas_geam_ex_operation_.num_agpr, 0
	.set _ZN12_GLOBAL__N_120geam_min_plus_kernelIdddLi4ELi64ELi128ELi128ELi4ELi64ELi4ELi64ELi4ELc78ELc84ELb0ELb1ELb0EPKdS1_dEEviiiT16_PT17_ilS5_ilS3_S5_ilPT18_ili26rocblas_geam_ex_operation_.numbered_sgpr, 82
	.set _ZN12_GLOBAL__N_120geam_min_plus_kernelIdddLi4ELi64ELi128ELi128ELi4ELi64ELi4ELi64ELi4ELc78ELc84ELb0ELb1ELb0EPKdS1_dEEviiiT16_PT17_ilS5_ilS3_S5_ilPT18_ili26rocblas_geam_ex_operation_.num_named_barrier, 0
	.set _ZN12_GLOBAL__N_120geam_min_plus_kernelIdddLi4ELi64ELi128ELi128ELi4ELi64ELi4ELi64ELi4ELc78ELc84ELb0ELb1ELb0EPKdS1_dEEviiiT16_PT17_ilS5_ilS3_S5_ilPT18_ili26rocblas_geam_ex_operation_.private_seg_size, 0
	.set _ZN12_GLOBAL__N_120geam_min_plus_kernelIdddLi4ELi64ELi128ELi128ELi4ELi64ELi4ELi64ELi4ELc78ELc84ELb0ELb1ELb0EPKdS1_dEEviiiT16_PT17_ilS5_ilS3_S5_ilPT18_ili26rocblas_geam_ex_operation_.uses_vcc, 1
	.set _ZN12_GLOBAL__N_120geam_min_plus_kernelIdddLi4ELi64ELi128ELi128ELi4ELi64ELi4ELi64ELi4ELc78ELc84ELb0ELb1ELb0EPKdS1_dEEviiiT16_PT17_ilS5_ilS3_S5_ilPT18_ili26rocblas_geam_ex_operation_.uses_flat_scratch, 0
	.set _ZN12_GLOBAL__N_120geam_min_plus_kernelIdddLi4ELi64ELi128ELi128ELi4ELi64ELi4ELi64ELi4ELc78ELc84ELb0ELb1ELb0EPKdS1_dEEviiiT16_PT17_ilS5_ilS3_S5_ilPT18_ili26rocblas_geam_ex_operation_.has_dyn_sized_stack, 0
	.set _ZN12_GLOBAL__N_120geam_min_plus_kernelIdddLi4ELi64ELi128ELi128ELi4ELi64ELi4ELi64ELi4ELc78ELc84ELb0ELb1ELb0EPKdS1_dEEviiiT16_PT17_ilS5_ilS3_S5_ilPT18_ili26rocblas_geam_ex_operation_.has_recursion, 0
	.set _ZN12_GLOBAL__N_120geam_min_plus_kernelIdddLi4ELi64ELi128ELi128ELi4ELi64ELi4ELi64ELi4ELc78ELc84ELb0ELb1ELb0EPKdS1_dEEviiiT16_PT17_ilS5_ilS3_S5_ilPT18_ili26rocblas_geam_ex_operation_.has_indirect_call, 0
	.section	.AMDGPU.csdata,"",@progbits
; Kernel info:
; codeLenInByte = 14664
; TotalNumSgprs: 88
; NumVgprs: 252
; NumAgprs: 0
; TotalNumVgprs: 252
; ScratchSize: 0
; MemoryBound: 0
; FloatMode: 240
; IeeeMode: 1
; LDSByteSize: 16384 bytes/workgroup (compile time only)
; SGPRBlocks: 10
; VGPRBlocks: 31
; NumSGPRsForWavesPerEU: 88
; NumVGPRsForWavesPerEU: 252
; AccumOffset: 252
; Occupancy: 2
; WaveLimiterHint : 0
; COMPUTE_PGM_RSRC2:SCRATCH_EN: 0
; COMPUTE_PGM_RSRC2:USER_SGPR: 2
; COMPUTE_PGM_RSRC2:TRAP_HANDLER: 0
; COMPUTE_PGM_RSRC2:TGID_X_EN: 1
; COMPUTE_PGM_RSRC2:TGID_Y_EN: 0
; COMPUTE_PGM_RSRC2:TGID_Z_EN: 1
; COMPUTE_PGM_RSRC2:TIDIG_COMP_CNT: 1
; COMPUTE_PGM_RSRC3_GFX90A:ACCUM_OFFSET: 62
; COMPUTE_PGM_RSRC3_GFX90A:TG_SPLIT: 0
	.section	.text._ZN12_GLOBAL__N_120geam_min_plus_kernelIdddLi4ELi64ELi128ELi128ELi4ELi64ELi4ELi64ELi4ELc78ELc84ELb1ELb1ELb0EdKddEEviiiT16_PT17_ilS4_ilS2_S4_ilPT18_ili26rocblas_geam_ex_operation_,"axG",@progbits,_ZN12_GLOBAL__N_120geam_min_plus_kernelIdddLi4ELi64ELi128ELi128ELi4ELi64ELi4ELi64ELi4ELc78ELc84ELb1ELb1ELb0EdKddEEviiiT16_PT17_ilS4_ilS2_S4_ilPT18_ili26rocblas_geam_ex_operation_,comdat
	.globl	_ZN12_GLOBAL__N_120geam_min_plus_kernelIdddLi4ELi64ELi128ELi128ELi4ELi64ELi4ELi64ELi4ELc78ELc84ELb1ELb1ELb0EdKddEEviiiT16_PT17_ilS4_ilS2_S4_ilPT18_ili26rocblas_geam_ex_operation_ ; -- Begin function _ZN12_GLOBAL__N_120geam_min_plus_kernelIdddLi4ELi64ELi128ELi128ELi4ELi64ELi4ELi64ELi4ELc78ELc84ELb1ELb1ELb0EdKddEEviiiT16_PT17_ilS4_ilS2_S4_ilPT18_ili26rocblas_geam_ex_operation_
	.p2align	8
	.type	_ZN12_GLOBAL__N_120geam_min_plus_kernelIdddLi4ELi64ELi128ELi128ELi4ELi64ELi4ELi64ELi4ELc78ELc84ELb1ELb1ELb0EdKddEEviiiT16_PT17_ilS4_ilS2_S4_ilPT18_ili26rocblas_geam_ex_operation_,@function
_ZN12_GLOBAL__N_120geam_min_plus_kernelIdddLi4ELi64ELi128ELi128ELi4ELi64ELi4ELi64ELi4ELc78ELc84ELb1ELb1ELb0EdKddEEviiiT16_PT17_ilS4_ilS2_S4_ilPT18_ili26rocblas_geam_ex_operation_: ; @_ZN12_GLOBAL__N_120geam_min_plus_kernelIdddLi4ELi64ELi128ELi128ELi4ELi64ELi4ELi64ELi4ELc78ELc84ELb1ELb1ELb0EdKddEEviiiT16_PT17_ilS4_ilS2_S4_ilPT18_ili26rocblas_geam_ex_operation_
; %bb.0:
	s_load_dwordx4 s[8:11], s[0:1], 0x10
	s_load_dwordx4 s[4:7], s[0:1], 0x28
	s_mov_b64 s[18:19], 0
	s_waitcnt lgkmcnt(0)
	v_cmp_eq_f64_e64 s[8:9], s[8:9], 0
	s_and_b64 vcc, exec, s[8:9]
	s_cbranch_vccnz .LBB196_2
; %bb.1:
	s_mul_i32 s5, s5, s3
	s_mul_hi_u32 s12, s4, s3
	s_add_i32 s5, s12, s5
	s_mul_i32 s4, s4, s3
	s_lshl_b64 s[4:5], s[4:5], 3
	s_add_u32 s18, s10, s4
	s_addc_u32 s19, s11, s5
.LBB196_2:
	s_load_dwordx4 s[68:71], s[0:1], 0x40
	s_load_dwordx2 s[4:5], s[0:1], 0x50
	s_andn2_b64 vcc, exec, s[8:9]
	s_mov_b64 s[8:9], -1
	s_cbranch_vccnz .LBB196_4
; %bb.3:
	s_mov_b64 s[8:9], 0
.LBB196_4:
	s_mov_b64 s[76:77], 0
	s_andn2_b64 vcc, exec, s[8:9]
	s_mov_b64 s[20:21], 0
	s_cbranch_vccnz .LBB196_6
; %bb.5:
	s_waitcnt lgkmcnt(0)
	s_mul_i32 s8, s69, s3
	s_mul_hi_u32 s9, s68, s3
	s_add_i32 s9, s9, s8
	s_mul_i32 s8, s68, s3
	s_lshl_b64 s[8:9], s[8:9], 3
	s_add_u32 s20, s6, s8
	s_addc_u32 s21, s7, s9
.LBB196_6:
	s_load_dwordx4 s[12:15], s[0:1], 0x60
	s_waitcnt lgkmcnt(0)
	v_cmp_eq_f64_e64 s[6:7], s[70:71], 0
	v_cmp_neq_f64_e64 s[16:17], s[70:71], 0
	s_and_b64 vcc, exec, s[6:7]
	s_cbranch_vccnz .LBB196_8
; %bb.7:
	s_mul_i32 s6, s13, s3
	s_mul_hi_u32 s7, s12, s3
	s_add_i32 s7, s7, s6
	s_mul_i32 s6, s12, s3
	s_lshl_b64 s[6:7], s[6:7], 3
	s_add_u32 s76, s4, s6
	s_addc_u32 s77, s5, s7
.LBB196_8:
	s_load_dwordx4 s[72:75], s[0:1], 0x0
	s_load_dword s23, s[0:1], 0x20
	v_and_b32_e32 v129, 0x3ff, v0
	v_bfe_u32 v144, v0, 10, 10
	v_lshl_add_u32 v0, v144, 2, v129
	s_waitcnt lgkmcnt(0)
	s_add_i32 s4, s72, -1
	s_ashr_i32 s5, s4, 31
	s_lshr_b32 s5, s5, 25
	s_add_i32 s4, s4, s5
	s_ashr_i32 s6, s4, 7
	s_add_i32 s7, s6, 1
	v_cvt_f32_u32_e32 v1, s7
	v_and_b32_e32 v142, 63, v0
	v_lshrrev_b32_e32 v128, 6, v0
	v_cmp_le_i32_e32 vcc, s74, v128
	v_rcp_iflag_f32_e32 v1, v1
	s_nop 0
	v_mul_f32_e32 v0, 0x4f7ffffe, v1
	v_cvt_u32_f32_e32 v2, v0
	v_mad_i64_i32 v[0:1], s[4:5], s23, v128, 0
	s_not_b32 s4, s6
	v_readfirstlane_b32 s5, v2
	s_mul_i32 s4, s4, s5
	s_mul_hi_u32 s4, s5, s4
	s_add_i32 s5, s5, s4
	s_mul_hi_u32 s4, s2, s5
	s_mul_i32 s5, s4, s7
	s_sub_i32 s5, s2, s5
	s_add_i32 s6, s4, 1
	s_sub_i32 s8, s5, s7
	s_cmp_ge_u32 s5, s7
	s_cselect_b32 s4, s6, s4
	s_cselect_b32 s5, s8, s5
	s_add_i32 s6, s4, 1
	s_cmp_ge_u32 s5, s7
	s_cselect_b32 s8, s6, s4
	s_mul_i32 s4, s8, s7
	s_sub_i32 s2, s2, s4
	s_lshl_b32 s2, s2, 7
	v_or_b32_e32 v130, s2, v142
	v_cmp_le_i32_e64 s[10:11], s72, v130
	v_lshl_add_u64 v[4:5], v[0:1], 3, s[18:19]
	s_nor_b64 s[6:7], s[10:11], vcc
	v_mov_b64_e32 v[0:1], 0
	v_ashrrev_i32_e32 v131, 31, v130
	v_mov_b64_e32 v[2:3], 0
	s_and_saveexec_b64 s[4:5], s[6:7]
	s_cbranch_execz .LBB196_10
; %bb.9:
	v_lshl_add_u64 v[2:3], v[130:131], 3, v[4:5]
	global_load_dwordx2 v[2:3], v[2:3], off
.LBB196_10:
	s_or_b64 exec, exec, s[4:5]
	v_or_b32_e32 v6, 64, v130
	v_cmp_le_i32_e64 s[4:5], s72, v6
	s_ashr_i32 s24, s23, 31
	s_nor_b64 s[12:13], s[4:5], vcc
	s_and_saveexec_b64 s[6:7], s[12:13]
	s_cbranch_execz .LBB196_12
; %bb.11:
	v_lshl_add_u64 v[0:1], v[130:131], 3, v[4:5]
	global_load_dwordx2 v[0:1], v[0:1], off offset:512
.LBB196_12:
	s_or_b64 exec, exec, s[6:7]
	s_load_dword s25, s[0:1], 0x38
	s_lshl_b32 s22, s8, 7
	v_or_b32_e32 v132, s22, v142
	v_cmp_le_i32_e64 s[6:7], s73, v132
	s_nor_b64 s[12:13], s[6:7], vcc
	s_waitcnt lgkmcnt(0)
	v_mad_i64_i32 v[4:5], s[8:9], s25, v128, 0
	v_lshl_add_u64 v[8:9], v[4:5], 3, s[20:21]
	v_mov_b64_e32 v[4:5], 0
	v_ashrrev_i32_e32 v133, 31, v132
	v_mov_b64_e32 v[6:7], 0
	s_and_saveexec_b64 s[8:9], s[12:13]
	s_cbranch_execz .LBB196_14
; %bb.13:
	v_lshl_add_u64 v[6:7], v[132:133], 3, v[8:9]
	global_load_dwordx2 v[6:7], v[6:7], off
.LBB196_14:
	s_or_b64 exec, exec, s[8:9]
	v_or_b32_e32 v10, 64, v132
	v_cmp_le_i32_e64 s[8:9], s73, v10
	s_ashr_i32 s26, s25, 31
	s_nor_b64 s[28:29], s[8:9], vcc
	s_and_saveexec_b64 s[12:13], s[28:29]
	s_cbranch_execz .LBB196_16
; %bb.15:
	v_lshl_add_u64 v[4:5], v[132:133], 3, v[8:9]
	global_load_dwordx2 v[4:5], v[4:5], off offset:512
.LBB196_16:
	s_or_b64 exec, exec, s[12:13]
	v_add_u32_e32 v10, 4, v128
	v_cmp_le_i32_e32 vcc, s74, v10
	v_mad_i64_i32 v[8:9], s[12:13], s23, v10, 0
	v_lshl_add_u64 v[8:9], v[8:9], 3, s[18:19]
	s_nor_b64 s[28:29], s[10:11], vcc
	v_mov_b64_e32 v[134:135], 0
	v_mov_b64_e32 v[136:137], 0
	s_and_saveexec_b64 s[12:13], s[28:29]
	s_cbranch_execz .LBB196_18
; %bb.17:
	v_lshl_add_u64 v[12:13], v[130:131], 3, v[8:9]
	global_load_dwordx2 v[136:137], v[12:13], off
.LBB196_18:
	s_or_b64 exec, exec, s[12:13]
	s_nor_b64 s[28:29], s[4:5], vcc
	s_and_saveexec_b64 s[12:13], s[28:29]
	s_cbranch_execz .LBB196_20
; %bb.19:
	v_lshl_add_u64 v[8:9], v[130:131], 3, v[8:9]
	global_load_dwordx2 v[134:135], v[8:9], off offset:512
.LBB196_20:
	s_or_b64 exec, exec, s[12:13]
	v_mad_u64_u32 v[8:9], s[12:13], s25, v10, 0
	v_mov_b32_e32 v12, v9
	v_mad_u64_u32 v[10:11], s[12:13], s26, v10, v[12:13]
	v_mov_b32_e32 v9, v10
	v_lshl_add_u64 v[8:9], v[8:9], 3, s[20:21]
	s_nor_b64 s[28:29], s[6:7], vcc
	v_mov_b64_e32 v[138:139], 0
	v_mov_b64_e32 v[140:141], 0
	s_and_saveexec_b64 s[12:13], s[28:29]
	s_cbranch_execz .LBB196_22
; %bb.21:
	v_lshl_add_u64 v[10:11], v[132:133], 3, v[8:9]
	global_load_dwordx2 v[140:141], v[10:11], off
.LBB196_22:
	s_or_b64 exec, exec, s[12:13]
	s_nor_b64 s[28:29], s[8:9], vcc
	s_and_saveexec_b64 s[12:13], s[28:29]
	s_cbranch_execz .LBB196_24
; %bb.23:
	v_lshl_add_u64 v[8:9], v[132:133], 3, v[8:9]
	global_load_dwordx2 v[138:139], v[8:9], off offset:512
.LBB196_24:
	s_or_b64 exec, exec, s[12:13]
	v_lshlrev_b32_e32 v8, 5, v142
	v_lshl_add_u32 v146, v128, 3, v8
	v_lshlrev_b32_e32 v143, 5, v144
	s_waitcnt vmcnt(0)
	ds_write2st64_b64 v146, v[2:3], v[0:1] offset1:4
	v_or_b32_e32 v147, 0x2000, v146
	ds_write2st64_b64 v146, v[6:7], v[4:5] offset0:16 offset1:20
	v_lshlrev_b32_e32 v148, 5, v129
	v_add_u32_e32 v149, 0x2000, v143
	v_mov_b64_e32 v[126:127], 0
	s_mov_b32 s12, 0
	v_mov_b64_e32 v[124:125], 0
	v_mov_b64_e32 v[122:123], 0
	;; [unrolled: 1-line block ×63, first 2 shown]
	s_waitcnt lgkmcnt(0)
	s_barrier
.LBB196_25:                             ; =>This Inner Loop Header: Depth=1
	v_add_u32_e32 v145, s12, v148
	v_add_u32_e32 v182, s12, v149
	ds_read2_b64 v[150:153], v145 offset1:16
	ds_read2_b64 v[154:157], v145 offset0:32 offset1:48
	ds_read2_b64 v[158:161], v145 offset0:64 offset1:80
	;; [unrolled: 1-line block ×7, first 2 shown]
	ds_read2st64_b64 v[182:185], v182 offset1:4
	v_add_u32_e32 v145, 0x800, v145
	ds_read2_b64 v[186:189], v145 offset1:16
	ds_read2_b64 v[190:193], v145 offset0:32 offset1:48
	ds_read2_b64 v[194:197], v145 offset0:64 offset1:80
	;; [unrolled: 1-line block ×7, first 2 shown]
	s_waitcnt lgkmcnt(14)
	v_max_f64 v[150:151], v[150:151], v[150:151]
	v_max_f64 v[152:153], v[152:153], v[152:153]
	;; [unrolled: 1-line block ×6, first 2 shown]
	s_waitcnt lgkmcnt(13)
	v_max_f64 v[162:163], v[162:163], v[162:163]
	v_max_f64 v[164:165], v[164:165], v[164:165]
	s_waitcnt lgkmcnt(12)
	v_max_f64 v[166:167], v[166:167], v[166:167]
	v_max_f64 v[168:169], v[168:169], v[168:169]
	;; [unrolled: 3-line block ×14, first 2 shown]
	v_min_f64 v[218:219], v[150:151], v[182:183]
	v_min_f64 v[220:221], v[152:153], v[182:183]
	;; [unrolled: 1-line block ×32, first 2 shown]
	s_add_i32 s12, s12, 8
	v_add_f64 v[62:63], v[62:63], v[150:151]
	v_add_f64 v[60:61], v[60:61], v[152:153]
	;; [unrolled: 1-line block ×16, first 2 shown]
	v_min_f64 v[150:151], v[186:187], v[182:183]
	v_min_f64 v[152:153], v[188:189], v[182:183]
	;; [unrolled: 1-line block ×32, first 2 shown]
	s_cmp_eq_u32 s12, 32
	v_add_f64 v[126:127], v[126:127], v[218:219]
	v_add_f64 v[124:125], v[124:125], v[220:221]
	;; [unrolled: 1-line block ×48, first 2 shown]
	s_cbranch_scc0 .LBB196_25
; %bb.26:
	v_lshlrev_b32_e32 v145, 3, v128
	v_lshl_add_u32 v142, v142, 5, v145
	s_cmp_gt_i32 s74, 8
	ds_write2st64_b64 v142, v[136:137], v[134:135] offset0:8 offset1:12
	ds_write2st64_b64 v142, v[140:141], v[138:139] offset0:24 offset1:28
	s_waitcnt lgkmcnt(0)
	s_barrier
	s_cbranch_scc1 .LBB196_28
; %bb.27:
	v_add_u32_e32 v145, 0x3000, v143
	s_cbranch_execz .LBB196_29
	s_branch .LBB196_51
.LBB196_28:
                                        ; implicit-def: $vgpr145
.LBB196_29:
	v_mov_b32_e32 v134, 0x1000
	v_or_b32_e32 v150, 0x1000, v142
	v_or_b32_e32 v151, 0x3000, v142
	s_add_i32 s27, s74, -8
	v_lshl_add_u32 v152, v129, 5, v134
	v_add_u32_e32 v145, 0x3000, v143
	s_mov_b32 s28, 8
	s_mov_b32 s29, 0
.LBB196_30:                             ; =>This Loop Header: Depth=1
                                        ;     Child Loop BB196_39 Depth 2
                                        ;     Child Loop BB196_49 Depth 2
	v_add_u32_e32 v140, s28, v128
	v_mad_u64_u32 v[134:135], s[12:13], v140, s23, 0
	v_mov_b32_e32 v136, v135
	v_mad_u64_u32 v[136:137], s[12:13], v140, s24, v[136:137]
	v_mov_b32_e32 v135, v136
	v_cmp_le_i32_e32 vcc, s74, v140
	v_lshl_add_u64 v[136:137], v[134:135], 3, s[18:19]
	s_nor_b64 s[30:31], s[10:11], vcc
	v_mov_b64_e32 v[134:135], 0
	v_lshl_add_u64 v[138:139], v[130:131], 3, v[136:137]
	v_mov_b64_e32 v[136:137], 0
	s_and_saveexec_b64 s[12:13], s[30:31]
	s_cbranch_execz .LBB196_32
; %bb.31:                               ;   in Loop: Header=BB196_30 Depth=1
	global_load_dwordx2 v[136:137], v[138:139], off
.LBB196_32:                             ;   in Loop: Header=BB196_30 Depth=1
	s_or_b64 exec, exec, s[12:13]
	s_nor_b64 s[30:31], s[4:5], vcc
	s_and_saveexec_b64 s[12:13], s[30:31]
	s_cbranch_execz .LBB196_34
; %bb.33:                               ;   in Loop: Header=BB196_30 Depth=1
	global_load_dwordx2 v[134:135], v[138:139], off offset:512
.LBB196_34:                             ;   in Loop: Header=BB196_30 Depth=1
	s_or_b64 exec, exec, s[12:13]
	v_mad_u64_u32 v[138:139], s[12:13], v140, s25, 0
	v_mov_b32_e32 v142, v139
	v_mad_u64_u32 v[140:141], s[12:13], v140, s26, v[142:143]
	v_mov_b32_e32 v139, v140
	v_lshl_add_u64 v[140:141], v[138:139], 3, s[20:21]
	s_nor_b64 s[30:31], s[6:7], vcc
	v_mov_b64_e32 v[138:139], 0
	v_lshl_add_u64 v[142:143], v[132:133], 3, v[140:141]
	v_mov_b64_e32 v[140:141], 0
	s_and_saveexec_b64 s[12:13], s[30:31]
	s_cbranch_execz .LBB196_36
; %bb.35:                               ;   in Loop: Header=BB196_30 Depth=1
	global_load_dwordx2 v[140:141], v[142:143], off
.LBB196_36:                             ;   in Loop: Header=BB196_30 Depth=1
	s_or_b64 exec, exec, s[12:13]
	s_nor_b64 s[30:31], s[8:9], vcc
	s_and_saveexec_b64 s[12:13], s[30:31]
	s_cbranch_execz .LBB196_38
; %bb.37:                               ;   in Loop: Header=BB196_30 Depth=1
	global_load_dwordx2 v[138:139], v[142:143], off offset:512
.LBB196_38:                             ;   in Loop: Header=BB196_30 Depth=1
	s_or_b64 exec, exec, s[12:13]
	s_mov_b32 s12, 0
.LBB196_39:                             ;   Parent Loop BB196_30 Depth=1
                                        ; =>  This Inner Loop Header: Depth=2
	v_add_u32_e32 v142, s12, v152
	v_add_u32_e32 v143, s12, v145
	ds_read2_b64 v[154:157], v142 offset1:16
	ds_read2_b64 v[158:161], v142 offset0:32 offset1:48
	ds_read2_b64 v[162:165], v142 offset0:64 offset1:80
	;; [unrolled: 1-line block ×7, first 2 shown]
	v_add_u32_e32 v142, 0x800, v142
	ds_read2st64_b64 v[186:189], v143 offset1:4
	ds_read2_b64 v[190:193], v142 offset1:16
	ds_read2_b64 v[194:197], v142 offset0:32 offset1:48
	ds_read2_b64 v[198:201], v142 offset0:64 offset1:80
	;; [unrolled: 1-line block ×7, first 2 shown]
	s_waitcnt lgkmcnt(14)
	v_max_f64 v[154:155], v[154:155], v[154:155]
	v_max_f64 v[156:157], v[156:157], v[156:157]
	;; [unrolled: 1-line block ×3, first 2 shown]
	s_waitcnt lgkmcnt(8)
	v_max_f64 v[142:143], v[186:187], v[186:187]
	v_max_f64 v[160:161], v[160:161], v[160:161]
	v_max_f64 v[162:163], v[162:163], v[162:163]
	v_max_f64 v[164:165], v[164:165], v[164:165]
	v_max_f64 v[166:167], v[166:167], v[166:167]
	v_max_f64 v[168:169], v[168:169], v[168:169]
	v_max_f64 v[170:171], v[170:171], v[170:171]
	v_max_f64 v[172:173], v[172:173], v[172:173]
	v_max_f64 v[174:175], v[174:175], v[174:175]
	v_max_f64 v[176:177], v[176:177], v[176:177]
	v_max_f64 v[178:179], v[178:179], v[178:179]
	v_max_f64 v[180:181], v[180:181], v[180:181]
	v_max_f64 v[182:183], v[182:183], v[182:183]
	v_max_f64 v[184:185], v[184:185], v[184:185]
	v_max_f64 v[186:187], v[188:189], v[188:189]
	v_min_f64 v[188:189], v[154:155], v[142:143]
	v_min_f64 v[222:223], v[156:157], v[142:143]
	;; [unrolled: 1-line block ×16, first 2 shown]
	s_waitcnt lgkmcnt(7)
	v_max_f64 v[190:191], v[190:191], v[190:191]
	v_max_f64 v[192:193], v[192:193], v[192:193]
	s_waitcnt lgkmcnt(6)
	v_max_f64 v[194:195], v[194:195], v[194:195]
	v_max_f64 v[196:197], v[196:197], v[196:197]
	;; [unrolled: 3-line block ×8, first 2 shown]
	v_min_f64 v[154:155], v[154:155], v[186:187]
	v_min_f64 v[156:157], v[156:157], v[186:187]
	;; [unrolled: 1-line block ×16, first 2 shown]
	s_add_i32 s12, s12, 8
	v_add_f64 v[126:127], v[126:127], v[188:189]
	v_add_f64 v[124:125], v[124:125], v[222:223]
	;; [unrolled: 1-line block ×15, first 2 shown]
	v_min_f64 v[188:189], v[190:191], v[142:143]
	v_min_f64 v[222:223], v[192:193], v[142:143]
	;; [unrolled: 1-line block ×16, first 2 shown]
	v_add_f64 v[62:63], v[62:63], v[154:155]
	v_add_f64 v[60:61], v[60:61], v[156:157]
	v_add_f64 v[58:59], v[58:59], v[158:159]
	v_add_f64 v[56:57], v[56:57], v[160:161]
	v_add_f64 v[54:55], v[54:55], v[162:163]
	v_add_f64 v[52:53], v[52:53], v[164:165]
	v_add_f64 v[50:51], v[50:51], v[166:167]
	v_add_f64 v[48:49], v[48:49], v[168:169]
	v_add_f64 v[46:47], v[46:47], v[170:171]
	v_add_f64 v[44:45], v[44:45], v[172:173]
	v_add_f64 v[42:43], v[42:43], v[174:175]
	v_add_f64 v[40:41], v[40:41], v[176:177]
	v_add_f64 v[38:39], v[38:39], v[178:179]
	v_add_f64 v[36:37], v[36:37], v[180:181]
	v_add_f64 v[34:35], v[34:35], v[182:183]
	v_add_f64 v[32:33], v[32:33], v[184:185]
	v_min_f64 v[154:155], v[190:191], v[186:187]
	v_min_f64 v[156:157], v[192:193], v[186:187]
	;; [unrolled: 1-line block ×16, first 2 shown]
	s_cmp_eq_u32 s12, 32
	v_add_f64 v[96:97], v[96:97], v[250:251]
	v_add_f64 v[94:95], v[94:95], v[188:189]
	;; [unrolled: 1-line block ×33, first 2 shown]
	s_cbranch_scc0 .LBB196_39
; %bb.40:                               ;   in Loop: Header=BB196_30 Depth=1
	s_waitcnt vmcnt(0)
	ds_write2st64_b64 v146, v[136:137], v[134:135] offset1:4
	ds_write2st64_b64 v147, v[140:141], v[138:139] offset1:4
	v_add3_u32 v140, v128, s28, 4
	v_mad_u64_u32 v[134:135], s[12:13], v140, s23, 0
	v_mov_b32_e32 v136, v135
	v_mad_u64_u32 v[136:137], s[12:13], v140, s24, v[136:137]
	v_mov_b32_e32 v135, v136
	v_cmp_le_i32_e32 vcc, s74, v140
	v_lshl_add_u64 v[136:137], v[134:135], 3, s[18:19]
	s_nor_b64 s[30:31], s[10:11], vcc
	v_mov_b64_e32 v[134:135], 0
	v_lshl_add_u64 v[138:139], v[130:131], 3, v[136:137]
	v_mov_b64_e32 v[136:137], 0
	s_waitcnt lgkmcnt(0)
	s_barrier
	s_and_saveexec_b64 s[12:13], s[30:31]
	s_cbranch_execz .LBB196_42
; %bb.41:                               ;   in Loop: Header=BB196_30 Depth=1
	global_load_dwordx2 v[136:137], v[138:139], off
.LBB196_42:                             ;   in Loop: Header=BB196_30 Depth=1
	s_or_b64 exec, exec, s[12:13]
	s_nor_b64 s[30:31], s[4:5], vcc
	s_and_saveexec_b64 s[12:13], s[30:31]
	s_cbranch_execz .LBB196_44
; %bb.43:                               ;   in Loop: Header=BB196_30 Depth=1
	global_load_dwordx2 v[134:135], v[138:139], off offset:512
.LBB196_44:                             ;   in Loop: Header=BB196_30 Depth=1
	s_or_b64 exec, exec, s[12:13]
	v_mad_u64_u32 v[138:139], s[12:13], v140, s25, 0
	v_mov_b32_e32 v142, v139
	v_mad_u64_u32 v[140:141], s[12:13], v140, s26, v[142:143]
	v_mov_b32_e32 v139, v140
	v_lshl_add_u64 v[140:141], v[138:139], 3, s[20:21]
	s_nor_b64 s[30:31], s[6:7], vcc
	v_mov_b64_e32 v[138:139], 0
	v_lshl_add_u64 v[142:143], v[132:133], 3, v[140:141]
	v_mov_b64_e32 v[140:141], 0
	s_and_saveexec_b64 s[12:13], s[30:31]
	s_cbranch_execz .LBB196_46
; %bb.45:                               ;   in Loop: Header=BB196_30 Depth=1
	global_load_dwordx2 v[140:141], v[142:143], off
.LBB196_46:                             ;   in Loop: Header=BB196_30 Depth=1
	s_or_b64 exec, exec, s[12:13]
	s_nor_b64 s[30:31], s[8:9], vcc
	s_and_saveexec_b64 s[12:13], s[30:31]
	s_cbranch_execz .LBB196_48
; %bb.47:                               ;   in Loop: Header=BB196_30 Depth=1
	global_load_dwordx2 v[138:139], v[142:143], off offset:512
.LBB196_48:                             ;   in Loop: Header=BB196_30 Depth=1
	s_or_b64 exec, exec, s[12:13]
	s_mov_b32 s12, 0
.LBB196_49:                             ;   Parent Loop BB196_30 Depth=1
                                        ; =>  This Inner Loop Header: Depth=2
	v_add_u32_e32 v142, s12, v148
	v_add_u32_e32 v143, s12, v149
	ds_read2_b64 v[154:157], v142 offset1:16
	ds_read2_b64 v[158:161], v142 offset0:32 offset1:48
	ds_read2_b64 v[162:165], v142 offset0:64 offset1:80
	ds_read2_b64 v[166:169], v142 offset0:96 offset1:112
	ds_read2_b64 v[170:173], v142 offset0:128 offset1:144
	ds_read2_b64 v[174:177], v142 offset0:160 offset1:176
	ds_read2_b64 v[178:181], v142 offset0:192 offset1:208
	ds_read2_b64 v[182:185], v142 offset0:224 offset1:240
	v_add_u32_e32 v142, 0x800, v142
	ds_read2st64_b64 v[186:189], v143 offset1:4
	ds_read2_b64 v[190:193], v142 offset1:16
	ds_read2_b64 v[194:197], v142 offset0:32 offset1:48
	ds_read2_b64 v[198:201], v142 offset0:64 offset1:80
	;; [unrolled: 1-line block ×7, first 2 shown]
	s_waitcnt lgkmcnt(14)
	v_max_f64 v[154:155], v[154:155], v[154:155]
	v_max_f64 v[156:157], v[156:157], v[156:157]
	;; [unrolled: 1-line block ×3, first 2 shown]
	s_waitcnt lgkmcnt(8)
	v_max_f64 v[142:143], v[186:187], v[186:187]
	v_max_f64 v[160:161], v[160:161], v[160:161]
	;; [unrolled: 1-line block ×15, first 2 shown]
	v_min_f64 v[188:189], v[154:155], v[142:143]
	v_min_f64 v[222:223], v[156:157], v[142:143]
	;; [unrolled: 1-line block ×16, first 2 shown]
	s_waitcnt lgkmcnt(7)
	v_max_f64 v[190:191], v[190:191], v[190:191]
	v_max_f64 v[192:193], v[192:193], v[192:193]
	s_waitcnt lgkmcnt(6)
	v_max_f64 v[194:195], v[194:195], v[194:195]
	v_max_f64 v[196:197], v[196:197], v[196:197]
	;; [unrolled: 3-line block ×8, first 2 shown]
	v_min_f64 v[154:155], v[154:155], v[186:187]
	v_min_f64 v[156:157], v[156:157], v[186:187]
	;; [unrolled: 1-line block ×16, first 2 shown]
	s_add_i32 s12, s12, 8
	v_add_f64 v[126:127], v[126:127], v[188:189]
	v_add_f64 v[124:125], v[124:125], v[222:223]
	;; [unrolled: 1-line block ×15, first 2 shown]
	v_min_f64 v[188:189], v[190:191], v[142:143]
	v_min_f64 v[222:223], v[192:193], v[142:143]
	;; [unrolled: 1-line block ×16, first 2 shown]
	v_add_f64 v[62:63], v[62:63], v[154:155]
	v_add_f64 v[60:61], v[60:61], v[156:157]
	;; [unrolled: 1-line block ×16, first 2 shown]
	v_min_f64 v[154:155], v[190:191], v[186:187]
	v_min_f64 v[156:157], v[192:193], v[186:187]
	;; [unrolled: 1-line block ×16, first 2 shown]
	s_cmp_eq_u32 s12, 32
	v_add_f64 v[96:97], v[96:97], v[250:251]
	v_add_f64 v[94:95], v[94:95], v[188:189]
	v_add_f64 v[92:93], v[92:93], v[222:223]
	v_add_f64 v[90:91], v[90:91], v[224:225]
	v_add_f64 v[88:89], v[88:89], v[226:227]
	v_add_f64 v[86:87], v[86:87], v[228:229]
	v_add_f64 v[84:85], v[84:85], v[230:231]
	v_add_f64 v[82:83], v[82:83], v[232:233]
	v_add_f64 v[80:81], v[80:81], v[234:235]
	v_add_f64 v[78:79], v[78:79], v[236:237]
	v_add_f64 v[76:77], v[76:77], v[238:239]
	v_add_f64 v[74:75], v[74:75], v[240:241]
	v_add_f64 v[72:73], v[72:73], v[242:243]
	v_add_f64 v[70:71], v[70:71], v[244:245]
	v_add_f64 v[68:69], v[68:69], v[246:247]
	v_add_f64 v[66:67], v[66:67], v[248:249]
	v_add_f64 v[64:65], v[64:65], v[142:143]
	v_add_f64 v[30:31], v[30:31], v[154:155]
	v_add_f64 v[28:29], v[28:29], v[156:157]
	v_add_f64 v[26:27], v[26:27], v[158:159]
	v_add_f64 v[24:25], v[24:25], v[160:161]
	v_add_f64 v[22:23], v[22:23], v[162:163]
	v_add_f64 v[20:21], v[20:21], v[164:165]
	v_add_f64 v[18:19], v[18:19], v[166:167]
	v_add_f64 v[16:17], v[16:17], v[168:169]
	v_add_f64 v[14:15], v[14:15], v[170:171]
	v_add_f64 v[12:13], v[12:13], v[172:173]
	v_add_f64 v[10:11], v[10:11], v[174:175]
	v_add_f64 v[8:9], v[8:9], v[176:177]
	v_add_f64 v[6:7], v[6:7], v[178:179]
	v_add_f64 v[4:5], v[4:5], v[180:181]
	v_add_f64 v[2:3], v[2:3], v[182:183]
	v_add_f64 v[0:1], v[0:1], v[184:185]
	s_cbranch_scc0 .LBB196_49
; %bb.50:                               ;   in Loop: Header=BB196_30 Depth=1
	s_add_i32 s28, s28, 8
	s_add_i32 s29, s29, 8
	s_cmp_ge_i32 s29, s27
	s_waitcnt vmcnt(0)
	ds_write2st64_b64 v150, v[136:137], v[134:135] offset1:4
	ds_write2st64_b64 v151, v[140:141], v[138:139] offset1:4
	s_waitcnt lgkmcnt(0)
	s_barrier
	s_cbranch_scc0 .LBB196_30
.LBB196_51:
	v_mov_b32_e32 v128, 0x1000
	v_lshl_add_u32 v128, v129, 5, v128
	s_mov_b32 s4, 0
.LBB196_52:                             ; =>This Inner Loop Header: Depth=1
	v_add_u32_e32 v142, s4, v128
	v_add_u32_e32 v143, s4, v145
	ds_read2_b64 v[130:133], v142 offset1:16
	ds_read2_b64 v[134:137], v142 offset0:32 offset1:48
	ds_read2_b64 v[138:141], v142 offset0:64 offset1:80
	;; [unrolled: 1-line block ×7, first 2 shown]
	v_add_u32_e32 v142, 0x800, v142
	ds_read2st64_b64 v[166:169], v143 offset1:4
	ds_read2_b64 v[170:173], v142 offset1:16
	ds_read2_b64 v[174:177], v142 offset0:32 offset1:48
	ds_read2_b64 v[178:181], v142 offset0:64 offset1:80
	;; [unrolled: 1-line block ×7, first 2 shown]
	s_waitcnt lgkmcnt(14)
	v_max_f64 v[130:131], v[130:131], v[130:131]
	v_max_f64 v[132:133], v[132:133], v[132:133]
	;; [unrolled: 1-line block ×3, first 2 shown]
	s_waitcnt lgkmcnt(8)
	v_max_f64 v[142:143], v[166:167], v[166:167]
	v_max_f64 v[136:137], v[136:137], v[136:137]
	;; [unrolled: 1-line block ×15, first 2 shown]
	v_min_f64 v[168:169], v[130:131], v[142:143]
	v_min_f64 v[202:203], v[132:133], v[142:143]
	;; [unrolled: 1-line block ×16, first 2 shown]
	s_waitcnt lgkmcnt(7)
	v_max_f64 v[170:171], v[170:171], v[170:171]
	v_max_f64 v[172:173], v[172:173], v[172:173]
	s_waitcnt lgkmcnt(6)
	v_max_f64 v[174:175], v[174:175], v[174:175]
	v_max_f64 v[176:177], v[176:177], v[176:177]
	;; [unrolled: 3-line block ×8, first 2 shown]
	v_min_f64 v[130:131], v[130:131], v[166:167]
	v_min_f64 v[132:133], v[132:133], v[166:167]
	;; [unrolled: 1-line block ×16, first 2 shown]
	s_add_i32 s4, s4, 8
	v_add_f64 v[126:127], v[126:127], v[168:169]
	v_add_f64 v[124:125], v[124:125], v[202:203]
	;; [unrolled: 1-line block ×15, first 2 shown]
	v_min_f64 v[168:169], v[170:171], v[142:143]
	v_min_f64 v[202:203], v[172:173], v[142:143]
	;; [unrolled: 1-line block ×16, first 2 shown]
	v_add_f64 v[62:63], v[62:63], v[130:131]
	v_add_f64 v[60:61], v[60:61], v[132:133]
	;; [unrolled: 1-line block ×16, first 2 shown]
	v_min_f64 v[130:131], v[170:171], v[166:167]
	v_min_f64 v[132:133], v[172:173], v[166:167]
	;; [unrolled: 1-line block ×16, first 2 shown]
	s_cmp_eq_u32 s4, 32
	v_add_f64 v[96:97], v[96:97], v[230:231]
	v_add_f64 v[94:95], v[94:95], v[168:169]
	;; [unrolled: 1-line block ×33, first 2 shown]
	s_cbranch_scc0 .LBB196_52
; %bb.53:
	s_load_dwordx2 s[4:5], s[0:1], 0x78
	s_load_dword s78, s[0:1], 0x58
	s_load_dword s33, s[0:1], 0x70
	v_add_u32_e32 v136, s22, v144
	v_add_u32_e32 v128, s2, v129
	s_waitcnt lgkmcnt(0)
	s_mul_i32 s1, s5, s3
	s_mul_hi_u32 s5, s4, s3
	s_mul_i32 s0, s4, s3
	s_add_i32 s1, s5, s1
	s_lshl_b64 s[0:1], s[0:1], 3
	s_add_u32 s74, s14, s0
	s_addc_u32 s75, s15, s1
	v_mad_i64_i32 v[130:131], s[0:1], v136, s78, 0
	v_cmp_gt_i32_e64 s[24:25], s73, v136
	v_lshl_add_u64 v[132:133], v[130:131], 3, s[76:77]
	v_mad_i64_i32 v[130:131], s[0:1], v136, s33, 0
	v_cmp_gt_i32_e64 s[2:3], s72, v128
	v_cndmask_b32_e64 v134, 0, 1, s[16:17]
	v_lshl_add_u64 v[130:131], v[130:131], 3, s[74:75]
	s_and_b64 s[6:7], s[24:25], s[2:3]
	v_ashrrev_i32_e32 v129, 31, v128
	v_cmp_ne_u32_e64 s[0:1], 1, v134
	s_and_saveexec_b64 s[4:5], s[6:7]
	s_cbranch_execz .LBB196_58
; %bb.54:
	s_and_b64 vcc, exec, s[0:1]
	s_cbranch_vccnz .LBB196_56
; %bb.55:
	v_lshl_add_u64 v[134:135], v[128:129], 3, v[132:133]
	global_load_dwordx2 v[134:135], v[134:135], off
	s_waitcnt vmcnt(0)
	v_mul_f64 v[134:135], s[70:71], v[134:135]
	s_branch .LBB196_57
.LBB196_56:
	v_mov_b64_e32 v[134:135], 0
.LBB196_57:
	v_add_f64 v[126:127], v[126:127], v[134:135]
	v_lshl_add_u64 v[134:135], v[128:129], 3, v[130:131]
	global_store_dwordx2 v[134:135], v[126:127], off
.LBB196_58:
	s_or_b64 exec, exec, s[4:5]
	v_add_u32_e32 v126, 4, v128
	v_cmp_gt_i32_e64 s[4:5], s72, v126
	s_and_b64 s[8:9], s[24:25], s[4:5]
	v_ashrrev_i32_e32 v127, 31, v126
	s_and_saveexec_b64 s[6:7], s[8:9]
	s_cbranch_execz .LBB196_63
; %bb.59:
	s_and_b64 vcc, exec, s[0:1]
	s_cbranch_vccnz .LBB196_61
; %bb.60:
	v_lshl_add_u64 v[134:135], v[126:127], 3, v[132:133]
	global_load_dwordx2 v[134:135], v[134:135], off
	s_waitcnt vmcnt(0)
	v_mul_f64 v[134:135], s[70:71], v[134:135]
	s_branch .LBB196_62
.LBB196_61:
	v_mov_b64_e32 v[134:135], 0
.LBB196_62:
	v_add_f64 v[124:125], v[124:125], v[134:135]
	v_lshl_add_u64 v[134:135], v[126:127], 3, v[130:131]
	global_store_dwordx2 v[134:135], v[124:125], off
.LBB196_63:
	s_or_b64 exec, exec, s[6:7]
	v_add_u32_e32 v124, 8, v128
	v_cmp_gt_i32_e64 s[6:7], s72, v124
	s_and_b64 s[10:11], s[24:25], s[6:7]
	v_ashrrev_i32_e32 v125, 31, v124
	;; [unrolled: 23-line block ×31, first 2 shown]
	s_and_saveexec_b64 s[24:25], s[80:81]
	s_cbranch_execz .LBB196_213
; %bb.209:
	s_and_b64 vcc, exec, s[0:1]
	s_cbranch_vccnz .LBB196_211
; %bb.210:
	v_lshl_add_u64 v[132:133], v[66:67], 3, v[132:133]
	global_load_dwordx2 v[132:133], v[132:133], off
	s_waitcnt vmcnt(0)
	v_mul_f64 v[132:133], s[70:71], v[132:133]
	s_branch .LBB196_212
.LBB196_211:
	v_mov_b64_e32 v[132:133], 0
.LBB196_212:
	v_add_f64 v[64:65], v[64:65], v[132:133]
	v_lshl_add_u64 v[130:131], v[66:67], 3, v[130:131]
	global_store_dwordx2 v[130:131], v[64:65], off
.LBB196_213:
	s_or_b64 exec, exec, s[24:25]
	v_add_u32_e32 v132, 64, v136
	v_cmp_gt_i32_e64 s[24:25], s73, v132
	v_mad_i64_i32 v[64:65], s[72:73], v132, s78, 0
	v_lshl_add_u64 v[130:131], v[64:65], 3, s[76:77]
	v_mad_i64_i32 v[64:65], s[72:73], v132, s33, 0
	v_lshl_add_u64 v[64:65], v[64:65], 3, s[74:75]
	s_and_b64 s[2:3], s[24:25], s[2:3]
	s_and_saveexec_b64 s[72:73], s[2:3]
	s_xor_b64 s[2:3], exec, s[72:73]
	s_cbranch_execnz .LBB196_246
; %bb.214:
	s_or_b64 exec, exec, s[2:3]
	s_and_b64 s[4:5], s[24:25], s[4:5]
	s_and_saveexec_b64 s[2:3], s[4:5]
	s_cbranch_execnz .LBB196_250
.LBB196_215:
	s_or_b64 exec, exec, s[2:3]
	s_and_b64 s[4:5], s[24:25], s[6:7]
	s_and_saveexec_b64 s[2:3], s[4:5]
	s_cbranch_execnz .LBB196_254
.LBB196_216:
	s_or_b64 exec, exec, s[2:3]
	s_and_b64 s[4:5], s[24:25], s[8:9]
	s_and_saveexec_b64 s[2:3], s[4:5]
	s_cbranch_execnz .LBB196_258
.LBB196_217:
	s_or_b64 exec, exec, s[2:3]
	s_and_b64 s[4:5], s[24:25], s[10:11]
	s_and_saveexec_b64 s[2:3], s[4:5]
	s_cbranch_execnz .LBB196_262
.LBB196_218:
	s_or_b64 exec, exec, s[2:3]
	s_and_b64 s[4:5], s[24:25], s[12:13]
	s_and_saveexec_b64 s[2:3], s[4:5]
	s_cbranch_execnz .LBB196_266
.LBB196_219:
	s_or_b64 exec, exec, s[2:3]
	s_and_b64 s[4:5], s[24:25], s[14:15]
	s_and_saveexec_b64 s[2:3], s[4:5]
	s_cbranch_execnz .LBB196_270
.LBB196_220:
	s_or_b64 exec, exec, s[2:3]
	s_and_b64 s[4:5], s[24:25], s[16:17]
	s_and_saveexec_b64 s[2:3], s[4:5]
	s_cbranch_execnz .LBB196_274
.LBB196_221:
	s_or_b64 exec, exec, s[2:3]
	s_and_b64 s[4:5], s[24:25], s[18:19]
	s_and_saveexec_b64 s[2:3], s[4:5]
	s_cbranch_execnz .LBB196_278
.LBB196_222:
	s_or_b64 exec, exec, s[2:3]
	s_and_b64 s[4:5], s[24:25], s[20:21]
	s_and_saveexec_b64 s[2:3], s[4:5]
	s_cbranch_execnz .LBB196_282
.LBB196_223:
	s_or_b64 exec, exec, s[2:3]
	s_and_b64 s[4:5], s[24:25], s[22:23]
	s_and_saveexec_b64 s[2:3], s[4:5]
	s_cbranch_execnz .LBB196_286
.LBB196_224:
	s_or_b64 exec, exec, s[2:3]
	s_and_b64 s[4:5], s[24:25], s[26:27]
	s_and_saveexec_b64 s[2:3], s[4:5]
	s_cbranch_execnz .LBB196_290
.LBB196_225:
	s_or_b64 exec, exec, s[2:3]
	s_and_b64 s[4:5], s[24:25], s[28:29]
	s_and_saveexec_b64 s[2:3], s[4:5]
	s_cbranch_execnz .LBB196_294
.LBB196_226:
	s_or_b64 exec, exec, s[2:3]
	s_and_b64 s[4:5], s[24:25], s[30:31]
	s_and_saveexec_b64 s[2:3], s[4:5]
	s_cbranch_execnz .LBB196_298
.LBB196_227:
	s_or_b64 exec, exec, s[2:3]
	s_and_b64 s[4:5], s[24:25], s[34:35]
	s_and_saveexec_b64 s[2:3], s[4:5]
	s_cbranch_execnz .LBB196_302
.LBB196_228:
	s_or_b64 exec, exec, s[2:3]
	s_and_b64 s[4:5], s[24:25], s[36:37]
	s_and_saveexec_b64 s[2:3], s[4:5]
	s_cbranch_execnz .LBB196_306
.LBB196_229:
	s_or_b64 exec, exec, s[2:3]
	s_and_b64 s[4:5], s[24:25], s[38:39]
	s_and_saveexec_b64 s[2:3], s[4:5]
	s_cbranch_execnz .LBB196_310
.LBB196_230:
	s_or_b64 exec, exec, s[2:3]
	s_and_b64 s[4:5], s[24:25], s[40:41]
	s_and_saveexec_b64 s[2:3], s[4:5]
	s_cbranch_execnz .LBB196_314
.LBB196_231:
	s_or_b64 exec, exec, s[2:3]
	s_and_b64 s[4:5], s[24:25], s[42:43]
	s_and_saveexec_b64 s[2:3], s[4:5]
	s_cbranch_execnz .LBB196_318
.LBB196_232:
	s_or_b64 exec, exec, s[2:3]
	s_and_b64 s[4:5], s[24:25], s[44:45]
	s_and_saveexec_b64 s[2:3], s[4:5]
	s_cbranch_execnz .LBB196_322
.LBB196_233:
	s_or_b64 exec, exec, s[2:3]
	s_and_b64 s[4:5], s[24:25], s[46:47]
	s_and_saveexec_b64 s[2:3], s[4:5]
	s_cbranch_execnz .LBB196_326
.LBB196_234:
	s_or_b64 exec, exec, s[2:3]
	s_and_b64 s[4:5], s[24:25], s[48:49]
	s_and_saveexec_b64 s[2:3], s[4:5]
	s_cbranch_execnz .LBB196_330
.LBB196_235:
	s_or_b64 exec, exec, s[2:3]
	s_and_b64 s[4:5], s[24:25], s[50:51]
	s_and_saveexec_b64 s[2:3], s[4:5]
	s_cbranch_execnz .LBB196_334
.LBB196_236:
	s_or_b64 exec, exec, s[2:3]
	s_and_b64 s[4:5], s[24:25], s[52:53]
	s_and_saveexec_b64 s[2:3], s[4:5]
	s_cbranch_execnz .LBB196_338
.LBB196_237:
	s_or_b64 exec, exec, s[2:3]
	s_and_b64 s[4:5], s[24:25], s[54:55]
	s_and_saveexec_b64 s[2:3], s[4:5]
	s_cbranch_execnz .LBB196_342
.LBB196_238:
	s_or_b64 exec, exec, s[2:3]
	s_and_b64 s[4:5], s[24:25], s[56:57]
	s_and_saveexec_b64 s[2:3], s[4:5]
	s_cbranch_execnz .LBB196_346
.LBB196_239:
	s_or_b64 exec, exec, s[2:3]
	s_and_b64 s[4:5], s[24:25], s[58:59]
	s_and_saveexec_b64 s[2:3], s[4:5]
	s_cbranch_execnz .LBB196_350
.LBB196_240:
	s_or_b64 exec, exec, s[2:3]
	s_and_b64 s[4:5], s[24:25], s[60:61]
	s_and_saveexec_b64 s[2:3], s[4:5]
	s_cbranch_execnz .LBB196_354
.LBB196_241:
	s_or_b64 exec, exec, s[2:3]
	s_and_b64 s[4:5], s[24:25], s[62:63]
	s_and_saveexec_b64 s[2:3], s[4:5]
	s_cbranch_execnz .LBB196_358
.LBB196_242:
	s_or_b64 exec, exec, s[2:3]
	s_and_b64 s[4:5], s[24:25], s[64:65]
	s_and_saveexec_b64 s[2:3], s[4:5]
	s_cbranch_execnz .LBB196_362
.LBB196_243:
	s_or_b64 exec, exec, s[2:3]
	s_and_b64 s[4:5], s[24:25], s[66:67]
	s_and_saveexec_b64 s[2:3], s[4:5]
	s_cbranch_execnz .LBB196_366
.LBB196_244:
	s_or_b64 exec, exec, s[2:3]
	s_and_b64 s[2:3], s[24:25], s[68:69]
	s_and_saveexec_b64 s[4:5], s[2:3]
	s_cbranch_execnz .LBB196_370
.LBB196_245:
	s_endpgm
.LBB196_246:
	s_and_b64 vcc, exec, s[0:1]
	s_cbranch_vccnz .LBB196_248
; %bb.247:
	v_lshl_add_u64 v[132:133], v[128:129], 3, v[130:131]
	global_load_dwordx2 v[132:133], v[132:133], off
	s_waitcnt vmcnt(0)
	v_mul_f64 v[132:133], s[70:71], v[132:133]
	s_branch .LBB196_249
.LBB196_248:
	v_mov_b64_e32 v[132:133], 0
.LBB196_249:
	v_add_f64 v[62:63], v[62:63], v[132:133]
	v_lshl_add_u64 v[128:129], v[128:129], 3, v[64:65]
	global_store_dwordx2 v[128:129], v[62:63], off
	s_or_b64 exec, exec, s[2:3]
	s_and_b64 s[4:5], s[24:25], s[4:5]
	s_and_saveexec_b64 s[2:3], s[4:5]
	s_cbranch_execz .LBB196_215
.LBB196_250:
	s_and_b64 vcc, exec, s[0:1]
	s_cbranch_vccnz .LBB196_252
; %bb.251:
	v_lshl_add_u64 v[62:63], v[126:127], 3, v[130:131]
	global_load_dwordx2 v[62:63], v[62:63], off
	s_waitcnt vmcnt(0)
	v_mul_f64 v[62:63], s[70:71], v[62:63]
	s_branch .LBB196_253
.LBB196_252:
	v_mov_b64_e32 v[62:63], 0
.LBB196_253:
	v_add_f64 v[60:61], v[60:61], v[62:63]
	v_lshl_add_u64 v[62:63], v[126:127], 3, v[64:65]
	global_store_dwordx2 v[62:63], v[60:61], off
	s_or_b64 exec, exec, s[2:3]
	s_and_b64 s[4:5], s[24:25], s[6:7]
	s_and_saveexec_b64 s[2:3], s[4:5]
	s_cbranch_execz .LBB196_216
.LBB196_254:
	s_and_b64 vcc, exec, s[0:1]
	s_cbranch_vccnz .LBB196_256
; %bb.255:
	v_lshl_add_u64 v[60:61], v[124:125], 3, v[130:131]
	global_load_dwordx2 v[60:61], v[60:61], off
	s_waitcnt vmcnt(0)
	v_mul_f64 v[60:61], s[70:71], v[60:61]
	s_branch .LBB196_257
.LBB196_256:
	v_mov_b64_e32 v[60:61], 0
.LBB196_257:
	v_add_f64 v[58:59], v[58:59], v[60:61]
	v_lshl_add_u64 v[60:61], v[124:125], 3, v[64:65]
	global_store_dwordx2 v[60:61], v[58:59], off
	s_or_b64 exec, exec, s[2:3]
	s_and_b64 s[4:5], s[24:25], s[8:9]
	s_and_saveexec_b64 s[2:3], s[4:5]
	s_cbranch_execz .LBB196_217
.LBB196_258:
	s_and_b64 vcc, exec, s[0:1]
	s_cbranch_vccnz .LBB196_260
; %bb.259:
	v_lshl_add_u64 v[58:59], v[122:123], 3, v[130:131]
	global_load_dwordx2 v[58:59], v[58:59], off
	s_waitcnt vmcnt(0)
	v_mul_f64 v[58:59], s[70:71], v[58:59]
	s_branch .LBB196_261
.LBB196_260:
	v_mov_b64_e32 v[58:59], 0
.LBB196_261:
	v_add_f64 v[56:57], v[56:57], v[58:59]
	v_lshl_add_u64 v[58:59], v[122:123], 3, v[64:65]
	global_store_dwordx2 v[58:59], v[56:57], off
	s_or_b64 exec, exec, s[2:3]
	s_and_b64 s[4:5], s[24:25], s[10:11]
	s_and_saveexec_b64 s[2:3], s[4:5]
	s_cbranch_execz .LBB196_218
.LBB196_262:
	s_and_b64 vcc, exec, s[0:1]
	s_cbranch_vccnz .LBB196_264
; %bb.263:
	v_lshl_add_u64 v[56:57], v[120:121], 3, v[130:131]
	global_load_dwordx2 v[56:57], v[56:57], off
	s_waitcnt vmcnt(0)
	v_mul_f64 v[56:57], s[70:71], v[56:57]
	s_branch .LBB196_265
.LBB196_264:
	v_mov_b64_e32 v[56:57], 0
.LBB196_265:
	v_add_f64 v[54:55], v[54:55], v[56:57]
	v_lshl_add_u64 v[56:57], v[120:121], 3, v[64:65]
	global_store_dwordx2 v[56:57], v[54:55], off
	s_or_b64 exec, exec, s[2:3]
	s_and_b64 s[4:5], s[24:25], s[12:13]
	s_and_saveexec_b64 s[2:3], s[4:5]
	s_cbranch_execz .LBB196_219
.LBB196_266:
	s_and_b64 vcc, exec, s[0:1]
	s_cbranch_vccnz .LBB196_268
; %bb.267:
	v_lshl_add_u64 v[54:55], v[118:119], 3, v[130:131]
	global_load_dwordx2 v[54:55], v[54:55], off
	s_waitcnt vmcnt(0)
	v_mul_f64 v[54:55], s[70:71], v[54:55]
	s_branch .LBB196_269
.LBB196_268:
	v_mov_b64_e32 v[54:55], 0
.LBB196_269:
	v_add_f64 v[52:53], v[52:53], v[54:55]
	v_lshl_add_u64 v[54:55], v[118:119], 3, v[64:65]
	global_store_dwordx2 v[54:55], v[52:53], off
	s_or_b64 exec, exec, s[2:3]
	s_and_b64 s[4:5], s[24:25], s[14:15]
	s_and_saveexec_b64 s[2:3], s[4:5]
	s_cbranch_execz .LBB196_220
.LBB196_270:
	s_and_b64 vcc, exec, s[0:1]
	s_cbranch_vccnz .LBB196_272
; %bb.271:
	v_lshl_add_u64 v[52:53], v[116:117], 3, v[130:131]
	global_load_dwordx2 v[52:53], v[52:53], off
	s_waitcnt vmcnt(0)
	v_mul_f64 v[52:53], s[70:71], v[52:53]
	s_branch .LBB196_273
.LBB196_272:
	v_mov_b64_e32 v[52:53], 0
.LBB196_273:
	v_add_f64 v[50:51], v[50:51], v[52:53]
	v_lshl_add_u64 v[52:53], v[116:117], 3, v[64:65]
	global_store_dwordx2 v[52:53], v[50:51], off
	s_or_b64 exec, exec, s[2:3]
	s_and_b64 s[4:5], s[24:25], s[16:17]
	s_and_saveexec_b64 s[2:3], s[4:5]
	s_cbranch_execz .LBB196_221
.LBB196_274:
	s_and_b64 vcc, exec, s[0:1]
	s_cbranch_vccnz .LBB196_276
; %bb.275:
	v_lshl_add_u64 v[50:51], v[114:115], 3, v[130:131]
	global_load_dwordx2 v[50:51], v[50:51], off
	s_waitcnt vmcnt(0)
	v_mul_f64 v[50:51], s[70:71], v[50:51]
	s_branch .LBB196_277
.LBB196_276:
	v_mov_b64_e32 v[50:51], 0
.LBB196_277:
	v_add_f64 v[48:49], v[48:49], v[50:51]
	v_lshl_add_u64 v[50:51], v[114:115], 3, v[64:65]
	global_store_dwordx2 v[50:51], v[48:49], off
	s_or_b64 exec, exec, s[2:3]
	s_and_b64 s[4:5], s[24:25], s[18:19]
	s_and_saveexec_b64 s[2:3], s[4:5]
	s_cbranch_execz .LBB196_222
.LBB196_278:
	s_and_b64 vcc, exec, s[0:1]
	s_cbranch_vccnz .LBB196_280
; %bb.279:
	v_lshl_add_u64 v[48:49], v[112:113], 3, v[130:131]
	global_load_dwordx2 v[48:49], v[48:49], off
	s_waitcnt vmcnt(0)
	v_mul_f64 v[48:49], s[70:71], v[48:49]
	s_branch .LBB196_281
.LBB196_280:
	v_mov_b64_e32 v[48:49], 0
.LBB196_281:
	v_add_f64 v[46:47], v[46:47], v[48:49]
	v_lshl_add_u64 v[48:49], v[112:113], 3, v[64:65]
	global_store_dwordx2 v[48:49], v[46:47], off
	s_or_b64 exec, exec, s[2:3]
	s_and_b64 s[4:5], s[24:25], s[20:21]
	s_and_saveexec_b64 s[2:3], s[4:5]
	s_cbranch_execz .LBB196_223
.LBB196_282:
	s_and_b64 vcc, exec, s[0:1]
	s_cbranch_vccnz .LBB196_284
; %bb.283:
	v_lshl_add_u64 v[46:47], v[110:111], 3, v[130:131]
	global_load_dwordx2 v[46:47], v[46:47], off
	s_waitcnt vmcnt(0)
	v_mul_f64 v[46:47], s[70:71], v[46:47]
	s_branch .LBB196_285
.LBB196_284:
	v_mov_b64_e32 v[46:47], 0
.LBB196_285:
	v_add_f64 v[44:45], v[44:45], v[46:47]
	v_lshl_add_u64 v[46:47], v[110:111], 3, v[64:65]
	global_store_dwordx2 v[46:47], v[44:45], off
	s_or_b64 exec, exec, s[2:3]
	s_and_b64 s[4:5], s[24:25], s[22:23]
	s_and_saveexec_b64 s[2:3], s[4:5]
	s_cbranch_execz .LBB196_224
.LBB196_286:
	s_and_b64 vcc, exec, s[0:1]
	s_cbranch_vccnz .LBB196_288
; %bb.287:
	v_lshl_add_u64 v[44:45], v[108:109], 3, v[130:131]
	global_load_dwordx2 v[44:45], v[44:45], off
	s_waitcnt vmcnt(0)
	v_mul_f64 v[44:45], s[70:71], v[44:45]
	s_branch .LBB196_289
.LBB196_288:
	v_mov_b64_e32 v[44:45], 0
.LBB196_289:
	v_add_f64 v[42:43], v[42:43], v[44:45]
	v_lshl_add_u64 v[44:45], v[108:109], 3, v[64:65]
	global_store_dwordx2 v[44:45], v[42:43], off
	s_or_b64 exec, exec, s[2:3]
	s_and_b64 s[4:5], s[24:25], s[26:27]
	s_and_saveexec_b64 s[2:3], s[4:5]
	s_cbranch_execz .LBB196_225
.LBB196_290:
	s_and_b64 vcc, exec, s[0:1]
	s_cbranch_vccnz .LBB196_292
; %bb.291:
	v_lshl_add_u64 v[42:43], v[106:107], 3, v[130:131]
	global_load_dwordx2 v[42:43], v[42:43], off
	s_waitcnt vmcnt(0)
	v_mul_f64 v[42:43], s[70:71], v[42:43]
	s_branch .LBB196_293
.LBB196_292:
	v_mov_b64_e32 v[42:43], 0
.LBB196_293:
	v_add_f64 v[40:41], v[40:41], v[42:43]
	v_lshl_add_u64 v[42:43], v[106:107], 3, v[64:65]
	global_store_dwordx2 v[42:43], v[40:41], off
	s_or_b64 exec, exec, s[2:3]
	s_and_b64 s[4:5], s[24:25], s[28:29]
	s_and_saveexec_b64 s[2:3], s[4:5]
	s_cbranch_execz .LBB196_226
.LBB196_294:
	s_and_b64 vcc, exec, s[0:1]
	s_cbranch_vccnz .LBB196_296
; %bb.295:
	v_lshl_add_u64 v[40:41], v[104:105], 3, v[130:131]
	global_load_dwordx2 v[40:41], v[40:41], off
	s_waitcnt vmcnt(0)
	v_mul_f64 v[40:41], s[70:71], v[40:41]
	s_branch .LBB196_297
.LBB196_296:
	v_mov_b64_e32 v[40:41], 0
.LBB196_297:
	v_add_f64 v[38:39], v[38:39], v[40:41]
	v_lshl_add_u64 v[40:41], v[104:105], 3, v[64:65]
	global_store_dwordx2 v[40:41], v[38:39], off
	s_or_b64 exec, exec, s[2:3]
	s_and_b64 s[4:5], s[24:25], s[30:31]
	s_and_saveexec_b64 s[2:3], s[4:5]
	s_cbranch_execz .LBB196_227
.LBB196_298:
	s_and_b64 vcc, exec, s[0:1]
	s_cbranch_vccnz .LBB196_300
; %bb.299:
	v_lshl_add_u64 v[38:39], v[102:103], 3, v[130:131]
	global_load_dwordx2 v[38:39], v[38:39], off
	s_waitcnt vmcnt(0)
	v_mul_f64 v[38:39], s[70:71], v[38:39]
	s_branch .LBB196_301
.LBB196_300:
	v_mov_b64_e32 v[38:39], 0
.LBB196_301:
	v_add_f64 v[36:37], v[36:37], v[38:39]
	v_lshl_add_u64 v[38:39], v[102:103], 3, v[64:65]
	global_store_dwordx2 v[38:39], v[36:37], off
	s_or_b64 exec, exec, s[2:3]
	s_and_b64 s[4:5], s[24:25], s[34:35]
	s_and_saveexec_b64 s[2:3], s[4:5]
	s_cbranch_execz .LBB196_228
.LBB196_302:
	s_and_b64 vcc, exec, s[0:1]
	s_cbranch_vccnz .LBB196_304
; %bb.303:
	v_lshl_add_u64 v[36:37], v[100:101], 3, v[130:131]
	global_load_dwordx2 v[36:37], v[36:37], off
	s_waitcnt vmcnt(0)
	v_mul_f64 v[36:37], s[70:71], v[36:37]
	s_branch .LBB196_305
.LBB196_304:
	v_mov_b64_e32 v[36:37], 0
.LBB196_305:
	v_add_f64 v[34:35], v[34:35], v[36:37]
	v_lshl_add_u64 v[36:37], v[100:101], 3, v[64:65]
	global_store_dwordx2 v[36:37], v[34:35], off
	s_or_b64 exec, exec, s[2:3]
	s_and_b64 s[4:5], s[24:25], s[36:37]
	s_and_saveexec_b64 s[2:3], s[4:5]
	s_cbranch_execz .LBB196_229
.LBB196_306:
	s_and_b64 vcc, exec, s[0:1]
	s_cbranch_vccnz .LBB196_308
; %bb.307:
	v_lshl_add_u64 v[34:35], v[98:99], 3, v[130:131]
	global_load_dwordx2 v[34:35], v[34:35], off
	s_waitcnt vmcnt(0)
	v_mul_f64 v[34:35], s[70:71], v[34:35]
	s_branch .LBB196_309
.LBB196_308:
	v_mov_b64_e32 v[34:35], 0
.LBB196_309:
	v_add_f64 v[32:33], v[32:33], v[34:35]
	v_lshl_add_u64 v[34:35], v[98:99], 3, v[64:65]
	global_store_dwordx2 v[34:35], v[32:33], off
	s_or_b64 exec, exec, s[2:3]
	s_and_b64 s[4:5], s[24:25], s[38:39]
	s_and_saveexec_b64 s[2:3], s[4:5]
	s_cbranch_execz .LBB196_230
.LBB196_310:
	s_and_b64 vcc, exec, s[0:1]
	s_cbranch_vccnz .LBB196_312
; %bb.311:
	v_lshl_add_u64 v[32:33], v[96:97], 3, v[130:131]
	global_load_dwordx2 v[32:33], v[32:33], off
	s_waitcnt vmcnt(0)
	v_mul_f64 v[32:33], s[70:71], v[32:33]
	s_branch .LBB196_313
.LBB196_312:
	v_mov_b64_e32 v[32:33], 0
.LBB196_313:
	v_add_f64 v[30:31], v[30:31], v[32:33]
	v_lshl_add_u64 v[32:33], v[96:97], 3, v[64:65]
	global_store_dwordx2 v[32:33], v[30:31], off
	s_or_b64 exec, exec, s[2:3]
	s_and_b64 s[4:5], s[24:25], s[40:41]
	s_and_saveexec_b64 s[2:3], s[4:5]
	s_cbranch_execz .LBB196_231
.LBB196_314:
	s_and_b64 vcc, exec, s[0:1]
	s_cbranch_vccnz .LBB196_316
; %bb.315:
	v_lshl_add_u64 v[30:31], v[94:95], 3, v[130:131]
	global_load_dwordx2 v[30:31], v[30:31], off
	s_waitcnt vmcnt(0)
	v_mul_f64 v[30:31], s[70:71], v[30:31]
	s_branch .LBB196_317
.LBB196_316:
	v_mov_b64_e32 v[30:31], 0
.LBB196_317:
	v_add_f64 v[28:29], v[28:29], v[30:31]
	v_lshl_add_u64 v[30:31], v[94:95], 3, v[64:65]
	global_store_dwordx2 v[30:31], v[28:29], off
	s_or_b64 exec, exec, s[2:3]
	s_and_b64 s[4:5], s[24:25], s[42:43]
	s_and_saveexec_b64 s[2:3], s[4:5]
	s_cbranch_execz .LBB196_232
.LBB196_318:
	s_and_b64 vcc, exec, s[0:1]
	s_cbranch_vccnz .LBB196_320
; %bb.319:
	v_lshl_add_u64 v[28:29], v[92:93], 3, v[130:131]
	global_load_dwordx2 v[28:29], v[28:29], off
	s_waitcnt vmcnt(0)
	v_mul_f64 v[28:29], s[70:71], v[28:29]
	s_branch .LBB196_321
.LBB196_320:
	v_mov_b64_e32 v[28:29], 0
.LBB196_321:
	v_add_f64 v[26:27], v[26:27], v[28:29]
	v_lshl_add_u64 v[28:29], v[92:93], 3, v[64:65]
	global_store_dwordx2 v[28:29], v[26:27], off
	s_or_b64 exec, exec, s[2:3]
	s_and_b64 s[4:5], s[24:25], s[44:45]
	s_and_saveexec_b64 s[2:3], s[4:5]
	s_cbranch_execz .LBB196_233
.LBB196_322:
	s_and_b64 vcc, exec, s[0:1]
	s_cbranch_vccnz .LBB196_324
; %bb.323:
	v_lshl_add_u64 v[26:27], v[90:91], 3, v[130:131]
	global_load_dwordx2 v[26:27], v[26:27], off
	s_waitcnt vmcnt(0)
	v_mul_f64 v[26:27], s[70:71], v[26:27]
	s_branch .LBB196_325
.LBB196_324:
	v_mov_b64_e32 v[26:27], 0
.LBB196_325:
	v_add_f64 v[24:25], v[24:25], v[26:27]
	v_lshl_add_u64 v[26:27], v[90:91], 3, v[64:65]
	global_store_dwordx2 v[26:27], v[24:25], off
	s_or_b64 exec, exec, s[2:3]
	s_and_b64 s[4:5], s[24:25], s[46:47]
	s_and_saveexec_b64 s[2:3], s[4:5]
	s_cbranch_execz .LBB196_234
.LBB196_326:
	s_and_b64 vcc, exec, s[0:1]
	s_cbranch_vccnz .LBB196_328
; %bb.327:
	v_lshl_add_u64 v[24:25], v[88:89], 3, v[130:131]
	global_load_dwordx2 v[24:25], v[24:25], off
	s_waitcnt vmcnt(0)
	v_mul_f64 v[24:25], s[70:71], v[24:25]
	s_branch .LBB196_329
.LBB196_328:
	v_mov_b64_e32 v[24:25], 0
.LBB196_329:
	v_add_f64 v[22:23], v[22:23], v[24:25]
	v_lshl_add_u64 v[24:25], v[88:89], 3, v[64:65]
	global_store_dwordx2 v[24:25], v[22:23], off
	s_or_b64 exec, exec, s[2:3]
	s_and_b64 s[4:5], s[24:25], s[48:49]
	s_and_saveexec_b64 s[2:3], s[4:5]
	s_cbranch_execz .LBB196_235
.LBB196_330:
	s_and_b64 vcc, exec, s[0:1]
	s_cbranch_vccnz .LBB196_332
; %bb.331:
	v_lshl_add_u64 v[22:23], v[86:87], 3, v[130:131]
	global_load_dwordx2 v[22:23], v[22:23], off
	s_waitcnt vmcnt(0)
	v_mul_f64 v[22:23], s[70:71], v[22:23]
	s_branch .LBB196_333
.LBB196_332:
	v_mov_b64_e32 v[22:23], 0
.LBB196_333:
	v_add_f64 v[20:21], v[20:21], v[22:23]
	v_lshl_add_u64 v[22:23], v[86:87], 3, v[64:65]
	global_store_dwordx2 v[22:23], v[20:21], off
	s_or_b64 exec, exec, s[2:3]
	s_and_b64 s[4:5], s[24:25], s[50:51]
	s_and_saveexec_b64 s[2:3], s[4:5]
	s_cbranch_execz .LBB196_236
.LBB196_334:
	s_and_b64 vcc, exec, s[0:1]
	s_cbranch_vccnz .LBB196_336
; %bb.335:
	v_lshl_add_u64 v[20:21], v[84:85], 3, v[130:131]
	global_load_dwordx2 v[20:21], v[20:21], off
	s_waitcnt vmcnt(0)
	v_mul_f64 v[20:21], s[70:71], v[20:21]
	s_branch .LBB196_337
.LBB196_336:
	v_mov_b64_e32 v[20:21], 0
.LBB196_337:
	v_add_f64 v[18:19], v[18:19], v[20:21]
	v_lshl_add_u64 v[20:21], v[84:85], 3, v[64:65]
	global_store_dwordx2 v[20:21], v[18:19], off
	s_or_b64 exec, exec, s[2:3]
	s_and_b64 s[4:5], s[24:25], s[52:53]
	s_and_saveexec_b64 s[2:3], s[4:5]
	s_cbranch_execz .LBB196_237
.LBB196_338:
	s_and_b64 vcc, exec, s[0:1]
	s_cbranch_vccnz .LBB196_340
; %bb.339:
	v_lshl_add_u64 v[18:19], v[82:83], 3, v[130:131]
	global_load_dwordx2 v[18:19], v[18:19], off
	s_waitcnt vmcnt(0)
	v_mul_f64 v[18:19], s[70:71], v[18:19]
	s_branch .LBB196_341
.LBB196_340:
	v_mov_b64_e32 v[18:19], 0
.LBB196_341:
	v_add_f64 v[16:17], v[16:17], v[18:19]
	v_lshl_add_u64 v[18:19], v[82:83], 3, v[64:65]
	global_store_dwordx2 v[18:19], v[16:17], off
	s_or_b64 exec, exec, s[2:3]
	s_and_b64 s[4:5], s[24:25], s[54:55]
	s_and_saveexec_b64 s[2:3], s[4:5]
	s_cbranch_execz .LBB196_238
.LBB196_342:
	s_and_b64 vcc, exec, s[0:1]
	s_cbranch_vccnz .LBB196_344
; %bb.343:
	v_lshl_add_u64 v[16:17], v[80:81], 3, v[130:131]
	global_load_dwordx2 v[16:17], v[16:17], off
	s_waitcnt vmcnt(0)
	v_mul_f64 v[16:17], s[70:71], v[16:17]
	s_branch .LBB196_345
.LBB196_344:
	v_mov_b64_e32 v[16:17], 0
.LBB196_345:
	v_add_f64 v[14:15], v[14:15], v[16:17]
	v_lshl_add_u64 v[16:17], v[80:81], 3, v[64:65]
	global_store_dwordx2 v[16:17], v[14:15], off
	s_or_b64 exec, exec, s[2:3]
	s_and_b64 s[4:5], s[24:25], s[56:57]
	s_and_saveexec_b64 s[2:3], s[4:5]
	s_cbranch_execz .LBB196_239
.LBB196_346:
	s_and_b64 vcc, exec, s[0:1]
	s_cbranch_vccnz .LBB196_348
; %bb.347:
	v_lshl_add_u64 v[14:15], v[78:79], 3, v[130:131]
	global_load_dwordx2 v[14:15], v[14:15], off
	s_waitcnt vmcnt(0)
	v_mul_f64 v[14:15], s[70:71], v[14:15]
	s_branch .LBB196_349
.LBB196_348:
	v_mov_b64_e32 v[14:15], 0
.LBB196_349:
	v_add_f64 v[12:13], v[12:13], v[14:15]
	v_lshl_add_u64 v[14:15], v[78:79], 3, v[64:65]
	global_store_dwordx2 v[14:15], v[12:13], off
	s_or_b64 exec, exec, s[2:3]
	s_and_b64 s[4:5], s[24:25], s[58:59]
	s_and_saveexec_b64 s[2:3], s[4:5]
	s_cbranch_execz .LBB196_240
.LBB196_350:
	s_and_b64 vcc, exec, s[0:1]
	s_cbranch_vccnz .LBB196_352
; %bb.351:
	v_lshl_add_u64 v[12:13], v[76:77], 3, v[130:131]
	global_load_dwordx2 v[12:13], v[12:13], off
	s_waitcnt vmcnt(0)
	v_mul_f64 v[12:13], s[70:71], v[12:13]
	s_branch .LBB196_353
.LBB196_352:
	v_mov_b64_e32 v[12:13], 0
.LBB196_353:
	v_add_f64 v[10:11], v[10:11], v[12:13]
	v_lshl_add_u64 v[12:13], v[76:77], 3, v[64:65]
	global_store_dwordx2 v[12:13], v[10:11], off
	s_or_b64 exec, exec, s[2:3]
	s_and_b64 s[4:5], s[24:25], s[60:61]
	s_and_saveexec_b64 s[2:3], s[4:5]
	s_cbranch_execz .LBB196_241
.LBB196_354:
	s_and_b64 vcc, exec, s[0:1]
	s_cbranch_vccnz .LBB196_356
; %bb.355:
	v_lshl_add_u64 v[10:11], v[74:75], 3, v[130:131]
	global_load_dwordx2 v[10:11], v[10:11], off
	s_waitcnt vmcnt(0)
	v_mul_f64 v[10:11], s[70:71], v[10:11]
	s_branch .LBB196_357
.LBB196_356:
	v_mov_b64_e32 v[10:11], 0
.LBB196_357:
	v_add_f64 v[8:9], v[8:9], v[10:11]
	v_lshl_add_u64 v[10:11], v[74:75], 3, v[64:65]
	global_store_dwordx2 v[10:11], v[8:9], off
	s_or_b64 exec, exec, s[2:3]
	s_and_b64 s[4:5], s[24:25], s[62:63]
	s_and_saveexec_b64 s[2:3], s[4:5]
	s_cbranch_execz .LBB196_242
.LBB196_358:
	s_and_b64 vcc, exec, s[0:1]
	s_cbranch_vccnz .LBB196_360
; %bb.359:
	v_lshl_add_u64 v[8:9], v[72:73], 3, v[130:131]
	global_load_dwordx2 v[8:9], v[8:9], off
	s_waitcnt vmcnt(0)
	v_mul_f64 v[8:9], s[70:71], v[8:9]
	s_branch .LBB196_361
.LBB196_360:
	v_mov_b64_e32 v[8:9], 0
.LBB196_361:
	v_add_f64 v[6:7], v[6:7], v[8:9]
	v_lshl_add_u64 v[8:9], v[72:73], 3, v[64:65]
	global_store_dwordx2 v[8:9], v[6:7], off
	s_or_b64 exec, exec, s[2:3]
	s_and_b64 s[4:5], s[24:25], s[64:65]
	s_and_saveexec_b64 s[2:3], s[4:5]
	s_cbranch_execz .LBB196_243
.LBB196_362:
	s_and_b64 vcc, exec, s[0:1]
	s_cbranch_vccnz .LBB196_364
; %bb.363:
	v_lshl_add_u64 v[6:7], v[70:71], 3, v[130:131]
	global_load_dwordx2 v[6:7], v[6:7], off
	s_waitcnt vmcnt(0)
	v_mul_f64 v[6:7], s[70:71], v[6:7]
	s_branch .LBB196_365
.LBB196_364:
	v_mov_b64_e32 v[6:7], 0
.LBB196_365:
	v_add_f64 v[4:5], v[4:5], v[6:7]
	v_lshl_add_u64 v[6:7], v[70:71], 3, v[64:65]
	global_store_dwordx2 v[6:7], v[4:5], off
	s_or_b64 exec, exec, s[2:3]
	s_and_b64 s[4:5], s[24:25], s[66:67]
	s_and_saveexec_b64 s[2:3], s[4:5]
	s_cbranch_execz .LBB196_244
.LBB196_366:
	s_and_b64 vcc, exec, s[0:1]
	s_cbranch_vccnz .LBB196_368
; %bb.367:
	v_lshl_add_u64 v[4:5], v[68:69], 3, v[130:131]
	global_load_dwordx2 v[4:5], v[4:5], off
	s_waitcnt vmcnt(0)
	v_mul_f64 v[4:5], s[70:71], v[4:5]
	s_branch .LBB196_369
.LBB196_368:
	v_mov_b64_e32 v[4:5], 0
.LBB196_369:
	v_add_f64 v[2:3], v[2:3], v[4:5]
	v_lshl_add_u64 v[4:5], v[68:69], 3, v[64:65]
	global_store_dwordx2 v[4:5], v[2:3], off
	s_or_b64 exec, exec, s[2:3]
	s_and_b64 s[2:3], s[24:25], s[68:69]
	s_and_saveexec_b64 s[4:5], s[2:3]
	s_cbranch_execz .LBB196_245
.LBB196_370:
	s_and_b64 vcc, exec, s[0:1]
	s_cbranch_vccnz .LBB196_372
; %bb.371:
	v_lshl_add_u64 v[2:3], v[66:67], 3, v[130:131]
	global_load_dwordx2 v[2:3], v[2:3], off
	s_waitcnt vmcnt(0)
	v_mul_f64 v[2:3], s[70:71], v[2:3]
	v_add_f64 v[0:1], v[0:1], v[2:3]
	v_lshl_add_u64 v[2:3], v[66:67], 3, v[64:65]
	global_store_dwordx2 v[2:3], v[0:1], off
	s_endpgm
.LBB196_372:
	v_mov_b64_e32 v[2:3], 0
	v_add_f64 v[0:1], v[0:1], v[2:3]
	v_lshl_add_u64 v[2:3], v[66:67], 3, v[64:65]
	global_store_dwordx2 v[2:3], v[0:1], off
	s_endpgm
	.section	.rodata,"a",@progbits
	.p2align	6, 0x0
	.amdhsa_kernel _ZN12_GLOBAL__N_120geam_min_plus_kernelIdddLi4ELi64ELi128ELi128ELi4ELi64ELi4ELi64ELi4ELc78ELc84ELb1ELb1ELb0EdKddEEviiiT16_PT17_ilS4_ilS2_S4_ilPT18_ili26rocblas_geam_ex_operation_
		.amdhsa_group_segment_fixed_size 16384
		.amdhsa_private_segment_fixed_size 0
		.amdhsa_kernarg_size 136
		.amdhsa_user_sgpr_count 2
		.amdhsa_user_sgpr_dispatch_ptr 0
		.amdhsa_user_sgpr_queue_ptr 0
		.amdhsa_user_sgpr_kernarg_segment_ptr 1
		.amdhsa_user_sgpr_dispatch_id 0
		.amdhsa_user_sgpr_kernarg_preload_length 0
		.amdhsa_user_sgpr_kernarg_preload_offset 0
		.amdhsa_user_sgpr_private_segment_size 0
		.amdhsa_uses_dynamic_stack 0
		.amdhsa_enable_private_segment 0
		.amdhsa_system_sgpr_workgroup_id_x 1
		.amdhsa_system_sgpr_workgroup_id_y 0
		.amdhsa_system_sgpr_workgroup_id_z 1
		.amdhsa_system_sgpr_workgroup_info 0
		.amdhsa_system_vgpr_workitem_id 1
		.amdhsa_next_free_vgpr 252
		.amdhsa_next_free_sgpr 82
		.amdhsa_accum_offset 252
		.amdhsa_reserve_vcc 1
		.amdhsa_float_round_mode_32 0
		.amdhsa_float_round_mode_16_64 0
		.amdhsa_float_denorm_mode_32 3
		.amdhsa_float_denorm_mode_16_64 3
		.amdhsa_dx10_clamp 1
		.amdhsa_ieee_mode 1
		.amdhsa_fp16_overflow 0
		.amdhsa_tg_split 0
		.amdhsa_exception_fp_ieee_invalid_op 0
		.amdhsa_exception_fp_denorm_src 0
		.amdhsa_exception_fp_ieee_div_zero 0
		.amdhsa_exception_fp_ieee_overflow 0
		.amdhsa_exception_fp_ieee_underflow 0
		.amdhsa_exception_fp_ieee_inexact 0
		.amdhsa_exception_int_div_zero 0
	.end_amdhsa_kernel
	.section	.text._ZN12_GLOBAL__N_120geam_min_plus_kernelIdddLi4ELi64ELi128ELi128ELi4ELi64ELi4ELi64ELi4ELc78ELc84ELb1ELb1ELb0EdKddEEviiiT16_PT17_ilS4_ilS2_S4_ilPT18_ili26rocblas_geam_ex_operation_,"axG",@progbits,_ZN12_GLOBAL__N_120geam_min_plus_kernelIdddLi4ELi64ELi128ELi128ELi4ELi64ELi4ELi64ELi4ELc78ELc84ELb1ELb1ELb0EdKddEEviiiT16_PT17_ilS4_ilS2_S4_ilPT18_ili26rocblas_geam_ex_operation_,comdat
.Lfunc_end196:
	.size	_ZN12_GLOBAL__N_120geam_min_plus_kernelIdddLi4ELi64ELi128ELi128ELi4ELi64ELi4ELi64ELi4ELc78ELc84ELb1ELb1ELb0EdKddEEviiiT16_PT17_ilS4_ilS2_S4_ilPT18_ili26rocblas_geam_ex_operation_, .Lfunc_end196-_ZN12_GLOBAL__N_120geam_min_plus_kernelIdddLi4ELi64ELi128ELi128ELi4ELi64ELi4ELi64ELi4ELc78ELc84ELb1ELb1ELb0EdKddEEviiiT16_PT17_ilS4_ilS2_S4_ilPT18_ili26rocblas_geam_ex_operation_
                                        ; -- End function
	.set _ZN12_GLOBAL__N_120geam_min_plus_kernelIdddLi4ELi64ELi128ELi128ELi4ELi64ELi4ELi64ELi4ELc78ELc84ELb1ELb1ELb0EdKddEEviiiT16_PT17_ilS4_ilS2_S4_ilPT18_ili26rocblas_geam_ex_operation_.num_vgpr, 252
	.set _ZN12_GLOBAL__N_120geam_min_plus_kernelIdddLi4ELi64ELi128ELi128ELi4ELi64ELi4ELi64ELi4ELc78ELc84ELb1ELb1ELb0EdKddEEviiiT16_PT17_ilS4_ilS2_S4_ilPT18_ili26rocblas_geam_ex_operation_.num_agpr, 0
	.set _ZN12_GLOBAL__N_120geam_min_plus_kernelIdddLi4ELi64ELi128ELi128ELi4ELi64ELi4ELi64ELi4ELc78ELc84ELb1ELb1ELb0EdKddEEviiiT16_PT17_ilS4_ilS2_S4_ilPT18_ili26rocblas_geam_ex_operation_.numbered_sgpr, 82
	.set _ZN12_GLOBAL__N_120geam_min_plus_kernelIdddLi4ELi64ELi128ELi128ELi4ELi64ELi4ELi64ELi4ELc78ELc84ELb1ELb1ELb0EdKddEEviiiT16_PT17_ilS4_ilS2_S4_ilPT18_ili26rocblas_geam_ex_operation_.num_named_barrier, 0
	.set _ZN12_GLOBAL__N_120geam_min_plus_kernelIdddLi4ELi64ELi128ELi128ELi4ELi64ELi4ELi64ELi4ELc78ELc84ELb1ELb1ELb0EdKddEEviiiT16_PT17_ilS4_ilS2_S4_ilPT18_ili26rocblas_geam_ex_operation_.private_seg_size, 0
	.set _ZN12_GLOBAL__N_120geam_min_plus_kernelIdddLi4ELi64ELi128ELi128ELi4ELi64ELi4ELi64ELi4ELc78ELc84ELb1ELb1ELb0EdKddEEviiiT16_PT17_ilS4_ilS2_S4_ilPT18_ili26rocblas_geam_ex_operation_.uses_vcc, 1
	.set _ZN12_GLOBAL__N_120geam_min_plus_kernelIdddLi4ELi64ELi128ELi128ELi4ELi64ELi4ELi64ELi4ELc78ELc84ELb1ELb1ELb0EdKddEEviiiT16_PT17_ilS4_ilS2_S4_ilPT18_ili26rocblas_geam_ex_operation_.uses_flat_scratch, 0
	.set _ZN12_GLOBAL__N_120geam_min_plus_kernelIdddLi4ELi64ELi128ELi128ELi4ELi64ELi4ELi64ELi4ELc78ELc84ELb1ELb1ELb0EdKddEEviiiT16_PT17_ilS4_ilS2_S4_ilPT18_ili26rocblas_geam_ex_operation_.has_dyn_sized_stack, 0
	.set _ZN12_GLOBAL__N_120geam_min_plus_kernelIdddLi4ELi64ELi128ELi128ELi4ELi64ELi4ELi64ELi4ELc78ELc84ELb1ELb1ELb0EdKddEEviiiT16_PT17_ilS4_ilS2_S4_ilPT18_ili26rocblas_geam_ex_operation_.has_recursion, 0
	.set _ZN12_GLOBAL__N_120geam_min_plus_kernelIdddLi4ELi64ELi128ELi128ELi4ELi64ELi4ELi64ELi4ELc78ELc84ELb1ELb1ELb0EdKddEEviiiT16_PT17_ilS4_ilS2_S4_ilPT18_ili26rocblas_geam_ex_operation_.has_indirect_call, 0
	.section	.AMDGPU.csdata,"",@progbits
; Kernel info:
; codeLenInByte = 14444
; TotalNumSgprs: 88
; NumVgprs: 252
; NumAgprs: 0
; TotalNumVgprs: 252
; ScratchSize: 0
; MemoryBound: 0
; FloatMode: 240
; IeeeMode: 1
; LDSByteSize: 16384 bytes/workgroup (compile time only)
; SGPRBlocks: 10
; VGPRBlocks: 31
; NumSGPRsForWavesPerEU: 88
; NumVGPRsForWavesPerEU: 252
; AccumOffset: 252
; Occupancy: 2
; WaveLimiterHint : 0
; COMPUTE_PGM_RSRC2:SCRATCH_EN: 0
; COMPUTE_PGM_RSRC2:USER_SGPR: 2
; COMPUTE_PGM_RSRC2:TRAP_HANDLER: 0
; COMPUTE_PGM_RSRC2:TGID_X_EN: 1
; COMPUTE_PGM_RSRC2:TGID_Y_EN: 0
; COMPUTE_PGM_RSRC2:TGID_Z_EN: 1
; COMPUTE_PGM_RSRC2:TIDIG_COMP_CNT: 1
; COMPUTE_PGM_RSRC3_GFX90A:ACCUM_OFFSET: 62
; COMPUTE_PGM_RSRC3_GFX90A:TG_SPLIT: 0
	.section	.text._ZN12_GLOBAL__N_120geam_min_plus_kernelIdddLi4ELi64ELi128ELi128ELi4ELi64ELi4ELi64ELi4ELc78ELc84ELb0ELb1ELb0EdKddEEviiiT16_PT17_ilS4_ilS2_S4_ilPT18_ili26rocblas_geam_ex_operation_,"axG",@progbits,_ZN12_GLOBAL__N_120geam_min_plus_kernelIdddLi4ELi64ELi128ELi128ELi4ELi64ELi4ELi64ELi4ELc78ELc84ELb0ELb1ELb0EdKddEEviiiT16_PT17_ilS4_ilS2_S4_ilPT18_ili26rocblas_geam_ex_operation_,comdat
	.globl	_ZN12_GLOBAL__N_120geam_min_plus_kernelIdddLi4ELi64ELi128ELi128ELi4ELi64ELi4ELi64ELi4ELc78ELc84ELb0ELb1ELb0EdKddEEviiiT16_PT17_ilS4_ilS2_S4_ilPT18_ili26rocblas_geam_ex_operation_ ; -- Begin function _ZN12_GLOBAL__N_120geam_min_plus_kernelIdddLi4ELi64ELi128ELi128ELi4ELi64ELi4ELi64ELi4ELc78ELc84ELb0ELb1ELb0EdKddEEviiiT16_PT17_ilS4_ilS2_S4_ilPT18_ili26rocblas_geam_ex_operation_
	.p2align	8
	.type	_ZN12_GLOBAL__N_120geam_min_plus_kernelIdddLi4ELi64ELi128ELi128ELi4ELi64ELi4ELi64ELi4ELc78ELc84ELb0ELb1ELb0EdKddEEviiiT16_PT17_ilS4_ilS2_S4_ilPT18_ili26rocblas_geam_ex_operation_,@function
_ZN12_GLOBAL__N_120geam_min_plus_kernelIdddLi4ELi64ELi128ELi128ELi4ELi64ELi4ELi64ELi4ELc78ELc84ELb0ELb1ELb0EdKddEEviiiT16_PT17_ilS4_ilS2_S4_ilPT18_ili26rocblas_geam_ex_operation_: ; @_ZN12_GLOBAL__N_120geam_min_plus_kernelIdddLi4ELi64ELi128ELi128ELi4ELi64ELi4ELi64ELi4ELc78ELc84ELb0ELb1ELb0EdKddEEviiiT16_PT17_ilS4_ilS2_S4_ilPT18_ili26rocblas_geam_ex_operation_
; %bb.0:
	s_load_dwordx4 s[16:19], s[0:1], 0x10
	s_load_dwordx4 s[4:7], s[0:1], 0x28
	s_mov_b64 s[20:21], 0
	s_waitcnt lgkmcnt(0)
	v_cmp_eq_f64_e64 s[8:9], s[16:17], 0
	s_and_b64 vcc, exec, s[8:9]
	s_cbranch_vccnz .LBB197_2
; %bb.1:
	s_mul_i32 s5, s5, s3
	s_mul_hi_u32 s10, s4, s3
	s_add_i32 s5, s10, s5
	s_mul_i32 s4, s4, s3
	s_lshl_b64 s[4:5], s[4:5], 3
	s_add_u32 s20, s18, s4
	s_addc_u32 s21, s19, s5
.LBB197_2:
	s_load_dwordx4 s[68:71], s[0:1], 0x40
	s_load_dwordx2 s[4:5], s[0:1], 0x50
	s_andn2_b64 vcc, exec, s[8:9]
	s_mov_b64 s[8:9], -1
	s_cbranch_vccnz .LBB197_4
; %bb.3:
	s_mov_b64 s[8:9], 0
.LBB197_4:
	s_mov_b64 s[76:77], 0
	s_andn2_b64 vcc, exec, s[8:9]
	s_mov_b64 s[22:23], 0
	s_cbranch_vccnz .LBB197_6
; %bb.5:
	s_waitcnt lgkmcnt(0)
	s_mul_i32 s8, s69, s3
	s_mul_hi_u32 s9, s68, s3
	s_add_i32 s9, s9, s8
	s_mul_i32 s8, s68, s3
	s_lshl_b64 s[8:9], s[8:9], 3
	s_add_u32 s22, s6, s8
	s_addc_u32 s23, s7, s9
.LBB197_6:
	s_load_dwordx4 s[12:15], s[0:1], 0x60
	s_waitcnt lgkmcnt(0)
	v_cmp_eq_f64_e64 s[6:7], s[70:71], 0
	v_cmp_neq_f64_e64 s[18:19], s[70:71], 0
	s_and_b64 vcc, exec, s[6:7]
	s_cbranch_vccnz .LBB197_8
; %bb.7:
	s_mul_i32 s6, s13, s3
	s_mul_hi_u32 s7, s12, s3
	s_add_i32 s7, s7, s6
	s_mul_i32 s6, s12, s3
	s_lshl_b64 s[6:7], s[6:7], 3
	s_add_u32 s76, s4, s6
	s_addc_u32 s77, s5, s7
.LBB197_8:
	s_load_dwordx4 s[72:75], s[0:1], 0x0
	s_load_dword s27, s[0:1], 0x20
	v_and_b32_e32 v142, 0x3ff, v0
	v_bfe_u32 v143, v0, 10, 10
	v_lshl_add_u32 v0, v143, 2, v142
	s_waitcnt lgkmcnt(0)
	s_add_i32 s4, s72, -1
	s_ashr_i32 s5, s4, 31
	s_lshr_b32 s5, s5, 25
	s_add_i32 s4, s4, s5
	s_ashr_i32 s4, s4, 7
	s_add_i32 s5, s4, 1
	v_cvt_f32_u32_e32 v1, s5
	s_not_b32 s4, s4
	v_and_b32_e32 v140, 63, v0
	v_lshrrev_b32_e32 v144, 6, v0
	v_rcp_iflag_f32_e32 v1, v1
	v_cmp_le_i32_e32 vcc, s74, v144
	v_cmp_eq_f64_e64 s[12:13], s[16:17], 0
	v_mul_f32_e32 v1, 0x4f7ffffe, v1
	v_cvt_u32_f32_e32 v1, v1
	s_nop 0
	v_readfirstlane_b32 s6, v1
	s_mul_i32 s4, s4, s6
	s_mul_hi_u32 s4, s6, s4
	s_add_i32 s6, s6, s4
	s_mul_hi_u32 s4, s2, s6
	s_mul_i32 s6, s4, s5
	s_sub_i32 s6, s2, s6
	s_add_i32 s7, s4, 1
	s_sub_i32 s8, s6, s5
	s_cmp_ge_u32 s6, s5
	s_cselect_b32 s4, s7, s4
	s_cselect_b32 s6, s8, s6
	s_add_i32 s7, s4, 1
	s_cmp_ge_u32 s6, s5
	s_cselect_b32 s8, s7, s4
	s_mul_i32 s4, s8, s5
	s_sub_i32 s2, s2, s4
	s_add_i32 s28, s74, -1
	s_lshl_b32 s2, s2, 7
	v_min_i32_e32 v6, s28, v144
	v_or_b32_e32 v128, s2, v140
	v_mad_i64_i32 v[2:3], s[4:5], s27, v6, 0
	v_cmp_le_i32_e64 s[10:11], s72, v128
	s_or_b64 s[4:5], s[10:11], vcc
	v_mov_b64_e32 v[0:1], 0
	v_lshl_add_u64 v[4:5], v[2:3], 3, s[20:21]
	s_nor_b64 s[6:7], s[12:13], s[4:5]
	v_ashrrev_i32_e32 v129, 31, v128
	v_mov_b64_e32 v[2:3], 0
	s_and_saveexec_b64 s[4:5], s[6:7]
	s_cbranch_execz .LBB197_10
; %bb.9:
	v_lshl_add_u64 v[2:3], v[128:129], 3, v[4:5]
	global_load_dwordx2 v[2:3], v[2:3], off
	s_waitcnt vmcnt(0)
	v_mul_f64 v[2:3], s[16:17], v[2:3]
.LBB197_10:
	s_or_b64 exec, exec, s[4:5]
	v_or_b32_e32 v7, 64, v128
	v_cmp_le_i32_e64 s[4:5], s72, v7
	s_or_b64 s[6:7], s[4:5], vcc
	s_nor_b64 s[24:25], s[12:13], s[6:7]
	s_and_saveexec_b64 s[6:7], s[24:25]
	s_cbranch_execz .LBB197_12
; %bb.11:
	v_lshl_add_u64 v[0:1], v[128:129], 3, v[4:5]
	global_load_dwordx2 v[0:1], v[0:1], off offset:512
	s_waitcnt vmcnt(0)
	v_mul_f64 v[0:1], s[16:17], v[0:1]
.LBB197_12:
	s_or_b64 exec, exec, s[6:7]
	s_load_dword s29, s[0:1], 0x38
	s_lshl_b32 s26, s8, 7
	v_or_b32_e32 v130, s26, v140
	v_cmp_le_i32_e64 s[6:7], s73, v130
	v_ashrrev_i32_e32 v131, 31, v130
	s_waitcnt lgkmcnt(0)
	v_mad_i64_i32 v[4:5], s[8:9], s29, v6, 0
	s_or_b64 s[8:9], s[6:7], vcc
	v_lshl_add_u64 v[8:9], v[4:5], 3, s[22:23]
	s_nor_b64 s[24:25], s[12:13], s[8:9]
	v_mov_b64_e32 v[4:5], 0
	v_mov_b64_e32 v[6:7], 0
	s_and_saveexec_b64 s[8:9], s[24:25]
	s_cbranch_execz .LBB197_14
; %bb.13:
	v_lshl_add_u64 v[6:7], v[130:131], 3, v[8:9]
	global_load_dwordx2 v[6:7], v[6:7], off
	s_waitcnt vmcnt(0)
	v_mul_f64 v[6:7], s[16:17], v[6:7]
.LBB197_14:
	s_or_b64 exec, exec, s[8:9]
	v_or_b32_e32 v10, 64, v130
	v_cmp_le_i32_e64 s[8:9], s73, v10
	s_or_b64 s[24:25], s[8:9], vcc
	s_nor_b64 s[30:31], s[12:13], s[24:25]
	s_and_saveexec_b64 s[24:25], s[30:31]
	s_cbranch_execz .LBB197_16
; %bb.15:
	v_lshl_add_u64 v[4:5], v[130:131], 3, v[8:9]
	global_load_dwordx2 v[4:5], v[4:5], off offset:512
	s_waitcnt vmcnt(0)
	v_mul_f64 v[4:5], s[16:17], v[4:5]
.LBB197_16:
	s_or_b64 exec, exec, s[24:25]
	v_add_u32_e32 v8, 4, v144
	v_min_i32_e32 v10, s28, v8
	v_cmp_le_i32_e32 vcc, s74, v8
	v_mad_i64_i32 v[8:9], s[24:25], s27, v10, 0
	s_or_b64 s[24:25], s[10:11], vcc
	v_lshl_add_u64 v[8:9], v[8:9], 3, s[20:21]
	s_nor_b64 s[30:31], s[12:13], s[24:25]
	v_mov_b64_e32 v[132:133], 0
	v_mov_b64_e32 v[134:135], 0
	s_and_saveexec_b64 s[24:25], s[30:31]
	s_cbranch_execz .LBB197_18
; %bb.17:
	v_lshl_add_u64 v[12:13], v[128:129], 3, v[8:9]
	global_load_dwordx2 v[12:13], v[12:13], off
	s_waitcnt vmcnt(0)
	v_mul_f64 v[134:135], s[16:17], v[12:13]
.LBB197_18:
	s_or_b64 exec, exec, s[24:25]
	s_or_b64 s[24:25], s[4:5], vcc
	s_nor_b64 s[30:31], s[12:13], s[24:25]
	s_and_saveexec_b64 s[24:25], s[30:31]
	s_cbranch_execz .LBB197_20
; %bb.19:
	v_lshl_add_u64 v[8:9], v[128:129], 3, v[8:9]
	global_load_dwordx2 v[8:9], v[8:9], off offset:512
	s_waitcnt vmcnt(0)
	v_mul_f64 v[132:133], s[16:17], v[8:9]
.LBB197_20:
	s_or_b64 exec, exec, s[24:25]
	v_mad_i64_i32 v[8:9], s[24:25], s29, v10, 0
	s_or_b64 s[24:25], s[6:7], vcc
	v_lshl_add_u64 v[8:9], v[8:9], 3, s[22:23]
	s_nor_b64 s[30:31], s[12:13], s[24:25]
	v_mov_b64_e32 v[136:137], 0
	v_mov_b64_e32 v[138:139], 0
	s_and_saveexec_b64 s[24:25], s[30:31]
	s_cbranch_execz .LBB197_22
; %bb.21:
	v_lshl_add_u64 v[10:11], v[130:131], 3, v[8:9]
	global_load_dwordx2 v[10:11], v[10:11], off
	s_waitcnt vmcnt(0)
	v_mul_f64 v[138:139], s[16:17], v[10:11]
.LBB197_22:
	s_or_b64 exec, exec, s[24:25]
	s_or_b64 s[24:25], s[8:9], vcc
	s_nor_b64 s[30:31], s[12:13], s[24:25]
	s_and_saveexec_b64 s[24:25], s[30:31]
	s_cbranch_execz .LBB197_24
; %bb.23:
	v_lshl_add_u64 v[8:9], v[130:131], 3, v[8:9]
	global_load_dwordx2 v[8:9], v[8:9], off offset:512
	s_waitcnt vmcnt(0)
	v_mul_f64 v[136:137], s[16:17], v[8:9]
.LBB197_24:
	s_or_b64 exec, exec, s[24:25]
	v_lshlrev_b32_e32 v8, 5, v140
	v_lshl_add_u32 v146, v144, 3, v8
	v_lshlrev_b32_e32 v141, 5, v143
	ds_write2st64_b64 v146, v[2:3], v[0:1] offset1:4
	v_or_b32_e32 v147, 0x2000, v146
	ds_write2st64_b64 v146, v[6:7], v[4:5] offset0:16 offset1:20
	v_lshlrev_b32_e32 v148, 5, v142
	v_add_u32_e32 v149, 0x2000, v141
	v_mov_b64_e32 v[126:127], 0
	s_mov_b32 s24, 0
	v_mov_b64_e32 v[124:125], 0
	v_mov_b64_e32 v[122:123], 0
	;; [unrolled: 1-line block ×63, first 2 shown]
	s_waitcnt lgkmcnt(0)
	s_barrier
.LBB197_25:                             ; =>This Inner Loop Header: Depth=1
	v_add_u32_e32 v145, s24, v148
	v_add_u32_e32 v182, s24, v149
	ds_read2_b64 v[150:153], v145 offset1:16
	ds_read2_b64 v[154:157], v145 offset0:32 offset1:48
	ds_read2_b64 v[158:161], v145 offset0:64 offset1:80
	;; [unrolled: 1-line block ×7, first 2 shown]
	ds_read2st64_b64 v[182:185], v182 offset1:4
	v_add_u32_e32 v145, 0x800, v145
	ds_read2_b64 v[186:189], v145 offset1:16
	ds_read2_b64 v[190:193], v145 offset0:32 offset1:48
	ds_read2_b64 v[194:197], v145 offset0:64 offset1:80
	;; [unrolled: 1-line block ×7, first 2 shown]
	s_waitcnt lgkmcnt(14)
	v_max_f64 v[150:151], v[150:151], v[150:151]
	v_max_f64 v[152:153], v[152:153], v[152:153]
	;; [unrolled: 1-line block ×6, first 2 shown]
	s_waitcnt lgkmcnt(13)
	v_max_f64 v[162:163], v[162:163], v[162:163]
	v_max_f64 v[164:165], v[164:165], v[164:165]
	s_waitcnt lgkmcnt(12)
	v_max_f64 v[166:167], v[166:167], v[166:167]
	v_max_f64 v[168:169], v[168:169], v[168:169]
	;; [unrolled: 3-line block ×14, first 2 shown]
	v_min_f64 v[218:219], v[150:151], v[182:183]
	v_min_f64 v[220:221], v[152:153], v[182:183]
	;; [unrolled: 1-line block ×32, first 2 shown]
	s_add_i32 s24, s24, 8
	v_add_f64 v[62:63], v[62:63], v[150:151]
	v_add_f64 v[60:61], v[60:61], v[152:153]
	;; [unrolled: 1-line block ×16, first 2 shown]
	v_min_f64 v[150:151], v[186:187], v[182:183]
	v_min_f64 v[152:153], v[188:189], v[182:183]
	;; [unrolled: 1-line block ×32, first 2 shown]
	s_cmp_eq_u32 s24, 32
	v_add_f64 v[126:127], v[126:127], v[218:219]
	v_add_f64 v[124:125], v[124:125], v[220:221]
	;; [unrolled: 1-line block ×48, first 2 shown]
	s_cbranch_scc0 .LBB197_25
; %bb.26:
	v_lshlrev_b32_e32 v145, 3, v144
	v_lshl_add_u32 v140, v140, 5, v145
	s_cmp_gt_i32 s74, 8
	ds_write2st64_b64 v140, v[134:135], v[132:133] offset0:8 offset1:12
	ds_write2st64_b64 v140, v[138:139], v[136:137] offset0:24 offset1:28
	s_waitcnt lgkmcnt(0)
	s_barrier
	s_cbranch_scc1 .LBB197_28
; %bb.27:
	v_add_u32_e32 v145, 0x3000, v141
	s_cbranch_execz .LBB197_29
	s_branch .LBB197_51
.LBB197_28:
                                        ; implicit-def: $vgpr145
.LBB197_29:
	v_mov_b32_e32 v132, 0x1000
	v_or_b32_e32 v150, 0x1000, v140
	v_or_b32_e32 v151, 0x3000, v140
	s_add_i32 s30, s74, -8
	v_lshl_add_u32 v152, v142, 5, v132
	v_add_u32_e32 v145, 0x3000, v141
	s_mov_b32 s31, 8
	s_mov_b32 s33, 0
.LBB197_30:                             ; =>This Loop Header: Depth=1
                                        ;     Child Loop BB197_39 Depth 2
                                        ;     Child Loop BB197_49 Depth 2
	v_add_u32_e32 v132, s31, v144
	v_min_i32_e32 v138, s28, v132
	v_cmp_le_i32_e32 vcc, s74, v132
	v_mad_i64_i32 v[132:133], s[24:25], v138, s27, 0
	v_lshl_add_u64 v[134:135], v[132:133], 3, s[20:21]
	s_or_b64 s[24:25], s[10:11], vcc
	s_nor_b64 s[34:35], s[12:13], s[24:25]
	v_mov_b64_e32 v[132:133], 0
	v_lshl_add_u64 v[136:137], v[128:129], 3, v[134:135]
	v_mov_b64_e32 v[134:135], 0
	s_and_saveexec_b64 s[24:25], s[34:35]
	s_cbranch_execz .LBB197_32
; %bb.31:                               ;   in Loop: Header=BB197_30 Depth=1
	global_load_dwordx2 v[134:135], v[136:137], off
	s_waitcnt vmcnt(0)
	v_mul_f64 v[134:135], s[16:17], v[134:135]
.LBB197_32:                             ;   in Loop: Header=BB197_30 Depth=1
	s_or_b64 exec, exec, s[24:25]
	s_or_b64 s[24:25], s[4:5], vcc
	s_nor_b64 s[34:35], s[12:13], s[24:25]
	s_and_saveexec_b64 s[24:25], s[34:35]
	s_cbranch_execz .LBB197_34
; %bb.33:                               ;   in Loop: Header=BB197_30 Depth=1
	global_load_dwordx2 v[132:133], v[136:137], off offset:512
	s_waitcnt vmcnt(0)
	v_mul_f64 v[132:133], s[16:17], v[132:133]
.LBB197_34:                             ;   in Loop: Header=BB197_30 Depth=1
	s_or_b64 exec, exec, s[24:25]
	v_mad_i64_i32 v[136:137], s[24:25], v138, s29, 0
	v_lshl_add_u64 v[138:139], v[136:137], 3, s[22:23]
	s_or_b64 s[24:25], s[6:7], vcc
	s_nor_b64 s[34:35], s[12:13], s[24:25]
	v_mov_b64_e32 v[136:137], 0
	v_lshl_add_u64 v[140:141], v[130:131], 3, v[138:139]
	v_mov_b64_e32 v[138:139], 0
	s_and_saveexec_b64 s[24:25], s[34:35]
	s_cbranch_execz .LBB197_36
; %bb.35:                               ;   in Loop: Header=BB197_30 Depth=1
	global_load_dwordx2 v[138:139], v[140:141], off
	s_waitcnt vmcnt(0)
	v_mul_f64 v[138:139], s[16:17], v[138:139]
.LBB197_36:                             ;   in Loop: Header=BB197_30 Depth=1
	s_or_b64 exec, exec, s[24:25]
	s_or_b64 s[24:25], s[8:9], vcc
	s_nor_b64 s[34:35], s[12:13], s[24:25]
	s_and_saveexec_b64 s[24:25], s[34:35]
	s_cbranch_execz .LBB197_38
; %bb.37:                               ;   in Loop: Header=BB197_30 Depth=1
	global_load_dwordx2 v[136:137], v[140:141], off offset:512
	s_waitcnt vmcnt(0)
	v_mul_f64 v[136:137], s[16:17], v[136:137]
.LBB197_38:                             ;   in Loop: Header=BB197_30 Depth=1
	s_or_b64 exec, exec, s[24:25]
	s_mov_b32 s24, 0
.LBB197_39:                             ;   Parent Loop BB197_30 Depth=1
                                        ; =>  This Inner Loop Header: Depth=2
	v_add_u32_e32 v140, s24, v152
	v_add_u32_e32 v141, s24, v145
	ds_read2_b64 v[154:157], v140 offset1:16
	ds_read2_b64 v[158:161], v140 offset0:32 offset1:48
	ds_read2_b64 v[162:165], v140 offset0:64 offset1:80
	;; [unrolled: 1-line block ×7, first 2 shown]
	v_add_u32_e32 v140, 0x800, v140
	ds_read2st64_b64 v[186:189], v141 offset1:4
	ds_read2_b64 v[190:193], v140 offset1:16
	ds_read2_b64 v[194:197], v140 offset0:32 offset1:48
	ds_read2_b64 v[198:201], v140 offset0:64 offset1:80
	;; [unrolled: 1-line block ×7, first 2 shown]
	s_waitcnt lgkmcnt(14)
	v_max_f64 v[154:155], v[154:155], v[154:155]
	v_max_f64 v[156:157], v[156:157], v[156:157]
	;; [unrolled: 1-line block ×3, first 2 shown]
	s_waitcnt lgkmcnt(8)
	v_max_f64 v[140:141], v[186:187], v[186:187]
	v_max_f64 v[160:161], v[160:161], v[160:161]
	;; [unrolled: 1-line block ×15, first 2 shown]
	v_min_f64 v[188:189], v[154:155], v[140:141]
	v_min_f64 v[222:223], v[156:157], v[140:141]
	;; [unrolled: 1-line block ×16, first 2 shown]
	s_waitcnt lgkmcnt(7)
	v_max_f64 v[190:191], v[190:191], v[190:191]
	v_max_f64 v[192:193], v[192:193], v[192:193]
	s_waitcnt lgkmcnt(6)
	v_max_f64 v[194:195], v[194:195], v[194:195]
	v_max_f64 v[196:197], v[196:197], v[196:197]
	;; [unrolled: 3-line block ×8, first 2 shown]
	v_min_f64 v[154:155], v[154:155], v[186:187]
	v_min_f64 v[156:157], v[156:157], v[186:187]
	;; [unrolled: 1-line block ×16, first 2 shown]
	s_add_i32 s24, s24, 8
	v_add_f64 v[126:127], v[126:127], v[188:189]
	v_add_f64 v[124:125], v[124:125], v[222:223]
	;; [unrolled: 1-line block ×15, first 2 shown]
	v_min_f64 v[188:189], v[190:191], v[140:141]
	v_min_f64 v[222:223], v[192:193], v[140:141]
	v_min_f64 v[224:225], v[194:195], v[140:141]
	v_min_f64 v[226:227], v[196:197], v[140:141]
	v_min_f64 v[228:229], v[198:199], v[140:141]
	v_min_f64 v[230:231], v[200:201], v[140:141]
	v_min_f64 v[232:233], v[202:203], v[140:141]
	v_min_f64 v[234:235], v[204:205], v[140:141]
	v_min_f64 v[236:237], v[206:207], v[140:141]
	v_min_f64 v[238:239], v[208:209], v[140:141]
	v_min_f64 v[240:241], v[210:211], v[140:141]
	v_min_f64 v[242:243], v[212:213], v[140:141]
	v_min_f64 v[244:245], v[214:215], v[140:141]
	v_min_f64 v[246:247], v[216:217], v[140:141]
	v_min_f64 v[248:249], v[218:219], v[140:141]
	v_min_f64 v[140:141], v[220:221], v[140:141]
	v_add_f64 v[62:63], v[62:63], v[154:155]
	v_add_f64 v[60:61], v[60:61], v[156:157]
	;; [unrolled: 1-line block ×16, first 2 shown]
	v_min_f64 v[154:155], v[190:191], v[186:187]
	v_min_f64 v[156:157], v[192:193], v[186:187]
	;; [unrolled: 1-line block ×16, first 2 shown]
	s_cmp_eq_u32 s24, 32
	v_add_f64 v[96:97], v[96:97], v[250:251]
	v_add_f64 v[94:95], v[94:95], v[188:189]
	;; [unrolled: 1-line block ×33, first 2 shown]
	s_cbranch_scc0 .LBB197_39
; %bb.40:                               ;   in Loop: Header=BB197_30 Depth=1
	ds_write2st64_b64 v146, v[134:135], v[132:133] offset1:4
	ds_write2st64_b64 v147, v[138:139], v[136:137] offset1:4
	v_add3_u32 v132, v144, s31, 4
	v_min_i32_e32 v138, s28, v132
	v_cmp_le_i32_e32 vcc, s74, v132
	v_mad_i64_i32 v[132:133], s[24:25], v138, s27, 0
	v_lshl_add_u64 v[134:135], v[132:133], 3, s[20:21]
	s_or_b64 s[24:25], s[10:11], vcc
	s_nor_b64 s[34:35], s[12:13], s[24:25]
	v_mov_b64_e32 v[132:133], 0
	v_lshl_add_u64 v[136:137], v[128:129], 3, v[134:135]
	v_mov_b64_e32 v[134:135], 0
	s_waitcnt lgkmcnt(0)
	s_barrier
	s_and_saveexec_b64 s[24:25], s[34:35]
	s_cbranch_execz .LBB197_42
; %bb.41:                               ;   in Loop: Header=BB197_30 Depth=1
	global_load_dwordx2 v[134:135], v[136:137], off
	s_waitcnt vmcnt(0)
	v_mul_f64 v[134:135], s[16:17], v[134:135]
.LBB197_42:                             ;   in Loop: Header=BB197_30 Depth=1
	s_or_b64 exec, exec, s[24:25]
	s_or_b64 s[24:25], s[4:5], vcc
	s_nor_b64 s[34:35], s[12:13], s[24:25]
	s_and_saveexec_b64 s[24:25], s[34:35]
	s_cbranch_execz .LBB197_44
; %bb.43:                               ;   in Loop: Header=BB197_30 Depth=1
	global_load_dwordx2 v[132:133], v[136:137], off offset:512
	s_waitcnt vmcnt(0)
	v_mul_f64 v[132:133], s[16:17], v[132:133]
.LBB197_44:                             ;   in Loop: Header=BB197_30 Depth=1
	s_or_b64 exec, exec, s[24:25]
	v_mad_i64_i32 v[136:137], s[24:25], v138, s29, 0
	v_lshl_add_u64 v[138:139], v[136:137], 3, s[22:23]
	s_or_b64 s[24:25], s[6:7], vcc
	s_nor_b64 s[34:35], s[12:13], s[24:25]
	v_mov_b64_e32 v[136:137], 0
	v_lshl_add_u64 v[140:141], v[130:131], 3, v[138:139]
	v_mov_b64_e32 v[138:139], 0
	s_and_saveexec_b64 s[24:25], s[34:35]
	s_cbranch_execz .LBB197_46
; %bb.45:                               ;   in Loop: Header=BB197_30 Depth=1
	global_load_dwordx2 v[138:139], v[140:141], off
	s_waitcnt vmcnt(0)
	v_mul_f64 v[138:139], s[16:17], v[138:139]
.LBB197_46:                             ;   in Loop: Header=BB197_30 Depth=1
	s_or_b64 exec, exec, s[24:25]
	s_or_b64 s[24:25], s[8:9], vcc
	s_nor_b64 s[34:35], s[12:13], s[24:25]
	s_and_saveexec_b64 s[24:25], s[34:35]
	s_cbranch_execz .LBB197_48
; %bb.47:                               ;   in Loop: Header=BB197_30 Depth=1
	global_load_dwordx2 v[136:137], v[140:141], off offset:512
	s_waitcnt vmcnt(0)
	v_mul_f64 v[136:137], s[16:17], v[136:137]
.LBB197_48:                             ;   in Loop: Header=BB197_30 Depth=1
	s_or_b64 exec, exec, s[24:25]
	s_mov_b32 s24, 0
.LBB197_49:                             ;   Parent Loop BB197_30 Depth=1
                                        ; =>  This Inner Loop Header: Depth=2
	v_add_u32_e32 v140, s24, v148
	v_add_u32_e32 v141, s24, v149
	ds_read2_b64 v[154:157], v140 offset1:16
	ds_read2_b64 v[158:161], v140 offset0:32 offset1:48
	ds_read2_b64 v[162:165], v140 offset0:64 offset1:80
	ds_read2_b64 v[166:169], v140 offset0:96 offset1:112
	ds_read2_b64 v[170:173], v140 offset0:128 offset1:144
	ds_read2_b64 v[174:177], v140 offset0:160 offset1:176
	ds_read2_b64 v[178:181], v140 offset0:192 offset1:208
	ds_read2_b64 v[182:185], v140 offset0:224 offset1:240
	v_add_u32_e32 v140, 0x800, v140
	ds_read2st64_b64 v[186:189], v141 offset1:4
	ds_read2_b64 v[190:193], v140 offset1:16
	ds_read2_b64 v[194:197], v140 offset0:32 offset1:48
	ds_read2_b64 v[198:201], v140 offset0:64 offset1:80
	;; [unrolled: 1-line block ×7, first 2 shown]
	s_waitcnt lgkmcnt(14)
	v_max_f64 v[154:155], v[154:155], v[154:155]
	v_max_f64 v[156:157], v[156:157], v[156:157]
	;; [unrolled: 1-line block ×3, first 2 shown]
	s_waitcnt lgkmcnt(8)
	v_max_f64 v[140:141], v[186:187], v[186:187]
	v_max_f64 v[160:161], v[160:161], v[160:161]
	;; [unrolled: 1-line block ×15, first 2 shown]
	v_min_f64 v[188:189], v[154:155], v[140:141]
	v_min_f64 v[222:223], v[156:157], v[140:141]
	;; [unrolled: 1-line block ×16, first 2 shown]
	s_waitcnt lgkmcnt(7)
	v_max_f64 v[190:191], v[190:191], v[190:191]
	v_max_f64 v[192:193], v[192:193], v[192:193]
	s_waitcnt lgkmcnt(6)
	v_max_f64 v[194:195], v[194:195], v[194:195]
	v_max_f64 v[196:197], v[196:197], v[196:197]
	;; [unrolled: 3-line block ×8, first 2 shown]
	v_min_f64 v[154:155], v[154:155], v[186:187]
	v_min_f64 v[156:157], v[156:157], v[186:187]
	;; [unrolled: 1-line block ×16, first 2 shown]
	s_add_i32 s24, s24, 8
	v_add_f64 v[126:127], v[126:127], v[188:189]
	v_add_f64 v[124:125], v[124:125], v[222:223]
	;; [unrolled: 1-line block ×15, first 2 shown]
	v_min_f64 v[188:189], v[190:191], v[140:141]
	v_min_f64 v[222:223], v[192:193], v[140:141]
	;; [unrolled: 1-line block ×16, first 2 shown]
	v_add_f64 v[62:63], v[62:63], v[154:155]
	v_add_f64 v[60:61], v[60:61], v[156:157]
	;; [unrolled: 1-line block ×16, first 2 shown]
	v_min_f64 v[154:155], v[190:191], v[186:187]
	v_min_f64 v[156:157], v[192:193], v[186:187]
	;; [unrolled: 1-line block ×16, first 2 shown]
	s_cmp_eq_u32 s24, 32
	v_add_f64 v[96:97], v[96:97], v[250:251]
	v_add_f64 v[94:95], v[94:95], v[188:189]
	;; [unrolled: 1-line block ×33, first 2 shown]
	s_cbranch_scc0 .LBB197_49
; %bb.50:                               ;   in Loop: Header=BB197_30 Depth=1
	s_add_i32 s31, s31, 8
	s_add_i32 s33, s33, 8
	s_cmp_ge_i32 s33, s30
	ds_write2st64_b64 v150, v[134:135], v[132:133] offset1:4
	ds_write2st64_b64 v151, v[138:139], v[136:137] offset1:4
	s_waitcnt lgkmcnt(0)
	s_barrier
	s_cbranch_scc0 .LBB197_30
.LBB197_51:
	v_mov_b32_e32 v128, 0x1000
	v_lshl_add_u32 v128, v142, 5, v128
	s_mov_b32 s4, 0
.LBB197_52:                             ; =>This Inner Loop Header: Depth=1
	v_add_u32_e32 v129, s4, v128
	v_add_u32_e32 v144, s4, v145
	ds_read2_b64 v[130:133], v129 offset1:16
	ds_read2_b64 v[134:137], v129 offset0:32 offset1:48
	ds_read2_b64 v[138:141], v129 offset0:64 offset1:80
	;; [unrolled: 1-line block ×7, first 2 shown]
	v_add_u32_e32 v129, 0x800, v129
	ds_read2st64_b64 v[166:169], v144 offset1:4
	ds_read2_b64 v[170:173], v129 offset1:16
	ds_read2_b64 v[174:177], v129 offset0:32 offset1:48
	ds_read2_b64 v[178:181], v129 offset0:64 offset1:80
	;; [unrolled: 1-line block ×7, first 2 shown]
	s_waitcnt lgkmcnt(14)
	v_max_f64 v[130:131], v[130:131], v[130:131]
	v_max_f64 v[132:133], v[132:133], v[132:133]
	;; [unrolled: 1-line block ×3, first 2 shown]
	s_waitcnt lgkmcnt(8)
	v_max_f64 v[166:167], v[166:167], v[166:167]
	v_max_f64 v[136:137], v[136:137], v[136:137]
	;; [unrolled: 1-line block ×15, first 2 shown]
	v_min_f64 v[202:203], v[130:131], v[166:167]
	v_min_f64 v[204:205], v[132:133], v[166:167]
	v_min_f64 v[206:207], v[134:135], v[166:167]
	v_min_f64 v[208:209], v[136:137], v[166:167]
	v_min_f64 v[210:211], v[138:139], v[166:167]
	v_min_f64 v[212:213], v[140:141], v[166:167]
	v_min_f64 v[214:215], v[146:147], v[166:167]
	v_min_f64 v[216:217], v[148:149], v[166:167]
	v_min_f64 v[218:219], v[150:151], v[166:167]
	v_min_f64 v[220:221], v[152:153], v[166:167]
	v_min_f64 v[222:223], v[154:155], v[166:167]
	v_min_f64 v[224:225], v[156:157], v[166:167]
	v_min_f64 v[226:227], v[158:159], v[166:167]
	v_min_f64 v[228:229], v[160:161], v[166:167]
	v_min_f64 v[230:231], v[162:163], v[166:167]
	v_min_f64 v[232:233], v[164:165], v[166:167]
	s_waitcnt lgkmcnt(7)
	v_max_f64 v[170:171], v[170:171], v[170:171]
	v_max_f64 v[172:173], v[172:173], v[172:173]
	s_waitcnt lgkmcnt(6)
	v_max_f64 v[174:175], v[174:175], v[174:175]
	v_max_f64 v[176:177], v[176:177], v[176:177]
	;; [unrolled: 3-line block ×8, first 2 shown]
	v_min_f64 v[130:131], v[130:131], v[168:169]
	v_min_f64 v[132:133], v[132:133], v[168:169]
	;; [unrolled: 1-line block ×16, first 2 shown]
	s_add_i32 s4, s4, 8
	v_add_f64 v[126:127], v[126:127], v[202:203]
	v_add_f64 v[124:125], v[124:125], v[204:205]
	;; [unrolled: 1-line block ×15, first 2 shown]
	v_min_f64 v[202:203], v[170:171], v[166:167]
	v_min_f64 v[204:205], v[172:173], v[166:167]
	;; [unrolled: 1-line block ×16, first 2 shown]
	v_add_f64 v[62:63], v[62:63], v[130:131]
	v_add_f64 v[60:61], v[60:61], v[132:133]
	;; [unrolled: 1-line block ×16, first 2 shown]
	v_min_f64 v[130:131], v[170:171], v[168:169]
	v_min_f64 v[132:133], v[172:173], v[168:169]
	;; [unrolled: 1-line block ×16, first 2 shown]
	s_cmp_eq_u32 s4, 32
	v_add_f64 v[96:97], v[96:97], v[232:233]
	v_add_f64 v[94:95], v[94:95], v[202:203]
	;; [unrolled: 1-line block ×33, first 2 shown]
	s_cbranch_scc0 .LBB197_52
; %bb.53:
	s_load_dwordx2 s[4:5], s[0:1], 0x78
	s_load_dword s78, s[0:1], 0x58
	s_load_dword s33, s[0:1], 0x70
	v_add_u32_e32 v136, s26, v143
	v_add_u32_e32 v128, s2, v142
	s_waitcnt lgkmcnt(0)
	s_mul_i32 s1, s5, s3
	s_mul_hi_u32 s5, s4, s3
	s_mul_i32 s0, s4, s3
	s_add_i32 s1, s5, s1
	s_lshl_b64 s[0:1], s[0:1], 3
	s_add_u32 s74, s14, s0
	s_addc_u32 s75, s15, s1
	v_mad_i64_i32 v[130:131], s[0:1], v136, s78, 0
	v_cmp_gt_i32_e64 s[24:25], s73, v136
	v_lshl_add_u64 v[132:133], v[130:131], 3, s[76:77]
	v_mad_i64_i32 v[130:131], s[0:1], v136, s33, 0
	v_cmp_gt_i32_e64 s[2:3], s72, v128
	v_cndmask_b32_e64 v134, 0, 1, s[18:19]
	v_lshl_add_u64 v[130:131], v[130:131], 3, s[74:75]
	s_and_b64 s[6:7], s[24:25], s[2:3]
	v_ashrrev_i32_e32 v129, 31, v128
	v_cmp_ne_u32_e64 s[0:1], 1, v134
	s_and_saveexec_b64 s[4:5], s[6:7]
	s_cbranch_execz .LBB197_58
; %bb.54:
	s_and_b64 vcc, exec, s[0:1]
	s_cbranch_vccnz .LBB197_56
; %bb.55:
	v_lshl_add_u64 v[134:135], v[128:129], 3, v[132:133]
	global_load_dwordx2 v[134:135], v[134:135], off
	s_waitcnt vmcnt(0)
	v_mul_f64 v[134:135], s[70:71], v[134:135]
	s_branch .LBB197_57
.LBB197_56:
	v_mov_b64_e32 v[134:135], 0
.LBB197_57:
	v_add_f64 v[126:127], v[126:127], v[134:135]
	v_lshl_add_u64 v[134:135], v[128:129], 3, v[130:131]
	global_store_dwordx2 v[134:135], v[126:127], off
.LBB197_58:
	s_or_b64 exec, exec, s[4:5]
	v_add_u32_e32 v126, 4, v128
	v_cmp_gt_i32_e64 s[4:5], s72, v126
	s_and_b64 s[8:9], s[24:25], s[4:5]
	v_ashrrev_i32_e32 v127, 31, v126
	s_and_saveexec_b64 s[6:7], s[8:9]
	s_cbranch_execz .LBB197_63
; %bb.59:
	s_and_b64 vcc, exec, s[0:1]
	s_cbranch_vccnz .LBB197_61
; %bb.60:
	v_lshl_add_u64 v[134:135], v[126:127], 3, v[132:133]
	global_load_dwordx2 v[134:135], v[134:135], off
	s_waitcnt vmcnt(0)
	v_mul_f64 v[134:135], s[70:71], v[134:135]
	s_branch .LBB197_62
.LBB197_61:
	v_mov_b64_e32 v[134:135], 0
.LBB197_62:
	v_add_f64 v[124:125], v[124:125], v[134:135]
	v_lshl_add_u64 v[134:135], v[126:127], 3, v[130:131]
	global_store_dwordx2 v[134:135], v[124:125], off
.LBB197_63:
	s_or_b64 exec, exec, s[6:7]
	v_add_u32_e32 v124, 8, v128
	v_cmp_gt_i32_e64 s[6:7], s72, v124
	s_and_b64 s[10:11], s[24:25], s[6:7]
	v_ashrrev_i32_e32 v125, 31, v124
	;; [unrolled: 23-line block ×31, first 2 shown]
	s_and_saveexec_b64 s[24:25], s[80:81]
	s_cbranch_execz .LBB197_213
; %bb.209:
	s_and_b64 vcc, exec, s[0:1]
	s_cbranch_vccnz .LBB197_211
; %bb.210:
	v_lshl_add_u64 v[132:133], v[66:67], 3, v[132:133]
	global_load_dwordx2 v[132:133], v[132:133], off
	s_waitcnt vmcnt(0)
	v_mul_f64 v[132:133], s[70:71], v[132:133]
	s_branch .LBB197_212
.LBB197_211:
	v_mov_b64_e32 v[132:133], 0
.LBB197_212:
	v_add_f64 v[64:65], v[64:65], v[132:133]
	v_lshl_add_u64 v[130:131], v[66:67], 3, v[130:131]
	global_store_dwordx2 v[130:131], v[64:65], off
.LBB197_213:
	s_or_b64 exec, exec, s[24:25]
	v_add_u32_e32 v132, 64, v136
	v_cmp_gt_i32_e64 s[24:25], s73, v132
	v_mad_i64_i32 v[64:65], s[72:73], v132, s78, 0
	v_lshl_add_u64 v[130:131], v[64:65], 3, s[76:77]
	v_mad_i64_i32 v[64:65], s[72:73], v132, s33, 0
	v_lshl_add_u64 v[64:65], v[64:65], 3, s[74:75]
	s_and_b64 s[2:3], s[24:25], s[2:3]
	s_and_saveexec_b64 s[72:73], s[2:3]
	s_xor_b64 s[2:3], exec, s[72:73]
	s_cbranch_execnz .LBB197_246
; %bb.214:
	s_or_b64 exec, exec, s[2:3]
	s_and_b64 s[4:5], s[24:25], s[4:5]
	s_and_saveexec_b64 s[2:3], s[4:5]
	s_cbranch_execnz .LBB197_250
.LBB197_215:
	s_or_b64 exec, exec, s[2:3]
	s_and_b64 s[4:5], s[24:25], s[6:7]
	s_and_saveexec_b64 s[2:3], s[4:5]
	s_cbranch_execnz .LBB197_254
.LBB197_216:
	s_or_b64 exec, exec, s[2:3]
	s_and_b64 s[4:5], s[24:25], s[8:9]
	s_and_saveexec_b64 s[2:3], s[4:5]
	s_cbranch_execnz .LBB197_258
.LBB197_217:
	s_or_b64 exec, exec, s[2:3]
	s_and_b64 s[4:5], s[24:25], s[10:11]
	s_and_saveexec_b64 s[2:3], s[4:5]
	s_cbranch_execnz .LBB197_262
.LBB197_218:
	s_or_b64 exec, exec, s[2:3]
	s_and_b64 s[4:5], s[24:25], s[12:13]
	s_and_saveexec_b64 s[2:3], s[4:5]
	s_cbranch_execnz .LBB197_266
.LBB197_219:
	s_or_b64 exec, exec, s[2:3]
	s_and_b64 s[4:5], s[24:25], s[14:15]
	s_and_saveexec_b64 s[2:3], s[4:5]
	s_cbranch_execnz .LBB197_270
.LBB197_220:
	s_or_b64 exec, exec, s[2:3]
	s_and_b64 s[4:5], s[24:25], s[16:17]
	s_and_saveexec_b64 s[2:3], s[4:5]
	s_cbranch_execnz .LBB197_274
.LBB197_221:
	s_or_b64 exec, exec, s[2:3]
	s_and_b64 s[4:5], s[24:25], s[18:19]
	s_and_saveexec_b64 s[2:3], s[4:5]
	s_cbranch_execnz .LBB197_278
.LBB197_222:
	s_or_b64 exec, exec, s[2:3]
	s_and_b64 s[4:5], s[24:25], s[20:21]
	s_and_saveexec_b64 s[2:3], s[4:5]
	s_cbranch_execnz .LBB197_282
.LBB197_223:
	s_or_b64 exec, exec, s[2:3]
	s_and_b64 s[4:5], s[24:25], s[22:23]
	s_and_saveexec_b64 s[2:3], s[4:5]
	s_cbranch_execnz .LBB197_286
.LBB197_224:
	s_or_b64 exec, exec, s[2:3]
	s_and_b64 s[4:5], s[24:25], s[26:27]
	s_and_saveexec_b64 s[2:3], s[4:5]
	s_cbranch_execnz .LBB197_290
.LBB197_225:
	s_or_b64 exec, exec, s[2:3]
	s_and_b64 s[4:5], s[24:25], s[28:29]
	s_and_saveexec_b64 s[2:3], s[4:5]
	s_cbranch_execnz .LBB197_294
.LBB197_226:
	s_or_b64 exec, exec, s[2:3]
	s_and_b64 s[4:5], s[24:25], s[30:31]
	s_and_saveexec_b64 s[2:3], s[4:5]
	s_cbranch_execnz .LBB197_298
.LBB197_227:
	s_or_b64 exec, exec, s[2:3]
	s_and_b64 s[4:5], s[24:25], s[34:35]
	s_and_saveexec_b64 s[2:3], s[4:5]
	s_cbranch_execnz .LBB197_302
.LBB197_228:
	s_or_b64 exec, exec, s[2:3]
	s_and_b64 s[4:5], s[24:25], s[36:37]
	s_and_saveexec_b64 s[2:3], s[4:5]
	s_cbranch_execnz .LBB197_306
.LBB197_229:
	s_or_b64 exec, exec, s[2:3]
	s_and_b64 s[4:5], s[24:25], s[38:39]
	s_and_saveexec_b64 s[2:3], s[4:5]
	s_cbranch_execnz .LBB197_310
.LBB197_230:
	s_or_b64 exec, exec, s[2:3]
	s_and_b64 s[4:5], s[24:25], s[40:41]
	s_and_saveexec_b64 s[2:3], s[4:5]
	s_cbranch_execnz .LBB197_314
.LBB197_231:
	s_or_b64 exec, exec, s[2:3]
	s_and_b64 s[4:5], s[24:25], s[42:43]
	s_and_saveexec_b64 s[2:3], s[4:5]
	s_cbranch_execnz .LBB197_318
.LBB197_232:
	s_or_b64 exec, exec, s[2:3]
	s_and_b64 s[4:5], s[24:25], s[44:45]
	s_and_saveexec_b64 s[2:3], s[4:5]
	s_cbranch_execnz .LBB197_322
.LBB197_233:
	s_or_b64 exec, exec, s[2:3]
	s_and_b64 s[4:5], s[24:25], s[46:47]
	s_and_saveexec_b64 s[2:3], s[4:5]
	s_cbranch_execnz .LBB197_326
.LBB197_234:
	s_or_b64 exec, exec, s[2:3]
	s_and_b64 s[4:5], s[24:25], s[48:49]
	s_and_saveexec_b64 s[2:3], s[4:5]
	s_cbranch_execnz .LBB197_330
.LBB197_235:
	s_or_b64 exec, exec, s[2:3]
	s_and_b64 s[4:5], s[24:25], s[50:51]
	s_and_saveexec_b64 s[2:3], s[4:5]
	s_cbranch_execnz .LBB197_334
.LBB197_236:
	s_or_b64 exec, exec, s[2:3]
	s_and_b64 s[4:5], s[24:25], s[52:53]
	s_and_saveexec_b64 s[2:3], s[4:5]
	s_cbranch_execnz .LBB197_338
.LBB197_237:
	s_or_b64 exec, exec, s[2:3]
	s_and_b64 s[4:5], s[24:25], s[54:55]
	s_and_saveexec_b64 s[2:3], s[4:5]
	s_cbranch_execnz .LBB197_342
.LBB197_238:
	s_or_b64 exec, exec, s[2:3]
	s_and_b64 s[4:5], s[24:25], s[56:57]
	s_and_saveexec_b64 s[2:3], s[4:5]
	s_cbranch_execnz .LBB197_346
.LBB197_239:
	s_or_b64 exec, exec, s[2:3]
	s_and_b64 s[4:5], s[24:25], s[58:59]
	s_and_saveexec_b64 s[2:3], s[4:5]
	s_cbranch_execnz .LBB197_350
.LBB197_240:
	s_or_b64 exec, exec, s[2:3]
	s_and_b64 s[4:5], s[24:25], s[60:61]
	s_and_saveexec_b64 s[2:3], s[4:5]
	s_cbranch_execnz .LBB197_354
.LBB197_241:
	s_or_b64 exec, exec, s[2:3]
	s_and_b64 s[4:5], s[24:25], s[62:63]
	s_and_saveexec_b64 s[2:3], s[4:5]
	s_cbranch_execnz .LBB197_358
.LBB197_242:
	s_or_b64 exec, exec, s[2:3]
	s_and_b64 s[4:5], s[24:25], s[64:65]
	s_and_saveexec_b64 s[2:3], s[4:5]
	s_cbranch_execnz .LBB197_362
.LBB197_243:
	s_or_b64 exec, exec, s[2:3]
	s_and_b64 s[4:5], s[24:25], s[66:67]
	s_and_saveexec_b64 s[2:3], s[4:5]
	s_cbranch_execnz .LBB197_366
.LBB197_244:
	s_or_b64 exec, exec, s[2:3]
	s_and_b64 s[2:3], s[24:25], s[68:69]
	s_and_saveexec_b64 s[4:5], s[2:3]
	s_cbranch_execnz .LBB197_370
.LBB197_245:
	s_endpgm
.LBB197_246:
	s_and_b64 vcc, exec, s[0:1]
	s_cbranch_vccnz .LBB197_248
; %bb.247:
	v_lshl_add_u64 v[132:133], v[128:129], 3, v[130:131]
	global_load_dwordx2 v[132:133], v[132:133], off
	s_waitcnt vmcnt(0)
	v_mul_f64 v[132:133], s[70:71], v[132:133]
	s_branch .LBB197_249
.LBB197_248:
	v_mov_b64_e32 v[132:133], 0
.LBB197_249:
	v_add_f64 v[62:63], v[62:63], v[132:133]
	v_lshl_add_u64 v[128:129], v[128:129], 3, v[64:65]
	global_store_dwordx2 v[128:129], v[62:63], off
	s_or_b64 exec, exec, s[2:3]
	s_and_b64 s[4:5], s[24:25], s[4:5]
	s_and_saveexec_b64 s[2:3], s[4:5]
	s_cbranch_execz .LBB197_215
.LBB197_250:
	s_and_b64 vcc, exec, s[0:1]
	s_cbranch_vccnz .LBB197_252
; %bb.251:
	v_lshl_add_u64 v[62:63], v[126:127], 3, v[130:131]
	global_load_dwordx2 v[62:63], v[62:63], off
	s_waitcnt vmcnt(0)
	v_mul_f64 v[62:63], s[70:71], v[62:63]
	s_branch .LBB197_253
.LBB197_252:
	v_mov_b64_e32 v[62:63], 0
.LBB197_253:
	v_add_f64 v[60:61], v[60:61], v[62:63]
	v_lshl_add_u64 v[62:63], v[126:127], 3, v[64:65]
	global_store_dwordx2 v[62:63], v[60:61], off
	s_or_b64 exec, exec, s[2:3]
	s_and_b64 s[4:5], s[24:25], s[6:7]
	s_and_saveexec_b64 s[2:3], s[4:5]
	s_cbranch_execz .LBB197_216
.LBB197_254:
	s_and_b64 vcc, exec, s[0:1]
	s_cbranch_vccnz .LBB197_256
; %bb.255:
	v_lshl_add_u64 v[60:61], v[124:125], 3, v[130:131]
	global_load_dwordx2 v[60:61], v[60:61], off
	s_waitcnt vmcnt(0)
	v_mul_f64 v[60:61], s[70:71], v[60:61]
	s_branch .LBB197_257
.LBB197_256:
	v_mov_b64_e32 v[60:61], 0
.LBB197_257:
	v_add_f64 v[58:59], v[58:59], v[60:61]
	v_lshl_add_u64 v[60:61], v[124:125], 3, v[64:65]
	global_store_dwordx2 v[60:61], v[58:59], off
	s_or_b64 exec, exec, s[2:3]
	s_and_b64 s[4:5], s[24:25], s[8:9]
	s_and_saveexec_b64 s[2:3], s[4:5]
	s_cbranch_execz .LBB197_217
.LBB197_258:
	s_and_b64 vcc, exec, s[0:1]
	s_cbranch_vccnz .LBB197_260
; %bb.259:
	v_lshl_add_u64 v[58:59], v[122:123], 3, v[130:131]
	global_load_dwordx2 v[58:59], v[58:59], off
	s_waitcnt vmcnt(0)
	v_mul_f64 v[58:59], s[70:71], v[58:59]
	s_branch .LBB197_261
.LBB197_260:
	v_mov_b64_e32 v[58:59], 0
.LBB197_261:
	v_add_f64 v[56:57], v[56:57], v[58:59]
	v_lshl_add_u64 v[58:59], v[122:123], 3, v[64:65]
	global_store_dwordx2 v[58:59], v[56:57], off
	s_or_b64 exec, exec, s[2:3]
	s_and_b64 s[4:5], s[24:25], s[10:11]
	s_and_saveexec_b64 s[2:3], s[4:5]
	s_cbranch_execz .LBB197_218
.LBB197_262:
	s_and_b64 vcc, exec, s[0:1]
	s_cbranch_vccnz .LBB197_264
; %bb.263:
	v_lshl_add_u64 v[56:57], v[120:121], 3, v[130:131]
	global_load_dwordx2 v[56:57], v[56:57], off
	s_waitcnt vmcnt(0)
	v_mul_f64 v[56:57], s[70:71], v[56:57]
	s_branch .LBB197_265
.LBB197_264:
	v_mov_b64_e32 v[56:57], 0
.LBB197_265:
	v_add_f64 v[54:55], v[54:55], v[56:57]
	v_lshl_add_u64 v[56:57], v[120:121], 3, v[64:65]
	global_store_dwordx2 v[56:57], v[54:55], off
	s_or_b64 exec, exec, s[2:3]
	s_and_b64 s[4:5], s[24:25], s[12:13]
	s_and_saveexec_b64 s[2:3], s[4:5]
	s_cbranch_execz .LBB197_219
.LBB197_266:
	s_and_b64 vcc, exec, s[0:1]
	s_cbranch_vccnz .LBB197_268
; %bb.267:
	v_lshl_add_u64 v[54:55], v[118:119], 3, v[130:131]
	global_load_dwordx2 v[54:55], v[54:55], off
	s_waitcnt vmcnt(0)
	v_mul_f64 v[54:55], s[70:71], v[54:55]
	s_branch .LBB197_269
.LBB197_268:
	v_mov_b64_e32 v[54:55], 0
.LBB197_269:
	v_add_f64 v[52:53], v[52:53], v[54:55]
	v_lshl_add_u64 v[54:55], v[118:119], 3, v[64:65]
	global_store_dwordx2 v[54:55], v[52:53], off
	s_or_b64 exec, exec, s[2:3]
	s_and_b64 s[4:5], s[24:25], s[14:15]
	s_and_saveexec_b64 s[2:3], s[4:5]
	s_cbranch_execz .LBB197_220
.LBB197_270:
	s_and_b64 vcc, exec, s[0:1]
	s_cbranch_vccnz .LBB197_272
; %bb.271:
	v_lshl_add_u64 v[52:53], v[116:117], 3, v[130:131]
	global_load_dwordx2 v[52:53], v[52:53], off
	s_waitcnt vmcnt(0)
	v_mul_f64 v[52:53], s[70:71], v[52:53]
	s_branch .LBB197_273
.LBB197_272:
	v_mov_b64_e32 v[52:53], 0
.LBB197_273:
	v_add_f64 v[50:51], v[50:51], v[52:53]
	v_lshl_add_u64 v[52:53], v[116:117], 3, v[64:65]
	global_store_dwordx2 v[52:53], v[50:51], off
	s_or_b64 exec, exec, s[2:3]
	s_and_b64 s[4:5], s[24:25], s[16:17]
	s_and_saveexec_b64 s[2:3], s[4:5]
	s_cbranch_execz .LBB197_221
.LBB197_274:
	s_and_b64 vcc, exec, s[0:1]
	s_cbranch_vccnz .LBB197_276
; %bb.275:
	v_lshl_add_u64 v[50:51], v[114:115], 3, v[130:131]
	global_load_dwordx2 v[50:51], v[50:51], off
	s_waitcnt vmcnt(0)
	v_mul_f64 v[50:51], s[70:71], v[50:51]
	s_branch .LBB197_277
.LBB197_276:
	v_mov_b64_e32 v[50:51], 0
.LBB197_277:
	v_add_f64 v[48:49], v[48:49], v[50:51]
	v_lshl_add_u64 v[50:51], v[114:115], 3, v[64:65]
	global_store_dwordx2 v[50:51], v[48:49], off
	s_or_b64 exec, exec, s[2:3]
	s_and_b64 s[4:5], s[24:25], s[18:19]
	s_and_saveexec_b64 s[2:3], s[4:5]
	s_cbranch_execz .LBB197_222
.LBB197_278:
	s_and_b64 vcc, exec, s[0:1]
	s_cbranch_vccnz .LBB197_280
; %bb.279:
	v_lshl_add_u64 v[48:49], v[112:113], 3, v[130:131]
	global_load_dwordx2 v[48:49], v[48:49], off
	s_waitcnt vmcnt(0)
	v_mul_f64 v[48:49], s[70:71], v[48:49]
	s_branch .LBB197_281
.LBB197_280:
	v_mov_b64_e32 v[48:49], 0
.LBB197_281:
	v_add_f64 v[46:47], v[46:47], v[48:49]
	v_lshl_add_u64 v[48:49], v[112:113], 3, v[64:65]
	global_store_dwordx2 v[48:49], v[46:47], off
	s_or_b64 exec, exec, s[2:3]
	s_and_b64 s[4:5], s[24:25], s[20:21]
	s_and_saveexec_b64 s[2:3], s[4:5]
	s_cbranch_execz .LBB197_223
.LBB197_282:
	s_and_b64 vcc, exec, s[0:1]
	s_cbranch_vccnz .LBB197_284
; %bb.283:
	v_lshl_add_u64 v[46:47], v[110:111], 3, v[130:131]
	global_load_dwordx2 v[46:47], v[46:47], off
	s_waitcnt vmcnt(0)
	v_mul_f64 v[46:47], s[70:71], v[46:47]
	s_branch .LBB197_285
.LBB197_284:
	v_mov_b64_e32 v[46:47], 0
.LBB197_285:
	v_add_f64 v[44:45], v[44:45], v[46:47]
	v_lshl_add_u64 v[46:47], v[110:111], 3, v[64:65]
	global_store_dwordx2 v[46:47], v[44:45], off
	s_or_b64 exec, exec, s[2:3]
	s_and_b64 s[4:5], s[24:25], s[22:23]
	s_and_saveexec_b64 s[2:3], s[4:5]
	s_cbranch_execz .LBB197_224
.LBB197_286:
	s_and_b64 vcc, exec, s[0:1]
	s_cbranch_vccnz .LBB197_288
; %bb.287:
	v_lshl_add_u64 v[44:45], v[108:109], 3, v[130:131]
	global_load_dwordx2 v[44:45], v[44:45], off
	s_waitcnt vmcnt(0)
	v_mul_f64 v[44:45], s[70:71], v[44:45]
	s_branch .LBB197_289
.LBB197_288:
	v_mov_b64_e32 v[44:45], 0
.LBB197_289:
	v_add_f64 v[42:43], v[42:43], v[44:45]
	v_lshl_add_u64 v[44:45], v[108:109], 3, v[64:65]
	global_store_dwordx2 v[44:45], v[42:43], off
	s_or_b64 exec, exec, s[2:3]
	s_and_b64 s[4:5], s[24:25], s[26:27]
	s_and_saveexec_b64 s[2:3], s[4:5]
	s_cbranch_execz .LBB197_225
.LBB197_290:
	s_and_b64 vcc, exec, s[0:1]
	s_cbranch_vccnz .LBB197_292
; %bb.291:
	v_lshl_add_u64 v[42:43], v[106:107], 3, v[130:131]
	global_load_dwordx2 v[42:43], v[42:43], off
	s_waitcnt vmcnt(0)
	v_mul_f64 v[42:43], s[70:71], v[42:43]
	s_branch .LBB197_293
.LBB197_292:
	v_mov_b64_e32 v[42:43], 0
.LBB197_293:
	v_add_f64 v[40:41], v[40:41], v[42:43]
	v_lshl_add_u64 v[42:43], v[106:107], 3, v[64:65]
	global_store_dwordx2 v[42:43], v[40:41], off
	s_or_b64 exec, exec, s[2:3]
	s_and_b64 s[4:5], s[24:25], s[28:29]
	s_and_saveexec_b64 s[2:3], s[4:5]
	s_cbranch_execz .LBB197_226
.LBB197_294:
	s_and_b64 vcc, exec, s[0:1]
	s_cbranch_vccnz .LBB197_296
; %bb.295:
	v_lshl_add_u64 v[40:41], v[104:105], 3, v[130:131]
	global_load_dwordx2 v[40:41], v[40:41], off
	s_waitcnt vmcnt(0)
	v_mul_f64 v[40:41], s[70:71], v[40:41]
	s_branch .LBB197_297
.LBB197_296:
	v_mov_b64_e32 v[40:41], 0
.LBB197_297:
	v_add_f64 v[38:39], v[38:39], v[40:41]
	v_lshl_add_u64 v[40:41], v[104:105], 3, v[64:65]
	global_store_dwordx2 v[40:41], v[38:39], off
	s_or_b64 exec, exec, s[2:3]
	s_and_b64 s[4:5], s[24:25], s[30:31]
	s_and_saveexec_b64 s[2:3], s[4:5]
	s_cbranch_execz .LBB197_227
.LBB197_298:
	s_and_b64 vcc, exec, s[0:1]
	s_cbranch_vccnz .LBB197_300
; %bb.299:
	v_lshl_add_u64 v[38:39], v[102:103], 3, v[130:131]
	global_load_dwordx2 v[38:39], v[38:39], off
	s_waitcnt vmcnt(0)
	v_mul_f64 v[38:39], s[70:71], v[38:39]
	s_branch .LBB197_301
.LBB197_300:
	v_mov_b64_e32 v[38:39], 0
.LBB197_301:
	v_add_f64 v[36:37], v[36:37], v[38:39]
	v_lshl_add_u64 v[38:39], v[102:103], 3, v[64:65]
	global_store_dwordx2 v[38:39], v[36:37], off
	s_or_b64 exec, exec, s[2:3]
	s_and_b64 s[4:5], s[24:25], s[34:35]
	s_and_saveexec_b64 s[2:3], s[4:5]
	s_cbranch_execz .LBB197_228
.LBB197_302:
	s_and_b64 vcc, exec, s[0:1]
	s_cbranch_vccnz .LBB197_304
; %bb.303:
	v_lshl_add_u64 v[36:37], v[100:101], 3, v[130:131]
	global_load_dwordx2 v[36:37], v[36:37], off
	s_waitcnt vmcnt(0)
	v_mul_f64 v[36:37], s[70:71], v[36:37]
	s_branch .LBB197_305
.LBB197_304:
	v_mov_b64_e32 v[36:37], 0
.LBB197_305:
	v_add_f64 v[34:35], v[34:35], v[36:37]
	v_lshl_add_u64 v[36:37], v[100:101], 3, v[64:65]
	global_store_dwordx2 v[36:37], v[34:35], off
	s_or_b64 exec, exec, s[2:3]
	s_and_b64 s[4:5], s[24:25], s[36:37]
	s_and_saveexec_b64 s[2:3], s[4:5]
	s_cbranch_execz .LBB197_229
.LBB197_306:
	s_and_b64 vcc, exec, s[0:1]
	s_cbranch_vccnz .LBB197_308
; %bb.307:
	v_lshl_add_u64 v[34:35], v[98:99], 3, v[130:131]
	global_load_dwordx2 v[34:35], v[34:35], off
	s_waitcnt vmcnt(0)
	v_mul_f64 v[34:35], s[70:71], v[34:35]
	s_branch .LBB197_309
.LBB197_308:
	v_mov_b64_e32 v[34:35], 0
.LBB197_309:
	v_add_f64 v[32:33], v[32:33], v[34:35]
	v_lshl_add_u64 v[34:35], v[98:99], 3, v[64:65]
	global_store_dwordx2 v[34:35], v[32:33], off
	s_or_b64 exec, exec, s[2:3]
	s_and_b64 s[4:5], s[24:25], s[38:39]
	s_and_saveexec_b64 s[2:3], s[4:5]
	s_cbranch_execz .LBB197_230
.LBB197_310:
	s_and_b64 vcc, exec, s[0:1]
	s_cbranch_vccnz .LBB197_312
; %bb.311:
	v_lshl_add_u64 v[32:33], v[96:97], 3, v[130:131]
	global_load_dwordx2 v[32:33], v[32:33], off
	s_waitcnt vmcnt(0)
	v_mul_f64 v[32:33], s[70:71], v[32:33]
	s_branch .LBB197_313
.LBB197_312:
	v_mov_b64_e32 v[32:33], 0
.LBB197_313:
	v_add_f64 v[30:31], v[30:31], v[32:33]
	v_lshl_add_u64 v[32:33], v[96:97], 3, v[64:65]
	global_store_dwordx2 v[32:33], v[30:31], off
	s_or_b64 exec, exec, s[2:3]
	s_and_b64 s[4:5], s[24:25], s[40:41]
	s_and_saveexec_b64 s[2:3], s[4:5]
	s_cbranch_execz .LBB197_231
.LBB197_314:
	s_and_b64 vcc, exec, s[0:1]
	s_cbranch_vccnz .LBB197_316
; %bb.315:
	v_lshl_add_u64 v[30:31], v[94:95], 3, v[130:131]
	global_load_dwordx2 v[30:31], v[30:31], off
	s_waitcnt vmcnt(0)
	v_mul_f64 v[30:31], s[70:71], v[30:31]
	s_branch .LBB197_317
.LBB197_316:
	v_mov_b64_e32 v[30:31], 0
.LBB197_317:
	v_add_f64 v[28:29], v[28:29], v[30:31]
	v_lshl_add_u64 v[30:31], v[94:95], 3, v[64:65]
	global_store_dwordx2 v[30:31], v[28:29], off
	s_or_b64 exec, exec, s[2:3]
	s_and_b64 s[4:5], s[24:25], s[42:43]
	s_and_saveexec_b64 s[2:3], s[4:5]
	s_cbranch_execz .LBB197_232
.LBB197_318:
	s_and_b64 vcc, exec, s[0:1]
	s_cbranch_vccnz .LBB197_320
; %bb.319:
	v_lshl_add_u64 v[28:29], v[92:93], 3, v[130:131]
	global_load_dwordx2 v[28:29], v[28:29], off
	s_waitcnt vmcnt(0)
	v_mul_f64 v[28:29], s[70:71], v[28:29]
	s_branch .LBB197_321
.LBB197_320:
	v_mov_b64_e32 v[28:29], 0
.LBB197_321:
	v_add_f64 v[26:27], v[26:27], v[28:29]
	v_lshl_add_u64 v[28:29], v[92:93], 3, v[64:65]
	global_store_dwordx2 v[28:29], v[26:27], off
	s_or_b64 exec, exec, s[2:3]
	s_and_b64 s[4:5], s[24:25], s[44:45]
	s_and_saveexec_b64 s[2:3], s[4:5]
	s_cbranch_execz .LBB197_233
.LBB197_322:
	s_and_b64 vcc, exec, s[0:1]
	s_cbranch_vccnz .LBB197_324
; %bb.323:
	v_lshl_add_u64 v[26:27], v[90:91], 3, v[130:131]
	global_load_dwordx2 v[26:27], v[26:27], off
	s_waitcnt vmcnt(0)
	v_mul_f64 v[26:27], s[70:71], v[26:27]
	s_branch .LBB197_325
.LBB197_324:
	v_mov_b64_e32 v[26:27], 0
.LBB197_325:
	v_add_f64 v[24:25], v[24:25], v[26:27]
	v_lshl_add_u64 v[26:27], v[90:91], 3, v[64:65]
	global_store_dwordx2 v[26:27], v[24:25], off
	s_or_b64 exec, exec, s[2:3]
	s_and_b64 s[4:5], s[24:25], s[46:47]
	s_and_saveexec_b64 s[2:3], s[4:5]
	s_cbranch_execz .LBB197_234
.LBB197_326:
	s_and_b64 vcc, exec, s[0:1]
	s_cbranch_vccnz .LBB197_328
; %bb.327:
	v_lshl_add_u64 v[24:25], v[88:89], 3, v[130:131]
	global_load_dwordx2 v[24:25], v[24:25], off
	s_waitcnt vmcnt(0)
	v_mul_f64 v[24:25], s[70:71], v[24:25]
	s_branch .LBB197_329
.LBB197_328:
	v_mov_b64_e32 v[24:25], 0
.LBB197_329:
	v_add_f64 v[22:23], v[22:23], v[24:25]
	v_lshl_add_u64 v[24:25], v[88:89], 3, v[64:65]
	global_store_dwordx2 v[24:25], v[22:23], off
	s_or_b64 exec, exec, s[2:3]
	s_and_b64 s[4:5], s[24:25], s[48:49]
	s_and_saveexec_b64 s[2:3], s[4:5]
	s_cbranch_execz .LBB197_235
.LBB197_330:
	s_and_b64 vcc, exec, s[0:1]
	s_cbranch_vccnz .LBB197_332
; %bb.331:
	v_lshl_add_u64 v[22:23], v[86:87], 3, v[130:131]
	global_load_dwordx2 v[22:23], v[22:23], off
	s_waitcnt vmcnt(0)
	v_mul_f64 v[22:23], s[70:71], v[22:23]
	s_branch .LBB197_333
.LBB197_332:
	v_mov_b64_e32 v[22:23], 0
.LBB197_333:
	v_add_f64 v[20:21], v[20:21], v[22:23]
	v_lshl_add_u64 v[22:23], v[86:87], 3, v[64:65]
	global_store_dwordx2 v[22:23], v[20:21], off
	s_or_b64 exec, exec, s[2:3]
	s_and_b64 s[4:5], s[24:25], s[50:51]
	s_and_saveexec_b64 s[2:3], s[4:5]
	s_cbranch_execz .LBB197_236
.LBB197_334:
	s_and_b64 vcc, exec, s[0:1]
	s_cbranch_vccnz .LBB197_336
; %bb.335:
	v_lshl_add_u64 v[20:21], v[84:85], 3, v[130:131]
	global_load_dwordx2 v[20:21], v[20:21], off
	s_waitcnt vmcnt(0)
	v_mul_f64 v[20:21], s[70:71], v[20:21]
	s_branch .LBB197_337
.LBB197_336:
	v_mov_b64_e32 v[20:21], 0
.LBB197_337:
	v_add_f64 v[18:19], v[18:19], v[20:21]
	v_lshl_add_u64 v[20:21], v[84:85], 3, v[64:65]
	global_store_dwordx2 v[20:21], v[18:19], off
	s_or_b64 exec, exec, s[2:3]
	s_and_b64 s[4:5], s[24:25], s[52:53]
	s_and_saveexec_b64 s[2:3], s[4:5]
	s_cbranch_execz .LBB197_237
.LBB197_338:
	s_and_b64 vcc, exec, s[0:1]
	s_cbranch_vccnz .LBB197_340
; %bb.339:
	v_lshl_add_u64 v[18:19], v[82:83], 3, v[130:131]
	global_load_dwordx2 v[18:19], v[18:19], off
	s_waitcnt vmcnt(0)
	v_mul_f64 v[18:19], s[70:71], v[18:19]
	s_branch .LBB197_341
.LBB197_340:
	v_mov_b64_e32 v[18:19], 0
.LBB197_341:
	v_add_f64 v[16:17], v[16:17], v[18:19]
	v_lshl_add_u64 v[18:19], v[82:83], 3, v[64:65]
	global_store_dwordx2 v[18:19], v[16:17], off
	s_or_b64 exec, exec, s[2:3]
	s_and_b64 s[4:5], s[24:25], s[54:55]
	s_and_saveexec_b64 s[2:3], s[4:5]
	s_cbranch_execz .LBB197_238
.LBB197_342:
	s_and_b64 vcc, exec, s[0:1]
	s_cbranch_vccnz .LBB197_344
; %bb.343:
	v_lshl_add_u64 v[16:17], v[80:81], 3, v[130:131]
	global_load_dwordx2 v[16:17], v[16:17], off
	s_waitcnt vmcnt(0)
	v_mul_f64 v[16:17], s[70:71], v[16:17]
	s_branch .LBB197_345
.LBB197_344:
	v_mov_b64_e32 v[16:17], 0
.LBB197_345:
	v_add_f64 v[14:15], v[14:15], v[16:17]
	v_lshl_add_u64 v[16:17], v[80:81], 3, v[64:65]
	global_store_dwordx2 v[16:17], v[14:15], off
	s_or_b64 exec, exec, s[2:3]
	s_and_b64 s[4:5], s[24:25], s[56:57]
	s_and_saveexec_b64 s[2:3], s[4:5]
	s_cbranch_execz .LBB197_239
.LBB197_346:
	s_and_b64 vcc, exec, s[0:1]
	s_cbranch_vccnz .LBB197_348
; %bb.347:
	v_lshl_add_u64 v[14:15], v[78:79], 3, v[130:131]
	global_load_dwordx2 v[14:15], v[14:15], off
	s_waitcnt vmcnt(0)
	v_mul_f64 v[14:15], s[70:71], v[14:15]
	s_branch .LBB197_349
.LBB197_348:
	v_mov_b64_e32 v[14:15], 0
.LBB197_349:
	v_add_f64 v[12:13], v[12:13], v[14:15]
	v_lshl_add_u64 v[14:15], v[78:79], 3, v[64:65]
	global_store_dwordx2 v[14:15], v[12:13], off
	s_or_b64 exec, exec, s[2:3]
	s_and_b64 s[4:5], s[24:25], s[58:59]
	s_and_saveexec_b64 s[2:3], s[4:5]
	s_cbranch_execz .LBB197_240
.LBB197_350:
	s_and_b64 vcc, exec, s[0:1]
	s_cbranch_vccnz .LBB197_352
; %bb.351:
	v_lshl_add_u64 v[12:13], v[76:77], 3, v[130:131]
	global_load_dwordx2 v[12:13], v[12:13], off
	s_waitcnt vmcnt(0)
	v_mul_f64 v[12:13], s[70:71], v[12:13]
	s_branch .LBB197_353
.LBB197_352:
	v_mov_b64_e32 v[12:13], 0
.LBB197_353:
	v_add_f64 v[10:11], v[10:11], v[12:13]
	v_lshl_add_u64 v[12:13], v[76:77], 3, v[64:65]
	global_store_dwordx2 v[12:13], v[10:11], off
	s_or_b64 exec, exec, s[2:3]
	s_and_b64 s[4:5], s[24:25], s[60:61]
	s_and_saveexec_b64 s[2:3], s[4:5]
	s_cbranch_execz .LBB197_241
.LBB197_354:
	s_and_b64 vcc, exec, s[0:1]
	s_cbranch_vccnz .LBB197_356
; %bb.355:
	v_lshl_add_u64 v[10:11], v[74:75], 3, v[130:131]
	global_load_dwordx2 v[10:11], v[10:11], off
	s_waitcnt vmcnt(0)
	v_mul_f64 v[10:11], s[70:71], v[10:11]
	s_branch .LBB197_357
.LBB197_356:
	v_mov_b64_e32 v[10:11], 0
.LBB197_357:
	v_add_f64 v[8:9], v[8:9], v[10:11]
	v_lshl_add_u64 v[10:11], v[74:75], 3, v[64:65]
	global_store_dwordx2 v[10:11], v[8:9], off
	s_or_b64 exec, exec, s[2:3]
	s_and_b64 s[4:5], s[24:25], s[62:63]
	s_and_saveexec_b64 s[2:3], s[4:5]
	s_cbranch_execz .LBB197_242
.LBB197_358:
	s_and_b64 vcc, exec, s[0:1]
	s_cbranch_vccnz .LBB197_360
; %bb.359:
	v_lshl_add_u64 v[8:9], v[72:73], 3, v[130:131]
	global_load_dwordx2 v[8:9], v[8:9], off
	s_waitcnt vmcnt(0)
	v_mul_f64 v[8:9], s[70:71], v[8:9]
	s_branch .LBB197_361
.LBB197_360:
	v_mov_b64_e32 v[8:9], 0
.LBB197_361:
	v_add_f64 v[6:7], v[6:7], v[8:9]
	v_lshl_add_u64 v[8:9], v[72:73], 3, v[64:65]
	global_store_dwordx2 v[8:9], v[6:7], off
	s_or_b64 exec, exec, s[2:3]
	s_and_b64 s[4:5], s[24:25], s[64:65]
	s_and_saveexec_b64 s[2:3], s[4:5]
	s_cbranch_execz .LBB197_243
.LBB197_362:
	s_and_b64 vcc, exec, s[0:1]
	s_cbranch_vccnz .LBB197_364
; %bb.363:
	v_lshl_add_u64 v[6:7], v[70:71], 3, v[130:131]
	global_load_dwordx2 v[6:7], v[6:7], off
	s_waitcnt vmcnt(0)
	v_mul_f64 v[6:7], s[70:71], v[6:7]
	s_branch .LBB197_365
.LBB197_364:
	v_mov_b64_e32 v[6:7], 0
.LBB197_365:
	v_add_f64 v[4:5], v[4:5], v[6:7]
	v_lshl_add_u64 v[6:7], v[70:71], 3, v[64:65]
	global_store_dwordx2 v[6:7], v[4:5], off
	s_or_b64 exec, exec, s[2:3]
	s_and_b64 s[4:5], s[24:25], s[66:67]
	s_and_saveexec_b64 s[2:3], s[4:5]
	s_cbranch_execz .LBB197_244
.LBB197_366:
	s_and_b64 vcc, exec, s[0:1]
	s_cbranch_vccnz .LBB197_368
; %bb.367:
	v_lshl_add_u64 v[4:5], v[68:69], 3, v[130:131]
	global_load_dwordx2 v[4:5], v[4:5], off
	s_waitcnt vmcnt(0)
	v_mul_f64 v[4:5], s[70:71], v[4:5]
	s_branch .LBB197_369
.LBB197_368:
	v_mov_b64_e32 v[4:5], 0
.LBB197_369:
	v_add_f64 v[2:3], v[2:3], v[4:5]
	v_lshl_add_u64 v[4:5], v[68:69], 3, v[64:65]
	global_store_dwordx2 v[4:5], v[2:3], off
	s_or_b64 exec, exec, s[2:3]
	s_and_b64 s[2:3], s[24:25], s[68:69]
	s_and_saveexec_b64 s[4:5], s[2:3]
	s_cbranch_execz .LBB197_245
.LBB197_370:
	s_and_b64 vcc, exec, s[0:1]
	s_cbranch_vccnz .LBB197_372
; %bb.371:
	v_lshl_add_u64 v[2:3], v[66:67], 3, v[130:131]
	global_load_dwordx2 v[2:3], v[2:3], off
	s_waitcnt vmcnt(0)
	v_mul_f64 v[2:3], s[70:71], v[2:3]
	v_add_f64 v[0:1], v[0:1], v[2:3]
	v_lshl_add_u64 v[2:3], v[66:67], 3, v[64:65]
	global_store_dwordx2 v[2:3], v[0:1], off
	s_endpgm
.LBB197_372:
	v_mov_b64_e32 v[2:3], 0
	v_add_f64 v[0:1], v[0:1], v[2:3]
	v_lshl_add_u64 v[2:3], v[66:67], 3, v[64:65]
	global_store_dwordx2 v[2:3], v[0:1], off
	s_endpgm
	.section	.rodata,"a",@progbits
	.p2align	6, 0x0
	.amdhsa_kernel _ZN12_GLOBAL__N_120geam_min_plus_kernelIdddLi4ELi64ELi128ELi128ELi4ELi64ELi4ELi64ELi4ELc78ELc84ELb0ELb1ELb0EdKddEEviiiT16_PT17_ilS4_ilS2_S4_ilPT18_ili26rocblas_geam_ex_operation_
		.amdhsa_group_segment_fixed_size 16384
		.amdhsa_private_segment_fixed_size 0
		.amdhsa_kernarg_size 136
		.amdhsa_user_sgpr_count 2
		.amdhsa_user_sgpr_dispatch_ptr 0
		.amdhsa_user_sgpr_queue_ptr 0
		.amdhsa_user_sgpr_kernarg_segment_ptr 1
		.amdhsa_user_sgpr_dispatch_id 0
		.amdhsa_user_sgpr_kernarg_preload_length 0
		.amdhsa_user_sgpr_kernarg_preload_offset 0
		.amdhsa_user_sgpr_private_segment_size 0
		.amdhsa_uses_dynamic_stack 0
		.amdhsa_enable_private_segment 0
		.amdhsa_system_sgpr_workgroup_id_x 1
		.amdhsa_system_sgpr_workgroup_id_y 0
		.amdhsa_system_sgpr_workgroup_id_z 1
		.amdhsa_system_sgpr_workgroup_info 0
		.amdhsa_system_vgpr_workitem_id 1
		.amdhsa_next_free_vgpr 252
		.amdhsa_next_free_sgpr 82
		.amdhsa_accum_offset 252
		.amdhsa_reserve_vcc 1
		.amdhsa_float_round_mode_32 0
		.amdhsa_float_round_mode_16_64 0
		.amdhsa_float_denorm_mode_32 3
		.amdhsa_float_denorm_mode_16_64 3
		.amdhsa_dx10_clamp 1
		.amdhsa_ieee_mode 1
		.amdhsa_fp16_overflow 0
		.amdhsa_tg_split 0
		.amdhsa_exception_fp_ieee_invalid_op 0
		.amdhsa_exception_fp_denorm_src 0
		.amdhsa_exception_fp_ieee_div_zero 0
		.amdhsa_exception_fp_ieee_overflow 0
		.amdhsa_exception_fp_ieee_underflow 0
		.amdhsa_exception_fp_ieee_inexact 0
		.amdhsa_exception_int_div_zero 0
	.end_amdhsa_kernel
	.section	.text._ZN12_GLOBAL__N_120geam_min_plus_kernelIdddLi4ELi64ELi128ELi128ELi4ELi64ELi4ELi64ELi4ELc78ELc84ELb0ELb1ELb0EdKddEEviiiT16_PT17_ilS4_ilS2_S4_ilPT18_ili26rocblas_geam_ex_operation_,"axG",@progbits,_ZN12_GLOBAL__N_120geam_min_plus_kernelIdddLi4ELi64ELi128ELi128ELi4ELi64ELi4ELi64ELi4ELc78ELc84ELb0ELb1ELb0EdKddEEviiiT16_PT17_ilS4_ilS2_S4_ilPT18_ili26rocblas_geam_ex_operation_,comdat
.Lfunc_end197:
	.size	_ZN12_GLOBAL__N_120geam_min_plus_kernelIdddLi4ELi64ELi128ELi128ELi4ELi64ELi4ELi64ELi4ELc78ELc84ELb0ELb1ELb0EdKddEEviiiT16_PT17_ilS4_ilS2_S4_ilPT18_ili26rocblas_geam_ex_operation_, .Lfunc_end197-_ZN12_GLOBAL__N_120geam_min_plus_kernelIdddLi4ELi64ELi128ELi128ELi4ELi64ELi4ELi64ELi4ELc78ELc84ELb0ELb1ELb0EdKddEEviiiT16_PT17_ilS4_ilS2_S4_ilPT18_ili26rocblas_geam_ex_operation_
                                        ; -- End function
	.set _ZN12_GLOBAL__N_120geam_min_plus_kernelIdddLi4ELi64ELi128ELi128ELi4ELi64ELi4ELi64ELi4ELc78ELc84ELb0ELb1ELb0EdKddEEviiiT16_PT17_ilS4_ilS2_S4_ilPT18_ili26rocblas_geam_ex_operation_.num_vgpr, 252
	.set _ZN12_GLOBAL__N_120geam_min_plus_kernelIdddLi4ELi64ELi128ELi128ELi4ELi64ELi4ELi64ELi4ELc78ELc84ELb0ELb1ELb0EdKddEEviiiT16_PT17_ilS4_ilS2_S4_ilPT18_ili26rocblas_geam_ex_operation_.num_agpr, 0
	.set _ZN12_GLOBAL__N_120geam_min_plus_kernelIdddLi4ELi64ELi128ELi128ELi4ELi64ELi4ELi64ELi4ELc78ELc84ELb0ELb1ELb0EdKddEEviiiT16_PT17_ilS4_ilS2_S4_ilPT18_ili26rocblas_geam_ex_operation_.numbered_sgpr, 82
	.set _ZN12_GLOBAL__N_120geam_min_plus_kernelIdddLi4ELi64ELi128ELi128ELi4ELi64ELi4ELi64ELi4ELc78ELc84ELb0ELb1ELb0EdKddEEviiiT16_PT17_ilS4_ilS2_S4_ilPT18_ili26rocblas_geam_ex_operation_.num_named_barrier, 0
	.set _ZN12_GLOBAL__N_120geam_min_plus_kernelIdddLi4ELi64ELi128ELi128ELi4ELi64ELi4ELi64ELi4ELc78ELc84ELb0ELb1ELb0EdKddEEviiiT16_PT17_ilS4_ilS2_S4_ilPT18_ili26rocblas_geam_ex_operation_.private_seg_size, 0
	.set _ZN12_GLOBAL__N_120geam_min_plus_kernelIdddLi4ELi64ELi128ELi128ELi4ELi64ELi4ELi64ELi4ELc78ELc84ELb0ELb1ELb0EdKddEEviiiT16_PT17_ilS4_ilS2_S4_ilPT18_ili26rocblas_geam_ex_operation_.uses_vcc, 1
	.set _ZN12_GLOBAL__N_120geam_min_plus_kernelIdddLi4ELi64ELi128ELi128ELi4ELi64ELi4ELi64ELi4ELc78ELc84ELb0ELb1ELb0EdKddEEviiiT16_PT17_ilS4_ilS2_S4_ilPT18_ili26rocblas_geam_ex_operation_.uses_flat_scratch, 0
	.set _ZN12_GLOBAL__N_120geam_min_plus_kernelIdddLi4ELi64ELi128ELi128ELi4ELi64ELi4ELi64ELi4ELc78ELc84ELb0ELb1ELb0EdKddEEviiiT16_PT17_ilS4_ilS2_S4_ilPT18_ili26rocblas_geam_ex_operation_.has_dyn_sized_stack, 0
	.set _ZN12_GLOBAL__N_120geam_min_plus_kernelIdddLi4ELi64ELi128ELi128ELi4ELi64ELi4ELi64ELi4ELc78ELc84ELb0ELb1ELb0EdKddEEviiiT16_PT17_ilS4_ilS2_S4_ilPT18_ili26rocblas_geam_ex_operation_.has_recursion, 0
	.set _ZN12_GLOBAL__N_120geam_min_plus_kernelIdddLi4ELi64ELi128ELi128ELi4ELi64ELi4ELi64ELi4ELc78ELc84ELb0ELb1ELb0EdKddEEviiiT16_PT17_ilS4_ilS2_S4_ilPT18_ili26rocblas_geam_ex_operation_.has_indirect_call, 0
	.section	.AMDGPU.csdata,"",@progbits
; Kernel info:
; codeLenInByte = 14628
; TotalNumSgprs: 88
; NumVgprs: 252
; NumAgprs: 0
; TotalNumVgprs: 252
; ScratchSize: 0
; MemoryBound: 0
; FloatMode: 240
; IeeeMode: 1
; LDSByteSize: 16384 bytes/workgroup (compile time only)
; SGPRBlocks: 10
; VGPRBlocks: 31
; NumSGPRsForWavesPerEU: 88
; NumVGPRsForWavesPerEU: 252
; AccumOffset: 252
; Occupancy: 2
; WaveLimiterHint : 0
; COMPUTE_PGM_RSRC2:SCRATCH_EN: 0
; COMPUTE_PGM_RSRC2:USER_SGPR: 2
; COMPUTE_PGM_RSRC2:TRAP_HANDLER: 0
; COMPUTE_PGM_RSRC2:TGID_X_EN: 1
; COMPUTE_PGM_RSRC2:TGID_Y_EN: 0
; COMPUTE_PGM_RSRC2:TGID_Z_EN: 1
; COMPUTE_PGM_RSRC2:TIDIG_COMP_CNT: 1
; COMPUTE_PGM_RSRC3_GFX90A:ACCUM_OFFSET: 62
; COMPUTE_PGM_RSRC3_GFX90A:TG_SPLIT: 0
	.section	.text._ZN12_GLOBAL__N_120geam_min_plus_kernelIdddLi4ELi64ELi128ELi128ELi4ELi4ELi64ELi64ELi4ELc84ELc84ELb0ELb0ELb0EPKdS1_dEEviiiT16_PT17_ilS5_ilS3_S5_ilPT18_ili26rocblas_geam_ex_operation_,"axG",@progbits,_ZN12_GLOBAL__N_120geam_min_plus_kernelIdddLi4ELi64ELi128ELi128ELi4ELi4ELi64ELi64ELi4ELc84ELc84ELb0ELb0ELb0EPKdS1_dEEviiiT16_PT17_ilS5_ilS3_S5_ilPT18_ili26rocblas_geam_ex_operation_,comdat
	.globl	_ZN12_GLOBAL__N_120geam_min_plus_kernelIdddLi4ELi64ELi128ELi128ELi4ELi4ELi64ELi64ELi4ELc84ELc84ELb0ELb0ELb0EPKdS1_dEEviiiT16_PT17_ilS5_ilS3_S5_ilPT18_ili26rocblas_geam_ex_operation_ ; -- Begin function _ZN12_GLOBAL__N_120geam_min_plus_kernelIdddLi4ELi64ELi128ELi128ELi4ELi4ELi64ELi64ELi4ELc84ELc84ELb0ELb0ELb0EPKdS1_dEEviiiT16_PT17_ilS5_ilS3_S5_ilPT18_ili26rocblas_geam_ex_operation_
	.p2align	8
	.type	_ZN12_GLOBAL__N_120geam_min_plus_kernelIdddLi4ELi64ELi128ELi128ELi4ELi4ELi64ELi64ELi4ELc84ELc84ELb0ELb0ELb0EPKdS1_dEEviiiT16_PT17_ilS5_ilS3_S5_ilPT18_ili26rocblas_geam_ex_operation_,@function
_ZN12_GLOBAL__N_120geam_min_plus_kernelIdddLi4ELi64ELi128ELi128ELi4ELi4ELi64ELi64ELi4ELc84ELc84ELb0ELb0ELb0EPKdS1_dEEviiiT16_PT17_ilS5_ilS3_S5_ilPT18_ili26rocblas_geam_ex_operation_: ; @_ZN12_GLOBAL__N_120geam_min_plus_kernelIdddLi4ELi64ELi128ELi128ELi4ELi4ELi64ELi64ELi4ELc84ELc84ELb0ELb0ELb0EPKdS1_dEEviiiT16_PT17_ilS5_ilS3_S5_ilPT18_ili26rocblas_geam_ex_operation_
; %bb.0:
	s_load_dwordx4 s[4:7], s[0:1], 0x10
	s_load_dwordx4 s[8:11], s[0:1], 0x28
	;; [unrolled: 1-line block ×3, first 2 shown]
	s_mov_b32 s18, s3
	s_mov_b32 s19, 0
	s_lshl_b64 s[16:17], s[18:19], 3
	s_waitcnt lgkmcnt(0)
	s_add_u32 s4, s4, s16
	s_addc_u32 s5, s5, s17
	s_load_dwordx2 s[20:21], s[4:5], 0x0
	s_load_dwordx2 s[26:27], s[0:1], 0x50
	s_add_u32 s14, s14, s16
	s_addc_u32 s15, s15, s17
	s_mov_b64 s[24:25], 0
	s_waitcnt lgkmcnt(0)
	v_cmp_eq_f64_e64 s[4:5], s[20:21], 0
	s_and_b64 s[4:5], exec, s[4:5]
	v_cmp_neq_f64_e64 s[28:29], s[20:21], 0
	s_mov_b64 s[22:23], 0
	s_mov_b64 vcc, s[4:5]
	s_cbranch_vccnz .LBB198_2
; %bb.1:
	s_mul_i32 s3, s9, s18
	s_mul_hi_u32 s9, s8, s18
	s_add_i32 s9, s9, s3
	s_mul_i32 s8, s8, s18
	s_lshl_b64 s[8:9], s[8:9], 3
	s_add_u32 s22, s6, s8
	s_addc_u32 s23, s7, s9
.LBB198_2:
	s_load_dwordx2 s[16:17], s[14:15], 0x0
	v_cndmask_b32_e64 v1, 0, 1, s[28:29]
	v_cmp_ne_u32_e64 s[6:7], 1, v1
	s_andn2_b64 vcc, exec, s[28:29]
	s_cbranch_vccnz .LBB198_4
; %bb.3:
	s_mul_i32 s3, s13, s18
	s_mul_hi_u32 s8, s12, s18
	s_add_i32 s9, s8, s3
	s_mul_i32 s8, s12, s18
	s_lshl_b64 s[8:9], s[8:9], 3
	s_add_u32 s24, s10, s8
	s_addc_u32 s25, s11, s9
.LBB198_4:
	s_load_dwordx4 s[12:15], s[0:1], 0x60
	s_waitcnt lgkmcnt(0)
	v_cmp_eq_f64_e64 s[8:9], s[16:17], 0
	s_and_b64 s[8:9], exec, s[8:9]
	s_mov_b64 s[10:11], 0
	s_mov_b64 vcc, s[8:9]
	s_cbranch_vccnz .LBB198_6
; %bb.5:
	s_mul_i32 s3, s13, s18
	s_mul_hi_u32 s10, s12, s18
	s_add_i32 s11, s10, s3
	s_mul_i32 s10, s12, s18
	s_lshl_b64 s[10:11], s[10:11], 3
	s_add_u32 s10, s26, s10
	s_addc_u32 s11, s27, s11
.LBB198_6:
	s_load_dword s3, s[0:1], 0x0
	s_load_dword s28, s[0:1], 0x20
	v_and_b32_e32 v148, 0x3ff, v0
	v_bfe_u32 v149, v0, 10, 10
	v_and_b32_e32 v150, 3, v0
	s_waitcnt lgkmcnt(0)
	s_add_i32 s3, s3, -1
	s_ashr_i32 s12, s3, 31
	s_lshr_b32 s12, s12, 25
	s_add_i32 s3, s3, s12
	s_ashr_i32 s3, s3, 7
	s_add_i32 s12, s3, 1
	v_cvt_f32_u32_e32 v1, s12
	s_not_b32 s3, s3
	v_lshl_add_u32 v2, v149, 2, v148
	v_lshrrev_b32_e32 v141, 2, v2
	v_rcp_iflag_f32_e32 v3, v1
	v_mov_b32_e32 v1, 0
	v_mul_f32_e32 v0, 0x4f7ffffe, v3
	v_cvt_u32_f32_e32 v3, v0
	v_lshlrev_b32_e32 v0, 3, v150
	v_lshl_add_u64 v[6:7], s[22:23], 0, v[0:1]
	v_readfirstlane_b32 s13, v3
	s_mul_i32 s3, s3, s13
	s_mul_hi_u32 s3, s13, s3
	s_add_i32 s13, s13, s3
	s_mul_hi_u32 s3, s2, s13
	s_mul_i32 s13, s3, s12
	s_sub_i32 s13, s2, s13
	s_add_i32 s19, s3, 1
	s_sub_i32 s26, s13, s12
	s_cmp_ge_u32 s13, s12
	s_cselect_b32 s3, s19, s3
	s_cselect_b32 s13, s26, s13
	s_add_i32 s19, s3, 1
	s_cmp_ge_u32 s13, s12
	s_cselect_b32 s3, s19, s3
	s_mul_i32 s12, s3, s12
	s_sub_i32 s2, s2, s12
	s_lshl_b32 s12, s2, 7
	s_and_b64 vcc, exec, s[6:7]
	v_add_u32_e32 v140, s12, v141
	s_cbranch_vccnz .LBB198_8
; %bb.7:
	v_mad_i64_i32 v[4:5], s[26:27], v140, s28, 0
	v_lshl_add_u64 v[4:5], v[4:5], 3, v[6:7]
	global_load_dwordx2 v[4:5], v[4:5], off
	s_waitcnt vmcnt(0)
	v_mul_f64 v[4:5], s[20:21], v[4:5]
	s_branch .LBB198_9
.LBB198_8:
	v_mov_b64_e32 v[4:5], 0
.LBB198_9:
	s_load_dword s19, s[0:1], 0x38
	v_and_b32_e32 v14, 63, v2
	s_lshl_b32 s13, s3, 7
	s_mov_b64 vcc, s[4:5]
	s_waitcnt lgkmcnt(0)
	s_ashr_i32 s26, s19, 31
	s_cbranch_vccz .LBB198_11
; %bb.10:
	s_mov_b32 s2, 0
	v_mov_b32_e32 v8, s2
	v_mov_b32_e32 v9, s2
	s_mov_b64 s[2:3], 0
	s_branch .LBB198_12
.LBB198_11:
	s_mov_b64 s[2:3], -1
                                        ; implicit-def: $vgpr8_vgpr9
.LBB198_12:
	v_lshrrev_b32_e32 v151, 6, v2
	v_or_b32_e32 v2, s13, v14
	v_mov_b64_e32 v[132:133], 0
	s_andn2_b64 vcc, exec, s[2:3]
	v_add_u32_e32 v1, 64, v140
	v_ashrrev_i32_e32 v3, 31, v2
	v_mov_b64_e32 v[10:11], 0
	v_mov_b64_e32 v[12:13], 0
	s_cbranch_vccnz .LBB198_14
; %bb.13:
	v_mad_i64_i32 v[10:11], s[2:3], s19, v151, 0
	v_mad_i64_i32 v[8:9], s[2:3], v1, s28, 0
	v_lshl_add_u64 v[10:11], v[10:11], 3, s[24:25]
	v_lshl_add_u64 v[8:9], v[8:9], 3, v[6:7]
	v_lshl_add_u64 v[10:11], v[2:3], 3, v[10:11]
	global_load_dwordx2 v[8:9], v[8:9], off
	s_nop 0
	global_load_dwordx2 v[12:13], v[10:11], off
	global_load_dwordx2 v[16:17], v[10:11], off offset:512
	s_waitcnt vmcnt(2)
	v_mul_f64 v[8:9], s[20:21], v[8:9]
	s_waitcnt vmcnt(1)
	v_mul_f64 v[12:13], s[20:21], v[12:13]
	s_waitcnt vmcnt(0)
	v_mul_f64 v[10:11], s[20:21], v[16:17]
.LBB198_14:
	s_and_b64 vcc, exec, s[6:7]
	s_cbranch_vccnz .LBB198_16
; %bb.15:
	v_mad_i64_i32 v[16:17], s[2:3], v140, s28, 0
	v_lshl_add_u64 v[16:17], v[16:17], 3, v[6:7]
	global_load_dwordx2 v[16:17], v[16:17], off offset:32
	s_waitcnt vmcnt(0)
	v_mul_f64 v[132:133], s[20:21], v[16:17]
.LBB198_16:
	s_mov_b64 vcc, s[4:5]
	s_cbranch_vccz .LBB198_18
; %bb.17:
	s_mov_b32 s2, 0
	v_mov_b32_e32 v134, s2
	v_mov_b32_e32 v135, s2
	s_mov_b64 s[2:3], 0
	s_branch .LBB198_19
.LBB198_18:
	s_mov_b64 s[2:3], -1
                                        ; implicit-def: $vgpr134_vgpr135
.LBB198_19:
	v_mov_b64_e32 v[124:125], 0
	s_andn2_b64 vcc, exec, s[2:3]
	v_add_u32_e32 v153, 4, v151
	v_mov_b64_e32 v[136:137], 0
	v_mov_b64_e32 v[138:139], 0
	s_cbranch_vccnz .LBB198_21
; %bb.20:
	v_mad_i64_i32 v[16:17], s[2:3], v1, s28, 0
	v_lshl_add_u64 v[6:7], v[16:17], 3, v[6:7]
	v_mad_i64_i32 v[16:17], s[2:3], s19, v153, 0
	v_lshl_add_u64 v[16:17], v[16:17], 3, s[24:25]
	v_lshl_add_u64 v[16:17], v[2:3], 3, v[16:17]
	global_load_dwordx2 v[6:7], v[6:7], off offset:32
	s_nop 0
	global_load_dwordx2 v[18:19], v[16:17], off
	global_load_dwordx2 v[20:21], v[16:17], off offset:512
	s_waitcnt vmcnt(2)
	v_mul_f64 v[134:135], s[20:21], v[6:7]
	s_waitcnt vmcnt(1)
	v_mul_f64 v[138:139], s[20:21], v[18:19]
	;; [unrolled: 2-line block ×3, first 2 shown]
.LBB198_21:
	v_lshlrev_b32_e32 v6, 5, v141
	v_lshl_or_b32 v154, v150, 3, v6
	ds_write2st64_b64 v154, v[4:5], v[8:9] offset1:4
	v_lshlrev_b32_e32 v4, 3, v151
	v_lshl_add_u32 v143, v14, 5, v4
	v_lshlrev_b32_e32 v142, 5, v149
	v_or_b32_e32 v155, 0x2000, v143
	ds_write2st64_b64 v143, v[12:13], v[10:11] offset0:16 offset1:20
	v_lshlrev_b32_e32 v156, 5, v148
	v_add_u32_e32 v157, 0x2000, v142
	s_mov_b32 s2, 0
	v_mov_b64_e32 v[130:131], 0
	v_mov_b64_e32 v[128:129], 0
	;; [unrolled: 1-line block ×63, first 2 shown]
	s_waitcnt lgkmcnt(0)
	s_barrier
.LBB198_22:                             ; =>This Inner Loop Header: Depth=1
	v_add_u32_e32 v152, s2, v156
	v_add_u32_e32 v186, s2, v157
	ds_read2_b64 v[144:147], v152 offset1:16
	ds_read2_b64 v[158:161], v152 offset0:32 offset1:48
	ds_read2_b64 v[162:165], v152 offset0:64 offset1:80
	;; [unrolled: 1-line block ×7, first 2 shown]
	ds_read2st64_b64 v[186:189], v186 offset1:4
	v_add_u32_e32 v152, 0x800, v152
	ds_read2_b64 v[190:193], v152 offset1:16
	ds_read2_b64 v[194:197], v152 offset0:32 offset1:48
	ds_read2_b64 v[198:201], v152 offset0:64 offset1:80
	;; [unrolled: 1-line block ×7, first 2 shown]
	s_waitcnt lgkmcnt(14)
	v_max_f64 v[144:145], v[144:145], v[144:145]
	v_max_f64 v[146:147], v[146:147], v[146:147]
	;; [unrolled: 1-line block ×6, first 2 shown]
	s_waitcnt lgkmcnt(13)
	v_max_f64 v[166:167], v[166:167], v[166:167]
	v_max_f64 v[168:169], v[168:169], v[168:169]
	s_waitcnt lgkmcnt(12)
	v_max_f64 v[170:171], v[170:171], v[170:171]
	v_max_f64 v[172:173], v[172:173], v[172:173]
	;; [unrolled: 3-line block ×14, first 2 shown]
	v_min_f64 v[222:223], v[144:145], v[186:187]
	v_min_f64 v[224:225], v[146:147], v[186:187]
	;; [unrolled: 1-line block ×32, first 2 shown]
	s_add_i32 s2, s2, 8
	v_add_f64 v[66:67], v[66:67], v[144:145]
	v_add_f64 v[64:65], v[64:65], v[146:147]
	;; [unrolled: 1-line block ×16, first 2 shown]
	v_min_f64 v[144:145], v[190:191], v[186:187]
	v_min_f64 v[146:147], v[192:193], v[186:187]
	;; [unrolled: 1-line block ×32, first 2 shown]
	s_cmp_eq_u32 s2, 32
	v_add_f64 v[124:125], v[124:125], v[222:223]
	v_add_f64 v[130:131], v[130:131], v[224:225]
	;; [unrolled: 1-line block ×48, first 2 shown]
	s_cbranch_scc0 .LBB198_22
; %bb.23:
	s_load_dword s27, s[0:1], 0x8
	v_lshl_or_b32 v0, v141, 5, v0
	ds_write2st64_b64 v0, v[132:133], v[134:135] offset0:8 offset1:12
	ds_write2st64_b64 v143, v[138:139], v[136:137] offset0:24 offset1:28
	s_waitcnt lgkmcnt(0)
	s_barrier
	s_cmp_gt_i32 s27, 8
	s_cbranch_scc1 .LBB198_25
; %bb.24:
	v_add_u32_e32 v152, 0x3000, v142
	s_cbranch_execz .LBB198_26
	s_branch .LBB198_44
.LBB198_25:
                                        ; implicit-def: $vgpr152
.LBB198_26:
	v_add_u32_e32 v158, 0x1000, v0
	v_mov_b32_e32 v0, 0x1000
	v_or_b32_e32 v159, 0x3000, v143
	s_add_i32 s27, s27, -8
	v_mad_i64_i32 v[132:133], s[2:3], v140, s28, 0
	v_mad_i64_i32 v[134:135], s[2:3], v1, s28, 0
	v_lshl_add_u64 v[136:137], v[2:3], 3, s[24:25]
	v_lshl_add_u32 v160, v148, 5, v0
	v_add_u32_e32 v152, 0x3000, v142
	s_mov_b32 s24, 8
	s_mov_b32 s25, 0
	v_mov_b32_e32 v139, 0
	s_mov_b32 s28, 0
.LBB198_27:                             ; =>This Loop Header: Depth=1
                                        ;     Child Loop BB198_33 Depth 2
                                        ;     Child Loop BB198_40 Depth 2
	v_or_b32_e32 v138, s24, v150
	v_lshl_add_u64 v[140:141], v[138:139], 3, s[22:23]
	s_and_b64 vcc, exec, s[6:7]
	v_lshl_add_u64 v[142:143], v[132:133], 3, v[140:141]
	s_cbranch_vccnz .LBB198_42
; %bb.28:                               ;   in Loop: Header=BB198_27 Depth=1
	global_load_dwordx2 v[0:1], v[142:143], off
	s_waitcnt vmcnt(0)
	v_mul_f64 v[144:145], s[20:21], v[0:1]
	s_mov_b64 s[2:3], -1
                                        ; implicit-def: $vgpr0_vgpr1_vgpr2_vgpr3
	s_mov_b64 vcc, s[4:5]
                                        ; implicit-def: $vgpr2_vgpr3
	s_cbranch_vccz .LBB198_30
.LBB198_29:                             ;   in Loop: Header=BB198_27 Depth=1
	v_mov_b32_e32 v2, s25
	v_mov_b32_e32 v3, s25
	;; [unrolled: 1-line block ×4, first 2 shown]
	s_mov_b64 s[2:3], 0
.LBB198_30:                             ;   in Loop: Header=BB198_27 Depth=1
	v_mov_b64_e32 v[146:147], 0
	s_andn2_b64 vcc, exec, s[2:3]
	v_lshl_add_u64 v[140:141], v[134:135], 3, v[140:141]
	s_cbranch_vccnz .LBB198_32
; %bb.31:                               ;   in Loop: Header=BB198_27 Depth=1
	v_add_u32_e32 v146, s24, v151
	v_mad_u64_u32 v[2:3], s[2:3], v146, s19, 0
	v_mov_b32_e32 v138, v3
	v_mad_u64_u32 v[146:147], s[2:3], v146, s26, v[138:139]
	v_mov_b32_e32 v3, v146
	v_lshl_add_u64 v[2:3], v[2:3], 3, v[136:137]
	global_load_dwordx2 v[0:1], v[140:141], off
	global_load_dwordx2 v[146:147], v[2:3], off
	global_load_dwordx2 v[162:163], v[2:3], off offset:512
	s_waitcnt vmcnt(2)
	v_mul_f64 v[2:3], s[20:21], v[0:1]
	s_waitcnt vmcnt(1)
	v_mul_f64 v[0:1], s[20:21], v[146:147]
	;; [unrolled: 2-line block ×3, first 2 shown]
.LBB198_32:                             ;   in Loop: Header=BB198_27 Depth=1
	s_mov_b32 s2, 0
.LBB198_33:                             ;   Parent Loop BB198_27 Depth=1
                                        ; =>  This Inner Loop Header: Depth=2
	v_add_u32_e32 v138, s2, v160
	ds_read2_b64 v[162:165], v138 offset1:16
	ds_read2_b64 v[166:169], v138 offset0:32 offset1:48
	ds_read2_b64 v[170:173], v138 offset0:64 offset1:80
	;; [unrolled: 1-line block ×7, first 2 shown]
	v_add_u32_e32 v138, 0x800, v138
	ds_read2_b64 v[194:197], v138 offset1:16
	ds_read2_b64 v[198:201], v138 offset0:32 offset1:48
	ds_read2_b64 v[202:205], v138 offset0:64 offset1:80
	;; [unrolled: 1-line block ×7, first 2 shown]
	v_add_u32_e32 v138, s2, v152
	ds_read2st64_b64 v[226:229], v138 offset1:4
	s_waitcnt lgkmcnt(14)
	v_max_f64 v[162:163], v[162:163], v[162:163]
	v_max_f64 v[164:165], v[164:165], v[164:165]
	;; [unrolled: 1-line block ×4, first 2 shown]
	s_waitcnt lgkmcnt(0)
	v_max_f64 v[226:227], v[226:227], v[226:227]
	v_min_f64 v[230:231], v[162:163], v[226:227]
	v_add_f64 v[124:125], v[124:125], v[230:231]
	v_min_f64 v[230:231], v[164:165], v[226:227]
	v_add_f64 v[130:131], v[130:131], v[230:231]
	v_min_f64 v[230:231], v[166:167], v[226:227]
	v_add_f64 v[128:129], v[128:129], v[230:231]
	v_min_f64 v[230:231], v[168:169], v[226:227]
	v_max_f64 v[170:171], v[170:171], v[170:171]
	v_add_f64 v[126:127], v[126:127], v[230:231]
	v_min_f64 v[230:231], v[170:171], v[226:227]
	v_max_f64 v[172:173], v[172:173], v[172:173]
	v_add_f64 v[122:123], v[122:123], v[230:231]
	;; [unrolled: 3-line block ×26, first 2 shown]
	v_min_f64 v[230:231], v[220:221], v[226:227]
	v_max_f64 v[222:223], v[222:223], v[222:223]
	v_max_f64 v[224:225], v[224:225], v[224:225]
	v_add_f64 v[72:73], v[72:73], v[230:231]
	v_min_f64 v[230:231], v[222:223], v[226:227]
	v_min_f64 v[226:227], v[224:225], v[226:227]
	v_add_f64 v[68:69], v[68:69], v[226:227]
	v_max_f64 v[226:227], v[228:229], v[228:229]
	v_min_f64 v[162:163], v[162:163], v[226:227]
	v_add_f64 v[66:67], v[66:67], v[162:163]
	v_min_f64 v[162:163], v[164:165], v[226:227]
	v_add_f64 v[64:65], v[64:65], v[162:163]
	;; [unrolled: 2-line block ×31, first 2 shown]
	v_min_f64 v[162:163], v[224:225], v[226:227]
	s_add_i32 s2, s2, 8
	v_add_f64 v[70:71], v[70:71], v[230:231]
	v_add_f64 v[4:5], v[4:5], v[162:163]
	s_cmp_eq_u32 s2, 32
	s_cbranch_scc0 .LBB198_33
; %bb.34:                               ;   in Loop: Header=BB198_27 Depth=1
	s_and_b64 vcc, exec, s[6:7]
	ds_write2st64_b64 v154, v[144:145], v[2:3] offset1:4
	ds_write2st64_b64 v155, v[0:1], v[146:147] offset1:4
	s_waitcnt lgkmcnt(0)
	s_barrier
	s_cbranch_vccnz .LBB198_43
; %bb.35:                               ;   in Loop: Header=BB198_27 Depth=1
	global_load_dwordx2 v[0:1], v[142:143], off offset:32
	s_waitcnt vmcnt(0)
	v_mul_f64 v[142:143], s[20:21], v[0:1]
	s_mov_b64 s[2:3], -1
                                        ; implicit-def: $vgpr0_vgpr1_vgpr2_vgpr3
	s_mov_b64 vcc, s[4:5]
                                        ; implicit-def: $vgpr2_vgpr3
	s_cbranch_vccz .LBB198_37
.LBB198_36:                             ;   in Loop: Header=BB198_27 Depth=1
	v_mov_b32_e32 v2, s25
	v_mov_b32_e32 v3, s25
	;; [unrolled: 1-line block ×4, first 2 shown]
	s_mov_b64 s[2:3], 0
.LBB198_37:                             ;   in Loop: Header=BB198_27 Depth=1
	s_andn2_b64 vcc, exec, s[2:3]
	v_mov_b64_e32 v[144:145], 0
	s_cbranch_vccnz .LBB198_39
; %bb.38:                               ;   in Loop: Header=BB198_27 Depth=1
	global_load_dwordx2 v[0:1], v[140:141], off offset:32
	v_add_u32_e32 v140, s24, v153
	v_mad_u64_u32 v[2:3], s[2:3], v140, s19, 0
	v_mov_b32_e32 v138, v3
	v_mad_u64_u32 v[140:141], s[2:3], v140, s26, v[138:139]
	v_mov_b32_e32 v3, v140
	v_lshl_add_u64 v[2:3], v[2:3], 3, v[136:137]
	global_load_dwordx2 v[140:141], v[2:3], off
	global_load_dwordx2 v[144:145], v[2:3], off offset:512
	s_waitcnt vmcnt(2)
	v_mul_f64 v[2:3], s[20:21], v[0:1]
	s_waitcnt vmcnt(1)
	v_mul_f64 v[0:1], s[20:21], v[140:141]
	;; [unrolled: 2-line block ×3, first 2 shown]
.LBB198_39:                             ;   in Loop: Header=BB198_27 Depth=1
	s_mov_b32 s2, 0
.LBB198_40:                             ;   Parent Loop BB198_27 Depth=1
                                        ; =>  This Inner Loop Header: Depth=2
	v_add_u32_e32 v138, s2, v156
	ds_read2_b64 v[162:165], v138 offset1:16
	ds_read2_b64 v[166:169], v138 offset0:32 offset1:48
	ds_read2_b64 v[170:173], v138 offset0:64 offset1:80
	;; [unrolled: 1-line block ×7, first 2 shown]
	v_add_u32_e32 v138, 0x800, v138
	ds_read2_b64 v[194:197], v138 offset1:16
	ds_read2_b64 v[198:201], v138 offset0:32 offset1:48
	ds_read2_b64 v[202:205], v138 offset0:64 offset1:80
	;; [unrolled: 1-line block ×7, first 2 shown]
	v_add_u32_e32 v138, s2, v157
	ds_read2st64_b64 v[226:229], v138 offset1:4
	s_waitcnt lgkmcnt(14)
	v_max_f64 v[146:147], v[162:163], v[162:163]
	s_add_i32 s2, s2, 8
	s_cmp_eq_u32 s2, 32
	s_waitcnt lgkmcnt(0)
	v_max_f64 v[140:141], v[226:227], v[226:227]
	v_min_f64 v[162:163], v[146:147], v[140:141]
	v_add_f64 v[124:125], v[124:125], v[162:163]
	v_max_f64 v[162:163], v[164:165], v[164:165]
	v_min_f64 v[164:165], v[162:163], v[140:141]
	v_add_f64 v[130:131], v[130:131], v[164:165]
	;; [unrolled: 3-line block ×33, first 2 shown]
	v_min_f64 v[146:147], v[162:163], v[140:141]
	v_add_f64 v[64:65], v[64:65], v[146:147]
	v_min_f64 v[146:147], v[164:165], v[140:141]
	v_add_f64 v[62:63], v[62:63], v[146:147]
	;; [unrolled: 2-line block ×29, first 2 shown]
	v_min_f64 v[146:147], v[220:221], v[140:141]
	v_min_f64 v[140:141], v[222:223], v[140:141]
	v_add_f64 v[6:7], v[6:7], v[146:147]
	v_add_f64 v[4:5], v[4:5], v[140:141]
	s_cbranch_scc0 .LBB198_40
; %bb.41:                               ;   in Loop: Header=BB198_27 Depth=1
	s_add_i32 s24, s24, 8
	s_add_i32 s28, s28, 8
	s_cmp_ge_i32 s28, s27
	ds_write2st64_b64 v158, v[142:143], v[2:3] offset1:4
	ds_write2st64_b64 v159, v[0:1], v[144:145] offset1:4
	s_waitcnt lgkmcnt(0)
	s_barrier
	s_cbranch_scc0 .LBB198_27
	s_branch .LBB198_44
.LBB198_42:                             ;   in Loop: Header=BB198_27 Depth=1
	v_mov_b64_e32 v[144:145], 0
	s_mov_b64 s[2:3], -1
                                        ; implicit-def: $vgpr0_vgpr1_vgpr2_vgpr3
	s_mov_b64 vcc, s[4:5]
                                        ; implicit-def: $vgpr2_vgpr3
	s_cbranch_vccz .LBB198_30
	s_branch .LBB198_29
.LBB198_43:                             ;   in Loop: Header=BB198_27 Depth=1
	v_mov_b64_e32 v[142:143], 0
	s_mov_b64 s[2:3], -1
                                        ; implicit-def: $vgpr0_vgpr1_vgpr2_vgpr3
	s_mov_b64 vcc, s[4:5]
                                        ; implicit-def: $vgpr2_vgpr3
	s_cbranch_vccz .LBB198_37
	s_branch .LBB198_36
.LBB198_44:
	v_mov_b32_e32 v0, 0x1000
	v_lshl_add_u32 v0, v148, 5, v0
	s_mov_b32 s2, 0
.LBB198_45:                             ; =>This Inner Loop Header: Depth=1
	v_add_u32_e32 v1, s2, v0
	v_add_u32_e32 v2, s2, v152
	ds_read2_b64 v[132:135], v1 offset1:16
	ds_read2_b64 v[136:139], v1 offset0:32 offset1:48
	ds_read2_b64 v[140:143], v1 offset0:64 offset1:80
	;; [unrolled: 1-line block ×7, first 2 shown]
	v_add_u32_e32 v1, 0x800, v1
	ds_read2st64_b64 v[170:173], v2 offset1:4
	ds_read2_b64 v[174:177], v1 offset1:16
	ds_read2_b64 v[178:181], v1 offset0:32 offset1:48
	ds_read2_b64 v[182:185], v1 offset0:64 offset1:80
	;; [unrolled: 1-line block ×7, first 2 shown]
	s_waitcnt lgkmcnt(14)
	v_max_f64 v[132:133], v[132:133], v[132:133]
	v_max_f64 v[134:135], v[134:135], v[134:135]
	;; [unrolled: 1-line block ×3, first 2 shown]
	s_waitcnt lgkmcnt(8)
	v_max_f64 v[2:3], v[170:171], v[170:171]
	v_max_f64 v[138:139], v[138:139], v[138:139]
	;; [unrolled: 1-line block ×15, first 2 shown]
	v_min_f64 v[170:171], v[132:133], v[2:3]
	v_min_f64 v[172:173], v[134:135], v[2:3]
	;; [unrolled: 1-line block ×16, first 2 shown]
	s_waitcnt lgkmcnt(7)
	v_max_f64 v[174:175], v[174:175], v[174:175]
	v_max_f64 v[176:177], v[176:177], v[176:177]
	s_waitcnt lgkmcnt(6)
	v_max_f64 v[178:179], v[178:179], v[178:179]
	v_max_f64 v[180:181], v[180:181], v[180:181]
	;; [unrolled: 3-line block ×8, first 2 shown]
	v_min_f64 v[132:133], v[132:133], v[168:169]
	v_min_f64 v[134:135], v[134:135], v[168:169]
	;; [unrolled: 1-line block ×16, first 2 shown]
	s_add_i32 s2, s2, 8
	v_add_f64 v[124:125], v[124:125], v[170:171]
	v_add_f64 v[130:131], v[130:131], v[172:173]
	;; [unrolled: 1-line block ×15, first 2 shown]
	v_min_f64 v[170:171], v[174:175], v[2:3]
	v_min_f64 v[172:173], v[176:177], v[2:3]
	;; [unrolled: 1-line block ×16, first 2 shown]
	v_add_f64 v[66:67], v[66:67], v[132:133]
	v_add_f64 v[64:65], v[64:65], v[134:135]
	;; [unrolled: 1-line block ×16, first 2 shown]
	v_min_f64 v[132:133], v[174:175], v[168:169]
	v_min_f64 v[134:135], v[176:177], v[168:169]
	;; [unrolled: 1-line block ×16, first 2 shown]
	s_cmp_eq_u32 s2, 32
	v_add_f64 v[100:101], v[100:101], v[232:233]
	v_add_f64 v[98:99], v[98:99], v[170:171]
	;; [unrolled: 1-line block ×33, first 2 shown]
	s_cbranch_scc0 .LBB198_45
; %bb.46:
	s_load_dwordx2 s[2:3], s[0:1], 0x78
	s_load_dword s4, s[0:1], 0x58
	s_load_dword s5, s[0:1], 0x70
	v_add_u32_e32 v170, s13, v149
	v_add_u32_e32 v132, s12, v148
	s_waitcnt lgkmcnt(0)
	s_mul_i32 s1, s3, s18
	s_mul_hi_u32 s3, s2, s18
	s_mul_i32 s0, s2, s18
	s_add_i32 s1, s3, s1
	s_lshl_b64 s[0:1], s[0:1], 3
	s_add_u32 s0, s14, s0
	s_addc_u32 s1, s15, s1
	v_mad_i64_i32 v[2:3], s[2:3], v170, s5, 0
	v_add_u32_e32 v0, 4, v132
	v_lshl_add_u64 v[138:139], v[2:3], 3, s[0:1]
	v_mad_i64_i32 v[2:3], s[2:3], v170, s4, 0
	v_ashrrev_i32_e32 v133, 31, v132
	v_ashrrev_i32_e32 v1, 31, v0
	s_mov_b64 s[2:3], -1
	s_mov_b64 vcc, s[8:9]
	s_cbranch_vccz .LBB198_48
; %bb.47:
	v_add_f64 v[134:135], v[124:125], 0
	v_lshl_add_u64 v[136:137], v[132:133], 3, v[138:139]
	s_mov_b64 s[2:3], 0
	global_store_dwordx2 v[136:137], v[134:135], off
.LBB198_48:
	v_lshl_add_u64 v[146:147], v[2:3], 3, s[10:11]
	v_mov_b64_e32 v[140:141], 0
	s_andn2_b64 vcc, exec, s[2:3]
	v_lshlrev_b64 v[136:137], 3, v[132:133]
	s_cbranch_vccnz .LBB198_50
; %bb.49:
	v_lshl_add_u64 v[2:3], v[146:147], 0, v[136:137]
	global_load_dwordx2 v[2:3], v[2:3], off
	v_lshl_add_u64 v[134:135], v[138:139], 0, v[136:137]
	s_waitcnt vmcnt(0)
	v_fmac_f64_e32 v[124:125], s[16:17], v[2:3]
	global_store_dwordx2 v[134:135], v[124:125], off
	v_lshl_add_u64 v[2:3], v[0:1], 3, v[146:147]
	global_load_dwordx2 v[2:3], v[2:3], off
	s_waitcnt vmcnt(0)
	v_mul_f64 v[140:141], s[16:17], v[2:3]
.LBB198_50:
	v_add_u32_e32 v134, 8, v132
	v_add_u32_e32 v2, 12, v132
	v_ashrrev_i32_e32 v135, 31, v134
	v_ashrrev_i32_e32 v3, 31, v2
	v_add_f64 v[124:125], v[130:131], v[140:141]
	v_lshl_add_u64 v[130:131], v[0:1], 3, v[138:139]
	s_mov_b64 s[2:3], -1
	s_mov_b64 vcc, s[8:9]
	global_store_dwordx2 v[130:131], v[124:125], off
	s_cbranch_vccz .LBB198_52
; %bb.51:
	v_add_f64 v[124:125], v[128:129], 0
	v_lshl_add_u64 v[130:131], v[134:135], 3, v[138:139]
	s_mov_b64 s[2:3], 0
	global_store_dwordx2 v[130:131], v[124:125], off
.LBB198_52:
	v_mov_b64_e32 v[140:141], 0
	s_andn2_b64 vcc, exec, s[2:3]
	v_lshlrev_b64 v[130:131], 3, v[134:135]
	s_cbranch_vccnz .LBB198_54
; %bb.53:
	v_lshl_add_u64 v[124:125], v[146:147], 0, v[130:131]
	global_load_dwordx2 v[124:125], v[124:125], off
	v_lshl_add_u64 v[140:141], v[138:139], 0, v[130:131]
	s_waitcnt vmcnt(0)
	v_fmac_f64_e32 v[128:129], s[16:17], v[124:125]
	global_store_dwordx2 v[140:141], v[128:129], off
	v_lshl_add_u64 v[124:125], v[2:3], 3, v[146:147]
	global_load_dwordx2 v[124:125], v[124:125], off
	s_waitcnt vmcnt(0)
	v_mul_f64 v[140:141], s[16:17], v[124:125]
.LBB198_54:
	v_add_u32_e32 v128, 16, v132
	v_add_u32_e32 v124, 20, v132
	v_ashrrev_i32_e32 v129, 31, v128
	v_ashrrev_i32_e32 v125, 31, v124
	v_add_f64 v[126:127], v[126:127], v[140:141]
	v_lshl_add_u64 v[140:141], v[2:3], 3, v[138:139]
	s_mov_b64 s[2:3], -1
	s_mov_b64 vcc, s[8:9]
	global_store_dwordx2 v[140:141], v[126:127], off
	s_cbranch_vccz .LBB198_56
; %bb.55:
	v_add_f64 v[126:127], v[122:123], 0
	v_lshl_add_u64 v[140:141], v[128:129], 3, v[138:139]
	s_mov_b64 s[2:3], 0
	global_store_dwordx2 v[140:141], v[126:127], off
.LBB198_56:
	;; [unrolled: 32-line block ×15, first 2 shown]
	v_mov_b64_e32 v[168:169], 0
	s_andn2_b64 vcc, exec, s[2:3]
	v_lshlrev_b64 v[72:73], 3, v[76:77]
	s_cbranch_vccnz .LBB198_110
; %bb.109:
	v_lshl_add_u64 v[168:169], v[146:147], 0, v[72:73]
	global_load_dwordx2 v[168:169], v[168:169], off
	v_lshl_add_u64 v[172:173], v[138:139], 0, v[72:73]
	s_waitcnt vmcnt(0)
	v_fmac_f64_e32 v[70:71], s[16:17], v[168:169]
	global_store_dwordx2 v[172:173], v[70:71], off
	v_lshl_add_u64 v[70:71], v[74:75], 3, v[146:147]
	global_load_dwordx2 v[70:71], v[70:71], off
	s_waitcnt vmcnt(0)
	v_mul_f64 v[168:169], s[16:17], v[70:71]
.LBB198_110:
	v_add_f64 v[68:69], v[68:69], v[168:169]
	v_lshl_add_u64 v[70:71], v[74:75], 3, v[138:139]
	global_store_dwordx2 v[70:71], v[68:69], off
	v_add_u32_e32 v70, 64, v170
	v_mad_i64_i32 v[68:69], s[2:3], v70, s5, 0
	v_lshl_add_u64 v[68:69], v[68:69], 3, s[0:1]
	v_mad_i64_i32 v[70:71], s[0:1], v70, s4, 0
	s_mov_b64 s[0:1], -1
	s_mov_b64 vcc, s[8:9]
	s_cbranch_vccz .LBB198_112
; %bb.111:
	v_add_f64 v[138:139], v[66:67], 0
	v_lshl_add_u64 v[132:133], v[132:133], 3, v[68:69]
	s_mov_b64 s[0:1], 0
	global_store_dwordx2 v[132:133], v[138:139], off
.LBB198_112:
	v_lshl_add_u64 v[70:71], v[70:71], 3, s[10:11]
	s_andn2_b64 vcc, exec, s[0:1]
	v_mov_b64_e32 v[132:133], 0
	s_cbranch_vccnz .LBB198_114
; %bb.113:
	v_lshl_add_u64 v[132:133], v[70:71], 0, v[136:137]
	global_load_dwordx2 v[132:133], v[132:133], off
	v_lshl_add_u64 v[136:137], v[68:69], 0, v[136:137]
	s_waitcnt vmcnt(0)
	v_fmac_f64_e32 v[66:67], s[16:17], v[132:133]
	global_store_dwordx2 v[136:137], v[66:67], off
	v_lshl_add_u64 v[66:67], v[0:1], 3, v[70:71]
	global_load_dwordx2 v[66:67], v[66:67], off
	s_waitcnt vmcnt(0)
	v_mul_f64 v[132:133], s[16:17], v[66:67]
.LBB198_114:
	v_add_f64 v[64:65], v[64:65], v[132:133]
	v_lshl_add_u64 v[0:1], v[0:1], 3, v[68:69]
	s_mov_b64 s[0:1], -1
	s_mov_b64 vcc, s[8:9]
	global_store_dwordx2 v[0:1], v[64:65], off
	s_cbranch_vccz .LBB198_116
; %bb.115:
	v_add_f64 v[0:1], v[62:63], 0
	v_lshl_add_u64 v[64:65], v[134:135], 3, v[68:69]
	s_mov_b64 s[0:1], 0
	global_store_dwordx2 v[64:65], v[0:1], off
.LBB198_116:
	s_andn2_b64 vcc, exec, s[0:1]
	v_mov_b64_e32 v[0:1], 0
	s_cbranch_vccnz .LBB198_118
; %bb.117:
	v_lshl_add_u64 v[0:1], v[70:71], 0, v[130:131]
	global_load_dwordx2 v[0:1], v[0:1], off
	v_lshl_add_u64 v[64:65], v[68:69], 0, v[130:131]
	s_waitcnt vmcnt(0)
	v_fmac_f64_e32 v[62:63], s[16:17], v[0:1]
	global_store_dwordx2 v[64:65], v[62:63], off
	v_lshl_add_u64 v[0:1], v[2:3], 3, v[70:71]
	global_load_dwordx2 v[0:1], v[0:1], off
	s_waitcnt vmcnt(0)
	v_mul_f64 v[0:1], s[16:17], v[0:1]
.LBB198_118:
	v_add_f64 v[0:1], v[60:61], v[0:1]
	v_lshl_add_u64 v[2:3], v[2:3], 3, v[68:69]
	s_mov_b64 s[0:1], -1
	s_mov_b64 vcc, s[8:9]
	global_store_dwordx2 v[2:3], v[0:1], off
	s_cbranch_vccz .LBB198_120
; %bb.119:
	v_add_f64 v[0:1], v[58:59], 0
	v_lshl_add_u64 v[2:3], v[128:129], 3, v[68:69]
	s_mov_b64 s[0:1], 0
	global_store_dwordx2 v[2:3], v[0:1], off
.LBB198_120:
	;; [unrolled: 27-line block ×14, first 2 shown]
	s_andn2_b64 vcc, exec, s[0:1]
	v_mov_b64_e32 v[0:1], 0
	s_cbranch_vccnz .LBB198_170
; %bb.169:
	v_lshl_add_u64 v[0:1], v[70:71], 0, v[166:167]
	global_load_dwordx2 v[0:1], v[0:1], off
	v_lshl_add_u64 v[2:3], v[68:69], 0, v[166:167]
	s_waitcnt vmcnt(0)
	v_fmac_f64_e32 v[10:11], s[16:17], v[0:1]
	global_store_dwordx2 v[2:3], v[10:11], off
	v_lshl_add_u64 v[0:1], v[78:79], 3, v[70:71]
	global_load_dwordx2 v[0:1], v[0:1], off
	s_waitcnt vmcnt(0)
	v_mul_f64 v[0:1], s[16:17], v[0:1]
.LBB198_170:
	v_add_f64 v[0:1], v[8:9], v[0:1]
	v_lshl_add_u64 v[2:3], v[78:79], 3, v[68:69]
	s_mov_b64 s[0:1], -1
	s_mov_b64 vcc, s[8:9]
	global_store_dwordx2 v[2:3], v[0:1], off
	s_cbranch_vccz .LBB198_173
; %bb.171:
	v_add_f64 v[0:1], v[6:7], 0
	v_lshl_add_u64 v[2:3], v[76:77], 3, v[68:69]
	global_store_dwordx2 v[2:3], v[0:1], off
	v_mov_b64_e32 v[0:1], 0
	s_cbranch_execz .LBB198_174
.LBB198_172:
	v_add_f64 v[0:1], v[4:5], v[0:1]
	v_lshl_add_u64 v[2:3], v[74:75], 3, v[68:69]
	global_store_dwordx2 v[2:3], v[0:1], off
	s_endpgm
.LBB198_173:
	s_andn2_b64 vcc, exec, s[0:1]
	v_mov_b64_e32 v[0:1], 0
	s_cbranch_vccnz .LBB198_172
.LBB198_174:
	v_lshl_add_u64 v[0:1], v[70:71], 0, v[72:73]
	global_load_dwordx2 v[0:1], v[0:1], off
	v_lshl_add_u64 v[2:3], v[68:69], 0, v[72:73]
	s_waitcnt vmcnt(0)
	v_fmac_f64_e32 v[6:7], s[16:17], v[0:1]
	global_store_dwordx2 v[2:3], v[6:7], off
	v_lshl_add_u64 v[0:1], v[74:75], 3, v[70:71]
	global_load_dwordx2 v[0:1], v[0:1], off
	s_waitcnt vmcnt(0)
	v_mul_f64 v[0:1], s[16:17], v[0:1]
	v_add_f64 v[0:1], v[4:5], v[0:1]
	v_lshl_add_u64 v[2:3], v[74:75], 3, v[68:69]
	global_store_dwordx2 v[2:3], v[0:1], off
	s_endpgm
	.section	.rodata,"a",@progbits
	.p2align	6, 0x0
	.amdhsa_kernel _ZN12_GLOBAL__N_120geam_min_plus_kernelIdddLi4ELi64ELi128ELi128ELi4ELi4ELi64ELi64ELi4ELc84ELc84ELb0ELb0ELb0EPKdS1_dEEviiiT16_PT17_ilS5_ilS3_S5_ilPT18_ili26rocblas_geam_ex_operation_
		.amdhsa_group_segment_fixed_size 16384
		.amdhsa_private_segment_fixed_size 0
		.amdhsa_kernarg_size 136
		.amdhsa_user_sgpr_count 2
		.amdhsa_user_sgpr_dispatch_ptr 0
		.amdhsa_user_sgpr_queue_ptr 0
		.amdhsa_user_sgpr_kernarg_segment_ptr 1
		.amdhsa_user_sgpr_dispatch_id 0
		.amdhsa_user_sgpr_kernarg_preload_length 0
		.amdhsa_user_sgpr_kernarg_preload_offset 0
		.amdhsa_user_sgpr_private_segment_size 0
		.amdhsa_uses_dynamic_stack 0
		.amdhsa_enable_private_segment 0
		.amdhsa_system_sgpr_workgroup_id_x 1
		.amdhsa_system_sgpr_workgroup_id_y 0
		.amdhsa_system_sgpr_workgroup_id_z 1
		.amdhsa_system_sgpr_workgroup_info 0
		.amdhsa_system_vgpr_workitem_id 1
		.amdhsa_next_free_vgpr 254
		.amdhsa_next_free_sgpr 30
		.amdhsa_accum_offset 256
		.amdhsa_reserve_vcc 1
		.amdhsa_float_round_mode_32 0
		.amdhsa_float_round_mode_16_64 0
		.amdhsa_float_denorm_mode_32 3
		.amdhsa_float_denorm_mode_16_64 3
		.amdhsa_dx10_clamp 1
		.amdhsa_ieee_mode 1
		.amdhsa_fp16_overflow 0
		.amdhsa_tg_split 0
		.amdhsa_exception_fp_ieee_invalid_op 0
		.amdhsa_exception_fp_denorm_src 0
		.amdhsa_exception_fp_ieee_div_zero 0
		.amdhsa_exception_fp_ieee_overflow 0
		.amdhsa_exception_fp_ieee_underflow 0
		.amdhsa_exception_fp_ieee_inexact 0
		.amdhsa_exception_int_div_zero 0
	.end_amdhsa_kernel
	.section	.text._ZN12_GLOBAL__N_120geam_min_plus_kernelIdddLi4ELi64ELi128ELi128ELi4ELi4ELi64ELi64ELi4ELc84ELc84ELb0ELb0ELb0EPKdS1_dEEviiiT16_PT17_ilS5_ilS3_S5_ilPT18_ili26rocblas_geam_ex_operation_,"axG",@progbits,_ZN12_GLOBAL__N_120geam_min_plus_kernelIdddLi4ELi64ELi128ELi128ELi4ELi4ELi64ELi64ELi4ELc84ELc84ELb0ELb0ELb0EPKdS1_dEEviiiT16_PT17_ilS5_ilS3_S5_ilPT18_ili26rocblas_geam_ex_operation_,comdat
.Lfunc_end198:
	.size	_ZN12_GLOBAL__N_120geam_min_plus_kernelIdddLi4ELi64ELi128ELi128ELi4ELi4ELi64ELi64ELi4ELc84ELc84ELb0ELb0ELb0EPKdS1_dEEviiiT16_PT17_ilS5_ilS3_S5_ilPT18_ili26rocblas_geam_ex_operation_, .Lfunc_end198-_ZN12_GLOBAL__N_120geam_min_plus_kernelIdddLi4ELi64ELi128ELi128ELi4ELi4ELi64ELi64ELi4ELc84ELc84ELb0ELb0ELb0EPKdS1_dEEviiiT16_PT17_ilS5_ilS3_S5_ilPT18_ili26rocblas_geam_ex_operation_
                                        ; -- End function
	.set _ZN12_GLOBAL__N_120geam_min_plus_kernelIdddLi4ELi64ELi128ELi128ELi4ELi4ELi64ELi64ELi4ELc84ELc84ELb0ELb0ELb0EPKdS1_dEEviiiT16_PT17_ilS5_ilS3_S5_ilPT18_ili26rocblas_geam_ex_operation_.num_vgpr, 254
	.set _ZN12_GLOBAL__N_120geam_min_plus_kernelIdddLi4ELi64ELi128ELi128ELi4ELi4ELi64ELi64ELi4ELc84ELc84ELb0ELb0ELb0EPKdS1_dEEviiiT16_PT17_ilS5_ilS3_S5_ilPT18_ili26rocblas_geam_ex_operation_.num_agpr, 0
	.set _ZN12_GLOBAL__N_120geam_min_plus_kernelIdddLi4ELi64ELi128ELi128ELi4ELi4ELi64ELi64ELi4ELc84ELc84ELb0ELb0ELb0EPKdS1_dEEviiiT16_PT17_ilS5_ilS3_S5_ilPT18_ili26rocblas_geam_ex_operation_.numbered_sgpr, 30
	.set _ZN12_GLOBAL__N_120geam_min_plus_kernelIdddLi4ELi64ELi128ELi128ELi4ELi4ELi64ELi64ELi4ELc84ELc84ELb0ELb0ELb0EPKdS1_dEEviiiT16_PT17_ilS5_ilS3_S5_ilPT18_ili26rocblas_geam_ex_operation_.num_named_barrier, 0
	.set _ZN12_GLOBAL__N_120geam_min_plus_kernelIdddLi4ELi64ELi128ELi128ELi4ELi4ELi64ELi64ELi4ELc84ELc84ELb0ELb0ELb0EPKdS1_dEEviiiT16_PT17_ilS5_ilS3_S5_ilPT18_ili26rocblas_geam_ex_operation_.private_seg_size, 0
	.set _ZN12_GLOBAL__N_120geam_min_plus_kernelIdddLi4ELi64ELi128ELi128ELi4ELi4ELi64ELi64ELi4ELc84ELc84ELb0ELb0ELb0EPKdS1_dEEviiiT16_PT17_ilS5_ilS3_S5_ilPT18_ili26rocblas_geam_ex_operation_.uses_vcc, 1
	.set _ZN12_GLOBAL__N_120geam_min_plus_kernelIdddLi4ELi64ELi128ELi128ELi4ELi4ELi64ELi64ELi4ELc84ELc84ELb0ELb0ELb0EPKdS1_dEEviiiT16_PT17_ilS5_ilS3_S5_ilPT18_ili26rocblas_geam_ex_operation_.uses_flat_scratch, 0
	.set _ZN12_GLOBAL__N_120geam_min_plus_kernelIdddLi4ELi64ELi128ELi128ELi4ELi4ELi64ELi64ELi4ELc84ELc84ELb0ELb0ELb0EPKdS1_dEEviiiT16_PT17_ilS5_ilS3_S5_ilPT18_ili26rocblas_geam_ex_operation_.has_dyn_sized_stack, 0
	.set _ZN12_GLOBAL__N_120geam_min_plus_kernelIdddLi4ELi64ELi128ELi128ELi4ELi4ELi64ELi64ELi4ELc84ELc84ELb0ELb0ELb0EPKdS1_dEEviiiT16_PT17_ilS5_ilS3_S5_ilPT18_ili26rocblas_geam_ex_operation_.has_recursion, 0
	.set _ZN12_GLOBAL__N_120geam_min_plus_kernelIdddLi4ELi64ELi128ELi128ELi4ELi4ELi64ELi64ELi4ELc84ELc84ELb0ELb0ELb0EPKdS1_dEEviiiT16_PT17_ilS5_ilS3_S5_ilPT18_ili26rocblas_geam_ex_operation_.has_indirect_call, 0
	.section	.AMDGPU.csdata,"",@progbits
; Kernel info:
; codeLenInByte = 13056
; TotalNumSgprs: 36
; NumVgprs: 254
; NumAgprs: 0
; TotalNumVgprs: 254
; ScratchSize: 0
; MemoryBound: 0
; FloatMode: 240
; IeeeMode: 1
; LDSByteSize: 16384 bytes/workgroup (compile time only)
; SGPRBlocks: 4
; VGPRBlocks: 31
; NumSGPRsForWavesPerEU: 36
; NumVGPRsForWavesPerEU: 254
; AccumOffset: 256
; Occupancy: 2
; WaveLimiterHint : 1
; COMPUTE_PGM_RSRC2:SCRATCH_EN: 0
; COMPUTE_PGM_RSRC2:USER_SGPR: 2
; COMPUTE_PGM_RSRC2:TRAP_HANDLER: 0
; COMPUTE_PGM_RSRC2:TGID_X_EN: 1
; COMPUTE_PGM_RSRC2:TGID_Y_EN: 0
; COMPUTE_PGM_RSRC2:TGID_Z_EN: 1
; COMPUTE_PGM_RSRC2:TIDIG_COMP_CNT: 1
; COMPUTE_PGM_RSRC3_GFX90A:ACCUM_OFFSET: 63
; COMPUTE_PGM_RSRC3_GFX90A:TG_SPLIT: 0
	.section	.text._ZN12_GLOBAL__N_120geam_min_plus_kernelIdddLi4ELi64ELi128ELi128ELi4ELi4ELi64ELi64ELi4ELc84ELc84ELb1ELb0ELb0EdKddEEviiiT16_PT17_ilS4_ilS2_S4_ilPT18_ili26rocblas_geam_ex_operation_,"axG",@progbits,_ZN12_GLOBAL__N_120geam_min_plus_kernelIdddLi4ELi64ELi128ELi128ELi4ELi4ELi64ELi64ELi4ELc84ELc84ELb1ELb0ELb0EdKddEEviiiT16_PT17_ilS4_ilS2_S4_ilPT18_ili26rocblas_geam_ex_operation_,comdat
	.globl	_ZN12_GLOBAL__N_120geam_min_plus_kernelIdddLi4ELi64ELi128ELi128ELi4ELi4ELi64ELi64ELi4ELc84ELc84ELb1ELb0ELb0EdKddEEviiiT16_PT17_ilS4_ilS2_S4_ilPT18_ili26rocblas_geam_ex_operation_ ; -- Begin function _ZN12_GLOBAL__N_120geam_min_plus_kernelIdddLi4ELi64ELi128ELi128ELi4ELi4ELi64ELi64ELi4ELc84ELc84ELb1ELb0ELb0EdKddEEviiiT16_PT17_ilS4_ilS2_S4_ilPT18_ili26rocblas_geam_ex_operation_
	.p2align	8
	.type	_ZN12_GLOBAL__N_120geam_min_plus_kernelIdddLi4ELi64ELi128ELi128ELi4ELi4ELi64ELi64ELi4ELc84ELc84ELb1ELb0ELb0EdKddEEviiiT16_PT17_ilS4_ilS2_S4_ilPT18_ili26rocblas_geam_ex_operation_,@function
_ZN12_GLOBAL__N_120geam_min_plus_kernelIdddLi4ELi64ELi128ELi128ELi4ELi4ELi64ELi64ELi4ELc84ELc84ELb1ELb0ELb0EdKddEEviiiT16_PT17_ilS4_ilS2_S4_ilPT18_ili26rocblas_geam_ex_operation_: ; @_ZN12_GLOBAL__N_120geam_min_plus_kernelIdddLi4ELi64ELi128ELi128ELi4ELi4ELi64ELi64ELi4ELc84ELc84ELb1ELb0ELb0EdKddEEviiiT16_PT17_ilS4_ilS2_S4_ilPT18_ili26rocblas_geam_ex_operation_
; %bb.0:
	s_load_dwordx4 s[4:7], s[0:1], 0x10
	s_load_dwordx4 s[8:11], s[0:1], 0x28
	s_mov_b64 s[14:15], 0
	s_waitcnt lgkmcnt(0)
	v_cmp_eq_f64_e64 s[12:13], s[4:5], 0
	s_and_b64 vcc, exec, s[12:13]
	s_cbranch_vccnz .LBB199_2
; %bb.1:
	s_mul_i32 s4, s9, s3
	s_mul_hi_u32 s5, s8, s3
	s_add_i32 s5, s5, s4
	s_mul_i32 s4, s8, s3
	s_lshl_b64 s[4:5], s[4:5], 3
	s_add_u32 s14, s6, s4
	s_addc_u32 s15, s7, s5
.LBB199_2:
	s_load_dwordx4 s[4:7], s[0:1], 0x40
	s_load_dwordx2 s[18:19], s[0:1], 0x50
	s_andn2_b64 vcc, exec, s[12:13]
	s_mov_b64 s[8:9], -1
	s_cbranch_vccnz .LBB199_4
; %bb.3:
	s_mov_b64 s[8:9], 0
.LBB199_4:
	s_mov_b64 s[12:13], 0
	s_andn2_b64 vcc, exec, s[8:9]
	s_mov_b64 s[16:17], 0
	s_cbranch_vccnz .LBB199_6
; %bb.5:
	s_waitcnt lgkmcnt(0)
	s_mul_i32 s5, s5, s3
	s_mul_hi_u32 s8, s4, s3
	s_add_i32 s5, s8, s5
	s_mul_i32 s4, s4, s3
	s_lshl_b64 s[4:5], s[4:5], 3
	s_add_u32 s16, s10, s4
	s_addc_u32 s17, s11, s5
.LBB199_6:
	s_load_dwordx4 s[8:11], s[0:1], 0x60
	s_waitcnt lgkmcnt(0)
	v_cmp_eq_f64_e64 s[4:5], s[6:7], 0
	s_and_b64 s[4:5], exec, s[4:5]
	s_mov_b64 vcc, s[4:5]
	s_cbranch_vccnz .LBB199_8
; %bb.7:
	s_mul_i32 s9, s9, s3
	s_mul_hi_u32 s12, s8, s3
	s_add_i32 s9, s12, s9
	s_mul_i32 s8, s8, s3
	s_lshl_b64 s[8:9], s[8:9], 3
	s_add_u32 s12, s18, s8
	s_addc_u32 s13, s19, s9
.LBB199_8:
	s_load_dword s8, s[0:1], 0x0
	s_load_dword s21, s[0:1], 0x20
	;; [unrolled: 1-line block ×3, first 2 shown]
	v_and_b32_e32 v148, 0x3ff, v0
	v_bfe_u32 v149, v0, 10, 10
	s_waitcnt lgkmcnt(0)
	s_add_i32 s8, s8, -1
	s_ashr_i32 s9, s8, 31
	s_lshr_b32 s9, s9, 25
	s_add_i32 s8, s8, s9
	s_ashr_i32 s8, s8, 7
	s_add_i32 s9, s8, 1
	v_cvt_f32_u32_e32 v1, s9
	v_and_b32_e32 v150, 3, v0
	s_not_b32 s8, s8
	s_ashr_i32 s20, s19, 31
	v_rcp_iflag_f32_e32 v0, v1
	v_lshl_add_u32 v1, v149, 2, v148
	v_and_b32_e32 v17, 63, v1
	v_lshrrev_b32_e32 v151, 6, v1
	v_mul_f32_e32 v0, 0x4f7ffffe, v0
	v_cvt_u32_f32_e32 v0, v0
	v_lshrrev_b32_e32 v16, 2, v1
	v_mov_b32_e32 v1, 0
	v_add_u32_e32 v155, 4, v151
	v_readfirstlane_b32 s18, v0
	s_mul_i32 s8, s8, s18
	s_mul_hi_u32 s8, s18, s8
	s_add_i32 s18, s18, s8
	s_mul_hi_u32 s8, s2, s18
	s_mul_i32 s18, s8, s9
	s_sub_i32 s18, s2, s18
	s_add_i32 s22, s8, 1
	s_sub_i32 s23, s18, s9
	s_cmp_ge_u32 s18, s9
	s_cselect_b32 s8, s22, s8
	s_cselect_b32 s18, s23, s18
	s_add_i32 s22, s8, 1
	s_cmp_ge_u32 s18, s9
	s_cselect_b32 s8, s22, s8
	s_lshl_b32 s18, s8, 7
	s_mul_i32 s9, s8, s9
	v_or_b32_e32 v132, s18, v17
	s_sub_i32 s2, s2, s9
	v_mad_i64_i32 v[2:3], s[8:9], s19, v151, 0
	v_ashrrev_i32_e32 v133, 31, v132
	s_lshl_b32 s2, s2, 7
	v_lshl_add_u64 v[2:3], v[2:3], 3, s[16:17]
	v_lshlrev_b64 v[4:5], 3, v[132:133]
	v_add_u32_e32 v12, s2, v16
	v_lshlrev_b32_e32 v0, 3, v150
	v_lshl_add_u64 v[2:3], v[2:3], 0, v[4:5]
	global_load_dwordx2 v[6:7], v[2:3], off
	global_load_dwordx2 v[8:9], v[2:3], off offset:512
	v_lshl_add_u64 v[2:3], s[14:15], 0, v[0:1]
	v_add_u32_e32 v1, 64, v12
	v_mad_i64_i32 v[130:131], s[8:9], v1, s21, 0
	v_lshlrev_b32_e32 v1, 3, v151
	v_lshl_or_b32 v156, v16, 5, v0
	v_lshl_add_u32 v143, v17, 5, v1
	v_mad_i64_i32 v[0:1], s[22:23], s19, v155, 0
	v_mad_i64_i32 v[128:129], s[8:9], v12, s21, 0
	v_lshl_add_u64 v[0:1], v[0:1], 3, s[16:17]
	v_lshl_add_u64 v[10:11], v[128:129], 3, v[2:3]
	;; [unrolled: 1-line block ×4, first 2 shown]
	global_load_dwordx2 v[12:13], v[10:11], off
	global_load_dwordx2 v[14:15], v[2:3], off
	;; [unrolled: 1-line block ×3, first 2 shown]
	global_load_dwordx2 v[136:137], v[0:1], off offset:512
	global_load_dwordx2 v[138:139], v[2:3], off offset:32
	;; [unrolled: 1-line block ×3, first 2 shown]
	v_lshlrev_b32_e32 v142, 5, v149
	v_mov_b64_e32 v[126:127], 0
	s_mov_b32 s8, 0
	v_mov_b64_e32 v[124:125], 0
	v_mov_b64_e32 v[122:123], 0
	;; [unrolled: 1-line block ×19, first 2 shown]
	v_lshlrev_b32_e32 v153, 5, v148
	v_add_u32_e32 v154, 0x2000, v142
	v_or_b32_e32 v157, 0x2000, v143
	v_mov_b64_e32 v[86:87], 0
	v_mov_b64_e32 v[84:85], 0
	;; [unrolled: 1-line block ×29, first 2 shown]
	s_waitcnt vmcnt(6)
	ds_write2st64_b64 v143, v[6:7], v[8:9] offset0:16 offset1:20
	s_waitcnt vmcnt(4)
	ds_write2st64_b64 v156, v[12:13], v[14:15] offset1:4
	v_mov_b64_e32 v[28:29], 0
	v_mov_b64_e32 v[26:27], 0
	;; [unrolled: 1-line block ×15, first 2 shown]
	s_waitcnt lgkmcnt(0)
	s_barrier
.LBB199_9:                              ; =>This Inner Loop Header: Depth=1
	v_add_u32_e32 v152, s8, v153
	v_add_u32_e32 v186, s8, v154
	ds_read2_b64 v[144:147], v152 offset1:16
	ds_read2_b64 v[158:161], v152 offset0:32 offset1:48
	ds_read2_b64 v[162:165], v152 offset0:64 offset1:80
	;; [unrolled: 1-line block ×7, first 2 shown]
	ds_read2st64_b64 v[186:189], v186 offset1:4
	v_add_u32_e32 v152, 0x800, v152
	ds_read2_b64 v[190:193], v152 offset1:16
	ds_read2_b64 v[194:197], v152 offset0:32 offset1:48
	ds_read2_b64 v[198:201], v152 offset0:64 offset1:80
	;; [unrolled: 1-line block ×7, first 2 shown]
	s_waitcnt lgkmcnt(14)
	v_max_f64 v[144:145], v[144:145], v[144:145]
	v_max_f64 v[146:147], v[146:147], v[146:147]
	;; [unrolled: 1-line block ×6, first 2 shown]
	s_waitcnt lgkmcnt(13)
	v_max_f64 v[166:167], v[166:167], v[166:167]
	v_max_f64 v[168:169], v[168:169], v[168:169]
	s_waitcnt lgkmcnt(12)
	v_max_f64 v[170:171], v[170:171], v[170:171]
	v_max_f64 v[172:173], v[172:173], v[172:173]
	;; [unrolled: 3-line block ×14, first 2 shown]
	v_min_f64 v[222:223], v[144:145], v[186:187]
	v_min_f64 v[224:225], v[146:147], v[186:187]
	v_min_f64 v[226:227], v[158:159], v[186:187]
	v_min_f64 v[228:229], v[160:161], v[186:187]
	v_min_f64 v[230:231], v[162:163], v[186:187]
	v_min_f64 v[232:233], v[164:165], v[186:187]
	v_min_f64 v[234:235], v[166:167], v[186:187]
	v_min_f64 v[236:237], v[168:169], v[186:187]
	v_min_f64 v[238:239], v[170:171], v[186:187]
	v_min_f64 v[240:241], v[172:173], v[186:187]
	v_min_f64 v[242:243], v[174:175], v[186:187]
	v_min_f64 v[244:245], v[176:177], v[186:187]
	v_min_f64 v[246:247], v[178:179], v[186:187]
	v_min_f64 v[248:249], v[180:181], v[186:187]
	v_min_f64 v[250:251], v[182:183], v[186:187]
	v_min_f64 v[252:253], v[184:185], v[186:187]
	v_min_f64 v[144:145], v[144:145], v[188:189]
	v_min_f64 v[146:147], v[146:147], v[188:189]
	v_min_f64 v[158:159], v[158:159], v[188:189]
	v_min_f64 v[160:161], v[160:161], v[188:189]
	v_min_f64 v[162:163], v[162:163], v[188:189]
	v_min_f64 v[164:165], v[164:165], v[188:189]
	v_min_f64 v[166:167], v[166:167], v[188:189]
	v_min_f64 v[168:169], v[168:169], v[188:189]
	v_min_f64 v[170:171], v[170:171], v[188:189]
	v_min_f64 v[172:173], v[172:173], v[188:189]
	v_min_f64 v[174:175], v[174:175], v[188:189]
	v_min_f64 v[176:177], v[176:177], v[188:189]
	v_min_f64 v[178:179], v[178:179], v[188:189]
	v_min_f64 v[180:181], v[180:181], v[188:189]
	v_min_f64 v[182:183], v[182:183], v[188:189]
	v_min_f64 v[184:185], v[184:185], v[188:189]
	s_add_i32 s8, s8, 8
	v_add_f64 v[62:63], v[62:63], v[144:145]
	v_add_f64 v[60:61], v[60:61], v[146:147]
	;; [unrolled: 1-line block ×16, first 2 shown]
	v_min_f64 v[144:145], v[190:191], v[186:187]
	v_min_f64 v[146:147], v[192:193], v[186:187]
	;; [unrolled: 1-line block ×32, first 2 shown]
	s_cmp_eq_u32 s8, 32
	v_add_f64 v[126:127], v[126:127], v[222:223]
	v_add_f64 v[124:125], v[124:125], v[224:225]
	;; [unrolled: 1-line block ×48, first 2 shown]
	s_cbranch_scc0 .LBB199_9
; %bb.10:
	s_load_dword s21, s[0:1], 0x8
	s_waitcnt vmcnt(0)
	ds_write2st64_b64 v156, v[140:141], v[138:139] offset0:8 offset1:12
	ds_write2st64_b64 v143, v[134:135], v[136:137] offset0:24 offset1:28
	s_waitcnt lgkmcnt(0)
	s_barrier
	s_cmp_gt_i32 s21, 8
	s_cbranch_scc1 .LBB199_12
; %bb.11:
	v_add_u32_e32 v152, 0x3000, v142
	s_cbranch_execz .LBB199_13
	s_branch .LBB199_19
.LBB199_12:
                                        ; implicit-def: $vgpr152
.LBB199_13:
	v_mov_b32_e32 v134, 0x1000
	v_add_u32_e32 v158, 0x1000, v156
	v_or_b32_e32 v159, 0x3000, v143
	s_add_i32 s8, s21, -8
	v_lshl_add_u32 v160, v148, 5, v134
	v_lshl_add_u64 v[132:133], v[132:133], 3, s[16:17]
	v_add_u32_e32 v152, 0x3000, v142
	s_mov_b32 s9, 8
	s_mov_b32 s16, 0
	v_mov_b32_e32 v135, 0
.LBB199_14:                             ; =>This Loop Header: Depth=1
                                        ;     Child Loop BB199_15 Depth 2
                                        ;     Child Loop BB199_17 Depth 2
	v_add_u32_e32 v146, s9, v151
	v_or_b32_e32 v134, s9, v150
	v_mad_u64_u32 v[144:145], s[22:23], v146, s19, 0
	v_lshl_add_u64 v[138:139], v[134:135], 3, s[14:15]
	v_mov_b32_e32 v134, v145
	v_mad_u64_u32 v[146:147], s[22:23], v146, s20, v[134:135]
	v_mov_b32_e32 v145, v146
	v_lshl_add_u64 v[136:137], v[128:129], 3, v[138:139]
	v_lshl_add_u64 v[146:147], v[144:145], 3, v[132:133]
	;; [unrolled: 1-line block ×3, first 2 shown]
	global_load_dwordx2 v[140:141], v[136:137], off
	global_load_dwordx2 v[142:143], v[138:139], off
	;; [unrolled: 1-line block ×3, first 2 shown]
	s_nop 0
	global_load_dwordx2 v[146:147], v[146:147], off offset:512
	s_mov_b32 s17, 0
.LBB199_15:                             ;   Parent Loop BB199_14 Depth=1
                                        ; =>  This Inner Loop Header: Depth=2
	v_add_u32_e32 v134, s17, v160
	ds_read2_b64 v[162:165], v134 offset1:16
	ds_read2_b64 v[166:169], v134 offset0:32 offset1:48
	ds_read2_b64 v[170:173], v134 offset0:64 offset1:80
	;; [unrolled: 1-line block ×7, first 2 shown]
	v_add_u32_e32 v134, 0x800, v134
	ds_read2_b64 v[194:197], v134 offset1:16
	ds_read2_b64 v[198:201], v134 offset0:32 offset1:48
	ds_read2_b64 v[202:205], v134 offset0:64 offset1:80
	;; [unrolled: 1-line block ×7, first 2 shown]
	v_add_u32_e32 v134, s17, v152
	ds_read2st64_b64 v[226:229], v134 offset1:4
	s_waitcnt lgkmcnt(14)
	v_max_f64 v[162:163], v[162:163], v[162:163]
	v_max_f64 v[164:165], v[164:165], v[164:165]
	;; [unrolled: 1-line block ×4, first 2 shown]
	s_waitcnt lgkmcnt(0)
	v_max_f64 v[226:227], v[226:227], v[226:227]
	v_min_f64 v[230:231], v[162:163], v[226:227]
	v_add_f64 v[126:127], v[126:127], v[230:231]
	v_min_f64 v[230:231], v[164:165], v[226:227]
	v_add_f64 v[124:125], v[124:125], v[230:231]
	;; [unrolled: 2-line block ×3, first 2 shown]
	v_min_f64 v[230:231], v[168:169], v[226:227]
	v_max_f64 v[170:171], v[170:171], v[170:171]
	v_add_f64 v[120:121], v[120:121], v[230:231]
	v_min_f64 v[230:231], v[170:171], v[226:227]
	v_max_f64 v[172:173], v[172:173], v[172:173]
	v_add_f64 v[118:119], v[118:119], v[230:231]
	;; [unrolled: 3-line block ×26, first 2 shown]
	v_min_f64 v[230:231], v[220:221], v[226:227]
	v_max_f64 v[222:223], v[222:223], v[222:223]
	v_max_f64 v[224:225], v[224:225], v[224:225]
	v_add_f64 v[68:69], v[68:69], v[230:231]
	v_min_f64 v[230:231], v[222:223], v[226:227]
	v_min_f64 v[226:227], v[224:225], v[226:227]
	v_add_f64 v[64:65], v[64:65], v[226:227]
	v_max_f64 v[226:227], v[228:229], v[228:229]
	v_min_f64 v[162:163], v[162:163], v[226:227]
	v_add_f64 v[62:63], v[62:63], v[162:163]
	v_min_f64 v[162:163], v[164:165], v[226:227]
	v_add_f64 v[60:61], v[60:61], v[162:163]
	;; [unrolled: 2-line block ×31, first 2 shown]
	v_min_f64 v[162:163], v[224:225], v[226:227]
	s_add_i32 s17, s17, 8
	v_add_f64 v[66:67], v[66:67], v[230:231]
	v_add_f64 v[0:1], v[0:1], v[162:163]
	s_cmp_eq_u32 s17, 32
	s_cbranch_scc0 .LBB199_15
; %bb.16:                               ;   in Loop: Header=BB199_14 Depth=1
	s_waitcnt vmcnt(2)
	ds_write2st64_b64 v156, v[140:141], v[142:143] offset1:4
	s_waitcnt vmcnt(0)
	ds_write2st64_b64 v157, v[144:145], v[146:147] offset1:4
	v_add_u32_e32 v142, s9, v155
	v_mad_u64_u32 v[140:141], s[22:23], v142, s19, 0
	v_mov_b32_e32 v134, v141
	v_mad_u64_u32 v[142:143], s[22:23], v142, s20, v[134:135]
	v_mov_b32_e32 v141, v142
	v_lshl_add_u64 v[142:143], v[140:141], 3, v[132:133]
	s_waitcnt lgkmcnt(0)
	s_barrier
	global_load_dwordx2 v[136:137], v[136:137], off offset:32
	s_nop 0
	global_load_dwordx2 v[138:139], v[138:139], off offset:32
	s_nop 0
	global_load_dwordx2 v[140:141], v[142:143], off
	s_nop 0
	global_load_dwordx2 v[142:143], v[142:143], off offset:512
	s_mov_b32 s17, 0
.LBB199_17:                             ;   Parent Loop BB199_14 Depth=1
                                        ; =>  This Inner Loop Header: Depth=2
	v_add_u32_e32 v134, s17, v153
	ds_read2_b64 v[144:147], v134 offset1:16
	ds_read2_b64 v[162:165], v134 offset0:32 offset1:48
	ds_read2_b64 v[166:169], v134 offset0:64 offset1:80
	;; [unrolled: 1-line block ×7, first 2 shown]
	v_add_u32_e32 v134, 0x800, v134
	ds_read2_b64 v[190:193], v134 offset1:16
	ds_read2_b64 v[194:197], v134 offset0:32 offset1:48
	ds_read2_b64 v[198:201], v134 offset0:64 offset1:80
	;; [unrolled: 1-line block ×7, first 2 shown]
	v_add_u32_e32 v134, s17, v154
	ds_read2st64_b64 v[222:225], v134 offset1:4
	s_waitcnt lgkmcnt(14)
	v_max_f64 v[144:145], v[144:145], v[144:145]
	v_max_f64 v[146:147], v[146:147], v[146:147]
	;; [unrolled: 1-line block ×4, first 2 shown]
	s_waitcnt lgkmcnt(0)
	v_max_f64 v[222:223], v[222:223], v[222:223]
	v_min_f64 v[226:227], v[144:145], v[222:223]
	v_add_f64 v[126:127], v[126:127], v[226:227]
	v_min_f64 v[226:227], v[146:147], v[222:223]
	v_add_f64 v[124:125], v[124:125], v[226:227]
	;; [unrolled: 2-line block ×3, first 2 shown]
	v_min_f64 v[226:227], v[164:165], v[222:223]
	v_max_f64 v[166:167], v[166:167], v[166:167]
	v_add_f64 v[120:121], v[120:121], v[226:227]
	v_min_f64 v[226:227], v[166:167], v[222:223]
	v_max_f64 v[168:169], v[168:169], v[168:169]
	v_add_f64 v[118:119], v[118:119], v[226:227]
	;; [unrolled: 3-line block ×26, first 2 shown]
	v_min_f64 v[226:227], v[216:217], v[222:223]
	v_max_f64 v[218:219], v[218:219], v[218:219]
	v_max_f64 v[220:221], v[220:221], v[220:221]
	v_add_f64 v[68:69], v[68:69], v[226:227]
	v_min_f64 v[226:227], v[218:219], v[222:223]
	v_min_f64 v[222:223], v[220:221], v[222:223]
	v_add_f64 v[64:65], v[64:65], v[222:223]
	v_max_f64 v[222:223], v[224:225], v[224:225]
	v_min_f64 v[144:145], v[144:145], v[222:223]
	v_add_f64 v[62:63], v[62:63], v[144:145]
	v_min_f64 v[144:145], v[146:147], v[222:223]
	v_add_f64 v[60:61], v[60:61], v[144:145]
	;; [unrolled: 2-line block ×31, first 2 shown]
	v_min_f64 v[144:145], v[220:221], v[222:223]
	s_add_i32 s17, s17, 8
	v_add_f64 v[66:67], v[66:67], v[226:227]
	v_add_f64 v[0:1], v[0:1], v[144:145]
	s_cmp_eq_u32 s17, 32
	s_cbranch_scc0 .LBB199_17
; %bb.18:                               ;   in Loop: Header=BB199_14 Depth=1
	s_add_i32 s9, s9, 8
	s_add_i32 s16, s16, 8
	s_cmp_ge_i32 s16, s8
	s_waitcnt vmcnt(2)
	ds_write2st64_b64 v158, v[136:137], v[138:139] offset1:4
	s_waitcnt vmcnt(0)
	ds_write2st64_b64 v159, v[140:141], v[142:143] offset1:4
	s_waitcnt lgkmcnt(0)
	s_barrier
	s_cbranch_scc0 .LBB199_14
.LBB199_19:
	v_mov_b32_e32 v128, 0x1000
	v_lshl_add_u32 v128, v148, 5, v128
	s_mov_b32 s8, 0
.LBB199_20:                             ; =>This Inner Loop Header: Depth=1
	v_add_u32_e32 v129, s8, v128
	v_add_u32_e32 v146, s8, v152
	ds_read2_b64 v[130:133], v129 offset1:16
	ds_read2_b64 v[134:137], v129 offset0:32 offset1:48
	ds_read2_b64 v[138:141], v129 offset0:64 offset1:80
	;; [unrolled: 1-line block ×7, first 2 shown]
	v_add_u32_e32 v129, 0x800, v129
	ds_read2st64_b64 v[170:173], v146 offset1:4
	ds_read2_b64 v[174:177], v129 offset1:16
	ds_read2_b64 v[178:181], v129 offset0:32 offset1:48
	ds_read2_b64 v[182:185], v129 offset0:64 offset1:80
	ds_read2_b64 v[186:189], v129 offset0:96 offset1:112
	ds_read2_b64 v[190:193], v129 offset0:128 offset1:144
	ds_read2_b64 v[194:197], v129 offset0:160 offset1:176
	ds_read2_b64 v[198:201], v129 offset0:192 offset1:208
	ds_read2_b64 v[202:205], v129 offset0:224 offset1:240
	s_waitcnt lgkmcnt(14)
	v_max_f64 v[130:131], v[130:131], v[130:131]
	v_max_f64 v[132:133], v[132:133], v[132:133]
	;; [unrolled: 1-line block ×3, first 2 shown]
	s_waitcnt lgkmcnt(8)
	v_max_f64 v[146:147], v[170:171], v[170:171]
	v_max_f64 v[136:137], v[136:137], v[136:137]
	;; [unrolled: 1-line block ×15, first 2 shown]
	v_min_f64 v[170:171], v[130:131], v[146:147]
	v_min_f64 v[172:173], v[132:133], v[146:147]
	;; [unrolled: 1-line block ×16, first 2 shown]
	s_waitcnt lgkmcnt(7)
	v_max_f64 v[174:175], v[174:175], v[174:175]
	v_max_f64 v[176:177], v[176:177], v[176:177]
	s_waitcnt lgkmcnt(6)
	v_max_f64 v[178:179], v[178:179], v[178:179]
	v_max_f64 v[180:181], v[180:181], v[180:181]
	;; [unrolled: 3-line block ×8, first 2 shown]
	v_min_f64 v[130:131], v[130:131], v[168:169]
	v_min_f64 v[132:133], v[132:133], v[168:169]
	v_min_f64 v[134:135], v[134:135], v[168:169]
	v_min_f64 v[136:137], v[136:137], v[168:169]
	v_min_f64 v[138:139], v[138:139], v[168:169]
	v_min_f64 v[140:141], v[140:141], v[168:169]
	v_min_f64 v[142:143], v[142:143], v[168:169]
	v_min_f64 v[144:145], v[144:145], v[168:169]
	v_min_f64 v[150:151], v[150:151], v[168:169]
	v_min_f64 v[154:155], v[154:155], v[168:169]
	v_min_f64 v[156:157], v[156:157], v[168:169]
	v_min_f64 v[158:159], v[158:159], v[168:169]
	v_min_f64 v[160:161], v[160:161], v[168:169]
	v_min_f64 v[162:163], v[162:163], v[168:169]
	v_min_f64 v[164:165], v[164:165], v[168:169]
	v_min_f64 v[166:167], v[166:167], v[168:169]
	s_add_i32 s8, s8, 8
	v_add_f64 v[126:127], v[126:127], v[170:171]
	v_add_f64 v[124:125], v[124:125], v[172:173]
	;; [unrolled: 1-line block ×15, first 2 shown]
	v_min_f64 v[170:171], v[174:175], v[146:147]
	v_min_f64 v[172:173], v[176:177], v[146:147]
	;; [unrolled: 1-line block ×16, first 2 shown]
	v_add_f64 v[62:63], v[62:63], v[130:131]
	v_add_f64 v[60:61], v[60:61], v[132:133]
	;; [unrolled: 1-line block ×16, first 2 shown]
	v_min_f64 v[130:131], v[174:175], v[168:169]
	v_min_f64 v[132:133], v[176:177], v[168:169]
	;; [unrolled: 1-line block ×16, first 2 shown]
	s_cmp_eq_u32 s8, 32
	v_add_f64 v[96:97], v[96:97], v[232:233]
	v_add_f64 v[94:95], v[94:95], v[170:171]
	;; [unrolled: 1-line block ×33, first 2 shown]
	s_cbranch_scc0 .LBB199_20
; %bb.21:
	s_load_dwordx2 s[14:15], s[0:1], 0x78
	s_load_dword s8, s[0:1], 0x58
	s_load_dword s9, s[0:1], 0x70
	v_add_u32_e32 v170, s18, v149
	v_add_u32_e32 v130, s2, v148
	s_waitcnt lgkmcnt(0)
	s_mul_i32 s1, s15, s3
	s_mul_hi_u32 s15, s14, s3
	s_mul_i32 s0, s14, s3
	s_add_i32 s1, s15, s1
	s_lshl_b64 s[0:1], s[0:1], 3
	s_add_u32 s0, s10, s0
	s_addc_u32 s1, s11, s1
	v_mad_i64_i32 v[132:133], s[2:3], v170, s9, 0
	v_add_u32_e32 v128, 4, v130
	v_lshl_add_u64 v[138:139], v[132:133], 3, s[0:1]
	v_mad_i64_i32 v[132:133], s[2:3], v170, s8, 0
	v_ashrrev_i32_e32 v131, 31, v130
	v_ashrrev_i32_e32 v129, 31, v128
	s_mov_b64 s[2:3], -1
	s_mov_b64 vcc, s[4:5]
	s_cbranch_vccz .LBB199_23
; %bb.22:
	v_add_f64 v[134:135], v[126:127], 0
	v_lshl_add_u64 v[136:137], v[130:131], 3, v[138:139]
	s_mov_b64 s[2:3], 0
	global_store_dwordx2 v[136:137], v[134:135], off
.LBB199_23:
	v_lshl_add_u64 v[146:147], v[132:133], 3, s[12:13]
	v_mov_b64_e32 v[136:137], 0
	s_andn2_b64 vcc, exec, s[2:3]
	v_lshlrev_b64 v[134:135], 3, v[130:131]
	s_cbranch_vccnz .LBB199_25
; %bb.24:
	v_lshl_add_u64 v[132:133], v[146:147], 0, v[134:135]
	global_load_dwordx2 v[132:133], v[132:133], off
	v_lshl_add_u64 v[136:137], v[138:139], 0, v[134:135]
	s_waitcnt vmcnt(0)
	v_fmac_f64_e32 v[126:127], s[6:7], v[132:133]
	global_store_dwordx2 v[136:137], v[126:127], off
	v_lshl_add_u64 v[126:127], v[128:129], 3, v[146:147]
	global_load_dwordx2 v[126:127], v[126:127], off
	s_waitcnt vmcnt(0)
	v_mul_f64 v[136:137], s[6:7], v[126:127]
.LBB199_25:
	v_add_u32_e32 v132, 8, v130
	v_add_u32_e32 v126, 12, v130
	v_ashrrev_i32_e32 v133, 31, v132
	v_ashrrev_i32_e32 v127, 31, v126
	v_add_f64 v[124:125], v[124:125], v[136:137]
	v_lshl_add_u64 v[136:137], v[128:129], 3, v[138:139]
	s_mov_b64 s[2:3], -1
	s_mov_b64 vcc, s[4:5]
	global_store_dwordx2 v[136:137], v[124:125], off
	s_cbranch_vccz .LBB199_27
; %bb.26:
	v_add_f64 v[124:125], v[122:123], 0
	v_lshl_add_u64 v[136:137], v[132:133], 3, v[138:139]
	s_mov_b64 s[2:3], 0
	global_store_dwordx2 v[136:137], v[124:125], off
.LBB199_27:
	v_mov_b64_e32 v[140:141], 0
	s_andn2_b64 vcc, exec, s[2:3]
	v_lshlrev_b64 v[136:137], 3, v[132:133]
	s_cbranch_vccnz .LBB199_29
; %bb.28:
	v_lshl_add_u64 v[124:125], v[146:147], 0, v[136:137]
	global_load_dwordx2 v[124:125], v[124:125], off
	v_lshl_add_u64 v[140:141], v[138:139], 0, v[136:137]
	s_waitcnt vmcnt(0)
	v_fmac_f64_e32 v[122:123], s[6:7], v[124:125]
	global_store_dwordx2 v[140:141], v[122:123], off
	v_lshl_add_u64 v[122:123], v[126:127], 3, v[146:147]
	global_load_dwordx2 v[122:123], v[122:123], off
	s_waitcnt vmcnt(0)
	v_mul_f64 v[140:141], s[6:7], v[122:123]
.LBB199_29:
	v_add_u32_e32 v124, 16, v130
	v_add_u32_e32 v122, 20, v130
	v_ashrrev_i32_e32 v125, 31, v124
	v_ashrrev_i32_e32 v123, 31, v122
	v_add_f64 v[120:121], v[120:121], v[140:141]
	v_lshl_add_u64 v[140:141], v[126:127], 3, v[138:139]
	s_mov_b64 s[2:3], -1
	s_mov_b64 vcc, s[4:5]
	global_store_dwordx2 v[140:141], v[120:121], off
	s_cbranch_vccz .LBB199_31
; %bb.30:
	v_add_f64 v[120:121], v[118:119], 0
	v_lshl_add_u64 v[140:141], v[124:125], 3, v[138:139]
	s_mov_b64 s[2:3], 0
	global_store_dwordx2 v[140:141], v[120:121], off
.LBB199_31:
	;; [unrolled: 32-line block ×15, first 2 shown]
	v_mov_b64_e32 v[168:169], 0
	s_andn2_b64 vcc, exec, s[2:3]
	v_lshlrev_b64 v[68:69], 3, v[72:73]
	s_cbranch_vccnz .LBB199_85
; %bb.84:
	v_lshl_add_u64 v[168:169], v[146:147], 0, v[68:69]
	global_load_dwordx2 v[168:169], v[168:169], off
	v_lshl_add_u64 v[172:173], v[138:139], 0, v[68:69]
	s_waitcnt vmcnt(0)
	v_fmac_f64_e32 v[66:67], s[6:7], v[168:169]
	global_store_dwordx2 v[172:173], v[66:67], off
	v_lshl_add_u64 v[66:67], v[70:71], 3, v[146:147]
	global_load_dwordx2 v[66:67], v[66:67], off
	s_waitcnt vmcnt(0)
	v_mul_f64 v[168:169], s[6:7], v[66:67]
.LBB199_85:
	v_add_f64 v[64:65], v[64:65], v[168:169]
	v_lshl_add_u64 v[66:67], v[70:71], 3, v[138:139]
	global_store_dwordx2 v[66:67], v[64:65], off
	v_add_u32_e32 v66, 64, v170
	v_mad_i64_i32 v[64:65], s[2:3], v66, s9, 0
	v_lshl_add_u64 v[64:65], v[64:65], 3, s[0:1]
	v_mad_i64_i32 v[66:67], s[0:1], v66, s8, 0
	s_mov_b64 s[0:1], -1
	s_mov_b64 vcc, s[4:5]
	s_cbranch_vccz .LBB199_87
; %bb.86:
	v_add_f64 v[138:139], v[62:63], 0
	v_lshl_add_u64 v[130:131], v[130:131], 3, v[64:65]
	s_mov_b64 s[0:1], 0
	global_store_dwordx2 v[130:131], v[138:139], off
.LBB199_87:
	v_lshl_add_u64 v[66:67], v[66:67], 3, s[12:13]
	s_andn2_b64 vcc, exec, s[0:1]
	v_mov_b64_e32 v[130:131], 0
	s_cbranch_vccnz .LBB199_89
; %bb.88:
	v_lshl_add_u64 v[130:131], v[66:67], 0, v[134:135]
	global_load_dwordx2 v[130:131], v[130:131], off
	v_lshl_add_u64 v[134:135], v[64:65], 0, v[134:135]
	s_waitcnt vmcnt(0)
	v_fmac_f64_e32 v[62:63], s[6:7], v[130:131]
	global_store_dwordx2 v[134:135], v[62:63], off
	v_lshl_add_u64 v[62:63], v[128:129], 3, v[66:67]
	global_load_dwordx2 v[62:63], v[62:63], off
	s_waitcnt vmcnt(0)
	v_mul_f64 v[130:131], s[6:7], v[62:63]
.LBB199_89:
	v_add_f64 v[60:61], v[60:61], v[130:131]
	v_lshl_add_u64 v[62:63], v[128:129], 3, v[64:65]
	s_mov_b64 s[0:1], -1
	s_mov_b64 vcc, s[4:5]
	global_store_dwordx2 v[62:63], v[60:61], off
	s_cbranch_vccz .LBB199_91
; %bb.90:
	v_add_f64 v[60:61], v[58:59], 0
	v_lshl_add_u64 v[62:63], v[132:133], 3, v[64:65]
	s_mov_b64 s[0:1], 0
	global_store_dwordx2 v[62:63], v[60:61], off
.LBB199_91:
	s_andn2_b64 vcc, exec, s[0:1]
	v_mov_b64_e32 v[60:61], 0
	s_cbranch_vccnz .LBB199_93
; %bb.92:
	v_lshl_add_u64 v[60:61], v[66:67], 0, v[136:137]
	global_load_dwordx2 v[60:61], v[60:61], off
	v_lshl_add_u64 v[62:63], v[64:65], 0, v[136:137]
	s_waitcnt vmcnt(0)
	v_fmac_f64_e32 v[58:59], s[6:7], v[60:61]
	global_store_dwordx2 v[62:63], v[58:59], off
	v_lshl_add_u64 v[58:59], v[126:127], 3, v[66:67]
	global_load_dwordx2 v[58:59], v[58:59], off
	s_waitcnt vmcnt(0)
	v_mul_f64 v[60:61], s[6:7], v[58:59]
.LBB199_93:
	v_add_f64 v[56:57], v[56:57], v[60:61]
	v_lshl_add_u64 v[58:59], v[126:127], 3, v[64:65]
	s_mov_b64 s[0:1], -1
	s_mov_b64 vcc, s[4:5]
	global_store_dwordx2 v[58:59], v[56:57], off
	s_cbranch_vccz .LBB199_95
; %bb.94:
	v_add_f64 v[56:57], v[54:55], 0
	v_lshl_add_u64 v[58:59], v[124:125], 3, v[64:65]
	s_mov_b64 s[0:1], 0
	global_store_dwordx2 v[58:59], v[56:57], off
.LBB199_95:
	;; [unrolled: 27-line block ×14, first 2 shown]
	s_andn2_b64 vcc, exec, s[0:1]
	v_mov_b64_e32 v[8:9], 0
	s_cbranch_vccnz .LBB199_145
; %bb.144:
	v_lshl_add_u64 v[8:9], v[66:67], 0, v[166:167]
	global_load_dwordx2 v[8:9], v[8:9], off
	v_lshl_add_u64 v[10:11], v[64:65], 0, v[166:167]
	s_waitcnt vmcnt(0)
	v_fmac_f64_e32 v[6:7], s[6:7], v[8:9]
	global_store_dwordx2 v[10:11], v[6:7], off
	v_lshl_add_u64 v[6:7], v[74:75], 3, v[66:67]
	global_load_dwordx2 v[6:7], v[6:7], off
	s_waitcnt vmcnt(0)
	v_mul_f64 v[8:9], s[6:7], v[6:7]
.LBB199_145:
	v_add_f64 v[4:5], v[4:5], v[8:9]
	v_lshl_add_u64 v[6:7], v[74:75], 3, v[64:65]
	s_mov_b64 s[0:1], -1
	s_mov_b64 vcc, s[4:5]
	global_store_dwordx2 v[6:7], v[4:5], off
	s_cbranch_vccnz .LBB199_148
; %bb.146:
	s_andn2_b64 vcc, exec, s[0:1]
	v_mov_b64_e32 v[4:5], 0
	s_cbranch_vccz .LBB199_149
.LBB199_147:
	v_add_f64 v[0:1], v[0:1], v[4:5]
	v_lshl_add_u64 v[2:3], v[70:71], 3, v[64:65]
	global_store_dwordx2 v[2:3], v[0:1], off
	s_endpgm
.LBB199_148:
	v_add_f64 v[4:5], v[2:3], 0
	v_lshl_add_u64 v[6:7], v[72:73], 3, v[64:65]
	global_store_dwordx2 v[6:7], v[4:5], off
	v_mov_b64_e32 v[4:5], 0
	s_cbranch_execnz .LBB199_147
.LBB199_149:
	v_lshl_add_u64 v[4:5], v[66:67], 0, v[68:69]
	global_load_dwordx2 v[4:5], v[4:5], off
	v_lshl_add_u64 v[6:7], v[64:65], 0, v[68:69]
	s_waitcnt vmcnt(0)
	v_fmac_f64_e32 v[2:3], s[6:7], v[4:5]
	global_store_dwordx2 v[6:7], v[2:3], off
	v_lshl_add_u64 v[2:3], v[70:71], 3, v[66:67]
	global_load_dwordx2 v[2:3], v[2:3], off
	s_waitcnt vmcnt(0)
	v_mul_f64 v[4:5], s[6:7], v[2:3]
	v_add_f64 v[0:1], v[0:1], v[4:5]
	v_lshl_add_u64 v[2:3], v[70:71], 3, v[64:65]
	global_store_dwordx2 v[2:3], v[0:1], off
	s_endpgm
	.section	.rodata,"a",@progbits
	.p2align	6, 0x0
	.amdhsa_kernel _ZN12_GLOBAL__N_120geam_min_plus_kernelIdddLi4ELi64ELi128ELi128ELi4ELi4ELi64ELi64ELi4ELc84ELc84ELb1ELb0ELb0EdKddEEviiiT16_PT17_ilS4_ilS2_S4_ilPT18_ili26rocblas_geam_ex_operation_
		.amdhsa_group_segment_fixed_size 16384
		.amdhsa_private_segment_fixed_size 0
		.amdhsa_kernarg_size 136
		.amdhsa_user_sgpr_count 2
		.amdhsa_user_sgpr_dispatch_ptr 0
		.amdhsa_user_sgpr_queue_ptr 0
		.amdhsa_user_sgpr_kernarg_segment_ptr 1
		.amdhsa_user_sgpr_dispatch_id 0
		.amdhsa_user_sgpr_kernarg_preload_length 0
		.amdhsa_user_sgpr_kernarg_preload_offset 0
		.amdhsa_user_sgpr_private_segment_size 0
		.amdhsa_uses_dynamic_stack 0
		.amdhsa_enable_private_segment 0
		.amdhsa_system_sgpr_workgroup_id_x 1
		.amdhsa_system_sgpr_workgroup_id_y 0
		.amdhsa_system_sgpr_workgroup_id_z 1
		.amdhsa_system_sgpr_workgroup_info 0
		.amdhsa_system_vgpr_workitem_id 1
		.amdhsa_next_free_vgpr 254
		.amdhsa_next_free_sgpr 24
		.amdhsa_accum_offset 256
		.amdhsa_reserve_vcc 1
		.amdhsa_float_round_mode_32 0
		.amdhsa_float_round_mode_16_64 0
		.amdhsa_float_denorm_mode_32 3
		.amdhsa_float_denorm_mode_16_64 3
		.amdhsa_dx10_clamp 1
		.amdhsa_ieee_mode 1
		.amdhsa_fp16_overflow 0
		.amdhsa_tg_split 0
		.amdhsa_exception_fp_ieee_invalid_op 0
		.amdhsa_exception_fp_denorm_src 0
		.amdhsa_exception_fp_ieee_div_zero 0
		.amdhsa_exception_fp_ieee_overflow 0
		.amdhsa_exception_fp_ieee_underflow 0
		.amdhsa_exception_fp_ieee_inexact 0
		.amdhsa_exception_int_div_zero 0
	.end_amdhsa_kernel
	.section	.text._ZN12_GLOBAL__N_120geam_min_plus_kernelIdddLi4ELi64ELi128ELi128ELi4ELi4ELi64ELi64ELi4ELc84ELc84ELb1ELb0ELb0EdKddEEviiiT16_PT17_ilS4_ilS2_S4_ilPT18_ili26rocblas_geam_ex_operation_,"axG",@progbits,_ZN12_GLOBAL__N_120geam_min_plus_kernelIdddLi4ELi64ELi128ELi128ELi4ELi4ELi64ELi64ELi4ELc84ELc84ELb1ELb0ELb0EdKddEEviiiT16_PT17_ilS4_ilS2_S4_ilPT18_ili26rocblas_geam_ex_operation_,comdat
.Lfunc_end199:
	.size	_ZN12_GLOBAL__N_120geam_min_plus_kernelIdddLi4ELi64ELi128ELi128ELi4ELi4ELi64ELi64ELi4ELc84ELc84ELb1ELb0ELb0EdKddEEviiiT16_PT17_ilS4_ilS2_S4_ilPT18_ili26rocblas_geam_ex_operation_, .Lfunc_end199-_ZN12_GLOBAL__N_120geam_min_plus_kernelIdddLi4ELi64ELi128ELi128ELi4ELi4ELi64ELi64ELi4ELc84ELc84ELb1ELb0ELb0EdKddEEviiiT16_PT17_ilS4_ilS2_S4_ilPT18_ili26rocblas_geam_ex_operation_
                                        ; -- End function
	.set _ZN12_GLOBAL__N_120geam_min_plus_kernelIdddLi4ELi64ELi128ELi128ELi4ELi4ELi64ELi64ELi4ELc84ELc84ELb1ELb0ELb0EdKddEEviiiT16_PT17_ilS4_ilS2_S4_ilPT18_ili26rocblas_geam_ex_operation_.num_vgpr, 254
	.set _ZN12_GLOBAL__N_120geam_min_plus_kernelIdddLi4ELi64ELi128ELi128ELi4ELi4ELi64ELi64ELi4ELc84ELc84ELb1ELb0ELb0EdKddEEviiiT16_PT17_ilS4_ilS2_S4_ilPT18_ili26rocblas_geam_ex_operation_.num_agpr, 0
	.set _ZN12_GLOBAL__N_120geam_min_plus_kernelIdddLi4ELi64ELi128ELi128ELi4ELi4ELi64ELi64ELi4ELc84ELc84ELb1ELb0ELb0EdKddEEviiiT16_PT17_ilS4_ilS2_S4_ilPT18_ili26rocblas_geam_ex_operation_.numbered_sgpr, 24
	.set _ZN12_GLOBAL__N_120geam_min_plus_kernelIdddLi4ELi64ELi128ELi128ELi4ELi4ELi64ELi64ELi4ELc84ELc84ELb1ELb0ELb0EdKddEEviiiT16_PT17_ilS4_ilS2_S4_ilPT18_ili26rocblas_geam_ex_operation_.num_named_barrier, 0
	.set _ZN12_GLOBAL__N_120geam_min_plus_kernelIdddLi4ELi64ELi128ELi128ELi4ELi4ELi64ELi64ELi4ELc84ELc84ELb1ELb0ELb0EdKddEEviiiT16_PT17_ilS4_ilS2_S4_ilPT18_ili26rocblas_geam_ex_operation_.private_seg_size, 0
	.set _ZN12_GLOBAL__N_120geam_min_plus_kernelIdddLi4ELi64ELi128ELi128ELi4ELi4ELi64ELi64ELi4ELc84ELc84ELb1ELb0ELb0EdKddEEviiiT16_PT17_ilS4_ilS2_S4_ilPT18_ili26rocblas_geam_ex_operation_.uses_vcc, 1
	.set _ZN12_GLOBAL__N_120geam_min_plus_kernelIdddLi4ELi64ELi128ELi128ELi4ELi4ELi64ELi64ELi4ELc84ELc84ELb1ELb0ELb0EdKddEEviiiT16_PT17_ilS4_ilS2_S4_ilPT18_ili26rocblas_geam_ex_operation_.uses_flat_scratch, 0
	.set _ZN12_GLOBAL__N_120geam_min_plus_kernelIdddLi4ELi64ELi128ELi128ELi4ELi4ELi64ELi64ELi4ELc84ELc84ELb1ELb0ELb0EdKddEEviiiT16_PT17_ilS4_ilS2_S4_ilPT18_ili26rocblas_geam_ex_operation_.has_dyn_sized_stack, 0
	.set _ZN12_GLOBAL__N_120geam_min_plus_kernelIdddLi4ELi64ELi128ELi128ELi4ELi4ELi64ELi64ELi4ELc84ELc84ELb1ELb0ELb0EdKddEEviiiT16_PT17_ilS4_ilS2_S4_ilPT18_ili26rocblas_geam_ex_operation_.has_recursion, 0
	.set _ZN12_GLOBAL__N_120geam_min_plus_kernelIdddLi4ELi64ELi128ELi128ELi4ELi4ELi64ELi64ELi4ELc84ELc84ELb1ELb0ELb0EdKddEEviiiT16_PT17_ilS4_ilS2_S4_ilPT18_ili26rocblas_geam_ex_operation_.has_indirect_call, 0
	.section	.AMDGPU.csdata,"",@progbits
; Kernel info:
; codeLenInByte = 12512
; TotalNumSgprs: 30
; NumVgprs: 254
; NumAgprs: 0
; TotalNumVgprs: 254
; ScratchSize: 0
; MemoryBound: 0
; FloatMode: 240
; IeeeMode: 1
; LDSByteSize: 16384 bytes/workgroup (compile time only)
; SGPRBlocks: 3
; VGPRBlocks: 31
; NumSGPRsForWavesPerEU: 30
; NumVGPRsForWavesPerEU: 254
; AccumOffset: 256
; Occupancy: 2
; WaveLimiterHint : 1
; COMPUTE_PGM_RSRC2:SCRATCH_EN: 0
; COMPUTE_PGM_RSRC2:USER_SGPR: 2
; COMPUTE_PGM_RSRC2:TRAP_HANDLER: 0
; COMPUTE_PGM_RSRC2:TGID_X_EN: 1
; COMPUTE_PGM_RSRC2:TGID_Y_EN: 0
; COMPUTE_PGM_RSRC2:TGID_Z_EN: 1
; COMPUTE_PGM_RSRC2:TIDIG_COMP_CNT: 1
; COMPUTE_PGM_RSRC3_GFX90A:ACCUM_OFFSET: 63
; COMPUTE_PGM_RSRC3_GFX90A:TG_SPLIT: 0
	.section	.text._ZN12_GLOBAL__N_120geam_min_plus_kernelIdddLi4ELi64ELi128ELi128ELi4ELi4ELi64ELi64ELi4ELc84ELc84ELb0ELb0ELb0EdKddEEviiiT16_PT17_ilS4_ilS2_S4_ilPT18_ili26rocblas_geam_ex_operation_,"axG",@progbits,_ZN12_GLOBAL__N_120geam_min_plus_kernelIdddLi4ELi64ELi128ELi128ELi4ELi4ELi64ELi64ELi4ELc84ELc84ELb0ELb0ELb0EdKddEEviiiT16_PT17_ilS4_ilS2_S4_ilPT18_ili26rocblas_geam_ex_operation_,comdat
	.globl	_ZN12_GLOBAL__N_120geam_min_plus_kernelIdddLi4ELi64ELi128ELi128ELi4ELi4ELi64ELi64ELi4ELc84ELc84ELb0ELb0ELb0EdKddEEviiiT16_PT17_ilS4_ilS2_S4_ilPT18_ili26rocblas_geam_ex_operation_ ; -- Begin function _ZN12_GLOBAL__N_120geam_min_plus_kernelIdddLi4ELi64ELi128ELi128ELi4ELi4ELi64ELi64ELi4ELc84ELc84ELb0ELb0ELb0EdKddEEviiiT16_PT17_ilS4_ilS2_S4_ilPT18_ili26rocblas_geam_ex_operation_
	.p2align	8
	.type	_ZN12_GLOBAL__N_120geam_min_plus_kernelIdddLi4ELi64ELi128ELi128ELi4ELi4ELi64ELi64ELi4ELc84ELc84ELb0ELb0ELb0EdKddEEviiiT16_PT17_ilS4_ilS2_S4_ilPT18_ili26rocblas_geam_ex_operation_,@function
_ZN12_GLOBAL__N_120geam_min_plus_kernelIdddLi4ELi64ELi128ELi128ELi4ELi4ELi64ELi64ELi4ELc84ELc84ELb0ELb0ELb0EdKddEEviiiT16_PT17_ilS4_ilS2_S4_ilPT18_ili26rocblas_geam_ex_operation_: ; @_ZN12_GLOBAL__N_120geam_min_plus_kernelIdddLi4ELi64ELi128ELi128ELi4ELi4ELi64ELi64ELi4ELc84ELc84ELb0ELb0ELb0EdKddEEviiiT16_PT17_ilS4_ilS2_S4_ilPT18_ili26rocblas_geam_ex_operation_
; %bb.0:
	s_load_dwordx4 s[16:19], s[0:1], 0x10
	s_load_dwordx4 s[12:15], s[0:1], 0x28
	s_mov_b64 s[20:21], 0
	s_waitcnt lgkmcnt(0)
	v_cmp_eq_f64_e64 s[22:23], s[16:17], 0
	s_and_b64 s[4:5], exec, s[22:23]
	s_mov_b64 vcc, s[4:5]
	s_cbranch_vccnz .LBB200_2
; %bb.1:
	s_mul_i32 s6, s13, s3
	s_mul_hi_u32 s7, s12, s3
	s_add_i32 s7, s7, s6
	s_mul_i32 s6, s12, s3
	s_lshl_b64 s[6:7], s[6:7], 3
	s_add_u32 s20, s18, s6
	s_addc_u32 s21, s19, s7
.LBB200_2:
	s_load_dwordx4 s[8:11], s[0:1], 0x40
	s_load_dwordx2 s[6:7], s[0:1], 0x50
	s_andn2_b64 vcc, exec, s[22:23]
	s_mov_b64 s[12:13], -1
	s_cbranch_vccnz .LBB200_4
; %bb.3:
	s_mov_b64 s[12:13], 0
.LBB200_4:
	s_mov_b64 s[18:19], 0
	s_andn2_b64 vcc, exec, s[12:13]
	s_mov_b64 s[22:23], 0
	s_cbranch_vccnz .LBB200_6
; %bb.5:
	s_waitcnt lgkmcnt(0)
	s_mul_i32 s9, s9, s3
	s_mul_hi_u32 s12, s8, s3
	s_add_i32 s9, s12, s9
	s_mul_i32 s8, s8, s3
	s_lshl_b64 s[8:9], s[8:9], 3
	s_add_u32 s22, s14, s8
	s_addc_u32 s23, s15, s9
.LBB200_6:
	s_load_dwordx4 s[12:15], s[0:1], 0x60
	s_waitcnt lgkmcnt(0)
	v_cmp_eq_f64_e64 s[8:9], s[10:11], 0
	s_and_b64 s[8:9], exec, s[8:9]
	v_cmp_neq_f64_e64 s[24:25], s[16:17], 0
	s_mov_b64 vcc, s[8:9]
	s_cbranch_vccnz .LBB200_8
; %bb.7:
	s_mul_i32 s13, s13, s3
	s_mul_hi_u32 s18, s12, s3
	s_add_i32 s13, s18, s13
	s_mul_i32 s12, s12, s3
	s_lshl_b64 s[12:13], s[12:13], 3
	s_add_u32 s18, s6, s12
	s_addc_u32 s19, s7, s13
.LBB200_8:
	s_load_dword s6, s[0:1], 0x0
	s_load_dword s28, s[0:1], 0x20
	v_and_b32_e32 v148, 0x3ff, v0
	v_bfe_u32 v149, v0, 10, 10
	v_and_b32_e32 v150, 3, v0
	s_waitcnt lgkmcnt(0)
	s_add_i32 s6, s6, -1
	s_ashr_i32 s7, s6, 31
	s_lshr_b32 s7, s7, 25
	s_add_i32 s6, s6, s7
	s_ashr_i32 s12, s6, 7
	s_add_i32 s13, s12, 1
	v_cvt_f32_u32_e32 v2, s13
	s_not_b32 s12, s12
	v_mov_b32_e32 v1, 0
	v_cndmask_b32_e64 v4, 0, 1, s[24:25]
	v_rcp_iflag_f32_e32 v3, v2
	v_lshl_add_u32 v2, v149, 2, v148
	v_lshlrev_b32_e32 v0, 3, v150
	v_lshrrev_b32_e32 v141, 2, v2
	v_mul_f32_e32 v3, 0x4f7ffffe, v3
	v_cvt_u32_f32_e32 v3, v3
	v_cmp_ne_u32_e64 s[6:7], 1, v4
	v_lshl_add_u64 v[6:7], s[20:21], 0, v[0:1]
	v_readfirstlane_b32 s26, v3
	s_mul_i32 s12, s12, s26
	s_mul_hi_u32 s12, s26, s12
	s_add_i32 s26, s26, s12
	s_mul_hi_u32 s12, s2, s26
	s_mul_i32 s26, s12, s13
	s_sub_i32 s26, s2, s26
	s_add_i32 s27, s12, 1
	s_sub_i32 s29, s26, s13
	s_cmp_ge_u32 s26, s13
	s_cselect_b32 s12, s27, s12
	s_cselect_b32 s26, s29, s26
	s_add_i32 s27, s12, 1
	s_cmp_ge_u32 s26, s13
	s_cselect_b32 s12, s27, s12
	s_mul_i32 s13, s12, s13
	s_sub_i32 s2, s2, s13
	s_lshl_b32 s2, s2, 7
	v_add_u32_e32 v140, s2, v141
	s_andn2_b64 vcc, exec, s[24:25]
	s_cbranch_vccnz .LBB200_10
; %bb.9:
	v_mad_i64_i32 v[4:5], s[24:25], v140, s28, 0
	v_lshl_add_u64 v[4:5], v[4:5], 3, v[6:7]
	global_load_dwordx2 v[4:5], v[4:5], off
	s_waitcnt vmcnt(0)
	v_mul_f64 v[4:5], s[16:17], v[4:5]
	s_branch .LBB200_11
.LBB200_10:
	v_mov_b64_e32 v[4:5], 0
.LBB200_11:
	s_load_dword s25, s[0:1], 0x38
	v_and_b32_e32 v14, 63, v2
	s_lshl_b32 s24, s12, 7
	s_mov_b64 vcc, s[4:5]
	s_waitcnt lgkmcnt(0)
	s_ashr_i32 s26, s25, 31
	s_cbranch_vccz .LBB200_13
; %bb.12:
	s_mov_b32 s12, 0
	v_mov_b32_e32 v8, s12
	v_mov_b32_e32 v9, s12
	s_mov_b64 s[12:13], 0
	s_branch .LBB200_14
.LBB200_13:
	s_mov_b64 s[12:13], -1
                                        ; implicit-def: $vgpr8_vgpr9
.LBB200_14:
	v_lshrrev_b32_e32 v151, 6, v2
	v_or_b32_e32 v2, s24, v14
	v_mov_b64_e32 v[132:133], 0
	s_andn2_b64 vcc, exec, s[12:13]
	v_add_u32_e32 v1, 64, v140
	v_ashrrev_i32_e32 v3, 31, v2
	v_mov_b64_e32 v[10:11], 0
	v_mov_b64_e32 v[12:13], 0
	s_cbranch_vccnz .LBB200_16
; %bb.15:
	v_mad_i64_i32 v[10:11], s[12:13], s25, v151, 0
	v_mad_i64_i32 v[8:9], s[12:13], v1, s28, 0
	v_lshl_add_u64 v[10:11], v[10:11], 3, s[22:23]
	v_lshl_add_u64 v[8:9], v[8:9], 3, v[6:7]
	;; [unrolled: 1-line block ×3, first 2 shown]
	global_load_dwordx2 v[8:9], v[8:9], off
	s_nop 0
	global_load_dwordx2 v[12:13], v[10:11], off
	global_load_dwordx2 v[16:17], v[10:11], off offset:512
	s_waitcnt vmcnt(2)
	v_mul_f64 v[8:9], s[16:17], v[8:9]
	s_waitcnt vmcnt(1)
	v_mul_f64 v[12:13], s[16:17], v[12:13]
	;; [unrolled: 2-line block ×3, first 2 shown]
.LBB200_16:
	s_and_b64 vcc, exec, s[6:7]
	s_cbranch_vccnz .LBB200_18
; %bb.17:
	v_mad_i64_i32 v[16:17], s[12:13], v140, s28, 0
	v_lshl_add_u64 v[16:17], v[16:17], 3, v[6:7]
	global_load_dwordx2 v[16:17], v[16:17], off offset:32
	s_waitcnt vmcnt(0)
	v_mul_f64 v[132:133], s[16:17], v[16:17]
.LBB200_18:
	s_mov_b64 vcc, s[4:5]
	s_cbranch_vccz .LBB200_20
; %bb.19:
	s_mov_b32 s12, 0
	v_mov_b32_e32 v134, s12
	v_mov_b32_e32 v135, s12
	s_mov_b64 s[12:13], 0
	s_branch .LBB200_21
.LBB200_20:
	s_mov_b64 s[12:13], -1
                                        ; implicit-def: $vgpr134_vgpr135
.LBB200_21:
	v_mov_b64_e32 v[124:125], 0
	s_andn2_b64 vcc, exec, s[12:13]
	v_add_u32_e32 v153, 4, v151
	v_mov_b64_e32 v[136:137], 0
	v_mov_b64_e32 v[138:139], 0
	s_cbranch_vccnz .LBB200_23
; %bb.22:
	v_mad_i64_i32 v[16:17], s[12:13], v1, s28, 0
	v_lshl_add_u64 v[6:7], v[16:17], 3, v[6:7]
	v_mad_i64_i32 v[16:17], s[12:13], s25, v153, 0
	v_lshl_add_u64 v[16:17], v[16:17], 3, s[22:23]
	v_lshl_add_u64 v[16:17], v[2:3], 3, v[16:17]
	global_load_dwordx2 v[6:7], v[6:7], off offset:32
	s_nop 0
	global_load_dwordx2 v[18:19], v[16:17], off
	global_load_dwordx2 v[20:21], v[16:17], off offset:512
	s_waitcnt vmcnt(2)
	v_mul_f64 v[134:135], s[16:17], v[6:7]
	s_waitcnt vmcnt(1)
	v_mul_f64 v[138:139], s[16:17], v[18:19]
	;; [unrolled: 2-line block ×3, first 2 shown]
.LBB200_23:
	v_lshlrev_b32_e32 v6, 5, v141
	v_lshl_or_b32 v154, v150, 3, v6
	ds_write2st64_b64 v154, v[4:5], v[8:9] offset1:4
	v_lshlrev_b32_e32 v4, 3, v151
	v_lshl_add_u32 v143, v14, 5, v4
	v_lshlrev_b32_e32 v142, 5, v149
	v_or_b32_e32 v155, 0x2000, v143
	ds_write2st64_b64 v143, v[12:13], v[10:11] offset0:16 offset1:20
	v_lshlrev_b32_e32 v156, 5, v148
	v_add_u32_e32 v157, 0x2000, v142
	s_mov_b32 s12, 0
	v_mov_b64_e32 v[130:131], 0
	v_mov_b64_e32 v[128:129], 0
	;; [unrolled: 1-line block ×63, first 2 shown]
	s_waitcnt lgkmcnt(0)
	s_barrier
.LBB200_24:                             ; =>This Inner Loop Header: Depth=1
	v_add_u32_e32 v152, s12, v156
	v_add_u32_e32 v186, s12, v157
	ds_read2_b64 v[144:147], v152 offset1:16
	ds_read2_b64 v[158:161], v152 offset0:32 offset1:48
	ds_read2_b64 v[162:165], v152 offset0:64 offset1:80
	;; [unrolled: 1-line block ×7, first 2 shown]
	ds_read2st64_b64 v[186:189], v186 offset1:4
	v_add_u32_e32 v152, 0x800, v152
	ds_read2_b64 v[190:193], v152 offset1:16
	ds_read2_b64 v[194:197], v152 offset0:32 offset1:48
	ds_read2_b64 v[198:201], v152 offset0:64 offset1:80
	;; [unrolled: 1-line block ×7, first 2 shown]
	s_waitcnt lgkmcnt(14)
	v_max_f64 v[144:145], v[144:145], v[144:145]
	v_max_f64 v[146:147], v[146:147], v[146:147]
	v_max_f64 v[158:159], v[158:159], v[158:159]
	v_max_f64 v[160:161], v[160:161], v[160:161]
	v_max_f64 v[162:163], v[162:163], v[162:163]
	v_max_f64 v[164:165], v[164:165], v[164:165]
	s_waitcnt lgkmcnt(13)
	v_max_f64 v[166:167], v[166:167], v[166:167]
	v_max_f64 v[168:169], v[168:169], v[168:169]
	s_waitcnt lgkmcnt(12)
	v_max_f64 v[170:171], v[170:171], v[170:171]
	v_max_f64 v[172:173], v[172:173], v[172:173]
	;; [unrolled: 3-line block ×14, first 2 shown]
	v_min_f64 v[222:223], v[144:145], v[186:187]
	v_min_f64 v[224:225], v[146:147], v[186:187]
	v_min_f64 v[226:227], v[158:159], v[186:187]
	v_min_f64 v[228:229], v[160:161], v[186:187]
	v_min_f64 v[230:231], v[162:163], v[186:187]
	v_min_f64 v[232:233], v[164:165], v[186:187]
	v_min_f64 v[234:235], v[166:167], v[186:187]
	v_min_f64 v[236:237], v[168:169], v[186:187]
	v_min_f64 v[238:239], v[170:171], v[186:187]
	v_min_f64 v[240:241], v[172:173], v[186:187]
	v_min_f64 v[242:243], v[174:175], v[186:187]
	v_min_f64 v[244:245], v[176:177], v[186:187]
	v_min_f64 v[246:247], v[178:179], v[186:187]
	v_min_f64 v[248:249], v[180:181], v[186:187]
	v_min_f64 v[250:251], v[182:183], v[186:187]
	v_min_f64 v[252:253], v[184:185], v[186:187]
	v_min_f64 v[144:145], v[144:145], v[188:189]
	v_min_f64 v[146:147], v[146:147], v[188:189]
	v_min_f64 v[158:159], v[158:159], v[188:189]
	v_min_f64 v[160:161], v[160:161], v[188:189]
	v_min_f64 v[162:163], v[162:163], v[188:189]
	v_min_f64 v[164:165], v[164:165], v[188:189]
	v_min_f64 v[166:167], v[166:167], v[188:189]
	v_min_f64 v[168:169], v[168:169], v[188:189]
	v_min_f64 v[170:171], v[170:171], v[188:189]
	v_min_f64 v[172:173], v[172:173], v[188:189]
	v_min_f64 v[174:175], v[174:175], v[188:189]
	v_min_f64 v[176:177], v[176:177], v[188:189]
	v_min_f64 v[178:179], v[178:179], v[188:189]
	v_min_f64 v[180:181], v[180:181], v[188:189]
	v_min_f64 v[182:183], v[182:183], v[188:189]
	v_min_f64 v[184:185], v[184:185], v[188:189]
	s_add_i32 s12, s12, 8
	v_add_f64 v[66:67], v[66:67], v[144:145]
	v_add_f64 v[64:65], v[64:65], v[146:147]
	v_add_f64 v[62:63], v[62:63], v[158:159]
	v_add_f64 v[60:61], v[60:61], v[160:161]
	v_add_f64 v[58:59], v[58:59], v[162:163]
	v_add_f64 v[56:57], v[56:57], v[164:165]
	v_add_f64 v[54:55], v[54:55], v[166:167]
	v_add_f64 v[52:53], v[52:53], v[168:169]
	v_add_f64 v[50:51], v[50:51], v[170:171]
	v_add_f64 v[48:49], v[48:49], v[172:173]
	v_add_f64 v[46:47], v[46:47], v[174:175]
	v_add_f64 v[44:45], v[44:45], v[176:177]
	v_add_f64 v[42:43], v[42:43], v[178:179]
	v_add_f64 v[40:41], v[40:41], v[180:181]
	v_add_f64 v[38:39], v[38:39], v[182:183]
	v_add_f64 v[36:37], v[36:37], v[184:185]
	v_min_f64 v[144:145], v[190:191], v[186:187]
	v_min_f64 v[146:147], v[192:193], v[186:187]
	;; [unrolled: 1-line block ×32, first 2 shown]
	s_cmp_eq_u32 s12, 32
	v_add_f64 v[124:125], v[124:125], v[222:223]
	v_add_f64 v[130:131], v[130:131], v[224:225]
	;; [unrolled: 1-line block ×48, first 2 shown]
	s_cbranch_scc0 .LBB200_24
; %bb.25:
	s_load_dword s27, s[0:1], 0x8
	v_lshl_or_b32 v0, v141, 5, v0
	ds_write2st64_b64 v0, v[132:133], v[134:135] offset0:8 offset1:12
	ds_write2st64_b64 v143, v[138:139], v[136:137] offset0:24 offset1:28
	s_waitcnt lgkmcnt(0)
	s_barrier
	s_cmp_gt_i32 s27, 8
	s_cbranch_scc1 .LBB200_27
; %bb.26:
	v_add_u32_e32 v152, 0x3000, v142
	s_cbranch_execz .LBB200_28
	s_branch .LBB200_46
.LBB200_27:
                                        ; implicit-def: $vgpr152
.LBB200_28:
	v_add_u32_e32 v158, 0x1000, v0
	v_mov_b32_e32 v0, 0x1000
	v_or_b32_e32 v159, 0x3000, v143
	s_add_i32 s27, s27, -8
	v_mad_i64_i32 v[132:133], s[12:13], v140, s28, 0
	v_mad_i64_i32 v[134:135], s[12:13], v1, s28, 0
	v_lshl_add_u64 v[136:137], v[2:3], 3, s[22:23]
	v_lshl_add_u32 v160, v148, 5, v0
	v_add_u32_e32 v152, 0x3000, v142
	s_mov_b32 s22, 8
	s_mov_b32 s23, 0
	v_mov_b32_e32 v139, 0
	s_mov_b32 s28, 0
.LBB200_29:                             ; =>This Loop Header: Depth=1
                                        ;     Child Loop BB200_35 Depth 2
                                        ;     Child Loop BB200_42 Depth 2
	v_or_b32_e32 v138, s22, v150
	v_lshl_add_u64 v[140:141], v[138:139], 3, s[20:21]
	s_and_b64 vcc, exec, s[6:7]
	v_lshl_add_u64 v[142:143], v[132:133], 3, v[140:141]
	s_cbranch_vccnz .LBB200_44
; %bb.30:                               ;   in Loop: Header=BB200_29 Depth=1
	global_load_dwordx2 v[0:1], v[142:143], off
	s_waitcnt vmcnt(0)
	v_mul_f64 v[144:145], s[16:17], v[0:1]
	s_mov_b64 s[12:13], -1
                                        ; implicit-def: $vgpr0_vgpr1_vgpr2_vgpr3
	s_mov_b64 vcc, s[4:5]
                                        ; implicit-def: $vgpr2_vgpr3
	s_cbranch_vccz .LBB200_32
.LBB200_31:                             ;   in Loop: Header=BB200_29 Depth=1
	v_mov_b32_e32 v2, s23
	v_mov_b32_e32 v3, s23
	;; [unrolled: 1-line block ×4, first 2 shown]
	s_mov_b64 s[12:13], 0
.LBB200_32:                             ;   in Loop: Header=BB200_29 Depth=1
	v_mov_b64_e32 v[146:147], 0
	s_andn2_b64 vcc, exec, s[12:13]
	v_lshl_add_u64 v[140:141], v[134:135], 3, v[140:141]
	s_cbranch_vccnz .LBB200_34
; %bb.33:                               ;   in Loop: Header=BB200_29 Depth=1
	v_add_u32_e32 v146, s22, v151
	v_mad_u64_u32 v[2:3], s[12:13], v146, s25, 0
	v_mov_b32_e32 v138, v3
	v_mad_u64_u32 v[146:147], s[12:13], v146, s26, v[138:139]
	v_mov_b32_e32 v3, v146
	v_lshl_add_u64 v[2:3], v[2:3], 3, v[136:137]
	global_load_dwordx2 v[0:1], v[140:141], off
	global_load_dwordx2 v[146:147], v[2:3], off
	global_load_dwordx2 v[162:163], v[2:3], off offset:512
	s_waitcnt vmcnt(2)
	v_mul_f64 v[2:3], s[16:17], v[0:1]
	s_waitcnt vmcnt(1)
	v_mul_f64 v[0:1], s[16:17], v[146:147]
	;; [unrolled: 2-line block ×3, first 2 shown]
.LBB200_34:                             ;   in Loop: Header=BB200_29 Depth=1
	s_mov_b32 s12, 0
.LBB200_35:                             ;   Parent Loop BB200_29 Depth=1
                                        ; =>  This Inner Loop Header: Depth=2
	v_add_u32_e32 v138, s12, v160
	ds_read2_b64 v[162:165], v138 offset1:16
	ds_read2_b64 v[166:169], v138 offset0:32 offset1:48
	ds_read2_b64 v[170:173], v138 offset0:64 offset1:80
	;; [unrolled: 1-line block ×7, first 2 shown]
	v_add_u32_e32 v138, 0x800, v138
	ds_read2_b64 v[194:197], v138 offset1:16
	ds_read2_b64 v[198:201], v138 offset0:32 offset1:48
	ds_read2_b64 v[202:205], v138 offset0:64 offset1:80
	;; [unrolled: 1-line block ×7, first 2 shown]
	v_add_u32_e32 v138, s12, v152
	ds_read2st64_b64 v[226:229], v138 offset1:4
	s_waitcnt lgkmcnt(14)
	v_max_f64 v[162:163], v[162:163], v[162:163]
	v_max_f64 v[164:165], v[164:165], v[164:165]
	;; [unrolled: 1-line block ×4, first 2 shown]
	s_waitcnt lgkmcnt(0)
	v_max_f64 v[226:227], v[226:227], v[226:227]
	v_min_f64 v[230:231], v[162:163], v[226:227]
	v_add_f64 v[124:125], v[124:125], v[230:231]
	v_min_f64 v[230:231], v[164:165], v[226:227]
	v_add_f64 v[130:131], v[130:131], v[230:231]
	;; [unrolled: 2-line block ×3, first 2 shown]
	v_min_f64 v[230:231], v[168:169], v[226:227]
	v_max_f64 v[170:171], v[170:171], v[170:171]
	v_add_f64 v[126:127], v[126:127], v[230:231]
	v_min_f64 v[230:231], v[170:171], v[226:227]
	v_max_f64 v[172:173], v[172:173], v[172:173]
	v_add_f64 v[122:123], v[122:123], v[230:231]
	;; [unrolled: 3-line block ×26, first 2 shown]
	v_min_f64 v[230:231], v[220:221], v[226:227]
	v_max_f64 v[222:223], v[222:223], v[222:223]
	v_max_f64 v[224:225], v[224:225], v[224:225]
	v_add_f64 v[72:73], v[72:73], v[230:231]
	v_min_f64 v[230:231], v[222:223], v[226:227]
	v_min_f64 v[226:227], v[224:225], v[226:227]
	v_add_f64 v[68:69], v[68:69], v[226:227]
	v_max_f64 v[226:227], v[228:229], v[228:229]
	v_min_f64 v[162:163], v[162:163], v[226:227]
	v_add_f64 v[66:67], v[66:67], v[162:163]
	v_min_f64 v[162:163], v[164:165], v[226:227]
	v_add_f64 v[64:65], v[64:65], v[162:163]
	v_min_f64 v[162:163], v[166:167], v[226:227]
	v_add_f64 v[62:63], v[62:63], v[162:163]
	v_min_f64 v[162:163], v[168:169], v[226:227]
	v_add_f64 v[60:61], v[60:61], v[162:163]
	v_min_f64 v[162:163], v[170:171], v[226:227]
	v_add_f64 v[58:59], v[58:59], v[162:163]
	v_min_f64 v[162:163], v[172:173], v[226:227]
	v_add_f64 v[56:57], v[56:57], v[162:163]
	v_min_f64 v[162:163], v[174:175], v[226:227]
	v_add_f64 v[54:55], v[54:55], v[162:163]
	v_min_f64 v[162:163], v[176:177], v[226:227]
	v_add_f64 v[52:53], v[52:53], v[162:163]
	v_min_f64 v[162:163], v[178:179], v[226:227]
	v_add_f64 v[50:51], v[50:51], v[162:163]
	v_min_f64 v[162:163], v[180:181], v[226:227]
	v_add_f64 v[48:49], v[48:49], v[162:163]
	v_min_f64 v[162:163], v[182:183], v[226:227]
	v_add_f64 v[46:47], v[46:47], v[162:163]
	v_min_f64 v[162:163], v[184:185], v[226:227]
	v_add_f64 v[44:45], v[44:45], v[162:163]
	v_min_f64 v[162:163], v[186:187], v[226:227]
	v_add_f64 v[42:43], v[42:43], v[162:163]
	v_min_f64 v[162:163], v[188:189], v[226:227]
	v_add_f64 v[40:41], v[40:41], v[162:163]
	v_min_f64 v[162:163], v[190:191], v[226:227]
	v_add_f64 v[38:39], v[38:39], v[162:163]
	v_min_f64 v[162:163], v[192:193], v[226:227]
	v_add_f64 v[36:37], v[36:37], v[162:163]
	v_min_f64 v[162:163], v[194:195], v[226:227]
	v_add_f64 v[34:35], v[34:35], v[162:163]
	v_min_f64 v[162:163], v[196:197], v[226:227]
	v_add_f64 v[32:33], v[32:33], v[162:163]
	v_min_f64 v[162:163], v[198:199], v[226:227]
	v_add_f64 v[30:31], v[30:31], v[162:163]
	v_min_f64 v[162:163], v[200:201], v[226:227]
	v_add_f64 v[28:29], v[28:29], v[162:163]
	v_min_f64 v[162:163], v[202:203], v[226:227]
	v_add_f64 v[26:27], v[26:27], v[162:163]
	v_min_f64 v[162:163], v[204:205], v[226:227]
	v_add_f64 v[24:25], v[24:25], v[162:163]
	v_min_f64 v[162:163], v[206:207], v[226:227]
	v_add_f64 v[22:23], v[22:23], v[162:163]
	v_min_f64 v[162:163], v[208:209], v[226:227]
	v_add_f64 v[20:21], v[20:21], v[162:163]
	v_min_f64 v[162:163], v[210:211], v[226:227]
	v_add_f64 v[18:19], v[18:19], v[162:163]
	v_min_f64 v[162:163], v[212:213], v[226:227]
	v_add_f64 v[16:17], v[16:17], v[162:163]
	v_min_f64 v[162:163], v[214:215], v[226:227]
	v_add_f64 v[14:15], v[14:15], v[162:163]
	v_min_f64 v[162:163], v[216:217], v[226:227]
	v_add_f64 v[12:13], v[12:13], v[162:163]
	v_min_f64 v[162:163], v[218:219], v[226:227]
	v_add_f64 v[10:11], v[10:11], v[162:163]
	v_min_f64 v[162:163], v[220:221], v[226:227]
	v_add_f64 v[8:9], v[8:9], v[162:163]
	v_min_f64 v[162:163], v[222:223], v[226:227]
	v_add_f64 v[6:7], v[6:7], v[162:163]
	v_min_f64 v[162:163], v[224:225], v[226:227]
	s_add_i32 s12, s12, 8
	v_add_f64 v[70:71], v[70:71], v[230:231]
	v_add_f64 v[4:5], v[4:5], v[162:163]
	s_cmp_eq_u32 s12, 32
	s_cbranch_scc0 .LBB200_35
; %bb.36:                               ;   in Loop: Header=BB200_29 Depth=1
	s_and_b64 vcc, exec, s[6:7]
	ds_write2st64_b64 v154, v[144:145], v[2:3] offset1:4
	ds_write2st64_b64 v155, v[0:1], v[146:147] offset1:4
	s_waitcnt lgkmcnt(0)
	s_barrier
	s_cbranch_vccnz .LBB200_45
; %bb.37:                               ;   in Loop: Header=BB200_29 Depth=1
	global_load_dwordx2 v[0:1], v[142:143], off offset:32
	s_waitcnt vmcnt(0)
	v_mul_f64 v[142:143], s[16:17], v[0:1]
	s_mov_b64 s[12:13], -1
                                        ; implicit-def: $vgpr0_vgpr1_vgpr2_vgpr3
	s_mov_b64 vcc, s[4:5]
                                        ; implicit-def: $vgpr2_vgpr3
	s_cbranch_vccz .LBB200_39
.LBB200_38:                             ;   in Loop: Header=BB200_29 Depth=1
	v_mov_b32_e32 v2, s23
	v_mov_b32_e32 v3, s23
	;; [unrolled: 1-line block ×4, first 2 shown]
	s_mov_b64 s[12:13], 0
.LBB200_39:                             ;   in Loop: Header=BB200_29 Depth=1
	s_andn2_b64 vcc, exec, s[12:13]
	v_mov_b64_e32 v[144:145], 0
	s_cbranch_vccnz .LBB200_41
; %bb.40:                               ;   in Loop: Header=BB200_29 Depth=1
	global_load_dwordx2 v[0:1], v[140:141], off offset:32
	v_add_u32_e32 v140, s22, v153
	v_mad_u64_u32 v[2:3], s[12:13], v140, s25, 0
	v_mov_b32_e32 v138, v3
	v_mad_u64_u32 v[140:141], s[12:13], v140, s26, v[138:139]
	v_mov_b32_e32 v3, v140
	v_lshl_add_u64 v[2:3], v[2:3], 3, v[136:137]
	global_load_dwordx2 v[140:141], v[2:3], off
	global_load_dwordx2 v[144:145], v[2:3], off offset:512
	s_waitcnt vmcnt(2)
	v_mul_f64 v[2:3], s[16:17], v[0:1]
	s_waitcnt vmcnt(1)
	v_mul_f64 v[0:1], s[16:17], v[140:141]
	;; [unrolled: 2-line block ×3, first 2 shown]
.LBB200_41:                             ;   in Loop: Header=BB200_29 Depth=1
	s_mov_b32 s12, 0
.LBB200_42:                             ;   Parent Loop BB200_29 Depth=1
                                        ; =>  This Inner Loop Header: Depth=2
	v_add_u32_e32 v138, s12, v156
	ds_read2_b64 v[162:165], v138 offset1:16
	ds_read2_b64 v[166:169], v138 offset0:32 offset1:48
	ds_read2_b64 v[170:173], v138 offset0:64 offset1:80
	ds_read2_b64 v[174:177], v138 offset0:96 offset1:112
	ds_read2_b64 v[178:181], v138 offset0:128 offset1:144
	ds_read2_b64 v[182:185], v138 offset0:160 offset1:176
	ds_read2_b64 v[186:189], v138 offset0:192 offset1:208
	ds_read2_b64 v[190:193], v138 offset0:224 offset1:240
	v_add_u32_e32 v138, 0x800, v138
	ds_read2_b64 v[194:197], v138 offset1:16
	ds_read2_b64 v[198:201], v138 offset0:32 offset1:48
	ds_read2_b64 v[202:205], v138 offset0:64 offset1:80
	ds_read2_b64 v[206:209], v138 offset0:96 offset1:112
	ds_read2_b64 v[210:213], v138 offset0:128 offset1:144
	ds_read2_b64 v[214:217], v138 offset0:160 offset1:176
	ds_read2_b64 v[218:221], v138 offset0:192 offset1:208
	ds_read2_b64 v[222:225], v138 offset0:224 offset1:240
	v_add_u32_e32 v138, s12, v157
	ds_read2st64_b64 v[226:229], v138 offset1:4
	s_waitcnt lgkmcnt(14)
	v_max_f64 v[146:147], v[162:163], v[162:163]
	s_add_i32 s12, s12, 8
	s_cmp_eq_u32 s12, 32
	s_waitcnt lgkmcnt(0)
	v_max_f64 v[140:141], v[226:227], v[226:227]
	v_min_f64 v[162:163], v[146:147], v[140:141]
	v_add_f64 v[124:125], v[124:125], v[162:163]
	v_max_f64 v[162:163], v[164:165], v[164:165]
	v_min_f64 v[164:165], v[162:163], v[140:141]
	v_add_f64 v[130:131], v[130:131], v[164:165]
	;; [unrolled: 3-line block ×33, first 2 shown]
	v_min_f64 v[146:147], v[162:163], v[140:141]
	v_add_f64 v[64:65], v[64:65], v[146:147]
	v_min_f64 v[146:147], v[164:165], v[140:141]
	v_add_f64 v[62:63], v[62:63], v[146:147]
	;; [unrolled: 2-line block ×29, first 2 shown]
	v_min_f64 v[146:147], v[220:221], v[140:141]
	v_min_f64 v[140:141], v[222:223], v[140:141]
	v_add_f64 v[6:7], v[6:7], v[146:147]
	v_add_f64 v[4:5], v[4:5], v[140:141]
	s_cbranch_scc0 .LBB200_42
; %bb.43:                               ;   in Loop: Header=BB200_29 Depth=1
	s_add_i32 s22, s22, 8
	s_add_i32 s28, s28, 8
	s_cmp_ge_i32 s28, s27
	ds_write2st64_b64 v158, v[142:143], v[2:3] offset1:4
	ds_write2st64_b64 v159, v[0:1], v[144:145] offset1:4
	s_waitcnt lgkmcnt(0)
	s_barrier
	s_cbranch_scc0 .LBB200_29
	s_branch .LBB200_46
.LBB200_44:                             ;   in Loop: Header=BB200_29 Depth=1
	v_mov_b64_e32 v[144:145], 0
	s_mov_b64 s[12:13], -1
                                        ; implicit-def: $vgpr0_vgpr1_vgpr2_vgpr3
	s_mov_b64 vcc, s[4:5]
                                        ; implicit-def: $vgpr2_vgpr3
	s_cbranch_vccz .LBB200_32
	s_branch .LBB200_31
.LBB200_45:                             ;   in Loop: Header=BB200_29 Depth=1
	v_mov_b64_e32 v[142:143], 0
	s_mov_b64 s[12:13], -1
                                        ; implicit-def: $vgpr0_vgpr1_vgpr2_vgpr3
	s_mov_b64 vcc, s[4:5]
                                        ; implicit-def: $vgpr2_vgpr3
	s_cbranch_vccz .LBB200_39
	s_branch .LBB200_38
.LBB200_46:
	v_mov_b32_e32 v0, 0x1000
	v_lshl_add_u32 v0, v148, 5, v0
	s_mov_b32 s4, 0
.LBB200_47:                             ; =>This Inner Loop Header: Depth=1
	v_add_u32_e32 v1, s4, v0
	v_add_u32_e32 v2, s4, v152
	ds_read2_b64 v[132:135], v1 offset1:16
	ds_read2_b64 v[136:139], v1 offset0:32 offset1:48
	ds_read2_b64 v[140:143], v1 offset0:64 offset1:80
	;; [unrolled: 1-line block ×7, first 2 shown]
	v_add_u32_e32 v1, 0x800, v1
	ds_read2st64_b64 v[170:173], v2 offset1:4
	ds_read2_b64 v[174:177], v1 offset1:16
	ds_read2_b64 v[178:181], v1 offset0:32 offset1:48
	ds_read2_b64 v[182:185], v1 offset0:64 offset1:80
	;; [unrolled: 1-line block ×7, first 2 shown]
	s_waitcnt lgkmcnt(14)
	v_max_f64 v[132:133], v[132:133], v[132:133]
	v_max_f64 v[134:135], v[134:135], v[134:135]
	;; [unrolled: 1-line block ×3, first 2 shown]
	s_waitcnt lgkmcnt(8)
	v_max_f64 v[2:3], v[170:171], v[170:171]
	v_max_f64 v[138:139], v[138:139], v[138:139]
	;; [unrolled: 1-line block ×15, first 2 shown]
	v_min_f64 v[170:171], v[132:133], v[2:3]
	v_min_f64 v[172:173], v[134:135], v[2:3]
	;; [unrolled: 1-line block ×16, first 2 shown]
	s_waitcnt lgkmcnt(7)
	v_max_f64 v[174:175], v[174:175], v[174:175]
	v_max_f64 v[176:177], v[176:177], v[176:177]
	s_waitcnt lgkmcnt(6)
	v_max_f64 v[178:179], v[178:179], v[178:179]
	v_max_f64 v[180:181], v[180:181], v[180:181]
	;; [unrolled: 3-line block ×8, first 2 shown]
	v_min_f64 v[132:133], v[132:133], v[168:169]
	v_min_f64 v[134:135], v[134:135], v[168:169]
	;; [unrolled: 1-line block ×16, first 2 shown]
	s_add_i32 s4, s4, 8
	v_add_f64 v[124:125], v[124:125], v[170:171]
	v_add_f64 v[130:131], v[130:131], v[172:173]
	;; [unrolled: 1-line block ×15, first 2 shown]
	v_min_f64 v[170:171], v[174:175], v[2:3]
	v_min_f64 v[172:173], v[176:177], v[2:3]
	;; [unrolled: 1-line block ×16, first 2 shown]
	v_add_f64 v[66:67], v[66:67], v[132:133]
	v_add_f64 v[64:65], v[64:65], v[134:135]
	;; [unrolled: 1-line block ×16, first 2 shown]
	v_min_f64 v[132:133], v[174:175], v[168:169]
	v_min_f64 v[134:135], v[176:177], v[168:169]
	;; [unrolled: 1-line block ×16, first 2 shown]
	s_cmp_eq_u32 s4, 32
	v_add_f64 v[100:101], v[100:101], v[232:233]
	v_add_f64 v[98:99], v[98:99], v[170:171]
	;; [unrolled: 1-line block ×33, first 2 shown]
	s_cbranch_scc0 .LBB200_47
; %bb.48:
	s_load_dwordx2 s[6:7], s[0:1], 0x78
	s_load_dword s4, s[0:1], 0x58
	s_load_dword s5, s[0:1], 0x70
	v_add_u32_e32 v170, s24, v149
	v_add_u32_e32 v132, s2, v148
	s_waitcnt lgkmcnt(0)
	s_mul_i32 s1, s7, s3
	s_mul_hi_u32 s7, s6, s3
	s_mul_i32 s0, s6, s3
	s_add_i32 s1, s7, s1
	s_lshl_b64 s[0:1], s[0:1], 3
	s_add_u32 s0, s14, s0
	s_addc_u32 s1, s15, s1
	v_mad_i64_i32 v[2:3], s[2:3], v170, s5, 0
	v_add_u32_e32 v0, 4, v132
	v_lshl_add_u64 v[138:139], v[2:3], 3, s[0:1]
	v_mad_i64_i32 v[2:3], s[2:3], v170, s4, 0
	v_ashrrev_i32_e32 v133, 31, v132
	v_ashrrev_i32_e32 v1, 31, v0
	s_mov_b64 s[2:3], -1
	s_mov_b64 vcc, s[8:9]
	s_cbranch_vccz .LBB200_50
; %bb.49:
	v_add_f64 v[134:135], v[124:125], 0
	v_lshl_add_u64 v[136:137], v[132:133], 3, v[138:139]
	s_mov_b64 s[2:3], 0
	global_store_dwordx2 v[136:137], v[134:135], off
.LBB200_50:
	v_lshl_add_u64 v[146:147], v[2:3], 3, s[18:19]
	v_mov_b64_e32 v[140:141], 0
	s_andn2_b64 vcc, exec, s[2:3]
	v_lshlrev_b64 v[136:137], 3, v[132:133]
	s_cbranch_vccnz .LBB200_52
; %bb.51:
	v_lshl_add_u64 v[2:3], v[146:147], 0, v[136:137]
	global_load_dwordx2 v[2:3], v[2:3], off
	v_lshl_add_u64 v[134:135], v[138:139], 0, v[136:137]
	s_waitcnt vmcnt(0)
	v_fmac_f64_e32 v[124:125], s[10:11], v[2:3]
	global_store_dwordx2 v[134:135], v[124:125], off
	v_lshl_add_u64 v[2:3], v[0:1], 3, v[146:147]
	global_load_dwordx2 v[2:3], v[2:3], off
	s_waitcnt vmcnt(0)
	v_mul_f64 v[140:141], s[10:11], v[2:3]
.LBB200_52:
	v_add_u32_e32 v134, 8, v132
	v_add_u32_e32 v2, 12, v132
	v_ashrrev_i32_e32 v135, 31, v134
	v_ashrrev_i32_e32 v3, 31, v2
	v_add_f64 v[124:125], v[130:131], v[140:141]
	v_lshl_add_u64 v[130:131], v[0:1], 3, v[138:139]
	s_mov_b64 s[2:3], -1
	s_mov_b64 vcc, s[8:9]
	global_store_dwordx2 v[130:131], v[124:125], off
	s_cbranch_vccz .LBB200_54
; %bb.53:
	v_add_f64 v[124:125], v[128:129], 0
	v_lshl_add_u64 v[130:131], v[134:135], 3, v[138:139]
	s_mov_b64 s[2:3], 0
	global_store_dwordx2 v[130:131], v[124:125], off
.LBB200_54:
	v_mov_b64_e32 v[140:141], 0
	s_andn2_b64 vcc, exec, s[2:3]
	v_lshlrev_b64 v[130:131], 3, v[134:135]
	s_cbranch_vccnz .LBB200_56
; %bb.55:
	v_lshl_add_u64 v[124:125], v[146:147], 0, v[130:131]
	global_load_dwordx2 v[124:125], v[124:125], off
	v_lshl_add_u64 v[140:141], v[138:139], 0, v[130:131]
	s_waitcnt vmcnt(0)
	v_fmac_f64_e32 v[128:129], s[10:11], v[124:125]
	global_store_dwordx2 v[140:141], v[128:129], off
	v_lshl_add_u64 v[124:125], v[2:3], 3, v[146:147]
	global_load_dwordx2 v[124:125], v[124:125], off
	s_waitcnt vmcnt(0)
	v_mul_f64 v[140:141], s[10:11], v[124:125]
.LBB200_56:
	v_add_u32_e32 v128, 16, v132
	v_add_u32_e32 v124, 20, v132
	v_ashrrev_i32_e32 v129, 31, v128
	v_ashrrev_i32_e32 v125, 31, v124
	v_add_f64 v[126:127], v[126:127], v[140:141]
	v_lshl_add_u64 v[140:141], v[2:3], 3, v[138:139]
	s_mov_b64 s[2:3], -1
	s_mov_b64 vcc, s[8:9]
	global_store_dwordx2 v[140:141], v[126:127], off
	s_cbranch_vccz .LBB200_58
; %bb.57:
	v_add_f64 v[126:127], v[122:123], 0
	v_lshl_add_u64 v[140:141], v[128:129], 3, v[138:139]
	s_mov_b64 s[2:3], 0
	global_store_dwordx2 v[140:141], v[126:127], off
.LBB200_58:
	;; [unrolled: 32-line block ×15, first 2 shown]
	v_mov_b64_e32 v[168:169], 0
	s_andn2_b64 vcc, exec, s[2:3]
	v_lshlrev_b64 v[72:73], 3, v[76:77]
	s_cbranch_vccnz .LBB200_112
; %bb.111:
	v_lshl_add_u64 v[168:169], v[146:147], 0, v[72:73]
	global_load_dwordx2 v[168:169], v[168:169], off
	v_lshl_add_u64 v[172:173], v[138:139], 0, v[72:73]
	s_waitcnt vmcnt(0)
	v_fmac_f64_e32 v[70:71], s[10:11], v[168:169]
	global_store_dwordx2 v[172:173], v[70:71], off
	v_lshl_add_u64 v[70:71], v[74:75], 3, v[146:147]
	global_load_dwordx2 v[70:71], v[70:71], off
	s_waitcnt vmcnt(0)
	v_mul_f64 v[168:169], s[10:11], v[70:71]
.LBB200_112:
	v_add_f64 v[68:69], v[68:69], v[168:169]
	v_lshl_add_u64 v[70:71], v[74:75], 3, v[138:139]
	global_store_dwordx2 v[70:71], v[68:69], off
	v_add_u32_e32 v70, 64, v170
	v_mad_i64_i32 v[68:69], s[2:3], v70, s5, 0
	v_lshl_add_u64 v[68:69], v[68:69], 3, s[0:1]
	v_mad_i64_i32 v[70:71], s[0:1], v70, s4, 0
	s_mov_b64 s[0:1], -1
	s_mov_b64 vcc, s[8:9]
	s_cbranch_vccz .LBB200_114
; %bb.113:
	v_add_f64 v[138:139], v[66:67], 0
	v_lshl_add_u64 v[132:133], v[132:133], 3, v[68:69]
	s_mov_b64 s[0:1], 0
	global_store_dwordx2 v[132:133], v[138:139], off
.LBB200_114:
	v_lshl_add_u64 v[70:71], v[70:71], 3, s[18:19]
	s_andn2_b64 vcc, exec, s[0:1]
	v_mov_b64_e32 v[132:133], 0
	s_cbranch_vccnz .LBB200_116
; %bb.115:
	v_lshl_add_u64 v[132:133], v[70:71], 0, v[136:137]
	global_load_dwordx2 v[132:133], v[132:133], off
	v_lshl_add_u64 v[136:137], v[68:69], 0, v[136:137]
	s_waitcnt vmcnt(0)
	v_fmac_f64_e32 v[66:67], s[10:11], v[132:133]
	global_store_dwordx2 v[136:137], v[66:67], off
	v_lshl_add_u64 v[66:67], v[0:1], 3, v[70:71]
	global_load_dwordx2 v[66:67], v[66:67], off
	s_waitcnt vmcnt(0)
	v_mul_f64 v[132:133], s[10:11], v[66:67]
.LBB200_116:
	v_add_f64 v[64:65], v[64:65], v[132:133]
	v_lshl_add_u64 v[0:1], v[0:1], 3, v[68:69]
	s_mov_b64 s[0:1], -1
	s_mov_b64 vcc, s[8:9]
	global_store_dwordx2 v[0:1], v[64:65], off
	s_cbranch_vccz .LBB200_118
; %bb.117:
	v_add_f64 v[0:1], v[62:63], 0
	v_lshl_add_u64 v[64:65], v[134:135], 3, v[68:69]
	s_mov_b64 s[0:1], 0
	global_store_dwordx2 v[64:65], v[0:1], off
.LBB200_118:
	s_andn2_b64 vcc, exec, s[0:1]
	v_mov_b64_e32 v[0:1], 0
	s_cbranch_vccnz .LBB200_120
; %bb.119:
	v_lshl_add_u64 v[0:1], v[70:71], 0, v[130:131]
	global_load_dwordx2 v[0:1], v[0:1], off
	v_lshl_add_u64 v[64:65], v[68:69], 0, v[130:131]
	s_waitcnt vmcnt(0)
	v_fmac_f64_e32 v[62:63], s[10:11], v[0:1]
	global_store_dwordx2 v[64:65], v[62:63], off
	v_lshl_add_u64 v[0:1], v[2:3], 3, v[70:71]
	global_load_dwordx2 v[0:1], v[0:1], off
	s_waitcnt vmcnt(0)
	v_mul_f64 v[0:1], s[10:11], v[0:1]
.LBB200_120:
	v_add_f64 v[0:1], v[60:61], v[0:1]
	v_lshl_add_u64 v[2:3], v[2:3], 3, v[68:69]
	s_mov_b64 s[0:1], -1
	s_mov_b64 vcc, s[8:9]
	global_store_dwordx2 v[2:3], v[0:1], off
	s_cbranch_vccz .LBB200_122
; %bb.121:
	v_add_f64 v[0:1], v[58:59], 0
	v_lshl_add_u64 v[2:3], v[128:129], 3, v[68:69]
	s_mov_b64 s[0:1], 0
	global_store_dwordx2 v[2:3], v[0:1], off
.LBB200_122:
	;; [unrolled: 27-line block ×14, first 2 shown]
	s_andn2_b64 vcc, exec, s[0:1]
	v_mov_b64_e32 v[0:1], 0
	s_cbranch_vccnz .LBB200_172
; %bb.171:
	v_lshl_add_u64 v[0:1], v[70:71], 0, v[166:167]
	global_load_dwordx2 v[0:1], v[0:1], off
	v_lshl_add_u64 v[2:3], v[68:69], 0, v[166:167]
	s_waitcnt vmcnt(0)
	v_fmac_f64_e32 v[10:11], s[10:11], v[0:1]
	global_store_dwordx2 v[2:3], v[10:11], off
	v_lshl_add_u64 v[0:1], v[78:79], 3, v[70:71]
	global_load_dwordx2 v[0:1], v[0:1], off
	s_waitcnt vmcnt(0)
	v_mul_f64 v[0:1], s[10:11], v[0:1]
.LBB200_172:
	v_add_f64 v[0:1], v[8:9], v[0:1]
	v_lshl_add_u64 v[2:3], v[78:79], 3, v[68:69]
	s_mov_b64 s[0:1], -1
	s_mov_b64 vcc, s[8:9]
	global_store_dwordx2 v[2:3], v[0:1], off
	s_cbranch_vccz .LBB200_175
; %bb.173:
	v_add_f64 v[0:1], v[6:7], 0
	v_lshl_add_u64 v[2:3], v[76:77], 3, v[68:69]
	global_store_dwordx2 v[2:3], v[0:1], off
	v_mov_b64_e32 v[0:1], 0
	s_cbranch_execz .LBB200_176
.LBB200_174:
	v_add_f64 v[0:1], v[4:5], v[0:1]
	v_lshl_add_u64 v[2:3], v[74:75], 3, v[68:69]
	global_store_dwordx2 v[2:3], v[0:1], off
	s_endpgm
.LBB200_175:
	s_andn2_b64 vcc, exec, s[0:1]
	v_mov_b64_e32 v[0:1], 0
	s_cbranch_vccnz .LBB200_174
.LBB200_176:
	v_lshl_add_u64 v[0:1], v[70:71], 0, v[72:73]
	global_load_dwordx2 v[0:1], v[0:1], off
	v_lshl_add_u64 v[2:3], v[68:69], 0, v[72:73]
	s_waitcnt vmcnt(0)
	v_fmac_f64_e32 v[6:7], s[10:11], v[0:1]
	global_store_dwordx2 v[2:3], v[6:7], off
	v_lshl_add_u64 v[0:1], v[74:75], 3, v[70:71]
	global_load_dwordx2 v[0:1], v[0:1], off
	s_waitcnt vmcnt(0)
	v_mul_f64 v[0:1], s[10:11], v[0:1]
	v_add_f64 v[0:1], v[4:5], v[0:1]
	v_lshl_add_u64 v[2:3], v[74:75], 3, v[68:69]
	global_store_dwordx2 v[2:3], v[0:1], off
	s_endpgm
	.section	.rodata,"a",@progbits
	.p2align	6, 0x0
	.amdhsa_kernel _ZN12_GLOBAL__N_120geam_min_plus_kernelIdddLi4ELi64ELi128ELi128ELi4ELi4ELi64ELi64ELi4ELc84ELc84ELb0ELb0ELb0EdKddEEviiiT16_PT17_ilS4_ilS2_S4_ilPT18_ili26rocblas_geam_ex_operation_
		.amdhsa_group_segment_fixed_size 16384
		.amdhsa_private_segment_fixed_size 0
		.amdhsa_kernarg_size 136
		.amdhsa_user_sgpr_count 2
		.amdhsa_user_sgpr_dispatch_ptr 0
		.amdhsa_user_sgpr_queue_ptr 0
		.amdhsa_user_sgpr_kernarg_segment_ptr 1
		.amdhsa_user_sgpr_dispatch_id 0
		.amdhsa_user_sgpr_kernarg_preload_length 0
		.amdhsa_user_sgpr_kernarg_preload_offset 0
		.amdhsa_user_sgpr_private_segment_size 0
		.amdhsa_uses_dynamic_stack 0
		.amdhsa_enable_private_segment 0
		.amdhsa_system_sgpr_workgroup_id_x 1
		.amdhsa_system_sgpr_workgroup_id_y 0
		.amdhsa_system_sgpr_workgroup_id_z 1
		.amdhsa_system_sgpr_workgroup_info 0
		.amdhsa_system_vgpr_workitem_id 1
		.amdhsa_next_free_vgpr 254
		.amdhsa_next_free_sgpr 30
		.amdhsa_accum_offset 256
		.amdhsa_reserve_vcc 1
		.amdhsa_float_round_mode_32 0
		.amdhsa_float_round_mode_16_64 0
		.amdhsa_float_denorm_mode_32 3
		.amdhsa_float_denorm_mode_16_64 3
		.amdhsa_dx10_clamp 1
		.amdhsa_ieee_mode 1
		.amdhsa_fp16_overflow 0
		.amdhsa_tg_split 0
		.amdhsa_exception_fp_ieee_invalid_op 0
		.amdhsa_exception_fp_denorm_src 0
		.amdhsa_exception_fp_ieee_div_zero 0
		.amdhsa_exception_fp_ieee_overflow 0
		.amdhsa_exception_fp_ieee_underflow 0
		.amdhsa_exception_fp_ieee_inexact 0
		.amdhsa_exception_int_div_zero 0
	.end_amdhsa_kernel
	.section	.text._ZN12_GLOBAL__N_120geam_min_plus_kernelIdddLi4ELi64ELi128ELi128ELi4ELi4ELi64ELi64ELi4ELc84ELc84ELb0ELb0ELb0EdKddEEviiiT16_PT17_ilS4_ilS2_S4_ilPT18_ili26rocblas_geam_ex_operation_,"axG",@progbits,_ZN12_GLOBAL__N_120geam_min_plus_kernelIdddLi4ELi64ELi128ELi128ELi4ELi4ELi64ELi64ELi4ELc84ELc84ELb0ELb0ELb0EdKddEEviiiT16_PT17_ilS4_ilS2_S4_ilPT18_ili26rocblas_geam_ex_operation_,comdat
.Lfunc_end200:
	.size	_ZN12_GLOBAL__N_120geam_min_plus_kernelIdddLi4ELi64ELi128ELi128ELi4ELi4ELi64ELi64ELi4ELc84ELc84ELb0ELb0ELb0EdKddEEviiiT16_PT17_ilS4_ilS2_S4_ilPT18_ili26rocblas_geam_ex_operation_, .Lfunc_end200-_ZN12_GLOBAL__N_120geam_min_plus_kernelIdddLi4ELi64ELi128ELi128ELi4ELi4ELi64ELi64ELi4ELc84ELc84ELb0ELb0ELb0EdKddEEviiiT16_PT17_ilS4_ilS2_S4_ilPT18_ili26rocblas_geam_ex_operation_
                                        ; -- End function
	.set _ZN12_GLOBAL__N_120geam_min_plus_kernelIdddLi4ELi64ELi128ELi128ELi4ELi4ELi64ELi64ELi4ELc84ELc84ELb0ELb0ELb0EdKddEEviiiT16_PT17_ilS4_ilS2_S4_ilPT18_ili26rocblas_geam_ex_operation_.num_vgpr, 254
	.set _ZN12_GLOBAL__N_120geam_min_plus_kernelIdddLi4ELi64ELi128ELi128ELi4ELi4ELi64ELi64ELi4ELc84ELc84ELb0ELb0ELb0EdKddEEviiiT16_PT17_ilS4_ilS2_S4_ilPT18_ili26rocblas_geam_ex_operation_.num_agpr, 0
	.set _ZN12_GLOBAL__N_120geam_min_plus_kernelIdddLi4ELi64ELi128ELi128ELi4ELi4ELi64ELi64ELi4ELc84ELc84ELb0ELb0ELb0EdKddEEviiiT16_PT17_ilS4_ilS2_S4_ilPT18_ili26rocblas_geam_ex_operation_.numbered_sgpr, 30
	.set _ZN12_GLOBAL__N_120geam_min_plus_kernelIdddLi4ELi64ELi128ELi128ELi4ELi4ELi64ELi64ELi4ELc84ELc84ELb0ELb0ELb0EdKddEEviiiT16_PT17_ilS4_ilS2_S4_ilPT18_ili26rocblas_geam_ex_operation_.num_named_barrier, 0
	.set _ZN12_GLOBAL__N_120geam_min_plus_kernelIdddLi4ELi64ELi128ELi128ELi4ELi4ELi64ELi64ELi4ELc84ELc84ELb0ELb0ELb0EdKddEEviiiT16_PT17_ilS4_ilS2_S4_ilPT18_ili26rocblas_geam_ex_operation_.private_seg_size, 0
	.set _ZN12_GLOBAL__N_120geam_min_plus_kernelIdddLi4ELi64ELi128ELi128ELi4ELi4ELi64ELi64ELi4ELc84ELc84ELb0ELb0ELb0EdKddEEviiiT16_PT17_ilS4_ilS2_S4_ilPT18_ili26rocblas_geam_ex_operation_.uses_vcc, 1
	.set _ZN12_GLOBAL__N_120geam_min_plus_kernelIdddLi4ELi64ELi128ELi128ELi4ELi4ELi64ELi64ELi4ELc84ELc84ELb0ELb0ELb0EdKddEEviiiT16_PT17_ilS4_ilS2_S4_ilPT18_ili26rocblas_geam_ex_operation_.uses_flat_scratch, 0
	.set _ZN12_GLOBAL__N_120geam_min_plus_kernelIdddLi4ELi64ELi128ELi128ELi4ELi4ELi64ELi64ELi4ELc84ELc84ELb0ELb0ELb0EdKddEEviiiT16_PT17_ilS4_ilS2_S4_ilPT18_ili26rocblas_geam_ex_operation_.has_dyn_sized_stack, 0
	.set _ZN12_GLOBAL__N_120geam_min_plus_kernelIdddLi4ELi64ELi128ELi128ELi4ELi4ELi64ELi64ELi4ELc84ELc84ELb0ELb0ELb0EdKddEEviiiT16_PT17_ilS4_ilS2_S4_ilPT18_ili26rocblas_geam_ex_operation_.has_recursion, 0
	.set _ZN12_GLOBAL__N_120geam_min_plus_kernelIdddLi4ELi64ELi128ELi128ELi4ELi4ELi64ELi64ELi4ELc84ELc84ELb0ELb0ELb0EdKddEEviiiT16_PT17_ilS4_ilS2_S4_ilPT18_ili26rocblas_geam_ex_operation_.has_indirect_call, 0
	.section	.AMDGPU.csdata,"",@progbits
; Kernel info:
; codeLenInByte = 13028
; TotalNumSgprs: 36
; NumVgprs: 254
; NumAgprs: 0
; TotalNumVgprs: 254
; ScratchSize: 0
; MemoryBound: 0
; FloatMode: 240
; IeeeMode: 1
; LDSByteSize: 16384 bytes/workgroup (compile time only)
; SGPRBlocks: 4
; VGPRBlocks: 31
; NumSGPRsForWavesPerEU: 36
; NumVGPRsForWavesPerEU: 254
; AccumOffset: 256
; Occupancy: 2
; WaveLimiterHint : 1
; COMPUTE_PGM_RSRC2:SCRATCH_EN: 0
; COMPUTE_PGM_RSRC2:USER_SGPR: 2
; COMPUTE_PGM_RSRC2:TRAP_HANDLER: 0
; COMPUTE_PGM_RSRC2:TGID_X_EN: 1
; COMPUTE_PGM_RSRC2:TGID_Y_EN: 0
; COMPUTE_PGM_RSRC2:TGID_Z_EN: 1
; COMPUTE_PGM_RSRC2:TIDIG_COMP_CNT: 1
; COMPUTE_PGM_RSRC3_GFX90A:ACCUM_OFFSET: 63
; COMPUTE_PGM_RSRC3_GFX90A:TG_SPLIT: 0
	.section	.text._ZN12_GLOBAL__N_120geam_min_plus_kernelIdddLi4ELi64ELi128ELi128ELi4ELi4ELi64ELi64ELi4ELc84ELc84ELb0ELb1ELb0EPKdS1_dEEviiiT16_PT17_ilS5_ilS3_S5_ilPT18_ili26rocblas_geam_ex_operation_,"axG",@progbits,_ZN12_GLOBAL__N_120geam_min_plus_kernelIdddLi4ELi64ELi128ELi128ELi4ELi4ELi64ELi64ELi4ELc84ELc84ELb0ELb1ELb0EPKdS1_dEEviiiT16_PT17_ilS5_ilS3_S5_ilPT18_ili26rocblas_geam_ex_operation_,comdat
	.globl	_ZN12_GLOBAL__N_120geam_min_plus_kernelIdddLi4ELi64ELi128ELi128ELi4ELi4ELi64ELi64ELi4ELc84ELc84ELb0ELb1ELb0EPKdS1_dEEviiiT16_PT17_ilS5_ilS3_S5_ilPT18_ili26rocblas_geam_ex_operation_ ; -- Begin function _ZN12_GLOBAL__N_120geam_min_plus_kernelIdddLi4ELi64ELi128ELi128ELi4ELi4ELi64ELi64ELi4ELc84ELc84ELb0ELb1ELb0EPKdS1_dEEviiiT16_PT17_ilS5_ilS3_S5_ilPT18_ili26rocblas_geam_ex_operation_
	.p2align	8
	.type	_ZN12_GLOBAL__N_120geam_min_plus_kernelIdddLi4ELi64ELi128ELi128ELi4ELi4ELi64ELi64ELi4ELc84ELc84ELb0ELb1ELb0EPKdS1_dEEviiiT16_PT17_ilS5_ilS3_S5_ilPT18_ili26rocblas_geam_ex_operation_,@function
_ZN12_GLOBAL__N_120geam_min_plus_kernelIdddLi4ELi64ELi128ELi128ELi4ELi4ELi64ELi64ELi4ELc84ELc84ELb0ELb1ELb0EPKdS1_dEEviiiT16_PT17_ilS5_ilS3_S5_ilPT18_ili26rocblas_geam_ex_operation_: ; @_ZN12_GLOBAL__N_120geam_min_plus_kernelIdddLi4ELi64ELi128ELi128ELi4ELi4ELi64ELi64ELi4ELc84ELc84ELb0ELb1ELb0EPKdS1_dEEviiiT16_PT17_ilS5_ilS3_S5_ilPT18_ili26rocblas_geam_ex_operation_
; %bb.0:
	s_load_dwordx4 s[12:15], s[0:1], 0x10
	s_load_dwordx4 s[4:7], s[0:1], 0x28
	;; [unrolled: 1-line block ×3, first 2 shown]
	s_mov_b32 s16, s3
	s_mov_b32 s17, 0
	s_lshl_b64 s[20:21], s[16:17], 3
	s_waitcnt lgkmcnt(0)
	s_add_u32 s12, s12, s20
	s_addc_u32 s13, s13, s21
	s_load_dwordx2 s[18:19], s[12:13], 0x0
	s_load_dwordx2 s[24:25], s[0:1], 0x50
	s_add_u32 s10, s10, s20
	s_addc_u32 s11, s11, s21
	s_mov_b64 s[20:21], 0
	s_waitcnt lgkmcnt(0)
	v_cmp_eq_f64_e64 s[22:23], s[18:19], 0
	v_cmp_neq_f64_e64 s[12:13], s[18:19], 0
	s_and_b64 vcc, exec, s[22:23]
	s_mov_b64 s[22:23], 0
	s_cbranch_vccnz .LBB201_2
; %bb.1:
	s_mul_i32 s3, s5, s16
	s_mul_hi_u32 s5, s4, s16
	s_add_i32 s5, s5, s3
	s_mul_i32 s4, s4, s16
	s_lshl_b64 s[4:5], s[4:5], 3
	s_add_u32 s22, s14, s4
	s_addc_u32 s23, s15, s5
.LBB201_2:
	s_load_dwordx2 s[70:71], s[10:11], 0x0
	s_andn2_b64 vcc, exec, s[12:13]
	s_cbranch_vccnz .LBB201_4
; %bb.3:
	s_mul_i32 s3, s9, s16
	s_mul_hi_u32 s4, s8, s16
	s_add_i32 s5, s4, s3
	s_mul_i32 s4, s8, s16
	s_lshl_b64 s[4:5], s[4:5], 3
	s_add_u32 s20, s6, s4
	s_addc_u32 s21, s7, s5
.LBB201_4:
	s_load_dwordx4 s[8:11], s[0:1], 0x60
	s_waitcnt lgkmcnt(0)
	v_cmp_eq_f64_e64 s[4:5], s[70:71], 0
	s_mov_b64 s[76:77], 0
	v_cmp_neq_f64_e64 s[12:13], s[70:71], 0
	s_and_b64 vcc, exec, s[4:5]
	s_cbranch_vccnz .LBB201_6
; %bb.5:
	s_mul_i32 s3, s9, s16
	s_mul_hi_u32 s4, s8, s16
	s_add_i32 s5, s4, s3
	s_mul_i32 s4, s8, s16
	s_lshl_b64 s[4:5], s[4:5], 3
	s_add_u32 s76, s24, s4
	s_addc_u32 s77, s25, s5
.LBB201_6:
	s_load_dwordx4 s[72:75], s[0:1], 0x0
	s_load_dword s30, s[0:1], 0x20
	v_and_b32_e32 v144, 0x3ff, v0
	v_bfe_u32 v145, v0, 10, 10
	v_and_b32_e32 v146, 3, v0
	s_waitcnt lgkmcnt(0)
	s_add_i32 s3, s72, -1
	s_ashr_i32 s4, s3, 31
	s_lshr_b32 s4, s4, 25
	s_add_i32 s3, s3, s4
	s_ashr_i32 s3, s3, 7
	s_add_i32 s5, s3, 1
	v_cvt_f32_u32_e32 v1, s5
	s_not_b32 s3, s3
	v_lshl_add_u32 v6, v145, 2, v144
	v_lshrrev_b32_e32 v139, 2, v6
	v_rcp_iflag_f32_e32 v1, v1
	v_cmp_le_i32_e32 vcc, s74, v146
	v_cmp_eq_f64_e64 s[14:15], s[18:19], 0
	v_mul_f32_e32 v0, 0x4f7ffffe, v1
	v_cvt_u32_f32_e32 v0, v0
	s_nop 0
	v_readfirstlane_b32 s4, v0
	s_mul_i32 s3, s3, s4
	s_mul_hi_u32 s3, s4, s3
	s_add_i32 s4, s4, s3
	s_mul_hi_u32 s3, s2, s4
	s_mul_i32 s4, s3, s5
	s_sub_i32 s4, s2, s4
	s_add_i32 s6, s3, 1
	s_sub_i32 s7, s4, s5
	s_cmp_ge_u32 s4, s5
	s_cselect_b32 s3, s6, s3
	s_cselect_b32 s4, s7, s4
	s_add_i32 s6, s3, 1
	s_cmp_ge_u32 s4, s5
	s_cselect_b32 s4, s6, s3
	s_mul_i32 s3, s4, s5
	s_sub_i32 s2, s2, s3
	s_lshl_b32 s17, s2, 7
	s_add_i32 s27, s74, -1
	v_add_u32_e32 v138, s17, v139
	v_min_i32_e32 v2, s27, v146
	v_cmp_le_i32_e64 s[6:7], s72, v138
	v_ashrrev_i32_e32 v3, 31, v2
	s_or_b64 s[2:3], vcc, s[6:7]
	v_mov_b64_e32 v[0:1], 0
	v_lshl_add_u64 v[4:5], v[2:3], 3, s[22:23]
	s_nor_b64 s[8:9], s[14:15], s[2:3]
	v_mov_b64_e32 v[2:3], 0
	s_and_saveexec_b64 s[2:3], s[8:9]
	s_cbranch_execz .LBB201_8
; %bb.7:
	v_mad_i64_i32 v[2:3], s[8:9], v138, s30, 0
	v_lshl_add_u64 v[2:3], v[2:3], 3, v[4:5]
	global_load_dwordx2 v[2:3], v[2:3], off
	s_waitcnt vmcnt(0)
	v_mul_f64 v[2:3], s[18:19], v[2:3]
.LBB201_8:
	s_or_b64 exec, exec, s[2:3]
	v_add_u32_e32 v140, 64, v138
	v_cmp_le_i32_e64 s[8:9], s72, v140
	s_or_b64 s[2:3], vcc, s[8:9]
	s_nor_b64 s[24:25], s[14:15], s[2:3]
	s_and_saveexec_b64 s[2:3], s[24:25]
	s_cbranch_execz .LBB201_10
; %bb.9:
	v_mad_i64_i32 v[0:1], s[24:25], v140, s30, 0
	v_lshl_add_u64 v[0:1], v[0:1], 3, v[4:5]
	global_load_dwordx2 v[0:1], v[0:1], off
	s_waitcnt vmcnt(0)
	v_mul_f64 v[0:1], s[18:19], v[0:1]
.LBB201_10:
	s_or_b64 exec, exec, s[2:3]
	s_load_dword s28, s[0:1], 0x38
	v_lshrrev_b32_e32 v147, 6, v6
	v_and_b32_e32 v10, 63, v6
	s_lshl_b32 s26, s4, 7
	v_min_i32_e32 v4, s27, v147
	v_or_b32_e32 v128, s26, v10
	s_waitcnt lgkmcnt(0)
	v_mad_i64_i32 v[4:5], s[2:3], s28, v4, 0
	v_cmp_le_i32_e32 vcc, s74, v147
	v_cmp_le_i32_e64 s[2:3], s73, v128
	s_or_b64 s[4:5], s[2:3], vcc
	v_lshl_add_u64 v[8:9], v[4:5], 3, s[20:21]
	s_nor_b64 s[24:25], s[14:15], s[4:5]
	v_mov_b64_e32 v[4:5], 0
	v_ashrrev_i32_e32 v129, 31, v128
	v_mov_b64_e32 v[6:7], 0
	s_and_saveexec_b64 s[4:5], s[24:25]
	s_cbranch_execz .LBB201_12
; %bb.11:
	v_lshl_add_u64 v[6:7], v[128:129], 3, v[8:9]
	global_load_dwordx2 v[6:7], v[6:7], off
	s_waitcnt vmcnt(0)
	v_mul_f64 v[6:7], s[18:19], v[6:7]
.LBB201_12:
	s_or_b64 exec, exec, s[4:5]
	v_or_b32_e32 v11, 64, v128
	v_cmp_le_i32_e64 s[4:5], s73, v11
	s_or_b64 s[24:25], s[4:5], vcc
	s_nor_b64 s[34:35], s[14:15], s[24:25]
	s_and_saveexec_b64 s[24:25], s[34:35]
	s_cbranch_execz .LBB201_14
; %bb.13:
	v_lshl_add_u64 v[4:5], v[128:129], 3, v[8:9]
	global_load_dwordx2 v[4:5], v[4:5], off offset:512
	s_waitcnt vmcnt(0)
	v_mul_f64 v[4:5], s[18:19], v[4:5]
.LBB201_14:
	s_or_b64 exec, exec, s[24:25]
	v_or_b32_e32 v8, 4, v146
	v_cmp_le_i32_e32 vcc, s74, v8
	v_min_i32_e32 v8, s27, v8
	v_ashrrev_i32_e32 v9, 31, v8
	s_or_b64 s[24:25], vcc, s[6:7]
	v_lshl_add_u64 v[8:9], v[8:9], 3, s[22:23]
	s_nor_b64 s[34:35], s[14:15], s[24:25]
	v_mov_b64_e32 v[130:131], 0
	v_mov_b64_e32 v[132:133], 0
	s_and_saveexec_b64 s[24:25], s[34:35]
	s_cbranch_execz .LBB201_16
; %bb.15:
	v_mad_i64_i32 v[12:13], s[34:35], v138, s30, 0
	v_lshl_add_u64 v[12:13], v[12:13], 3, v[8:9]
	global_load_dwordx2 v[12:13], v[12:13], off
	s_waitcnt vmcnt(0)
	v_mul_f64 v[132:133], s[18:19], v[12:13]
.LBB201_16:
	s_or_b64 exec, exec, s[24:25]
	s_or_b64 s[24:25], vcc, s[8:9]
	s_nor_b64 s[34:35], s[14:15], s[24:25]
	s_and_saveexec_b64 s[24:25], s[34:35]
	s_cbranch_execz .LBB201_18
; %bb.17:
	v_mad_i64_i32 v[12:13], s[34:35], v140, s30, 0
	v_lshl_add_u64 v[8:9], v[12:13], 3, v[8:9]
	global_load_dwordx2 v[8:9], v[8:9], off
	s_waitcnt vmcnt(0)
	v_mul_f64 v[130:131], s[18:19], v[8:9]
.LBB201_18:
	s_or_b64 exec, exec, s[24:25]
	v_add_u32_e32 v8, 4, v147
	v_cmp_le_i32_e32 vcc, s74, v8
	v_min_i32_e32 v8, s27, v8
	v_mad_i64_i32 v[8:9], s[24:25], s28, v8, 0
	s_or_b64 s[24:25], s[2:3], vcc
	v_lshl_add_u64 v[8:9], v[8:9], 3, s[20:21]
	s_nor_b64 s[34:35], s[14:15], s[24:25]
	v_mov_b64_e32 v[134:135], 0
	v_mov_b64_e32 v[136:137], 0
	s_and_saveexec_b64 s[24:25], s[34:35]
	s_cbranch_execz .LBB201_20
; %bb.19:
	v_lshl_add_u64 v[12:13], v[128:129], 3, v[8:9]
	global_load_dwordx2 v[12:13], v[12:13], off
	s_waitcnt vmcnt(0)
	v_mul_f64 v[136:137], s[18:19], v[12:13]
.LBB201_20:
	s_or_b64 exec, exec, s[24:25]
	s_or_b64 s[24:25], s[4:5], vcc
	s_nor_b64 s[34:35], s[14:15], s[24:25]
	s_and_saveexec_b64 s[24:25], s[34:35]
	s_cbranch_execz .LBB201_22
; %bb.21:
	v_lshl_add_u64 v[8:9], v[128:129], 3, v[8:9]
	global_load_dwordx2 v[8:9], v[8:9], off offset:512
	s_waitcnt vmcnt(0)
	v_mul_f64 v[134:135], s[18:19], v[8:9]
.LBB201_22:
	s_or_b64 exec, exec, s[24:25]
	v_lshlrev_b32_e32 v8, 5, v139
	v_lshl_or_b32 v149, v146, 3, v8
	ds_write2st64_b64 v149, v[2:3], v[0:1] offset1:4
	v_lshlrev_b32_e32 v0, 3, v147
	v_lshl_add_u32 v142, v10, 5, v0
	v_lshlrev_b32_e32 v141, 5, v145
	v_or_b32_e32 v150, 0x2000, v142
	ds_write2st64_b64 v142, v[6:7], v[4:5] offset0:16 offset1:20
	v_lshlrev_b32_e32 v151, 5, v144
	v_add_u32_e32 v152, 0x2000, v141
	v_mov_b64_e32 v[126:127], 0
	s_mov_b32 s24, 0
	v_mov_b64_e32 v[124:125], 0
	v_mov_b64_e32 v[122:123], 0
	;; [unrolled: 1-line block ×63, first 2 shown]
	s_waitcnt lgkmcnt(0)
	s_barrier
.LBB201_23:                             ; =>This Inner Loop Header: Depth=1
	v_add_u32_e32 v143, s24, v151
	v_add_u32_e32 v148, s24, v152
	ds_read2_b64 v[154:157], v143 offset1:16
	ds_read2_b64 v[158:161], v143 offset0:32 offset1:48
	ds_read2_b64 v[162:165], v143 offset0:64 offset1:80
	;; [unrolled: 1-line block ×7, first 2 shown]
	ds_read2st64_b64 v[186:189], v148 offset1:4
	v_add_u32_e32 v143, 0x800, v143
	ds_read2_b64 v[190:193], v143 offset1:16
	ds_read2_b64 v[194:197], v143 offset0:32 offset1:48
	ds_read2_b64 v[198:201], v143 offset0:64 offset1:80
	;; [unrolled: 1-line block ×7, first 2 shown]
	s_waitcnt lgkmcnt(14)
	v_max_f64 v[154:155], v[154:155], v[154:155]
	v_max_f64 v[156:157], v[156:157], v[156:157]
	;; [unrolled: 1-line block ×6, first 2 shown]
	s_waitcnt lgkmcnt(13)
	v_max_f64 v[166:167], v[166:167], v[166:167]
	v_max_f64 v[168:169], v[168:169], v[168:169]
	s_waitcnt lgkmcnt(12)
	v_max_f64 v[170:171], v[170:171], v[170:171]
	v_max_f64 v[172:173], v[172:173], v[172:173]
	;; [unrolled: 3-line block ×14, first 2 shown]
	v_min_f64 v[222:223], v[154:155], v[186:187]
	v_min_f64 v[224:225], v[156:157], v[186:187]
	;; [unrolled: 1-line block ×32, first 2 shown]
	s_add_i32 s24, s24, 8
	v_add_f64 v[62:63], v[62:63], v[154:155]
	v_add_f64 v[60:61], v[60:61], v[156:157]
	;; [unrolled: 1-line block ×16, first 2 shown]
	v_min_f64 v[154:155], v[190:191], v[186:187]
	v_min_f64 v[156:157], v[192:193], v[186:187]
	;; [unrolled: 1-line block ×32, first 2 shown]
	s_cmp_eq_u32 s24, 32
	v_add_f64 v[126:127], v[126:127], v[222:223]
	v_add_f64 v[124:125], v[124:125], v[224:225]
	;; [unrolled: 1-line block ×48, first 2 shown]
	s_cbranch_scc0 .LBB201_23
; %bb.24:
	v_lshlrev_b32_e32 v143, 3, v146
	v_lshl_or_b32 v139, v139, 5, v143
	s_cmp_gt_i32 s74, 8
	ds_write2st64_b64 v139, v[132:133], v[130:131] offset0:8 offset1:12
	ds_write2st64_b64 v142, v[136:137], v[134:135] offset0:24 offset1:28
	s_waitcnt lgkmcnt(0)
	s_barrier
	s_cbranch_scc1 .LBB201_26
; %bb.25:
	v_add_u32_e32 v148, 0x3000, v141
	s_cbranch_execz .LBB201_27
	s_branch .LBB201_49
.LBB201_26:
                                        ; implicit-def: $vgpr148
.LBB201_27:
	v_mov_b32_e32 v134, 0x1000
	v_add_u32_e32 v153, 0x1000, v139
	v_or_b32_e32 v154, 0x3000, v142
	s_add_i32 s29, s74, -8
	s_or_b64 s[6:7], s[6:7], s[14:15]
	s_or_b64 s[8:9], s[8:9], s[14:15]
	v_mad_i64_i32 v[130:131], s[24:25], v138, s30, 0
	v_mad_i64_i32 v[132:133], s[24:25], v140, s30, 0
	v_lshl_add_u32 v155, v144, 5, v134
	v_add_u32_e32 v148, 0x3000, v141
	s_mov_b32 s30, 8
	s_mov_b32 s31, 0
.LBB201_28:                             ; =>This Loop Header: Depth=1
                                        ;     Child Loop BB201_37 Depth 2
                                        ;     Child Loop BB201_47 Depth 2
	v_or_b32_e32 v156, s30, v146
	v_min_i32_e32 v134, s27, v156
	v_cmp_le_i32_e32 vcc, s74, v156
	v_ashrrev_i32_e32 v135, 31, v134
	v_lshl_add_u64 v[138:139], v[134:135], 3, s[22:23]
	s_nor_b64 s[34:35], vcc, s[6:7]
	v_mov_b64_e32 v[134:135], 0
	v_mov_b64_e32 v[136:137], 0
	s_and_saveexec_b64 s[24:25], s[34:35]
	s_cbranch_execz .LBB201_30
; %bb.29:                               ;   in Loop: Header=BB201_28 Depth=1
	v_lshl_add_u64 v[136:137], v[130:131], 3, v[138:139]
	global_load_dwordx2 v[136:137], v[136:137], off
	s_waitcnt vmcnt(0)
	v_mul_f64 v[136:137], s[18:19], v[136:137]
.LBB201_30:                             ;   in Loop: Header=BB201_28 Depth=1
	s_or_b64 exec, exec, s[24:25]
	s_nor_b64 s[34:35], vcc, s[8:9]
	s_and_saveexec_b64 s[24:25], s[34:35]
	s_cbranch_execz .LBB201_32
; %bb.31:                               ;   in Loop: Header=BB201_28 Depth=1
	v_lshl_add_u64 v[134:135], v[132:133], 3, v[138:139]
	global_load_dwordx2 v[134:135], v[134:135], off
	s_waitcnt vmcnt(0)
	v_mul_f64 v[134:135], s[18:19], v[134:135]
.LBB201_32:                             ;   in Loop: Header=BB201_28 Depth=1
	s_or_b64 exec, exec, s[24:25]
	v_add_u32_e32 v138, s30, v147
	v_cmp_le_i32_e32 vcc, s74, v138
	v_min_i32_e32 v138, s27, v138
	v_mad_i64_i32 v[138:139], s[24:25], v138, s28, 0
	v_lshl_add_u64 v[140:141], v[138:139], 3, s[20:21]
	s_or_b64 s[24:25], s[2:3], vcc
	s_nor_b64 s[34:35], s[14:15], s[24:25]
	v_mov_b64_e32 v[138:139], 0
	v_lshl_add_u64 v[142:143], v[128:129], 3, v[140:141]
	v_mov_b64_e32 v[140:141], 0
	s_and_saveexec_b64 s[24:25], s[34:35]
	s_cbranch_execz .LBB201_34
; %bb.33:                               ;   in Loop: Header=BB201_28 Depth=1
	global_load_dwordx2 v[140:141], v[142:143], off
	s_waitcnt vmcnt(0)
	v_mul_f64 v[140:141], s[18:19], v[140:141]
.LBB201_34:                             ;   in Loop: Header=BB201_28 Depth=1
	s_or_b64 exec, exec, s[24:25]
	s_or_b64 s[24:25], s[4:5], vcc
	s_nor_b64 s[34:35], s[14:15], s[24:25]
	s_and_saveexec_b64 s[24:25], s[34:35]
	s_cbranch_execz .LBB201_36
; %bb.35:                               ;   in Loop: Header=BB201_28 Depth=1
	global_load_dwordx2 v[138:139], v[142:143], off offset:512
	s_waitcnt vmcnt(0)
	v_mul_f64 v[138:139], s[18:19], v[138:139]
.LBB201_36:                             ;   in Loop: Header=BB201_28 Depth=1
	s_or_b64 exec, exec, s[24:25]
	s_mov_b32 s24, 0
.LBB201_37:                             ;   Parent Loop BB201_28 Depth=1
                                        ; =>  This Inner Loop Header: Depth=2
	v_add_u32_e32 v142, s24, v155
	ds_read2_b64 v[158:161], v142 offset1:16
	ds_read2_b64 v[162:165], v142 offset0:32 offset1:48
	ds_read2_b64 v[166:169], v142 offset0:64 offset1:80
	;; [unrolled: 1-line block ×7, first 2 shown]
	v_add_u32_e32 v142, 0x800, v142
	ds_read2_b64 v[190:193], v142 offset1:16
	ds_read2_b64 v[194:197], v142 offset0:32 offset1:48
	ds_read2_b64 v[198:201], v142 offset0:64 offset1:80
	;; [unrolled: 1-line block ×7, first 2 shown]
	v_add_u32_e32 v142, s24, v148
	ds_read2st64_b64 v[222:225], v142 offset1:4
	s_waitcnt lgkmcnt(14)
	v_max_f64 v[158:159], v[158:159], v[158:159]
	v_max_f64 v[160:161], v[160:161], v[160:161]
	;; [unrolled: 1-line block ×4, first 2 shown]
	s_waitcnt lgkmcnt(0)
	v_max_f64 v[142:143], v[222:223], v[222:223]
	v_min_f64 v[222:223], v[158:159], v[142:143]
	v_add_f64 v[126:127], v[126:127], v[222:223]
	v_min_f64 v[222:223], v[160:161], v[142:143]
	v_add_f64 v[124:125], v[124:125], v[222:223]
	;; [unrolled: 2-line block ×3, first 2 shown]
	v_min_f64 v[222:223], v[164:165], v[142:143]
	v_max_f64 v[166:167], v[166:167], v[166:167]
	v_add_f64 v[120:121], v[120:121], v[222:223]
	v_min_f64 v[222:223], v[166:167], v[142:143]
	v_max_f64 v[168:169], v[168:169], v[168:169]
	v_add_f64 v[118:119], v[118:119], v[222:223]
	;; [unrolled: 3-line block ×26, first 2 shown]
	v_min_f64 v[222:223], v[216:217], v[142:143]
	v_max_f64 v[218:219], v[218:219], v[218:219]
	v_max_f64 v[220:221], v[220:221], v[220:221]
	v_add_f64 v[68:69], v[68:69], v[222:223]
	v_min_f64 v[222:223], v[218:219], v[142:143]
	v_min_f64 v[142:143], v[220:221], v[142:143]
	v_add_f64 v[64:65], v[64:65], v[142:143]
	v_max_f64 v[142:143], v[224:225], v[224:225]
	v_min_f64 v[158:159], v[158:159], v[142:143]
	v_add_f64 v[62:63], v[62:63], v[158:159]
	v_min_f64 v[158:159], v[160:161], v[142:143]
	v_add_f64 v[60:61], v[60:61], v[158:159]
	;; [unrolled: 2-line block ×30, first 2 shown]
	v_min_f64 v[158:159], v[218:219], v[142:143]
	v_min_f64 v[142:143], v[220:221], v[142:143]
	s_add_i32 s24, s24, 8
	v_add_f64 v[66:67], v[66:67], v[222:223]
	v_add_f64 v[2:3], v[2:3], v[158:159]
	v_add_f64 v[0:1], v[0:1], v[142:143]
	s_cmp_eq_u32 s24, 32
	s_cbranch_scc0 .LBB201_37
; %bb.38:                               ;   in Loop: Header=BB201_28 Depth=1
	ds_write2st64_b64 v149, v[136:137], v[134:135] offset1:4
	ds_write2st64_b64 v150, v[140:141], v[138:139] offset1:4
	v_or_b32_e32 v134, 4, v156
	v_cmp_le_i32_e32 vcc, s74, v134
	v_min_i32_e32 v134, s27, v134
	v_ashrrev_i32_e32 v135, 31, v134
	v_lshl_add_u64 v[138:139], v[134:135], 3, s[22:23]
	s_nor_b64 s[34:35], vcc, s[6:7]
	v_mov_b64_e32 v[134:135], 0
	v_mov_b64_e32 v[136:137], 0
	s_waitcnt lgkmcnt(0)
	s_barrier
	s_and_saveexec_b64 s[24:25], s[34:35]
	s_cbranch_execz .LBB201_40
; %bb.39:                               ;   in Loop: Header=BB201_28 Depth=1
	v_lshl_add_u64 v[136:137], v[130:131], 3, v[138:139]
	global_load_dwordx2 v[136:137], v[136:137], off
	s_waitcnt vmcnt(0)
	v_mul_f64 v[136:137], s[18:19], v[136:137]
.LBB201_40:                             ;   in Loop: Header=BB201_28 Depth=1
	s_or_b64 exec, exec, s[24:25]
	s_nor_b64 s[34:35], vcc, s[8:9]
	s_and_saveexec_b64 s[24:25], s[34:35]
	s_cbranch_execz .LBB201_42
; %bb.41:                               ;   in Loop: Header=BB201_28 Depth=1
	v_lshl_add_u64 v[134:135], v[132:133], 3, v[138:139]
	global_load_dwordx2 v[134:135], v[134:135], off
	s_waitcnt vmcnt(0)
	v_mul_f64 v[134:135], s[18:19], v[134:135]
.LBB201_42:                             ;   in Loop: Header=BB201_28 Depth=1
	s_or_b64 exec, exec, s[24:25]
	v_add3_u32 v138, v147, s30, 4
	v_cmp_le_i32_e32 vcc, s74, v138
	v_min_i32_e32 v138, s27, v138
	v_mad_i64_i32 v[138:139], s[24:25], v138, s28, 0
	v_lshl_add_u64 v[140:141], v[138:139], 3, s[20:21]
	s_or_b64 s[24:25], s[2:3], vcc
	s_nor_b64 s[34:35], s[14:15], s[24:25]
	v_mov_b64_e32 v[138:139], 0
	v_lshl_add_u64 v[142:143], v[128:129], 3, v[140:141]
	v_mov_b64_e32 v[140:141], 0
	s_and_saveexec_b64 s[24:25], s[34:35]
	s_cbranch_execz .LBB201_44
; %bb.43:                               ;   in Loop: Header=BB201_28 Depth=1
	global_load_dwordx2 v[140:141], v[142:143], off
	s_waitcnt vmcnt(0)
	v_mul_f64 v[140:141], s[18:19], v[140:141]
.LBB201_44:                             ;   in Loop: Header=BB201_28 Depth=1
	s_or_b64 exec, exec, s[24:25]
	s_or_b64 s[24:25], s[4:5], vcc
	s_nor_b64 s[34:35], s[14:15], s[24:25]
	s_and_saveexec_b64 s[24:25], s[34:35]
	s_cbranch_execz .LBB201_46
; %bb.45:                               ;   in Loop: Header=BB201_28 Depth=1
	global_load_dwordx2 v[138:139], v[142:143], off offset:512
	s_waitcnt vmcnt(0)
	v_mul_f64 v[138:139], s[18:19], v[138:139]
.LBB201_46:                             ;   in Loop: Header=BB201_28 Depth=1
	s_or_b64 exec, exec, s[24:25]
	s_mov_b32 s24, 0
.LBB201_47:                             ;   Parent Loop BB201_28 Depth=1
                                        ; =>  This Inner Loop Header: Depth=2
	v_add_u32_e32 v142, s24, v151
	v_add_u32_e32 v143, s24, v152
	ds_read2_b64 v[156:159], v142 offset1:16
	ds_read2_b64 v[160:163], v142 offset0:32 offset1:48
	ds_read2_b64 v[164:167], v142 offset0:64 offset1:80
	;; [unrolled: 1-line block ×7, first 2 shown]
	v_add_u32_e32 v142, 0x800, v142
	ds_read2st64_b64 v[188:191], v143 offset1:4
	ds_read2_b64 v[192:195], v142 offset1:16
	ds_read2_b64 v[196:199], v142 offset0:32 offset1:48
	ds_read2_b64 v[200:203], v142 offset0:64 offset1:80
	;; [unrolled: 1-line block ×7, first 2 shown]
	s_waitcnt lgkmcnt(14)
	v_max_f64 v[156:157], v[156:157], v[156:157]
	v_max_f64 v[158:159], v[158:159], v[158:159]
	;; [unrolled: 1-line block ×3, first 2 shown]
	s_waitcnt lgkmcnt(8)
	v_max_f64 v[142:143], v[188:189], v[188:189]
	v_max_f64 v[162:163], v[162:163], v[162:163]
	;; [unrolled: 1-line block ×15, first 2 shown]
	v_min_f64 v[190:191], v[156:157], v[142:143]
	v_min_f64 v[224:225], v[158:159], v[142:143]
	;; [unrolled: 1-line block ×16, first 2 shown]
	s_waitcnt lgkmcnt(7)
	v_max_f64 v[192:193], v[192:193], v[192:193]
	v_max_f64 v[194:195], v[194:195], v[194:195]
	s_waitcnt lgkmcnt(6)
	v_max_f64 v[196:197], v[196:197], v[196:197]
	v_max_f64 v[198:199], v[198:199], v[198:199]
	;; [unrolled: 3-line block ×8, first 2 shown]
	v_min_f64 v[156:157], v[156:157], v[188:189]
	v_min_f64 v[158:159], v[158:159], v[188:189]
	;; [unrolled: 1-line block ×16, first 2 shown]
	s_add_i32 s24, s24, 8
	v_add_f64 v[126:127], v[126:127], v[190:191]
	v_add_f64 v[124:125], v[124:125], v[224:225]
	;; [unrolled: 1-line block ×15, first 2 shown]
	v_min_f64 v[190:191], v[192:193], v[142:143]
	v_min_f64 v[224:225], v[194:195], v[142:143]
	;; [unrolled: 1-line block ×16, first 2 shown]
	v_add_f64 v[62:63], v[62:63], v[156:157]
	v_add_f64 v[60:61], v[60:61], v[158:159]
	;; [unrolled: 1-line block ×16, first 2 shown]
	v_min_f64 v[156:157], v[192:193], v[188:189]
	v_min_f64 v[158:159], v[194:195], v[188:189]
	;; [unrolled: 1-line block ×16, first 2 shown]
	s_cmp_eq_u32 s24, 32
	v_add_f64 v[96:97], v[96:97], v[252:253]
	v_add_f64 v[94:95], v[94:95], v[190:191]
	;; [unrolled: 1-line block ×33, first 2 shown]
	s_cbranch_scc0 .LBB201_47
; %bb.48:                               ;   in Loop: Header=BB201_28 Depth=1
	s_add_i32 s30, s30, 8
	s_add_i32 s31, s31, 8
	s_cmp_ge_i32 s31, s29
	ds_write2st64_b64 v153, v[136:137], v[134:135] offset1:4
	ds_write2st64_b64 v154, v[140:141], v[138:139] offset1:4
	s_waitcnt lgkmcnt(0)
	s_barrier
	s_cbranch_scc0 .LBB201_28
.LBB201_49:
	v_mov_b32_e32 v128, 0x1000
	v_lshl_add_u32 v128, v144, 5, v128
	s_mov_b32 s2, 0
.LBB201_50:                             ; =>This Inner Loop Header: Depth=1
	v_add_u32_e32 v129, s2, v128
	v_add_u32_e32 v142, s2, v148
	ds_read2_b64 v[130:133], v129 offset1:16
	ds_read2_b64 v[134:137], v129 offset0:32 offset1:48
	ds_read2_b64 v[138:141], v129 offset0:64 offset1:80
	;; [unrolled: 1-line block ×7, first 2 shown]
	v_add_u32_e32 v129, 0x800, v129
	ds_read2st64_b64 v[170:173], v142 offset1:4
	ds_read2_b64 v[174:177], v129 offset1:16
	ds_read2_b64 v[178:181], v129 offset0:32 offset1:48
	ds_read2_b64 v[182:185], v129 offset0:64 offset1:80
	ds_read2_b64 v[186:189], v129 offset0:96 offset1:112
	ds_read2_b64 v[190:193], v129 offset0:128 offset1:144
	ds_read2_b64 v[194:197], v129 offset0:160 offset1:176
	ds_read2_b64 v[198:201], v129 offset0:192 offset1:208
	ds_read2_b64 v[202:205], v129 offset0:224 offset1:240
	s_waitcnt lgkmcnt(14)
	v_max_f64 v[130:131], v[130:131], v[130:131]
	v_max_f64 v[132:133], v[132:133], v[132:133]
	;; [unrolled: 1-line block ×3, first 2 shown]
	s_waitcnt lgkmcnt(8)
	v_max_f64 v[142:143], v[170:171], v[170:171]
	v_max_f64 v[136:137], v[136:137], v[136:137]
	;; [unrolled: 1-line block ×15, first 2 shown]
	v_min_f64 v[170:171], v[130:131], v[142:143]
	v_min_f64 v[172:173], v[132:133], v[142:143]
	;; [unrolled: 1-line block ×16, first 2 shown]
	s_waitcnt lgkmcnt(7)
	v_max_f64 v[174:175], v[174:175], v[174:175]
	v_max_f64 v[176:177], v[176:177], v[176:177]
	s_waitcnt lgkmcnt(6)
	v_max_f64 v[178:179], v[178:179], v[178:179]
	v_max_f64 v[180:181], v[180:181], v[180:181]
	;; [unrolled: 3-line block ×8, first 2 shown]
	v_min_f64 v[130:131], v[130:131], v[168:169]
	v_min_f64 v[132:133], v[132:133], v[168:169]
	;; [unrolled: 1-line block ×16, first 2 shown]
	s_add_i32 s2, s2, 8
	v_add_f64 v[126:127], v[126:127], v[170:171]
	v_add_f64 v[124:125], v[124:125], v[172:173]
	;; [unrolled: 1-line block ×15, first 2 shown]
	v_min_f64 v[170:171], v[174:175], v[142:143]
	v_min_f64 v[172:173], v[176:177], v[142:143]
	;; [unrolled: 1-line block ×16, first 2 shown]
	v_add_f64 v[62:63], v[62:63], v[130:131]
	v_add_f64 v[60:61], v[60:61], v[132:133]
	;; [unrolled: 1-line block ×16, first 2 shown]
	v_min_f64 v[130:131], v[174:175], v[168:169]
	v_min_f64 v[132:133], v[176:177], v[168:169]
	v_min_f64 v[134:135], v[178:179], v[168:169]
	v_min_f64 v[136:137], v[180:181], v[168:169]
	v_min_f64 v[138:139], v[182:183], v[168:169]
	v_min_f64 v[140:141], v[184:185], v[168:169]
	v_min_f64 v[146:147], v[186:187], v[168:169]
	v_min_f64 v[150:151], v[188:189], v[168:169]
	v_min_f64 v[152:153], v[190:191], v[168:169]
	v_min_f64 v[154:155], v[192:193], v[168:169]
	v_min_f64 v[156:157], v[194:195], v[168:169]
	v_min_f64 v[158:159], v[196:197], v[168:169]
	v_min_f64 v[160:161], v[198:199], v[168:169]
	v_min_f64 v[162:163], v[200:201], v[168:169]
	v_min_f64 v[164:165], v[202:203], v[168:169]
	v_min_f64 v[166:167], v[204:205], v[168:169]
	s_cmp_eq_u32 s2, 32
	v_add_f64 v[96:97], v[96:97], v[232:233]
	v_add_f64 v[94:95], v[94:95], v[170:171]
	;; [unrolled: 1-line block ×33, first 2 shown]
	s_cbranch_scc0 .LBB201_50
; %bb.51:
	s_load_dwordx2 s[2:3], s[0:1], 0x78
	s_load_dword s78, s[0:1], 0x58
	s_load_dword s33, s[0:1], 0x70
	v_add_u32_e32 v136, s26, v145
	v_add_u32_e32 v128, s17, v144
	s_waitcnt lgkmcnt(0)
	s_mul_i32 s1, s3, s16
	s_mul_hi_u32 s3, s2, s16
	s_mul_i32 s0, s2, s16
	s_add_i32 s1, s3, s1
	s_lshl_b64 s[0:1], s[0:1], 3
	s_add_u32 s74, s10, s0
	s_addc_u32 s75, s11, s1
	v_mad_i64_i32 v[130:131], s[0:1], v136, s78, 0
	v_cmp_gt_i32_e64 s[24:25], s73, v136
	v_lshl_add_u64 v[132:133], v[130:131], 3, s[76:77]
	v_mad_i64_i32 v[130:131], s[0:1], v136, s33, 0
	v_cmp_gt_i32_e64 s[2:3], s72, v128
	v_cndmask_b32_e64 v134, 0, 1, s[12:13]
	v_lshl_add_u64 v[130:131], v[130:131], 3, s[74:75]
	s_and_b64 s[6:7], s[24:25], s[2:3]
	v_ashrrev_i32_e32 v129, 31, v128
	v_cmp_ne_u32_e64 s[0:1], 1, v134
	s_and_saveexec_b64 s[4:5], s[6:7]
	s_cbranch_execz .LBB201_56
; %bb.52:
	s_and_b64 vcc, exec, s[0:1]
	s_cbranch_vccnz .LBB201_54
; %bb.53:
	v_lshl_add_u64 v[134:135], v[128:129], 3, v[132:133]
	global_load_dwordx2 v[134:135], v[134:135], off
	s_waitcnt vmcnt(0)
	v_mul_f64 v[134:135], s[70:71], v[134:135]
	s_branch .LBB201_55
.LBB201_54:
	v_mov_b64_e32 v[134:135], 0
.LBB201_55:
	v_add_f64 v[126:127], v[126:127], v[134:135]
	v_lshl_add_u64 v[134:135], v[128:129], 3, v[130:131]
	global_store_dwordx2 v[134:135], v[126:127], off
.LBB201_56:
	s_or_b64 exec, exec, s[4:5]
	v_add_u32_e32 v126, 4, v128
	v_cmp_gt_i32_e64 s[4:5], s72, v126
	s_and_b64 s[8:9], s[24:25], s[4:5]
	v_ashrrev_i32_e32 v127, 31, v126
	s_and_saveexec_b64 s[6:7], s[8:9]
	s_cbranch_execz .LBB201_61
; %bb.57:
	s_and_b64 vcc, exec, s[0:1]
	s_cbranch_vccnz .LBB201_59
; %bb.58:
	v_lshl_add_u64 v[134:135], v[126:127], 3, v[132:133]
	global_load_dwordx2 v[134:135], v[134:135], off
	s_waitcnt vmcnt(0)
	v_mul_f64 v[134:135], s[70:71], v[134:135]
	s_branch .LBB201_60
.LBB201_59:
	v_mov_b64_e32 v[134:135], 0
.LBB201_60:
	v_add_f64 v[124:125], v[124:125], v[134:135]
	v_lshl_add_u64 v[134:135], v[126:127], 3, v[130:131]
	global_store_dwordx2 v[134:135], v[124:125], off
.LBB201_61:
	s_or_b64 exec, exec, s[6:7]
	v_add_u32_e32 v124, 8, v128
	v_cmp_gt_i32_e64 s[6:7], s72, v124
	s_and_b64 s[10:11], s[24:25], s[6:7]
	v_ashrrev_i32_e32 v125, 31, v124
	;; [unrolled: 23-line block ×31, first 2 shown]
	s_and_saveexec_b64 s[24:25], s[80:81]
	s_cbranch_execz .LBB201_211
; %bb.207:
	s_and_b64 vcc, exec, s[0:1]
	s_cbranch_vccnz .LBB201_209
; %bb.208:
	v_lshl_add_u64 v[132:133], v[66:67], 3, v[132:133]
	global_load_dwordx2 v[132:133], v[132:133], off
	s_waitcnt vmcnt(0)
	v_mul_f64 v[132:133], s[70:71], v[132:133]
	s_branch .LBB201_210
.LBB201_209:
	v_mov_b64_e32 v[132:133], 0
.LBB201_210:
	v_add_f64 v[64:65], v[64:65], v[132:133]
	v_lshl_add_u64 v[130:131], v[66:67], 3, v[130:131]
	global_store_dwordx2 v[130:131], v[64:65], off
.LBB201_211:
	s_or_b64 exec, exec, s[24:25]
	v_add_u32_e32 v132, 64, v136
	v_cmp_gt_i32_e64 s[24:25], s73, v132
	v_mad_i64_i32 v[64:65], s[72:73], v132, s78, 0
	v_lshl_add_u64 v[130:131], v[64:65], 3, s[76:77]
	v_mad_i64_i32 v[64:65], s[72:73], v132, s33, 0
	v_lshl_add_u64 v[64:65], v[64:65], 3, s[74:75]
	s_and_b64 s[2:3], s[24:25], s[2:3]
	s_and_saveexec_b64 s[72:73], s[2:3]
	s_xor_b64 s[2:3], exec, s[72:73]
	s_cbranch_execnz .LBB201_244
; %bb.212:
	s_or_b64 exec, exec, s[2:3]
	s_and_b64 s[4:5], s[24:25], s[4:5]
	s_and_saveexec_b64 s[2:3], s[4:5]
	s_cbranch_execnz .LBB201_248
.LBB201_213:
	s_or_b64 exec, exec, s[2:3]
	s_and_b64 s[4:5], s[24:25], s[6:7]
	s_and_saveexec_b64 s[2:3], s[4:5]
	s_cbranch_execnz .LBB201_252
.LBB201_214:
	s_or_b64 exec, exec, s[2:3]
	s_and_b64 s[4:5], s[24:25], s[8:9]
	s_and_saveexec_b64 s[2:3], s[4:5]
	s_cbranch_execnz .LBB201_256
.LBB201_215:
	s_or_b64 exec, exec, s[2:3]
	s_and_b64 s[4:5], s[24:25], s[10:11]
	s_and_saveexec_b64 s[2:3], s[4:5]
	s_cbranch_execnz .LBB201_260
.LBB201_216:
	s_or_b64 exec, exec, s[2:3]
	s_and_b64 s[4:5], s[24:25], s[12:13]
	s_and_saveexec_b64 s[2:3], s[4:5]
	s_cbranch_execnz .LBB201_264
.LBB201_217:
	s_or_b64 exec, exec, s[2:3]
	s_and_b64 s[4:5], s[24:25], s[14:15]
	s_and_saveexec_b64 s[2:3], s[4:5]
	s_cbranch_execnz .LBB201_268
.LBB201_218:
	s_or_b64 exec, exec, s[2:3]
	s_and_b64 s[4:5], s[24:25], s[16:17]
	s_and_saveexec_b64 s[2:3], s[4:5]
	s_cbranch_execnz .LBB201_272
.LBB201_219:
	s_or_b64 exec, exec, s[2:3]
	s_and_b64 s[4:5], s[24:25], s[18:19]
	s_and_saveexec_b64 s[2:3], s[4:5]
	s_cbranch_execnz .LBB201_276
.LBB201_220:
	s_or_b64 exec, exec, s[2:3]
	s_and_b64 s[4:5], s[24:25], s[20:21]
	s_and_saveexec_b64 s[2:3], s[4:5]
	s_cbranch_execnz .LBB201_280
.LBB201_221:
	s_or_b64 exec, exec, s[2:3]
	s_and_b64 s[4:5], s[24:25], s[22:23]
	s_and_saveexec_b64 s[2:3], s[4:5]
	s_cbranch_execnz .LBB201_284
.LBB201_222:
	s_or_b64 exec, exec, s[2:3]
	s_and_b64 s[4:5], s[24:25], s[26:27]
	s_and_saveexec_b64 s[2:3], s[4:5]
	s_cbranch_execnz .LBB201_288
.LBB201_223:
	s_or_b64 exec, exec, s[2:3]
	s_and_b64 s[4:5], s[24:25], s[28:29]
	s_and_saveexec_b64 s[2:3], s[4:5]
	s_cbranch_execnz .LBB201_292
.LBB201_224:
	s_or_b64 exec, exec, s[2:3]
	s_and_b64 s[4:5], s[24:25], s[30:31]
	s_and_saveexec_b64 s[2:3], s[4:5]
	s_cbranch_execnz .LBB201_296
.LBB201_225:
	s_or_b64 exec, exec, s[2:3]
	s_and_b64 s[4:5], s[24:25], s[34:35]
	s_and_saveexec_b64 s[2:3], s[4:5]
	s_cbranch_execnz .LBB201_300
.LBB201_226:
	s_or_b64 exec, exec, s[2:3]
	s_and_b64 s[4:5], s[24:25], s[36:37]
	s_and_saveexec_b64 s[2:3], s[4:5]
	s_cbranch_execnz .LBB201_304
.LBB201_227:
	s_or_b64 exec, exec, s[2:3]
	s_and_b64 s[4:5], s[24:25], s[38:39]
	s_and_saveexec_b64 s[2:3], s[4:5]
	s_cbranch_execnz .LBB201_308
.LBB201_228:
	s_or_b64 exec, exec, s[2:3]
	s_and_b64 s[4:5], s[24:25], s[40:41]
	s_and_saveexec_b64 s[2:3], s[4:5]
	s_cbranch_execnz .LBB201_312
.LBB201_229:
	s_or_b64 exec, exec, s[2:3]
	s_and_b64 s[4:5], s[24:25], s[42:43]
	s_and_saveexec_b64 s[2:3], s[4:5]
	s_cbranch_execnz .LBB201_316
.LBB201_230:
	s_or_b64 exec, exec, s[2:3]
	s_and_b64 s[4:5], s[24:25], s[44:45]
	s_and_saveexec_b64 s[2:3], s[4:5]
	s_cbranch_execnz .LBB201_320
.LBB201_231:
	s_or_b64 exec, exec, s[2:3]
	s_and_b64 s[4:5], s[24:25], s[46:47]
	s_and_saveexec_b64 s[2:3], s[4:5]
	s_cbranch_execnz .LBB201_324
.LBB201_232:
	s_or_b64 exec, exec, s[2:3]
	s_and_b64 s[4:5], s[24:25], s[48:49]
	s_and_saveexec_b64 s[2:3], s[4:5]
	s_cbranch_execnz .LBB201_328
.LBB201_233:
	s_or_b64 exec, exec, s[2:3]
	s_and_b64 s[4:5], s[24:25], s[50:51]
	s_and_saveexec_b64 s[2:3], s[4:5]
	s_cbranch_execnz .LBB201_332
.LBB201_234:
	s_or_b64 exec, exec, s[2:3]
	s_and_b64 s[4:5], s[24:25], s[52:53]
	s_and_saveexec_b64 s[2:3], s[4:5]
	s_cbranch_execnz .LBB201_336
.LBB201_235:
	s_or_b64 exec, exec, s[2:3]
	s_and_b64 s[4:5], s[24:25], s[54:55]
	s_and_saveexec_b64 s[2:3], s[4:5]
	s_cbranch_execnz .LBB201_340
.LBB201_236:
	s_or_b64 exec, exec, s[2:3]
	s_and_b64 s[4:5], s[24:25], s[56:57]
	s_and_saveexec_b64 s[2:3], s[4:5]
	s_cbranch_execnz .LBB201_344
.LBB201_237:
	s_or_b64 exec, exec, s[2:3]
	s_and_b64 s[4:5], s[24:25], s[58:59]
	s_and_saveexec_b64 s[2:3], s[4:5]
	s_cbranch_execnz .LBB201_348
.LBB201_238:
	s_or_b64 exec, exec, s[2:3]
	s_and_b64 s[4:5], s[24:25], s[60:61]
	s_and_saveexec_b64 s[2:3], s[4:5]
	s_cbranch_execnz .LBB201_352
.LBB201_239:
	s_or_b64 exec, exec, s[2:3]
	s_and_b64 s[4:5], s[24:25], s[62:63]
	s_and_saveexec_b64 s[2:3], s[4:5]
	s_cbranch_execnz .LBB201_356
.LBB201_240:
	s_or_b64 exec, exec, s[2:3]
	s_and_b64 s[4:5], s[24:25], s[64:65]
	s_and_saveexec_b64 s[2:3], s[4:5]
	s_cbranch_execnz .LBB201_360
.LBB201_241:
	s_or_b64 exec, exec, s[2:3]
	s_and_b64 s[4:5], s[24:25], s[66:67]
	s_and_saveexec_b64 s[2:3], s[4:5]
	s_cbranch_execnz .LBB201_364
.LBB201_242:
	s_or_b64 exec, exec, s[2:3]
	s_and_b64 s[2:3], s[24:25], s[68:69]
	s_and_saveexec_b64 s[4:5], s[2:3]
	s_cbranch_execnz .LBB201_368
.LBB201_243:
	s_endpgm
.LBB201_244:
	s_and_b64 vcc, exec, s[0:1]
	s_cbranch_vccnz .LBB201_246
; %bb.245:
	v_lshl_add_u64 v[132:133], v[128:129], 3, v[130:131]
	global_load_dwordx2 v[132:133], v[132:133], off
	s_waitcnt vmcnt(0)
	v_mul_f64 v[132:133], s[70:71], v[132:133]
	s_branch .LBB201_247
.LBB201_246:
	v_mov_b64_e32 v[132:133], 0
.LBB201_247:
	v_add_f64 v[62:63], v[62:63], v[132:133]
	v_lshl_add_u64 v[128:129], v[128:129], 3, v[64:65]
	global_store_dwordx2 v[128:129], v[62:63], off
	s_or_b64 exec, exec, s[2:3]
	s_and_b64 s[4:5], s[24:25], s[4:5]
	s_and_saveexec_b64 s[2:3], s[4:5]
	s_cbranch_execz .LBB201_213
.LBB201_248:
	s_and_b64 vcc, exec, s[0:1]
	s_cbranch_vccnz .LBB201_250
; %bb.249:
	v_lshl_add_u64 v[62:63], v[126:127], 3, v[130:131]
	global_load_dwordx2 v[62:63], v[62:63], off
	s_waitcnt vmcnt(0)
	v_mul_f64 v[62:63], s[70:71], v[62:63]
	s_branch .LBB201_251
.LBB201_250:
	v_mov_b64_e32 v[62:63], 0
.LBB201_251:
	v_add_f64 v[60:61], v[60:61], v[62:63]
	v_lshl_add_u64 v[62:63], v[126:127], 3, v[64:65]
	global_store_dwordx2 v[62:63], v[60:61], off
	s_or_b64 exec, exec, s[2:3]
	s_and_b64 s[4:5], s[24:25], s[6:7]
	s_and_saveexec_b64 s[2:3], s[4:5]
	s_cbranch_execz .LBB201_214
.LBB201_252:
	s_and_b64 vcc, exec, s[0:1]
	s_cbranch_vccnz .LBB201_254
; %bb.253:
	v_lshl_add_u64 v[60:61], v[124:125], 3, v[130:131]
	global_load_dwordx2 v[60:61], v[60:61], off
	s_waitcnt vmcnt(0)
	v_mul_f64 v[60:61], s[70:71], v[60:61]
	s_branch .LBB201_255
.LBB201_254:
	v_mov_b64_e32 v[60:61], 0
.LBB201_255:
	v_add_f64 v[58:59], v[58:59], v[60:61]
	v_lshl_add_u64 v[60:61], v[124:125], 3, v[64:65]
	global_store_dwordx2 v[60:61], v[58:59], off
	s_or_b64 exec, exec, s[2:3]
	s_and_b64 s[4:5], s[24:25], s[8:9]
	s_and_saveexec_b64 s[2:3], s[4:5]
	s_cbranch_execz .LBB201_215
.LBB201_256:
	s_and_b64 vcc, exec, s[0:1]
	s_cbranch_vccnz .LBB201_258
; %bb.257:
	v_lshl_add_u64 v[58:59], v[122:123], 3, v[130:131]
	global_load_dwordx2 v[58:59], v[58:59], off
	s_waitcnt vmcnt(0)
	v_mul_f64 v[58:59], s[70:71], v[58:59]
	s_branch .LBB201_259
.LBB201_258:
	v_mov_b64_e32 v[58:59], 0
.LBB201_259:
	v_add_f64 v[56:57], v[56:57], v[58:59]
	v_lshl_add_u64 v[58:59], v[122:123], 3, v[64:65]
	global_store_dwordx2 v[58:59], v[56:57], off
	s_or_b64 exec, exec, s[2:3]
	s_and_b64 s[4:5], s[24:25], s[10:11]
	s_and_saveexec_b64 s[2:3], s[4:5]
	s_cbranch_execz .LBB201_216
.LBB201_260:
	s_and_b64 vcc, exec, s[0:1]
	s_cbranch_vccnz .LBB201_262
; %bb.261:
	v_lshl_add_u64 v[56:57], v[120:121], 3, v[130:131]
	global_load_dwordx2 v[56:57], v[56:57], off
	s_waitcnt vmcnt(0)
	v_mul_f64 v[56:57], s[70:71], v[56:57]
	s_branch .LBB201_263
.LBB201_262:
	v_mov_b64_e32 v[56:57], 0
.LBB201_263:
	v_add_f64 v[54:55], v[54:55], v[56:57]
	v_lshl_add_u64 v[56:57], v[120:121], 3, v[64:65]
	global_store_dwordx2 v[56:57], v[54:55], off
	s_or_b64 exec, exec, s[2:3]
	s_and_b64 s[4:5], s[24:25], s[12:13]
	s_and_saveexec_b64 s[2:3], s[4:5]
	s_cbranch_execz .LBB201_217
.LBB201_264:
	s_and_b64 vcc, exec, s[0:1]
	s_cbranch_vccnz .LBB201_266
; %bb.265:
	v_lshl_add_u64 v[54:55], v[118:119], 3, v[130:131]
	global_load_dwordx2 v[54:55], v[54:55], off
	s_waitcnt vmcnt(0)
	v_mul_f64 v[54:55], s[70:71], v[54:55]
	s_branch .LBB201_267
.LBB201_266:
	v_mov_b64_e32 v[54:55], 0
.LBB201_267:
	v_add_f64 v[52:53], v[52:53], v[54:55]
	v_lshl_add_u64 v[54:55], v[118:119], 3, v[64:65]
	global_store_dwordx2 v[54:55], v[52:53], off
	s_or_b64 exec, exec, s[2:3]
	s_and_b64 s[4:5], s[24:25], s[14:15]
	s_and_saveexec_b64 s[2:3], s[4:5]
	s_cbranch_execz .LBB201_218
.LBB201_268:
	s_and_b64 vcc, exec, s[0:1]
	s_cbranch_vccnz .LBB201_270
; %bb.269:
	v_lshl_add_u64 v[52:53], v[116:117], 3, v[130:131]
	global_load_dwordx2 v[52:53], v[52:53], off
	s_waitcnt vmcnt(0)
	v_mul_f64 v[52:53], s[70:71], v[52:53]
	s_branch .LBB201_271
.LBB201_270:
	v_mov_b64_e32 v[52:53], 0
.LBB201_271:
	v_add_f64 v[50:51], v[50:51], v[52:53]
	v_lshl_add_u64 v[52:53], v[116:117], 3, v[64:65]
	global_store_dwordx2 v[52:53], v[50:51], off
	s_or_b64 exec, exec, s[2:3]
	s_and_b64 s[4:5], s[24:25], s[16:17]
	s_and_saveexec_b64 s[2:3], s[4:5]
	s_cbranch_execz .LBB201_219
.LBB201_272:
	s_and_b64 vcc, exec, s[0:1]
	s_cbranch_vccnz .LBB201_274
; %bb.273:
	v_lshl_add_u64 v[50:51], v[114:115], 3, v[130:131]
	global_load_dwordx2 v[50:51], v[50:51], off
	s_waitcnt vmcnt(0)
	v_mul_f64 v[50:51], s[70:71], v[50:51]
	s_branch .LBB201_275
.LBB201_274:
	v_mov_b64_e32 v[50:51], 0
.LBB201_275:
	v_add_f64 v[48:49], v[48:49], v[50:51]
	v_lshl_add_u64 v[50:51], v[114:115], 3, v[64:65]
	global_store_dwordx2 v[50:51], v[48:49], off
	s_or_b64 exec, exec, s[2:3]
	s_and_b64 s[4:5], s[24:25], s[18:19]
	s_and_saveexec_b64 s[2:3], s[4:5]
	s_cbranch_execz .LBB201_220
.LBB201_276:
	s_and_b64 vcc, exec, s[0:1]
	s_cbranch_vccnz .LBB201_278
; %bb.277:
	v_lshl_add_u64 v[48:49], v[112:113], 3, v[130:131]
	global_load_dwordx2 v[48:49], v[48:49], off
	s_waitcnt vmcnt(0)
	v_mul_f64 v[48:49], s[70:71], v[48:49]
	s_branch .LBB201_279
.LBB201_278:
	v_mov_b64_e32 v[48:49], 0
.LBB201_279:
	v_add_f64 v[46:47], v[46:47], v[48:49]
	v_lshl_add_u64 v[48:49], v[112:113], 3, v[64:65]
	global_store_dwordx2 v[48:49], v[46:47], off
	s_or_b64 exec, exec, s[2:3]
	s_and_b64 s[4:5], s[24:25], s[20:21]
	s_and_saveexec_b64 s[2:3], s[4:5]
	s_cbranch_execz .LBB201_221
.LBB201_280:
	s_and_b64 vcc, exec, s[0:1]
	s_cbranch_vccnz .LBB201_282
; %bb.281:
	v_lshl_add_u64 v[46:47], v[110:111], 3, v[130:131]
	global_load_dwordx2 v[46:47], v[46:47], off
	s_waitcnt vmcnt(0)
	v_mul_f64 v[46:47], s[70:71], v[46:47]
	s_branch .LBB201_283
.LBB201_282:
	v_mov_b64_e32 v[46:47], 0
.LBB201_283:
	v_add_f64 v[44:45], v[44:45], v[46:47]
	v_lshl_add_u64 v[46:47], v[110:111], 3, v[64:65]
	global_store_dwordx2 v[46:47], v[44:45], off
	s_or_b64 exec, exec, s[2:3]
	s_and_b64 s[4:5], s[24:25], s[22:23]
	s_and_saveexec_b64 s[2:3], s[4:5]
	s_cbranch_execz .LBB201_222
.LBB201_284:
	s_and_b64 vcc, exec, s[0:1]
	s_cbranch_vccnz .LBB201_286
; %bb.285:
	v_lshl_add_u64 v[44:45], v[108:109], 3, v[130:131]
	global_load_dwordx2 v[44:45], v[44:45], off
	s_waitcnt vmcnt(0)
	v_mul_f64 v[44:45], s[70:71], v[44:45]
	s_branch .LBB201_287
.LBB201_286:
	v_mov_b64_e32 v[44:45], 0
.LBB201_287:
	v_add_f64 v[42:43], v[42:43], v[44:45]
	v_lshl_add_u64 v[44:45], v[108:109], 3, v[64:65]
	global_store_dwordx2 v[44:45], v[42:43], off
	s_or_b64 exec, exec, s[2:3]
	s_and_b64 s[4:5], s[24:25], s[26:27]
	s_and_saveexec_b64 s[2:3], s[4:5]
	s_cbranch_execz .LBB201_223
.LBB201_288:
	s_and_b64 vcc, exec, s[0:1]
	s_cbranch_vccnz .LBB201_290
; %bb.289:
	v_lshl_add_u64 v[42:43], v[106:107], 3, v[130:131]
	global_load_dwordx2 v[42:43], v[42:43], off
	s_waitcnt vmcnt(0)
	v_mul_f64 v[42:43], s[70:71], v[42:43]
	s_branch .LBB201_291
.LBB201_290:
	v_mov_b64_e32 v[42:43], 0
.LBB201_291:
	v_add_f64 v[40:41], v[40:41], v[42:43]
	v_lshl_add_u64 v[42:43], v[106:107], 3, v[64:65]
	global_store_dwordx2 v[42:43], v[40:41], off
	s_or_b64 exec, exec, s[2:3]
	s_and_b64 s[4:5], s[24:25], s[28:29]
	s_and_saveexec_b64 s[2:3], s[4:5]
	s_cbranch_execz .LBB201_224
.LBB201_292:
	s_and_b64 vcc, exec, s[0:1]
	s_cbranch_vccnz .LBB201_294
; %bb.293:
	v_lshl_add_u64 v[40:41], v[104:105], 3, v[130:131]
	global_load_dwordx2 v[40:41], v[40:41], off
	s_waitcnt vmcnt(0)
	v_mul_f64 v[40:41], s[70:71], v[40:41]
	s_branch .LBB201_295
.LBB201_294:
	v_mov_b64_e32 v[40:41], 0
.LBB201_295:
	v_add_f64 v[38:39], v[38:39], v[40:41]
	v_lshl_add_u64 v[40:41], v[104:105], 3, v[64:65]
	global_store_dwordx2 v[40:41], v[38:39], off
	s_or_b64 exec, exec, s[2:3]
	s_and_b64 s[4:5], s[24:25], s[30:31]
	s_and_saveexec_b64 s[2:3], s[4:5]
	s_cbranch_execz .LBB201_225
.LBB201_296:
	s_and_b64 vcc, exec, s[0:1]
	s_cbranch_vccnz .LBB201_298
; %bb.297:
	v_lshl_add_u64 v[38:39], v[102:103], 3, v[130:131]
	global_load_dwordx2 v[38:39], v[38:39], off
	s_waitcnt vmcnt(0)
	v_mul_f64 v[38:39], s[70:71], v[38:39]
	s_branch .LBB201_299
.LBB201_298:
	v_mov_b64_e32 v[38:39], 0
.LBB201_299:
	v_add_f64 v[36:37], v[36:37], v[38:39]
	v_lshl_add_u64 v[38:39], v[102:103], 3, v[64:65]
	global_store_dwordx2 v[38:39], v[36:37], off
	s_or_b64 exec, exec, s[2:3]
	s_and_b64 s[4:5], s[24:25], s[34:35]
	s_and_saveexec_b64 s[2:3], s[4:5]
	s_cbranch_execz .LBB201_226
.LBB201_300:
	s_and_b64 vcc, exec, s[0:1]
	s_cbranch_vccnz .LBB201_302
; %bb.301:
	v_lshl_add_u64 v[36:37], v[100:101], 3, v[130:131]
	global_load_dwordx2 v[36:37], v[36:37], off
	s_waitcnt vmcnt(0)
	v_mul_f64 v[36:37], s[70:71], v[36:37]
	s_branch .LBB201_303
.LBB201_302:
	v_mov_b64_e32 v[36:37], 0
.LBB201_303:
	v_add_f64 v[34:35], v[34:35], v[36:37]
	v_lshl_add_u64 v[36:37], v[100:101], 3, v[64:65]
	global_store_dwordx2 v[36:37], v[34:35], off
	s_or_b64 exec, exec, s[2:3]
	s_and_b64 s[4:5], s[24:25], s[36:37]
	s_and_saveexec_b64 s[2:3], s[4:5]
	s_cbranch_execz .LBB201_227
.LBB201_304:
	s_and_b64 vcc, exec, s[0:1]
	s_cbranch_vccnz .LBB201_306
; %bb.305:
	v_lshl_add_u64 v[34:35], v[98:99], 3, v[130:131]
	global_load_dwordx2 v[34:35], v[34:35], off
	s_waitcnt vmcnt(0)
	v_mul_f64 v[34:35], s[70:71], v[34:35]
	s_branch .LBB201_307
.LBB201_306:
	v_mov_b64_e32 v[34:35], 0
.LBB201_307:
	v_add_f64 v[32:33], v[32:33], v[34:35]
	v_lshl_add_u64 v[34:35], v[98:99], 3, v[64:65]
	global_store_dwordx2 v[34:35], v[32:33], off
	s_or_b64 exec, exec, s[2:3]
	s_and_b64 s[4:5], s[24:25], s[38:39]
	s_and_saveexec_b64 s[2:3], s[4:5]
	s_cbranch_execz .LBB201_228
.LBB201_308:
	s_and_b64 vcc, exec, s[0:1]
	s_cbranch_vccnz .LBB201_310
; %bb.309:
	v_lshl_add_u64 v[32:33], v[96:97], 3, v[130:131]
	global_load_dwordx2 v[32:33], v[32:33], off
	s_waitcnt vmcnt(0)
	v_mul_f64 v[32:33], s[70:71], v[32:33]
	s_branch .LBB201_311
.LBB201_310:
	v_mov_b64_e32 v[32:33], 0
.LBB201_311:
	v_add_f64 v[30:31], v[30:31], v[32:33]
	v_lshl_add_u64 v[32:33], v[96:97], 3, v[64:65]
	global_store_dwordx2 v[32:33], v[30:31], off
	s_or_b64 exec, exec, s[2:3]
	s_and_b64 s[4:5], s[24:25], s[40:41]
	s_and_saveexec_b64 s[2:3], s[4:5]
	s_cbranch_execz .LBB201_229
.LBB201_312:
	s_and_b64 vcc, exec, s[0:1]
	s_cbranch_vccnz .LBB201_314
; %bb.313:
	v_lshl_add_u64 v[30:31], v[94:95], 3, v[130:131]
	global_load_dwordx2 v[30:31], v[30:31], off
	s_waitcnt vmcnt(0)
	v_mul_f64 v[30:31], s[70:71], v[30:31]
	s_branch .LBB201_315
.LBB201_314:
	v_mov_b64_e32 v[30:31], 0
.LBB201_315:
	v_add_f64 v[28:29], v[28:29], v[30:31]
	v_lshl_add_u64 v[30:31], v[94:95], 3, v[64:65]
	global_store_dwordx2 v[30:31], v[28:29], off
	s_or_b64 exec, exec, s[2:3]
	s_and_b64 s[4:5], s[24:25], s[42:43]
	s_and_saveexec_b64 s[2:3], s[4:5]
	s_cbranch_execz .LBB201_230
.LBB201_316:
	s_and_b64 vcc, exec, s[0:1]
	s_cbranch_vccnz .LBB201_318
; %bb.317:
	v_lshl_add_u64 v[28:29], v[92:93], 3, v[130:131]
	global_load_dwordx2 v[28:29], v[28:29], off
	s_waitcnt vmcnt(0)
	v_mul_f64 v[28:29], s[70:71], v[28:29]
	s_branch .LBB201_319
.LBB201_318:
	v_mov_b64_e32 v[28:29], 0
.LBB201_319:
	v_add_f64 v[26:27], v[26:27], v[28:29]
	v_lshl_add_u64 v[28:29], v[92:93], 3, v[64:65]
	global_store_dwordx2 v[28:29], v[26:27], off
	s_or_b64 exec, exec, s[2:3]
	s_and_b64 s[4:5], s[24:25], s[44:45]
	s_and_saveexec_b64 s[2:3], s[4:5]
	s_cbranch_execz .LBB201_231
.LBB201_320:
	s_and_b64 vcc, exec, s[0:1]
	s_cbranch_vccnz .LBB201_322
; %bb.321:
	v_lshl_add_u64 v[26:27], v[90:91], 3, v[130:131]
	global_load_dwordx2 v[26:27], v[26:27], off
	s_waitcnt vmcnt(0)
	v_mul_f64 v[26:27], s[70:71], v[26:27]
	s_branch .LBB201_323
.LBB201_322:
	v_mov_b64_e32 v[26:27], 0
.LBB201_323:
	v_add_f64 v[24:25], v[24:25], v[26:27]
	v_lshl_add_u64 v[26:27], v[90:91], 3, v[64:65]
	global_store_dwordx2 v[26:27], v[24:25], off
	s_or_b64 exec, exec, s[2:3]
	s_and_b64 s[4:5], s[24:25], s[46:47]
	s_and_saveexec_b64 s[2:3], s[4:5]
	s_cbranch_execz .LBB201_232
.LBB201_324:
	s_and_b64 vcc, exec, s[0:1]
	s_cbranch_vccnz .LBB201_326
; %bb.325:
	v_lshl_add_u64 v[24:25], v[88:89], 3, v[130:131]
	global_load_dwordx2 v[24:25], v[24:25], off
	s_waitcnt vmcnt(0)
	v_mul_f64 v[24:25], s[70:71], v[24:25]
	s_branch .LBB201_327
.LBB201_326:
	v_mov_b64_e32 v[24:25], 0
.LBB201_327:
	v_add_f64 v[22:23], v[22:23], v[24:25]
	v_lshl_add_u64 v[24:25], v[88:89], 3, v[64:65]
	global_store_dwordx2 v[24:25], v[22:23], off
	s_or_b64 exec, exec, s[2:3]
	s_and_b64 s[4:5], s[24:25], s[48:49]
	s_and_saveexec_b64 s[2:3], s[4:5]
	s_cbranch_execz .LBB201_233
.LBB201_328:
	s_and_b64 vcc, exec, s[0:1]
	s_cbranch_vccnz .LBB201_330
; %bb.329:
	v_lshl_add_u64 v[22:23], v[86:87], 3, v[130:131]
	global_load_dwordx2 v[22:23], v[22:23], off
	s_waitcnt vmcnt(0)
	v_mul_f64 v[22:23], s[70:71], v[22:23]
	s_branch .LBB201_331
.LBB201_330:
	v_mov_b64_e32 v[22:23], 0
.LBB201_331:
	v_add_f64 v[20:21], v[20:21], v[22:23]
	v_lshl_add_u64 v[22:23], v[86:87], 3, v[64:65]
	global_store_dwordx2 v[22:23], v[20:21], off
	s_or_b64 exec, exec, s[2:3]
	s_and_b64 s[4:5], s[24:25], s[50:51]
	s_and_saveexec_b64 s[2:3], s[4:5]
	s_cbranch_execz .LBB201_234
.LBB201_332:
	s_and_b64 vcc, exec, s[0:1]
	s_cbranch_vccnz .LBB201_334
; %bb.333:
	v_lshl_add_u64 v[20:21], v[84:85], 3, v[130:131]
	global_load_dwordx2 v[20:21], v[20:21], off
	s_waitcnt vmcnt(0)
	v_mul_f64 v[20:21], s[70:71], v[20:21]
	s_branch .LBB201_335
.LBB201_334:
	v_mov_b64_e32 v[20:21], 0
.LBB201_335:
	v_add_f64 v[18:19], v[18:19], v[20:21]
	v_lshl_add_u64 v[20:21], v[84:85], 3, v[64:65]
	global_store_dwordx2 v[20:21], v[18:19], off
	s_or_b64 exec, exec, s[2:3]
	s_and_b64 s[4:5], s[24:25], s[52:53]
	s_and_saveexec_b64 s[2:3], s[4:5]
	s_cbranch_execz .LBB201_235
.LBB201_336:
	s_and_b64 vcc, exec, s[0:1]
	s_cbranch_vccnz .LBB201_338
; %bb.337:
	v_lshl_add_u64 v[18:19], v[82:83], 3, v[130:131]
	global_load_dwordx2 v[18:19], v[18:19], off
	s_waitcnt vmcnt(0)
	v_mul_f64 v[18:19], s[70:71], v[18:19]
	s_branch .LBB201_339
.LBB201_338:
	v_mov_b64_e32 v[18:19], 0
.LBB201_339:
	v_add_f64 v[16:17], v[16:17], v[18:19]
	v_lshl_add_u64 v[18:19], v[82:83], 3, v[64:65]
	global_store_dwordx2 v[18:19], v[16:17], off
	s_or_b64 exec, exec, s[2:3]
	s_and_b64 s[4:5], s[24:25], s[54:55]
	s_and_saveexec_b64 s[2:3], s[4:5]
	s_cbranch_execz .LBB201_236
.LBB201_340:
	s_and_b64 vcc, exec, s[0:1]
	s_cbranch_vccnz .LBB201_342
; %bb.341:
	v_lshl_add_u64 v[16:17], v[80:81], 3, v[130:131]
	global_load_dwordx2 v[16:17], v[16:17], off
	s_waitcnt vmcnt(0)
	v_mul_f64 v[16:17], s[70:71], v[16:17]
	s_branch .LBB201_343
.LBB201_342:
	v_mov_b64_e32 v[16:17], 0
.LBB201_343:
	v_add_f64 v[14:15], v[14:15], v[16:17]
	v_lshl_add_u64 v[16:17], v[80:81], 3, v[64:65]
	global_store_dwordx2 v[16:17], v[14:15], off
	s_or_b64 exec, exec, s[2:3]
	s_and_b64 s[4:5], s[24:25], s[56:57]
	s_and_saveexec_b64 s[2:3], s[4:5]
	s_cbranch_execz .LBB201_237
.LBB201_344:
	s_and_b64 vcc, exec, s[0:1]
	s_cbranch_vccnz .LBB201_346
; %bb.345:
	v_lshl_add_u64 v[14:15], v[78:79], 3, v[130:131]
	global_load_dwordx2 v[14:15], v[14:15], off
	s_waitcnt vmcnt(0)
	v_mul_f64 v[14:15], s[70:71], v[14:15]
	s_branch .LBB201_347
.LBB201_346:
	v_mov_b64_e32 v[14:15], 0
.LBB201_347:
	v_add_f64 v[12:13], v[12:13], v[14:15]
	v_lshl_add_u64 v[14:15], v[78:79], 3, v[64:65]
	global_store_dwordx2 v[14:15], v[12:13], off
	s_or_b64 exec, exec, s[2:3]
	s_and_b64 s[4:5], s[24:25], s[58:59]
	s_and_saveexec_b64 s[2:3], s[4:5]
	s_cbranch_execz .LBB201_238
.LBB201_348:
	s_and_b64 vcc, exec, s[0:1]
	s_cbranch_vccnz .LBB201_350
; %bb.349:
	v_lshl_add_u64 v[12:13], v[76:77], 3, v[130:131]
	global_load_dwordx2 v[12:13], v[12:13], off
	s_waitcnt vmcnt(0)
	v_mul_f64 v[12:13], s[70:71], v[12:13]
	s_branch .LBB201_351
.LBB201_350:
	v_mov_b64_e32 v[12:13], 0
.LBB201_351:
	v_add_f64 v[10:11], v[10:11], v[12:13]
	v_lshl_add_u64 v[12:13], v[76:77], 3, v[64:65]
	global_store_dwordx2 v[12:13], v[10:11], off
	s_or_b64 exec, exec, s[2:3]
	s_and_b64 s[4:5], s[24:25], s[60:61]
	s_and_saveexec_b64 s[2:3], s[4:5]
	s_cbranch_execz .LBB201_239
.LBB201_352:
	s_and_b64 vcc, exec, s[0:1]
	s_cbranch_vccnz .LBB201_354
; %bb.353:
	v_lshl_add_u64 v[10:11], v[74:75], 3, v[130:131]
	global_load_dwordx2 v[10:11], v[10:11], off
	s_waitcnt vmcnt(0)
	v_mul_f64 v[10:11], s[70:71], v[10:11]
	s_branch .LBB201_355
.LBB201_354:
	v_mov_b64_e32 v[10:11], 0
.LBB201_355:
	v_add_f64 v[8:9], v[8:9], v[10:11]
	v_lshl_add_u64 v[10:11], v[74:75], 3, v[64:65]
	global_store_dwordx2 v[10:11], v[8:9], off
	s_or_b64 exec, exec, s[2:3]
	s_and_b64 s[4:5], s[24:25], s[62:63]
	s_and_saveexec_b64 s[2:3], s[4:5]
	s_cbranch_execz .LBB201_240
.LBB201_356:
	s_and_b64 vcc, exec, s[0:1]
	s_cbranch_vccnz .LBB201_358
; %bb.357:
	v_lshl_add_u64 v[8:9], v[72:73], 3, v[130:131]
	global_load_dwordx2 v[8:9], v[8:9], off
	s_waitcnt vmcnt(0)
	v_mul_f64 v[8:9], s[70:71], v[8:9]
	s_branch .LBB201_359
.LBB201_358:
	v_mov_b64_e32 v[8:9], 0
.LBB201_359:
	v_add_f64 v[6:7], v[6:7], v[8:9]
	v_lshl_add_u64 v[8:9], v[72:73], 3, v[64:65]
	global_store_dwordx2 v[8:9], v[6:7], off
	s_or_b64 exec, exec, s[2:3]
	s_and_b64 s[4:5], s[24:25], s[64:65]
	s_and_saveexec_b64 s[2:3], s[4:5]
	s_cbranch_execz .LBB201_241
.LBB201_360:
	s_and_b64 vcc, exec, s[0:1]
	s_cbranch_vccnz .LBB201_362
; %bb.361:
	v_lshl_add_u64 v[6:7], v[70:71], 3, v[130:131]
	global_load_dwordx2 v[6:7], v[6:7], off
	s_waitcnt vmcnt(0)
	v_mul_f64 v[6:7], s[70:71], v[6:7]
	s_branch .LBB201_363
.LBB201_362:
	v_mov_b64_e32 v[6:7], 0
.LBB201_363:
	v_add_f64 v[4:5], v[4:5], v[6:7]
	v_lshl_add_u64 v[6:7], v[70:71], 3, v[64:65]
	global_store_dwordx2 v[6:7], v[4:5], off
	s_or_b64 exec, exec, s[2:3]
	s_and_b64 s[4:5], s[24:25], s[66:67]
	s_and_saveexec_b64 s[2:3], s[4:5]
	s_cbranch_execz .LBB201_242
.LBB201_364:
	s_and_b64 vcc, exec, s[0:1]
	s_cbranch_vccnz .LBB201_366
; %bb.365:
	v_lshl_add_u64 v[4:5], v[68:69], 3, v[130:131]
	global_load_dwordx2 v[4:5], v[4:5], off
	s_waitcnt vmcnt(0)
	v_mul_f64 v[4:5], s[70:71], v[4:5]
	s_branch .LBB201_367
.LBB201_366:
	v_mov_b64_e32 v[4:5], 0
.LBB201_367:
	v_add_f64 v[2:3], v[2:3], v[4:5]
	v_lshl_add_u64 v[4:5], v[68:69], 3, v[64:65]
	global_store_dwordx2 v[4:5], v[2:3], off
	s_or_b64 exec, exec, s[2:3]
	s_and_b64 s[2:3], s[24:25], s[68:69]
	s_and_saveexec_b64 s[4:5], s[2:3]
	s_cbranch_execz .LBB201_243
.LBB201_368:
	s_and_b64 vcc, exec, s[0:1]
	s_cbranch_vccnz .LBB201_370
; %bb.369:
	v_lshl_add_u64 v[2:3], v[66:67], 3, v[130:131]
	global_load_dwordx2 v[2:3], v[2:3], off
	s_waitcnt vmcnt(0)
	v_mul_f64 v[2:3], s[70:71], v[2:3]
	v_add_f64 v[0:1], v[0:1], v[2:3]
	v_lshl_add_u64 v[2:3], v[66:67], 3, v[64:65]
	global_store_dwordx2 v[2:3], v[0:1], off
	s_endpgm
.LBB201_370:
	v_mov_b64_e32 v[2:3], 0
	v_add_f64 v[0:1], v[0:1], v[2:3]
	v_lshl_add_u64 v[2:3], v[66:67], 3, v[64:65]
	global_store_dwordx2 v[2:3], v[0:1], off
	s_endpgm
	.section	.rodata,"a",@progbits
	.p2align	6, 0x0
	.amdhsa_kernel _ZN12_GLOBAL__N_120geam_min_plus_kernelIdddLi4ELi64ELi128ELi128ELi4ELi4ELi64ELi64ELi4ELc84ELc84ELb0ELb1ELb0EPKdS1_dEEviiiT16_PT17_ilS5_ilS3_S5_ilPT18_ili26rocblas_geam_ex_operation_
		.amdhsa_group_segment_fixed_size 16384
		.amdhsa_private_segment_fixed_size 0
		.amdhsa_kernarg_size 136
		.amdhsa_user_sgpr_count 2
		.amdhsa_user_sgpr_dispatch_ptr 0
		.amdhsa_user_sgpr_queue_ptr 0
		.amdhsa_user_sgpr_kernarg_segment_ptr 1
		.amdhsa_user_sgpr_dispatch_id 0
		.amdhsa_user_sgpr_kernarg_preload_length 0
		.amdhsa_user_sgpr_kernarg_preload_offset 0
		.amdhsa_user_sgpr_private_segment_size 0
		.amdhsa_uses_dynamic_stack 0
		.amdhsa_enable_private_segment 0
		.amdhsa_system_sgpr_workgroup_id_x 1
		.amdhsa_system_sgpr_workgroup_id_y 0
		.amdhsa_system_sgpr_workgroup_id_z 1
		.amdhsa_system_sgpr_workgroup_info 0
		.amdhsa_system_vgpr_workitem_id 1
		.amdhsa_next_free_vgpr 254
		.amdhsa_next_free_sgpr 82
		.amdhsa_accum_offset 256
		.amdhsa_reserve_vcc 1
		.amdhsa_float_round_mode_32 0
		.amdhsa_float_round_mode_16_64 0
		.amdhsa_float_denorm_mode_32 3
		.amdhsa_float_denorm_mode_16_64 3
		.amdhsa_dx10_clamp 1
		.amdhsa_ieee_mode 1
		.amdhsa_fp16_overflow 0
		.amdhsa_tg_split 0
		.amdhsa_exception_fp_ieee_invalid_op 0
		.amdhsa_exception_fp_denorm_src 0
		.amdhsa_exception_fp_ieee_div_zero 0
		.amdhsa_exception_fp_ieee_overflow 0
		.amdhsa_exception_fp_ieee_underflow 0
		.amdhsa_exception_fp_ieee_inexact 0
		.amdhsa_exception_int_div_zero 0
	.end_amdhsa_kernel
	.section	.text._ZN12_GLOBAL__N_120geam_min_plus_kernelIdddLi4ELi64ELi128ELi128ELi4ELi4ELi64ELi64ELi4ELc84ELc84ELb0ELb1ELb0EPKdS1_dEEviiiT16_PT17_ilS5_ilS3_S5_ilPT18_ili26rocblas_geam_ex_operation_,"axG",@progbits,_ZN12_GLOBAL__N_120geam_min_plus_kernelIdddLi4ELi64ELi128ELi128ELi4ELi4ELi64ELi64ELi4ELc84ELc84ELb0ELb1ELb0EPKdS1_dEEviiiT16_PT17_ilS5_ilS3_S5_ilPT18_ili26rocblas_geam_ex_operation_,comdat
.Lfunc_end201:
	.size	_ZN12_GLOBAL__N_120geam_min_plus_kernelIdddLi4ELi64ELi128ELi128ELi4ELi4ELi64ELi64ELi4ELc84ELc84ELb0ELb1ELb0EPKdS1_dEEviiiT16_PT17_ilS5_ilS3_S5_ilPT18_ili26rocblas_geam_ex_operation_, .Lfunc_end201-_ZN12_GLOBAL__N_120geam_min_plus_kernelIdddLi4ELi64ELi128ELi128ELi4ELi4ELi64ELi64ELi4ELc84ELc84ELb0ELb1ELb0EPKdS1_dEEviiiT16_PT17_ilS5_ilS3_S5_ilPT18_ili26rocblas_geam_ex_operation_
                                        ; -- End function
	.set _ZN12_GLOBAL__N_120geam_min_plus_kernelIdddLi4ELi64ELi128ELi128ELi4ELi4ELi64ELi64ELi4ELc84ELc84ELb0ELb1ELb0EPKdS1_dEEviiiT16_PT17_ilS5_ilS3_S5_ilPT18_ili26rocblas_geam_ex_operation_.num_vgpr, 254
	.set _ZN12_GLOBAL__N_120geam_min_plus_kernelIdddLi4ELi64ELi128ELi128ELi4ELi4ELi64ELi64ELi4ELc84ELc84ELb0ELb1ELb0EPKdS1_dEEviiiT16_PT17_ilS5_ilS3_S5_ilPT18_ili26rocblas_geam_ex_operation_.num_agpr, 0
	.set _ZN12_GLOBAL__N_120geam_min_plus_kernelIdddLi4ELi64ELi128ELi128ELi4ELi4ELi64ELi64ELi4ELc84ELc84ELb0ELb1ELb0EPKdS1_dEEviiiT16_PT17_ilS5_ilS3_S5_ilPT18_ili26rocblas_geam_ex_operation_.numbered_sgpr, 82
	.set _ZN12_GLOBAL__N_120geam_min_plus_kernelIdddLi4ELi64ELi128ELi128ELi4ELi4ELi64ELi64ELi4ELc84ELc84ELb0ELb1ELb0EPKdS1_dEEviiiT16_PT17_ilS5_ilS3_S5_ilPT18_ili26rocblas_geam_ex_operation_.num_named_barrier, 0
	.set _ZN12_GLOBAL__N_120geam_min_plus_kernelIdddLi4ELi64ELi128ELi128ELi4ELi4ELi64ELi64ELi4ELc84ELc84ELb0ELb1ELb0EPKdS1_dEEviiiT16_PT17_ilS5_ilS3_S5_ilPT18_ili26rocblas_geam_ex_operation_.private_seg_size, 0
	.set _ZN12_GLOBAL__N_120geam_min_plus_kernelIdddLi4ELi64ELi128ELi128ELi4ELi4ELi64ELi64ELi4ELc84ELc84ELb0ELb1ELb0EPKdS1_dEEviiiT16_PT17_ilS5_ilS3_S5_ilPT18_ili26rocblas_geam_ex_operation_.uses_vcc, 1
	.set _ZN12_GLOBAL__N_120geam_min_plus_kernelIdddLi4ELi64ELi128ELi128ELi4ELi4ELi64ELi64ELi4ELc84ELc84ELb0ELb1ELb0EPKdS1_dEEviiiT16_PT17_ilS5_ilS3_S5_ilPT18_ili26rocblas_geam_ex_operation_.uses_flat_scratch, 0
	.set _ZN12_GLOBAL__N_120geam_min_plus_kernelIdddLi4ELi64ELi128ELi128ELi4ELi4ELi64ELi64ELi4ELc84ELc84ELb0ELb1ELb0EPKdS1_dEEviiiT16_PT17_ilS5_ilS3_S5_ilPT18_ili26rocblas_geam_ex_operation_.has_dyn_sized_stack, 0
	.set _ZN12_GLOBAL__N_120geam_min_plus_kernelIdddLi4ELi64ELi128ELi128ELi4ELi4ELi64ELi64ELi4ELc84ELc84ELb0ELb1ELb0EPKdS1_dEEviiiT16_PT17_ilS5_ilS3_S5_ilPT18_ili26rocblas_geam_ex_operation_.has_recursion, 0
	.set _ZN12_GLOBAL__N_120geam_min_plus_kernelIdddLi4ELi64ELi128ELi128ELi4ELi4ELi64ELi64ELi4ELc84ELc84ELb0ELb1ELb0EPKdS1_dEEviiiT16_PT17_ilS5_ilS3_S5_ilPT18_ili26rocblas_geam_ex_operation_.has_indirect_call, 0
	.section	.AMDGPU.csdata,"",@progbits
; Kernel info:
; codeLenInByte = 14732
; TotalNumSgprs: 88
; NumVgprs: 254
; NumAgprs: 0
; TotalNumVgprs: 254
; ScratchSize: 0
; MemoryBound: 0
; FloatMode: 240
; IeeeMode: 1
; LDSByteSize: 16384 bytes/workgroup (compile time only)
; SGPRBlocks: 10
; VGPRBlocks: 31
; NumSGPRsForWavesPerEU: 88
; NumVGPRsForWavesPerEU: 254
; AccumOffset: 256
; Occupancy: 2
; WaveLimiterHint : 0
; COMPUTE_PGM_RSRC2:SCRATCH_EN: 0
; COMPUTE_PGM_RSRC2:USER_SGPR: 2
; COMPUTE_PGM_RSRC2:TRAP_HANDLER: 0
; COMPUTE_PGM_RSRC2:TGID_X_EN: 1
; COMPUTE_PGM_RSRC2:TGID_Y_EN: 0
; COMPUTE_PGM_RSRC2:TGID_Z_EN: 1
; COMPUTE_PGM_RSRC2:TIDIG_COMP_CNT: 1
; COMPUTE_PGM_RSRC3_GFX90A:ACCUM_OFFSET: 63
; COMPUTE_PGM_RSRC3_GFX90A:TG_SPLIT: 0
	.section	.text._ZN12_GLOBAL__N_120geam_min_plus_kernelIdddLi4ELi64ELi128ELi128ELi4ELi4ELi64ELi64ELi4ELc84ELc84ELb1ELb1ELb0EdKddEEviiiT16_PT17_ilS4_ilS2_S4_ilPT18_ili26rocblas_geam_ex_operation_,"axG",@progbits,_ZN12_GLOBAL__N_120geam_min_plus_kernelIdddLi4ELi64ELi128ELi128ELi4ELi4ELi64ELi64ELi4ELc84ELc84ELb1ELb1ELb0EdKddEEviiiT16_PT17_ilS4_ilS2_S4_ilPT18_ili26rocblas_geam_ex_operation_,comdat
	.globl	_ZN12_GLOBAL__N_120geam_min_plus_kernelIdddLi4ELi64ELi128ELi128ELi4ELi4ELi64ELi64ELi4ELc84ELc84ELb1ELb1ELb0EdKddEEviiiT16_PT17_ilS4_ilS2_S4_ilPT18_ili26rocblas_geam_ex_operation_ ; -- Begin function _ZN12_GLOBAL__N_120geam_min_plus_kernelIdddLi4ELi64ELi128ELi128ELi4ELi4ELi64ELi64ELi4ELc84ELc84ELb1ELb1ELb0EdKddEEviiiT16_PT17_ilS4_ilS2_S4_ilPT18_ili26rocblas_geam_ex_operation_
	.p2align	8
	.type	_ZN12_GLOBAL__N_120geam_min_plus_kernelIdddLi4ELi64ELi128ELi128ELi4ELi4ELi64ELi64ELi4ELc84ELc84ELb1ELb1ELb0EdKddEEviiiT16_PT17_ilS4_ilS2_S4_ilPT18_ili26rocblas_geam_ex_operation_,@function
_ZN12_GLOBAL__N_120geam_min_plus_kernelIdddLi4ELi64ELi128ELi128ELi4ELi4ELi64ELi64ELi4ELc84ELc84ELb1ELb1ELb0EdKddEEviiiT16_PT17_ilS4_ilS2_S4_ilPT18_ili26rocblas_geam_ex_operation_: ; @_ZN12_GLOBAL__N_120geam_min_plus_kernelIdddLi4ELi64ELi128ELi128ELi4ELi4ELi64ELi64ELi4ELc84ELc84ELb1ELb1ELb0EdKddEEviiiT16_PT17_ilS4_ilS2_S4_ilPT18_ili26rocblas_geam_ex_operation_
; %bb.0:
	s_load_dwordx4 s[8:11], s[0:1], 0x10
	s_load_dwordx4 s[4:7], s[0:1], 0x28
	s_mov_b64 s[18:19], 0
	s_waitcnt lgkmcnt(0)
	v_cmp_eq_f64_e64 s[8:9], s[8:9], 0
	s_and_b64 vcc, exec, s[8:9]
	s_cbranch_vccnz .LBB202_2
; %bb.1:
	s_mul_i32 s5, s5, s3
	s_mul_hi_u32 s12, s4, s3
	s_add_i32 s5, s12, s5
	s_mul_i32 s4, s4, s3
	s_lshl_b64 s[4:5], s[4:5], 3
	s_add_u32 s18, s10, s4
	s_addc_u32 s19, s11, s5
.LBB202_2:
	s_load_dwordx4 s[68:71], s[0:1], 0x40
	s_load_dwordx2 s[4:5], s[0:1], 0x50
	s_andn2_b64 vcc, exec, s[8:9]
	s_mov_b64 s[8:9], -1
	s_cbranch_vccnz .LBB202_4
; %bb.3:
	s_mov_b64 s[8:9], 0
.LBB202_4:
	s_mov_b64 s[76:77], 0
	s_andn2_b64 vcc, exec, s[8:9]
	s_mov_b64 s[20:21], 0
	s_cbranch_vccnz .LBB202_6
; %bb.5:
	s_waitcnt lgkmcnt(0)
	s_mul_i32 s8, s69, s3
	s_mul_hi_u32 s9, s68, s3
	s_add_i32 s9, s9, s8
	s_mul_i32 s8, s68, s3
	s_lshl_b64 s[8:9], s[8:9], 3
	s_add_u32 s20, s6, s8
	s_addc_u32 s21, s7, s9
.LBB202_6:
	s_load_dwordx4 s[12:15], s[0:1], 0x60
	s_waitcnt lgkmcnt(0)
	v_cmp_eq_f64_e64 s[6:7], s[70:71], 0
	v_cmp_neq_f64_e64 s[16:17], s[70:71], 0
	s_and_b64 vcc, exec, s[6:7]
	s_cbranch_vccnz .LBB202_8
; %bb.7:
	s_mul_i32 s6, s13, s3
	s_mul_hi_u32 s7, s12, s3
	s_add_i32 s7, s7, s6
	s_mul_i32 s6, s12, s3
	s_lshl_b64 s[6:7], s[6:7], 3
	s_add_u32 s76, s4, s6
	s_addc_u32 s77, s5, s7
.LBB202_8:
	s_load_dwordx4 s[72:75], s[0:1], 0x0
	s_load_dword s26, s[0:1], 0x20
	v_and_b32_e32 v150, 0x3ff, v0
	v_bfe_u32 v151, v0, 10, 10
	v_and_b32_e32 v152, 3, v0
	s_waitcnt lgkmcnt(0)
	s_add_i32 s4, s72, -1
	s_ashr_i32 s5, s4, 31
	s_lshr_b32 s5, s5, 25
	s_add_i32 s4, s4, s5
	s_ashr_i32 s4, s4, 7
	s_add_i32 s5, s4, 1
	v_cvt_f32_u32_e32 v1, s5
	s_not_b32 s4, s4
	v_lshl_add_u32 v6, v151, 2, v150
	v_mov_b32_e32 v131, 0
	v_rcp_iflag_f32_e32 v0, v1
	v_lshlrev_b32_e32 v130, 3, v152
	v_lshrrev_b32_e32 v140, 2, v6
	v_lshl_add_u64 v[4:5], s[18:19], 0, v[130:131]
	v_mul_f32_e32 v0, 0x4f7ffffe, v0
	v_cvt_u32_f32_e32 v0, v0
	v_cmp_le_i32_e32 vcc, s74, v152
	v_mov_b64_e32 v[2:3], 0
	v_readfirstlane_b32 s6, v0
	s_mul_i32 s4, s4, s6
	s_mul_hi_u32 s4, s6, s4
	s_add_i32 s6, s6, s4
	s_mul_hi_u32 s4, s2, s6
	s_mul_i32 s6, s4, s5
	s_sub_i32 s6, s2, s6
	s_add_i32 s7, s4, 1
	s_sub_i32 s8, s6, s5
	s_cmp_ge_u32 s6, s5
	s_cselect_b32 s4, s7, s4
	s_cselect_b32 s6, s8, s6
	s_add_i32 s7, s4, 1
	s_cmp_ge_u32 s6, s5
	s_cselect_b32 s8, s7, s4
	s_mul_i32 s4, s8, s5
	s_sub_i32 s2, s2, s4
	s_lshl_b32 s2, s2, 7
	v_add_u32_e32 v131, s2, v140
	v_cmp_le_i32_e64 s[10:11], s72, v131
	s_nor_b64 s[6:7], vcc, s[10:11]
	v_mov_b64_e32 v[0:1], 0
	s_and_saveexec_b64 s[4:5], s[6:7]
	s_cbranch_execz .LBB202_10
; %bb.9:
	v_mad_i64_i32 v[2:3], s[6:7], v131, s26, 0
	v_lshl_add_u64 v[2:3], v[2:3], 3, v[4:5]
	global_load_dwordx2 v[2:3], v[2:3], off
.LBB202_10:
	s_or_b64 exec, exec, s[4:5]
	v_add_u32_e32 v141, 64, v131
	v_cmp_le_i32_e64 s[4:5], s72, v141
	s_nor_b64 s[12:13], vcc, s[4:5]
	s_and_saveexec_b64 s[6:7], s[12:13]
	s_cbranch_execz .LBB202_12
; %bb.11:
	v_mad_i64_i32 v[0:1], s[12:13], v141, s26, 0
	v_lshl_add_u64 v[0:1], v[0:1], 3, v[4:5]
	global_load_dwordx2 v[0:1], v[0:1], off
.LBB202_12:
	s_or_b64 exec, exec, s[6:7]
	s_load_dword s23, s[0:1], 0x38
	v_and_b32_e32 v12, 63, v6
	v_lshrrev_b32_e32 v153, 6, v6
	s_lshl_b32 s22, s8, 7
	v_or_b32_e32 v128, s22, v12
	s_waitcnt lgkmcnt(0)
	v_mad_i64_i32 v[6:7], s[6:7], s23, v153, 0
	v_cmp_le_i32_e32 vcc, s74, v153
	v_cmp_le_i32_e64 s[6:7], s73, v128
	v_lshl_add_u64 v[10:11], v[6:7], 3, s[20:21]
	s_nor_b64 s[12:13], s[6:7], vcc
	v_mov_b64_e32 v[6:7], 0
	v_ashrrev_i32_e32 v129, 31, v128
	v_mov_b64_e32 v[8:9], 0
	s_and_saveexec_b64 s[8:9], s[12:13]
	s_cbranch_execz .LBB202_14
; %bb.13:
	v_lshl_add_u64 v[8:9], v[128:129], 3, v[10:11]
	global_load_dwordx2 v[8:9], v[8:9], off
.LBB202_14:
	s_or_b64 exec, exec, s[8:9]
	v_or_b32_e32 v13, 64, v128
	v_cmp_le_i32_e64 s[8:9], s73, v13
	s_ashr_i32 s24, s23, 31
	s_nor_b64 s[28:29], s[8:9], vcc
	s_and_saveexec_b64 s[12:13], s[28:29]
	s_cbranch_execz .LBB202_16
; %bb.15:
	v_lshl_add_u64 v[6:7], v[128:129], 3, v[10:11]
	global_load_dwordx2 v[6:7], v[6:7], off offset:512
.LBB202_16:
	s_or_b64 exec, exec, s[12:13]
	v_or_b32_e32 v10, 4, v152
	v_cmp_le_i32_e32 vcc, s74, v10
	s_nor_b64 s[28:29], vcc, s[10:11]
	v_mov_b64_e32 v[132:133], 0
	v_mov_b64_e32 v[134:135], 0
	s_and_saveexec_b64 s[12:13], s[28:29]
	s_cbranch_execz .LBB202_18
; %bb.17:
	v_mad_i64_i32 v[10:11], s[28:29], v131, s26, 0
	v_lshl_add_u64 v[10:11], v[10:11], 3, v[4:5]
	global_load_dwordx2 v[134:135], v[10:11], off offset:32
.LBB202_18:
	s_or_b64 exec, exec, s[12:13]
	s_nor_b64 s[28:29], vcc, s[4:5]
	s_and_saveexec_b64 s[12:13], s[28:29]
	s_cbranch_execz .LBB202_20
; %bb.19:
	v_mad_i64_i32 v[10:11], s[28:29], v141, s26, 0
	v_lshl_add_u64 v[4:5], v[10:11], 3, v[4:5]
	global_load_dwordx2 v[132:133], v[4:5], off offset:32
.LBB202_20:
	s_or_b64 exec, exec, s[12:13]
	v_add_u32_e32 v4, 4, v153
	v_cmp_le_i32_e32 vcc, s74, v4
	v_mad_i64_i32 v[4:5], s[12:13], s23, v4, 0
	v_lshl_add_u64 v[4:5], v[4:5], 3, s[20:21]
	s_nor_b64 s[28:29], s[6:7], vcc
	v_mov_b64_e32 v[136:137], 0
	v_mov_b64_e32 v[138:139], 0
	s_and_saveexec_b64 s[12:13], s[28:29]
	s_cbranch_execz .LBB202_22
; %bb.21:
	v_lshl_add_u64 v[10:11], v[128:129], 3, v[4:5]
	global_load_dwordx2 v[138:139], v[10:11], off
.LBB202_22:
	s_or_b64 exec, exec, s[12:13]
	s_nor_b64 s[28:29], s[8:9], vcc
	s_and_saveexec_b64 s[12:13], s[28:29]
	s_cbranch_execz .LBB202_24
; %bb.23:
	v_lshl_add_u64 v[4:5], v[128:129], 3, v[4:5]
	global_load_dwordx2 v[136:137], v[4:5], off offset:512
.LBB202_24:
	s_or_b64 exec, exec, s[12:13]
	v_lshlrev_b32_e32 v4, 5, v140
	v_lshl_or_b32 v155, v152, 3, v4
	s_waitcnt vmcnt(0)
	ds_write2st64_b64 v155, v[2:3], v[0:1] offset1:4
	v_lshlrev_b32_e32 v0, 3, v153
	v_lshl_add_u32 v143, v12, 5, v0
	v_lshlrev_b32_e32 v142, 5, v151
	v_or_b32_e32 v156, 0x2000, v143
	ds_write2st64_b64 v143, v[8:9], v[6:7] offset0:16 offset1:20
	v_lshlrev_b32_e32 v157, 5, v150
	v_add_u32_e32 v158, 0x2000, v142
	v_mov_b64_e32 v[126:127], 0
	s_mov_b32 s12, 0
	v_mov_b64_e32 v[124:125], 0
	v_mov_b64_e32 v[122:123], 0
	;; [unrolled: 1-line block ×63, first 2 shown]
	s_waitcnt lgkmcnt(0)
	s_barrier
.LBB202_25:                             ; =>This Inner Loop Header: Depth=1
	v_add_u32_e32 v148, s12, v157
	v_add_u32_e32 v149, s12, v158
	ds_read2_b64 v[144:147], v148 offset1:16
	ds_read2_b64 v[160:163], v148 offset0:32 offset1:48
	ds_read2_b64 v[164:167], v148 offset0:64 offset1:80
	;; [unrolled: 1-line block ×7, first 2 shown]
	ds_read2st64_b64 v[188:191], v149 offset1:4
	v_add_u32_e32 v148, 0x800, v148
	ds_read2_b64 v[192:195], v148 offset1:16
	ds_read2_b64 v[196:199], v148 offset0:32 offset1:48
	ds_read2_b64 v[200:203], v148 offset0:64 offset1:80
	ds_read2_b64 v[204:207], v148 offset0:96 offset1:112
	ds_read2_b64 v[208:211], v148 offset0:128 offset1:144
	ds_read2_b64 v[212:215], v148 offset0:160 offset1:176
	ds_read2_b64 v[216:219], v148 offset0:192 offset1:208
	ds_read2_b64 v[220:223], v148 offset0:224 offset1:240
	s_waitcnt lgkmcnt(14)
	v_max_f64 v[144:145], v[144:145], v[144:145]
	v_max_f64 v[146:147], v[146:147], v[146:147]
	;; [unrolled: 1-line block ×6, first 2 shown]
	s_waitcnt lgkmcnt(13)
	v_max_f64 v[166:167], v[168:169], v[168:169]
	v_max_f64 v[168:169], v[170:171], v[170:171]
	s_waitcnt lgkmcnt(12)
	v_max_f64 v[170:171], v[172:173], v[172:173]
	v_max_f64 v[172:173], v[174:175], v[174:175]
	;; [unrolled: 3-line block ×14, first 2 shown]
	v_min_f64 v[222:223], v[144:145], v[186:187]
	v_min_f64 v[224:225], v[146:147], v[186:187]
	;; [unrolled: 1-line block ×32, first 2 shown]
	s_add_i32 s12, s12, 8
	v_add_f64 v[62:63], v[62:63], v[144:145]
	v_add_f64 v[60:61], v[60:61], v[146:147]
	;; [unrolled: 1-line block ×16, first 2 shown]
	v_min_f64 v[144:145], v[190:191], v[186:187]
	v_min_f64 v[146:147], v[192:193], v[186:187]
	;; [unrolled: 1-line block ×32, first 2 shown]
	s_cmp_eq_u32 s12, 32
	v_add_f64 v[126:127], v[126:127], v[222:223]
	v_add_f64 v[124:125], v[124:125], v[224:225]
	;; [unrolled: 1-line block ×48, first 2 shown]
	s_cbranch_scc0 .LBB202_25
; %bb.26:
	v_lshl_or_b32 v130, v140, 5, v130
	s_cmp_gt_i32 s74, 8
	ds_write2st64_b64 v130, v[134:135], v[132:133] offset0:8 offset1:12
	ds_write2st64_b64 v143, v[138:139], v[136:137] offset0:24 offset1:28
	s_waitcnt lgkmcnt(0)
	s_barrier
	s_cbranch_scc1 .LBB202_28
; %bb.27:
	v_add_u32_e32 v154, 0x3000, v142
	s_cbranch_execz .LBB202_29
	s_branch .LBB202_51
.LBB202_28:
                                        ; implicit-def: $vgpr154
.LBB202_29:
	v_mov_b32_e32 v134, 0x1000
	v_add_u32_e32 v159, 0x1000, v130
	v_or_b32_e32 v160, 0x3000, v143
	s_add_i32 s25, s74, -8
	v_mad_i64_i32 v[130:131], s[12:13], v131, s26, 0
	v_mad_i64_i32 v[132:133], s[12:13], v141, s26, 0
	v_lshl_add_u32 v161, v150, 5, v134
	v_add_u32_e32 v154, 0x3000, v142
	s_mov_b32 s26, 8
	s_mov_b32 s27, 0
	v_mov_b32_e32 v135, 0
.LBB202_30:                             ; =>This Loop Header: Depth=1
                                        ;     Child Loop BB202_39 Depth 2
                                        ;     Child Loop BB202_49 Depth 2
	v_or_b32_e32 v134, s26, v152
	v_cmp_le_i32_e32 vcc, s74, v134
	v_lshl_add_u64 v[138:139], v[134:135], 3, s[18:19]
	s_nor_b64 s[28:29], s[10:11], vcc
	v_mov_b64_e32 v[140:141], 0
	v_lshl_add_u64 v[136:137], v[130:131], 3, v[138:139]
	v_mov_b64_e32 v[142:143], 0
	s_and_saveexec_b64 s[12:13], s[28:29]
	s_cbranch_execz .LBB202_32
; %bb.31:                               ;   in Loop: Header=BB202_30 Depth=1
	global_load_dwordx2 v[142:143], v[136:137], off
.LBB202_32:                             ;   in Loop: Header=BB202_30 Depth=1
	s_or_b64 exec, exec, s[12:13]
	s_nor_b64 s[28:29], s[4:5], vcc
	v_lshl_add_u64 v[138:139], v[132:133], 3, v[138:139]
	s_and_saveexec_b64 s[12:13], s[28:29]
	s_cbranch_execz .LBB202_34
; %bb.33:                               ;   in Loop: Header=BB202_30 Depth=1
	global_load_dwordx2 v[140:141], v[138:139], off
.LBB202_34:                             ;   in Loop: Header=BB202_30 Depth=1
	s_or_b64 exec, exec, s[12:13]
	v_add_u32_e32 v147, s26, v153
	v_mad_u64_u32 v[144:145], s[12:13], v147, s23, 0
	v_mov_b32_e32 v146, v145
	v_cmp_le_i32_e32 vcc, s74, v147
	v_mad_u64_u32 v[146:147], s[12:13], v147, s24, v[146:147]
	v_mov_b32_e32 v145, v146
	v_lshl_add_u64 v[146:147], v[144:145], 3, s[20:21]
	s_nor_b64 s[28:29], s[6:7], vcc
	v_mov_b64_e32 v[144:145], 0
	v_lshl_add_u64 v[148:149], v[128:129], 3, v[146:147]
	v_mov_b64_e32 v[146:147], 0
	s_and_saveexec_b64 s[12:13], s[28:29]
	s_cbranch_execz .LBB202_36
; %bb.35:                               ;   in Loop: Header=BB202_30 Depth=1
	global_load_dwordx2 v[146:147], v[148:149], off
.LBB202_36:                             ;   in Loop: Header=BB202_30 Depth=1
	s_or_b64 exec, exec, s[12:13]
	s_nor_b64 s[28:29], s[8:9], vcc
	s_and_saveexec_b64 s[12:13], s[28:29]
	s_cbranch_execz .LBB202_38
; %bb.37:                               ;   in Loop: Header=BB202_30 Depth=1
	global_load_dwordx2 v[144:145], v[148:149], off offset:512
.LBB202_38:                             ;   in Loop: Header=BB202_30 Depth=1
	s_or_b64 exec, exec, s[12:13]
	s_mov_b32 s12, 0
.LBB202_39:                             ;   Parent Loop BB202_30 Depth=1
                                        ; =>  This Inner Loop Header: Depth=2
	v_add_u32_e32 v148, s12, v161
	ds_read2_b64 v[162:165], v148 offset1:16
	ds_read2_b64 v[166:169], v148 offset0:32 offset1:48
	ds_read2_b64 v[170:173], v148 offset0:64 offset1:80
	;; [unrolled: 1-line block ×7, first 2 shown]
	v_add_u32_e32 v148, 0x800, v148
	ds_read2_b64 v[194:197], v148 offset1:16
	ds_read2_b64 v[198:201], v148 offset0:32 offset1:48
	ds_read2_b64 v[202:205], v148 offset0:64 offset1:80
	;; [unrolled: 1-line block ×7, first 2 shown]
	v_add_u32_e32 v148, s12, v154
	ds_read2st64_b64 v[226:229], v148 offset1:4
	s_waitcnt lgkmcnt(14)
	v_max_f64 v[162:163], v[162:163], v[162:163]
	v_max_f64 v[164:165], v[164:165], v[164:165]
	;; [unrolled: 1-line block ×4, first 2 shown]
	s_waitcnt lgkmcnt(0)
	v_max_f64 v[148:149], v[226:227], v[226:227]
	v_min_f64 v[226:227], v[162:163], v[148:149]
	v_add_f64 v[126:127], v[126:127], v[226:227]
	v_min_f64 v[226:227], v[164:165], v[148:149]
	v_add_f64 v[124:125], v[124:125], v[226:227]
	;; [unrolled: 2-line block ×3, first 2 shown]
	v_min_f64 v[226:227], v[168:169], v[148:149]
	v_max_f64 v[170:171], v[170:171], v[170:171]
	v_add_f64 v[120:121], v[120:121], v[226:227]
	v_min_f64 v[226:227], v[170:171], v[148:149]
	v_max_f64 v[172:173], v[172:173], v[172:173]
	v_add_f64 v[118:119], v[118:119], v[226:227]
	;; [unrolled: 3-line block ×26, first 2 shown]
	v_min_f64 v[226:227], v[220:221], v[148:149]
	v_max_f64 v[222:223], v[222:223], v[222:223]
	v_max_f64 v[224:225], v[224:225], v[224:225]
	v_add_f64 v[68:69], v[68:69], v[226:227]
	v_min_f64 v[226:227], v[222:223], v[148:149]
	v_min_f64 v[148:149], v[224:225], v[148:149]
	v_add_f64 v[64:65], v[64:65], v[148:149]
	v_max_f64 v[148:149], v[228:229], v[228:229]
	v_min_f64 v[162:163], v[162:163], v[148:149]
	v_add_f64 v[62:63], v[62:63], v[162:163]
	v_min_f64 v[162:163], v[164:165], v[148:149]
	v_add_f64 v[60:61], v[60:61], v[162:163]
	;; [unrolled: 2-line block ×30, first 2 shown]
	v_min_f64 v[162:163], v[222:223], v[148:149]
	v_min_f64 v[148:149], v[224:225], v[148:149]
	s_add_i32 s12, s12, 8
	v_add_f64 v[66:67], v[66:67], v[226:227]
	v_add_f64 v[2:3], v[2:3], v[162:163]
	;; [unrolled: 1-line block ×3, first 2 shown]
	s_cmp_eq_u32 s12, 32
	s_cbranch_scc0 .LBB202_39
; %bb.40:                               ;   in Loop: Header=BB202_30 Depth=1
	v_or_b32_e32 v134, 4, v134
	v_cmp_le_i32_e32 vcc, s74, v134
	s_waitcnt vmcnt(0)
	ds_write2st64_b64 v155, v[142:143], v[140:141] offset1:4
	ds_write2st64_b64 v156, v[146:147], v[144:145] offset1:4
	s_nor_b64 s[28:29], s[10:11], vcc
	v_mov_b64_e32 v[140:141], 0
	v_mov_b64_e32 v[142:143], 0
	s_waitcnt lgkmcnt(0)
	s_barrier
	s_and_saveexec_b64 s[12:13], s[28:29]
	s_cbranch_execz .LBB202_42
; %bb.41:                               ;   in Loop: Header=BB202_30 Depth=1
	global_load_dwordx2 v[142:143], v[136:137], off offset:32
.LBB202_42:                             ;   in Loop: Header=BB202_30 Depth=1
	s_or_b64 exec, exec, s[12:13]
	s_nor_b64 s[28:29], s[4:5], vcc
	s_and_saveexec_b64 s[12:13], s[28:29]
	s_cbranch_execz .LBB202_44
; %bb.43:                               ;   in Loop: Header=BB202_30 Depth=1
	global_load_dwordx2 v[140:141], v[138:139], off offset:32
.LBB202_44:                             ;   in Loop: Header=BB202_30 Depth=1
	s_or_b64 exec, exec, s[12:13]
	v_add3_u32 v138, v153, s26, 4
	v_mad_u64_u32 v[136:137], s[12:13], v138, s23, 0
	v_mov_b32_e32 v134, v137
	v_cmp_le_i32_e32 vcc, s74, v138
	v_mad_u64_u32 v[138:139], s[12:13], v138, s24, v[134:135]
	v_mov_b32_e32 v137, v138
	v_lshl_add_u64 v[138:139], v[136:137], 3, s[20:21]
	s_nor_b64 s[28:29], s[6:7], vcc
	v_mov_b64_e32 v[136:137], 0
	v_lshl_add_u64 v[144:145], v[128:129], 3, v[138:139]
	v_mov_b64_e32 v[138:139], 0
	s_and_saveexec_b64 s[12:13], s[28:29]
	s_cbranch_execz .LBB202_46
; %bb.45:                               ;   in Loop: Header=BB202_30 Depth=1
	global_load_dwordx2 v[138:139], v[144:145], off
.LBB202_46:                             ;   in Loop: Header=BB202_30 Depth=1
	s_or_b64 exec, exec, s[12:13]
	s_nor_b64 s[28:29], s[8:9], vcc
	s_and_saveexec_b64 s[12:13], s[28:29]
	s_cbranch_execz .LBB202_48
; %bb.47:                               ;   in Loop: Header=BB202_30 Depth=1
	global_load_dwordx2 v[136:137], v[144:145], off offset:512
.LBB202_48:                             ;   in Loop: Header=BB202_30 Depth=1
	s_or_b64 exec, exec, s[12:13]
	s_mov_b32 s12, 0
.LBB202_49:                             ;   Parent Loop BB202_30 Depth=1
                                        ; =>  This Inner Loop Header: Depth=2
	v_add_u32_e32 v134, s12, v157
	ds_read2_b64 v[144:147], v134 offset1:16
	ds_read2_b64 v[162:165], v134 offset0:32 offset1:48
	ds_read2_b64 v[166:169], v134 offset0:64 offset1:80
	;; [unrolled: 1-line block ×7, first 2 shown]
	v_add_u32_e32 v134, 0x800, v134
	ds_read2_b64 v[190:193], v134 offset1:16
	ds_read2_b64 v[194:197], v134 offset0:32 offset1:48
	ds_read2_b64 v[198:201], v134 offset0:64 offset1:80
	;; [unrolled: 1-line block ×7, first 2 shown]
	v_add_u32_e32 v134, s12, v158
	ds_read2st64_b64 v[222:225], v134 offset1:4
	s_waitcnt lgkmcnt(14)
	v_max_f64 v[144:145], v[144:145], v[144:145]
	v_max_f64 v[146:147], v[146:147], v[146:147]
	;; [unrolled: 1-line block ×4, first 2 shown]
	s_waitcnt lgkmcnt(0)
	v_max_f64 v[148:149], v[222:223], v[222:223]
	v_min_f64 v[222:223], v[144:145], v[148:149]
	v_add_f64 v[126:127], v[126:127], v[222:223]
	v_min_f64 v[222:223], v[146:147], v[148:149]
	v_add_f64 v[124:125], v[124:125], v[222:223]
	;; [unrolled: 2-line block ×3, first 2 shown]
	v_min_f64 v[222:223], v[164:165], v[148:149]
	v_max_f64 v[166:167], v[166:167], v[166:167]
	v_add_f64 v[120:121], v[120:121], v[222:223]
	v_min_f64 v[222:223], v[166:167], v[148:149]
	v_max_f64 v[168:169], v[168:169], v[168:169]
	v_add_f64 v[118:119], v[118:119], v[222:223]
	;; [unrolled: 3-line block ×26, first 2 shown]
	v_min_f64 v[222:223], v[216:217], v[148:149]
	v_max_f64 v[218:219], v[218:219], v[218:219]
	v_max_f64 v[220:221], v[220:221], v[220:221]
	v_add_f64 v[68:69], v[68:69], v[222:223]
	v_min_f64 v[222:223], v[218:219], v[148:149]
	v_min_f64 v[148:149], v[220:221], v[148:149]
	v_add_f64 v[64:65], v[64:65], v[148:149]
	v_max_f64 v[148:149], v[224:225], v[224:225]
	v_min_f64 v[144:145], v[144:145], v[148:149]
	v_add_f64 v[62:63], v[62:63], v[144:145]
	v_min_f64 v[144:145], v[146:147], v[148:149]
	v_add_f64 v[60:61], v[60:61], v[144:145]
	;; [unrolled: 2-line block ×31, first 2 shown]
	v_min_f64 v[144:145], v[220:221], v[148:149]
	s_add_i32 s12, s12, 8
	v_add_f64 v[66:67], v[66:67], v[222:223]
	v_add_f64 v[0:1], v[0:1], v[144:145]
	s_cmp_eq_u32 s12, 32
	s_cbranch_scc0 .LBB202_49
; %bb.50:                               ;   in Loop: Header=BB202_30 Depth=1
	s_add_i32 s26, s26, 8
	s_add_i32 s27, s27, 8
	s_cmp_ge_i32 s27, s25
	s_waitcnt vmcnt(0)
	ds_write2st64_b64 v159, v[142:143], v[140:141] offset1:4
	ds_write2st64_b64 v160, v[138:139], v[136:137] offset1:4
	s_waitcnt lgkmcnt(0)
	s_barrier
	s_cbranch_scc0 .LBB202_30
.LBB202_51:
	v_mov_b32_e32 v128, 0x1000
	v_lshl_add_u32 v128, v150, 5, v128
	s_mov_b32 s4, 0
.LBB202_52:                             ; =>This Inner Loop Header: Depth=1
	v_add_u32_e32 v129, s4, v128
	v_add_u32_e32 v152, s4, v154
	ds_read2_b64 v[130:133], v129 offset1:16
	ds_read2_b64 v[134:137], v129 offset0:32 offset1:48
	ds_read2_b64 v[138:141], v129 offset0:64 offset1:80
	;; [unrolled: 1-line block ×7, first 2 shown]
	v_add_u32_e32 v129, 0x800, v129
	ds_read2st64_b64 v[168:171], v152 offset1:4
	ds_read2_b64 v[172:175], v129 offset1:16
	ds_read2_b64 v[176:179], v129 offset0:32 offset1:48
	ds_read2_b64 v[180:183], v129 offset0:64 offset1:80
	;; [unrolled: 1-line block ×7, first 2 shown]
	s_waitcnt lgkmcnt(14)
	v_max_f64 v[130:131], v[130:131], v[130:131]
	v_max_f64 v[132:133], v[132:133], v[132:133]
	;; [unrolled: 1-line block ×3, first 2 shown]
	s_waitcnt lgkmcnt(8)
	v_max_f64 v[152:153], v[168:169], v[168:169]
	v_max_f64 v[136:137], v[136:137], v[136:137]
	;; [unrolled: 1-line block ×15, first 2 shown]
	v_min_f64 v[170:171], v[130:131], v[152:153]
	v_min_f64 v[204:205], v[132:133], v[152:153]
	;; [unrolled: 1-line block ×16, first 2 shown]
	s_waitcnt lgkmcnt(7)
	v_max_f64 v[172:173], v[172:173], v[172:173]
	v_max_f64 v[174:175], v[174:175], v[174:175]
	s_waitcnt lgkmcnt(6)
	v_max_f64 v[176:177], v[176:177], v[176:177]
	v_max_f64 v[178:179], v[178:179], v[178:179]
	;; [unrolled: 3-line block ×8, first 2 shown]
	v_min_f64 v[130:131], v[130:131], v[168:169]
	v_min_f64 v[132:133], v[132:133], v[168:169]
	;; [unrolled: 1-line block ×16, first 2 shown]
	s_add_i32 s4, s4, 8
	v_add_f64 v[126:127], v[126:127], v[170:171]
	v_add_f64 v[124:125], v[124:125], v[204:205]
	;; [unrolled: 1-line block ×15, first 2 shown]
	v_min_f64 v[170:171], v[172:173], v[152:153]
	v_min_f64 v[204:205], v[174:175], v[152:153]
	;; [unrolled: 1-line block ×16, first 2 shown]
	v_add_f64 v[62:63], v[62:63], v[130:131]
	v_add_f64 v[60:61], v[60:61], v[132:133]
	;; [unrolled: 1-line block ×16, first 2 shown]
	v_min_f64 v[130:131], v[172:173], v[168:169]
	v_min_f64 v[132:133], v[174:175], v[168:169]
	;; [unrolled: 1-line block ×16, first 2 shown]
	s_cmp_eq_u32 s4, 32
	v_add_f64 v[96:97], v[96:97], v[232:233]
	v_add_f64 v[94:95], v[94:95], v[170:171]
	;; [unrolled: 1-line block ×33, first 2 shown]
	s_cbranch_scc0 .LBB202_52
; %bb.53:
	s_load_dwordx2 s[4:5], s[0:1], 0x78
	s_load_dword s78, s[0:1], 0x58
	s_load_dword s33, s[0:1], 0x70
	v_add_u32_e32 v136, s22, v151
	v_add_u32_e32 v128, s2, v150
	s_waitcnt lgkmcnt(0)
	s_mul_i32 s1, s5, s3
	s_mul_hi_u32 s5, s4, s3
	s_mul_i32 s0, s4, s3
	s_add_i32 s1, s5, s1
	s_lshl_b64 s[0:1], s[0:1], 3
	s_add_u32 s74, s14, s0
	s_addc_u32 s75, s15, s1
	v_mad_i64_i32 v[130:131], s[0:1], v136, s78, 0
	v_cmp_gt_i32_e64 s[24:25], s73, v136
	v_lshl_add_u64 v[132:133], v[130:131], 3, s[76:77]
	v_mad_i64_i32 v[130:131], s[0:1], v136, s33, 0
	v_cmp_gt_i32_e64 s[2:3], s72, v128
	v_cndmask_b32_e64 v134, 0, 1, s[16:17]
	v_lshl_add_u64 v[130:131], v[130:131], 3, s[74:75]
	s_and_b64 s[6:7], s[24:25], s[2:3]
	v_ashrrev_i32_e32 v129, 31, v128
	v_cmp_ne_u32_e64 s[0:1], 1, v134
	s_and_saveexec_b64 s[4:5], s[6:7]
	s_cbranch_execz .LBB202_58
; %bb.54:
	s_and_b64 vcc, exec, s[0:1]
	s_cbranch_vccnz .LBB202_56
; %bb.55:
	v_lshl_add_u64 v[134:135], v[128:129], 3, v[132:133]
	global_load_dwordx2 v[134:135], v[134:135], off
	s_waitcnt vmcnt(0)
	v_mul_f64 v[134:135], s[70:71], v[134:135]
	s_branch .LBB202_57
.LBB202_56:
	v_mov_b64_e32 v[134:135], 0
.LBB202_57:
	v_add_f64 v[126:127], v[126:127], v[134:135]
	v_lshl_add_u64 v[134:135], v[128:129], 3, v[130:131]
	global_store_dwordx2 v[134:135], v[126:127], off
.LBB202_58:
	s_or_b64 exec, exec, s[4:5]
	v_add_u32_e32 v126, 4, v128
	v_cmp_gt_i32_e64 s[4:5], s72, v126
	s_and_b64 s[8:9], s[24:25], s[4:5]
	v_ashrrev_i32_e32 v127, 31, v126
	s_and_saveexec_b64 s[6:7], s[8:9]
	s_cbranch_execz .LBB202_63
; %bb.59:
	s_and_b64 vcc, exec, s[0:1]
	s_cbranch_vccnz .LBB202_61
; %bb.60:
	v_lshl_add_u64 v[134:135], v[126:127], 3, v[132:133]
	global_load_dwordx2 v[134:135], v[134:135], off
	s_waitcnt vmcnt(0)
	v_mul_f64 v[134:135], s[70:71], v[134:135]
	s_branch .LBB202_62
.LBB202_61:
	v_mov_b64_e32 v[134:135], 0
.LBB202_62:
	v_add_f64 v[124:125], v[124:125], v[134:135]
	v_lshl_add_u64 v[134:135], v[126:127], 3, v[130:131]
	global_store_dwordx2 v[134:135], v[124:125], off
.LBB202_63:
	s_or_b64 exec, exec, s[6:7]
	v_add_u32_e32 v124, 8, v128
	v_cmp_gt_i32_e64 s[6:7], s72, v124
	s_and_b64 s[10:11], s[24:25], s[6:7]
	v_ashrrev_i32_e32 v125, 31, v124
	s_and_saveexec_b64 s[8:9], s[10:11]
	s_cbranch_execz .LBB202_68
; %bb.64:
	s_and_b64 vcc, exec, s[0:1]
	s_cbranch_vccnz .LBB202_66
; %bb.65:
	v_lshl_add_u64 v[134:135], v[124:125], 3, v[132:133]
	global_load_dwordx2 v[134:135], v[134:135], off
	s_waitcnt vmcnt(0)
	v_mul_f64 v[134:135], s[70:71], v[134:135]
	s_branch .LBB202_67
.LBB202_66:
	v_mov_b64_e32 v[134:135], 0
.LBB202_67:
	v_add_f64 v[122:123], v[122:123], v[134:135]
	v_lshl_add_u64 v[134:135], v[124:125], 3, v[130:131]
	global_store_dwordx2 v[134:135], v[122:123], off
.LBB202_68:
	s_or_b64 exec, exec, s[8:9]
	v_add_u32_e32 v122, 12, v128
	v_cmp_gt_i32_e64 s[8:9], s72, v122
	s_and_b64 s[12:13], s[24:25], s[8:9]
	v_ashrrev_i32_e32 v123, 31, v122
	s_and_saveexec_b64 s[10:11], s[12:13]
	s_cbranch_execz .LBB202_73
; %bb.69:
	s_and_b64 vcc, exec, s[0:1]
	s_cbranch_vccnz .LBB202_71
; %bb.70:
	v_lshl_add_u64 v[134:135], v[122:123], 3, v[132:133]
	global_load_dwordx2 v[134:135], v[134:135], off
	s_waitcnt vmcnt(0)
	v_mul_f64 v[134:135], s[70:71], v[134:135]
	s_branch .LBB202_72
.LBB202_71:
	v_mov_b64_e32 v[134:135], 0
.LBB202_72:
	v_add_f64 v[120:121], v[120:121], v[134:135]
	v_lshl_add_u64 v[134:135], v[122:123], 3, v[130:131]
	global_store_dwordx2 v[134:135], v[120:121], off
.LBB202_73:
	s_or_b64 exec, exec, s[10:11]
	v_add_u32_e32 v120, 16, v128
	v_cmp_gt_i32_e64 s[10:11], s72, v120
	s_and_b64 s[14:15], s[24:25], s[10:11]
	v_ashrrev_i32_e32 v121, 31, v120
	s_and_saveexec_b64 s[12:13], s[14:15]
	s_cbranch_execz .LBB202_78
; %bb.74:
	s_and_b64 vcc, exec, s[0:1]
	s_cbranch_vccnz .LBB202_76
; %bb.75:
	v_lshl_add_u64 v[134:135], v[120:121], 3, v[132:133]
	global_load_dwordx2 v[134:135], v[134:135], off
	s_waitcnt vmcnt(0)
	v_mul_f64 v[134:135], s[70:71], v[134:135]
	s_branch .LBB202_77
.LBB202_76:
	v_mov_b64_e32 v[134:135], 0
.LBB202_77:
	v_add_f64 v[118:119], v[118:119], v[134:135]
	v_lshl_add_u64 v[134:135], v[120:121], 3, v[130:131]
	global_store_dwordx2 v[134:135], v[118:119], off
.LBB202_78:
	s_or_b64 exec, exec, s[12:13]
	v_add_u32_e32 v118, 20, v128
	v_cmp_gt_i32_e64 s[12:13], s72, v118
	s_and_b64 s[16:17], s[24:25], s[12:13]
	v_ashrrev_i32_e32 v119, 31, v118
	s_and_saveexec_b64 s[14:15], s[16:17]
	s_cbranch_execz .LBB202_83
; %bb.79:
	s_and_b64 vcc, exec, s[0:1]
	s_cbranch_vccnz .LBB202_81
; %bb.80:
	v_lshl_add_u64 v[134:135], v[118:119], 3, v[132:133]
	global_load_dwordx2 v[134:135], v[134:135], off
	s_waitcnt vmcnt(0)
	v_mul_f64 v[134:135], s[70:71], v[134:135]
	s_branch .LBB202_82
.LBB202_81:
	v_mov_b64_e32 v[134:135], 0
.LBB202_82:
	v_add_f64 v[116:117], v[116:117], v[134:135]
	v_lshl_add_u64 v[134:135], v[118:119], 3, v[130:131]
	global_store_dwordx2 v[134:135], v[116:117], off
.LBB202_83:
	s_or_b64 exec, exec, s[14:15]
	v_add_u32_e32 v116, 24, v128
	v_cmp_gt_i32_e64 s[14:15], s72, v116
	s_and_b64 s[18:19], s[24:25], s[14:15]
	v_ashrrev_i32_e32 v117, 31, v116
	s_and_saveexec_b64 s[16:17], s[18:19]
	s_cbranch_execz .LBB202_88
; %bb.84:
	s_and_b64 vcc, exec, s[0:1]
	s_cbranch_vccnz .LBB202_86
; %bb.85:
	v_lshl_add_u64 v[134:135], v[116:117], 3, v[132:133]
	global_load_dwordx2 v[134:135], v[134:135], off
	s_waitcnt vmcnt(0)
	v_mul_f64 v[134:135], s[70:71], v[134:135]
	s_branch .LBB202_87
.LBB202_86:
	v_mov_b64_e32 v[134:135], 0
.LBB202_87:
	v_add_f64 v[114:115], v[114:115], v[134:135]
	v_lshl_add_u64 v[134:135], v[116:117], 3, v[130:131]
	global_store_dwordx2 v[134:135], v[114:115], off
.LBB202_88:
	s_or_b64 exec, exec, s[16:17]
	v_add_u32_e32 v114, 28, v128
	v_cmp_gt_i32_e64 s[16:17], s72, v114
	s_and_b64 s[20:21], s[24:25], s[16:17]
	v_ashrrev_i32_e32 v115, 31, v114
	s_and_saveexec_b64 s[18:19], s[20:21]
	s_cbranch_execz .LBB202_93
; %bb.89:
	s_and_b64 vcc, exec, s[0:1]
	s_cbranch_vccnz .LBB202_91
; %bb.90:
	v_lshl_add_u64 v[134:135], v[114:115], 3, v[132:133]
	global_load_dwordx2 v[134:135], v[134:135], off
	s_waitcnt vmcnt(0)
	v_mul_f64 v[134:135], s[70:71], v[134:135]
	s_branch .LBB202_92
.LBB202_91:
	v_mov_b64_e32 v[134:135], 0
.LBB202_92:
	v_add_f64 v[112:113], v[112:113], v[134:135]
	v_lshl_add_u64 v[134:135], v[114:115], 3, v[130:131]
	global_store_dwordx2 v[134:135], v[112:113], off
.LBB202_93:
	s_or_b64 exec, exec, s[18:19]
	v_add_u32_e32 v112, 32, v128
	v_cmp_gt_i32_e64 s[18:19], s72, v112
	s_and_b64 s[22:23], s[24:25], s[18:19]
	v_ashrrev_i32_e32 v113, 31, v112
	s_and_saveexec_b64 s[20:21], s[22:23]
	s_cbranch_execz .LBB202_98
; %bb.94:
	s_and_b64 vcc, exec, s[0:1]
	s_cbranch_vccnz .LBB202_96
; %bb.95:
	v_lshl_add_u64 v[134:135], v[112:113], 3, v[132:133]
	global_load_dwordx2 v[134:135], v[134:135], off
	s_waitcnt vmcnt(0)
	v_mul_f64 v[134:135], s[70:71], v[134:135]
	s_branch .LBB202_97
.LBB202_96:
	v_mov_b64_e32 v[134:135], 0
.LBB202_97:
	v_add_f64 v[110:111], v[110:111], v[134:135]
	v_lshl_add_u64 v[134:135], v[112:113], 3, v[130:131]
	global_store_dwordx2 v[134:135], v[110:111], off
.LBB202_98:
	s_or_b64 exec, exec, s[20:21]
	v_add_u32_e32 v110, 36, v128
	v_cmp_gt_i32_e64 s[20:21], s72, v110
	s_and_b64 s[26:27], s[24:25], s[20:21]
	v_ashrrev_i32_e32 v111, 31, v110
	s_and_saveexec_b64 s[22:23], s[26:27]
	s_cbranch_execz .LBB202_103
; %bb.99:
	s_and_b64 vcc, exec, s[0:1]
	s_cbranch_vccnz .LBB202_101
; %bb.100:
	v_lshl_add_u64 v[134:135], v[110:111], 3, v[132:133]
	global_load_dwordx2 v[134:135], v[134:135], off
	s_waitcnt vmcnt(0)
	v_mul_f64 v[134:135], s[70:71], v[134:135]
	s_branch .LBB202_102
.LBB202_101:
	v_mov_b64_e32 v[134:135], 0
.LBB202_102:
	v_add_f64 v[108:109], v[108:109], v[134:135]
	v_lshl_add_u64 v[134:135], v[110:111], 3, v[130:131]
	global_store_dwordx2 v[134:135], v[108:109], off
.LBB202_103:
	s_or_b64 exec, exec, s[22:23]
	v_add_u32_e32 v108, 40, v128
	v_cmp_gt_i32_e64 s[22:23], s72, v108
	s_and_b64 s[28:29], s[24:25], s[22:23]
	v_ashrrev_i32_e32 v109, 31, v108
	s_and_saveexec_b64 s[26:27], s[28:29]
	s_cbranch_execz .LBB202_108
; %bb.104:
	s_and_b64 vcc, exec, s[0:1]
	s_cbranch_vccnz .LBB202_106
; %bb.105:
	v_lshl_add_u64 v[134:135], v[108:109], 3, v[132:133]
	global_load_dwordx2 v[134:135], v[134:135], off
	s_waitcnt vmcnt(0)
	v_mul_f64 v[134:135], s[70:71], v[134:135]
	s_branch .LBB202_107
.LBB202_106:
	v_mov_b64_e32 v[134:135], 0
.LBB202_107:
	v_add_f64 v[106:107], v[106:107], v[134:135]
	v_lshl_add_u64 v[134:135], v[108:109], 3, v[130:131]
	global_store_dwordx2 v[134:135], v[106:107], off
.LBB202_108:
	s_or_b64 exec, exec, s[26:27]
	v_add_u32_e32 v106, 44, v128
	v_cmp_gt_i32_e64 s[26:27], s72, v106
	s_and_b64 s[30:31], s[24:25], s[26:27]
	v_ashrrev_i32_e32 v107, 31, v106
	s_and_saveexec_b64 s[28:29], s[30:31]
	s_cbranch_execz .LBB202_113
; %bb.109:
	s_and_b64 vcc, exec, s[0:1]
	s_cbranch_vccnz .LBB202_111
; %bb.110:
	v_lshl_add_u64 v[134:135], v[106:107], 3, v[132:133]
	global_load_dwordx2 v[134:135], v[134:135], off
	s_waitcnt vmcnt(0)
	v_mul_f64 v[134:135], s[70:71], v[134:135]
	s_branch .LBB202_112
.LBB202_111:
	v_mov_b64_e32 v[134:135], 0
.LBB202_112:
	v_add_f64 v[104:105], v[104:105], v[134:135]
	v_lshl_add_u64 v[134:135], v[106:107], 3, v[130:131]
	global_store_dwordx2 v[134:135], v[104:105], off
.LBB202_113:
	s_or_b64 exec, exec, s[28:29]
	v_add_u32_e32 v104, 48, v128
	v_cmp_gt_i32_e64 s[28:29], s72, v104
	s_and_b64 s[34:35], s[24:25], s[28:29]
	v_ashrrev_i32_e32 v105, 31, v104
	s_and_saveexec_b64 s[30:31], s[34:35]
	s_cbranch_execz .LBB202_118
; %bb.114:
	s_and_b64 vcc, exec, s[0:1]
	s_cbranch_vccnz .LBB202_116
; %bb.115:
	v_lshl_add_u64 v[134:135], v[104:105], 3, v[132:133]
	global_load_dwordx2 v[134:135], v[134:135], off
	s_waitcnt vmcnt(0)
	v_mul_f64 v[134:135], s[70:71], v[134:135]
	s_branch .LBB202_117
.LBB202_116:
	v_mov_b64_e32 v[134:135], 0
.LBB202_117:
	v_add_f64 v[102:103], v[102:103], v[134:135]
	v_lshl_add_u64 v[134:135], v[104:105], 3, v[130:131]
	global_store_dwordx2 v[134:135], v[102:103], off
.LBB202_118:
	s_or_b64 exec, exec, s[30:31]
	v_add_u32_e32 v102, 52, v128
	v_cmp_gt_i32_e64 s[30:31], s72, v102
	s_and_b64 s[36:37], s[24:25], s[30:31]
	v_ashrrev_i32_e32 v103, 31, v102
	s_and_saveexec_b64 s[34:35], s[36:37]
	s_cbranch_execz .LBB202_123
; %bb.119:
	s_and_b64 vcc, exec, s[0:1]
	s_cbranch_vccnz .LBB202_121
; %bb.120:
	v_lshl_add_u64 v[134:135], v[102:103], 3, v[132:133]
	global_load_dwordx2 v[134:135], v[134:135], off
	s_waitcnt vmcnt(0)
	v_mul_f64 v[134:135], s[70:71], v[134:135]
	s_branch .LBB202_122
.LBB202_121:
	v_mov_b64_e32 v[134:135], 0
.LBB202_122:
	v_add_f64 v[100:101], v[100:101], v[134:135]
	v_lshl_add_u64 v[134:135], v[102:103], 3, v[130:131]
	global_store_dwordx2 v[134:135], v[100:101], off
.LBB202_123:
	s_or_b64 exec, exec, s[34:35]
	v_add_u32_e32 v100, 56, v128
	v_cmp_gt_i32_e64 s[34:35], s72, v100
	s_and_b64 s[38:39], s[24:25], s[34:35]
	v_ashrrev_i32_e32 v101, 31, v100
	s_and_saveexec_b64 s[36:37], s[38:39]
	s_cbranch_execz .LBB202_128
; %bb.124:
	s_and_b64 vcc, exec, s[0:1]
	s_cbranch_vccnz .LBB202_126
; %bb.125:
	v_lshl_add_u64 v[134:135], v[100:101], 3, v[132:133]
	global_load_dwordx2 v[134:135], v[134:135], off
	s_waitcnt vmcnt(0)
	v_mul_f64 v[134:135], s[70:71], v[134:135]
	s_branch .LBB202_127
.LBB202_126:
	v_mov_b64_e32 v[134:135], 0
.LBB202_127:
	v_add_f64 v[98:99], v[98:99], v[134:135]
	v_lshl_add_u64 v[134:135], v[100:101], 3, v[130:131]
	global_store_dwordx2 v[134:135], v[98:99], off
.LBB202_128:
	s_or_b64 exec, exec, s[36:37]
	v_add_u32_e32 v98, 60, v128
	v_cmp_gt_i32_e64 s[36:37], s72, v98
	s_and_b64 s[40:41], s[24:25], s[36:37]
	v_ashrrev_i32_e32 v99, 31, v98
	s_and_saveexec_b64 s[38:39], s[40:41]
	s_cbranch_execz .LBB202_133
; %bb.129:
	s_and_b64 vcc, exec, s[0:1]
	s_cbranch_vccnz .LBB202_131
; %bb.130:
	v_lshl_add_u64 v[134:135], v[98:99], 3, v[132:133]
	global_load_dwordx2 v[134:135], v[134:135], off
	s_waitcnt vmcnt(0)
	v_mul_f64 v[134:135], s[70:71], v[134:135]
	s_branch .LBB202_132
.LBB202_131:
	v_mov_b64_e32 v[134:135], 0
.LBB202_132:
	v_add_f64 v[96:97], v[96:97], v[134:135]
	v_lshl_add_u64 v[134:135], v[98:99], 3, v[130:131]
	global_store_dwordx2 v[134:135], v[96:97], off
.LBB202_133:
	s_or_b64 exec, exec, s[38:39]
	v_add_u32_e32 v96, 64, v128
	v_cmp_gt_i32_e64 s[38:39], s72, v96
	s_and_b64 s[42:43], s[24:25], s[38:39]
	v_ashrrev_i32_e32 v97, 31, v96
	s_and_saveexec_b64 s[40:41], s[42:43]
	s_cbranch_execz .LBB202_138
; %bb.134:
	s_and_b64 vcc, exec, s[0:1]
	s_cbranch_vccnz .LBB202_136
; %bb.135:
	v_lshl_add_u64 v[134:135], v[96:97], 3, v[132:133]
	global_load_dwordx2 v[134:135], v[134:135], off
	s_waitcnt vmcnt(0)
	v_mul_f64 v[134:135], s[70:71], v[134:135]
	s_branch .LBB202_137
.LBB202_136:
	v_mov_b64_e32 v[134:135], 0
.LBB202_137:
	v_add_f64 v[94:95], v[94:95], v[134:135]
	v_lshl_add_u64 v[134:135], v[96:97], 3, v[130:131]
	global_store_dwordx2 v[134:135], v[94:95], off
.LBB202_138:
	s_or_b64 exec, exec, s[40:41]
	v_add_u32_e32 v94, 0x44, v128
	v_cmp_gt_i32_e64 s[40:41], s72, v94
	s_and_b64 s[44:45], s[24:25], s[40:41]
	v_ashrrev_i32_e32 v95, 31, v94
	s_and_saveexec_b64 s[42:43], s[44:45]
	s_cbranch_execz .LBB202_143
; %bb.139:
	s_and_b64 vcc, exec, s[0:1]
	s_cbranch_vccnz .LBB202_141
; %bb.140:
	v_lshl_add_u64 v[134:135], v[94:95], 3, v[132:133]
	global_load_dwordx2 v[134:135], v[134:135], off
	s_waitcnt vmcnt(0)
	v_mul_f64 v[134:135], s[70:71], v[134:135]
	s_branch .LBB202_142
.LBB202_141:
	v_mov_b64_e32 v[134:135], 0
.LBB202_142:
	v_add_f64 v[92:93], v[92:93], v[134:135]
	v_lshl_add_u64 v[134:135], v[94:95], 3, v[130:131]
	global_store_dwordx2 v[134:135], v[92:93], off
.LBB202_143:
	s_or_b64 exec, exec, s[42:43]
	v_add_u32_e32 v92, 0x48, v128
	v_cmp_gt_i32_e64 s[42:43], s72, v92
	s_and_b64 s[46:47], s[24:25], s[42:43]
	v_ashrrev_i32_e32 v93, 31, v92
	s_and_saveexec_b64 s[44:45], s[46:47]
	s_cbranch_execz .LBB202_148
; %bb.144:
	s_and_b64 vcc, exec, s[0:1]
	s_cbranch_vccnz .LBB202_146
; %bb.145:
	v_lshl_add_u64 v[134:135], v[92:93], 3, v[132:133]
	global_load_dwordx2 v[134:135], v[134:135], off
	s_waitcnt vmcnt(0)
	v_mul_f64 v[134:135], s[70:71], v[134:135]
	s_branch .LBB202_147
.LBB202_146:
	v_mov_b64_e32 v[134:135], 0
.LBB202_147:
	v_add_f64 v[90:91], v[90:91], v[134:135]
	v_lshl_add_u64 v[134:135], v[92:93], 3, v[130:131]
	global_store_dwordx2 v[134:135], v[90:91], off
.LBB202_148:
	s_or_b64 exec, exec, s[44:45]
	v_add_u32_e32 v90, 0x4c, v128
	v_cmp_gt_i32_e64 s[44:45], s72, v90
	s_and_b64 s[48:49], s[24:25], s[44:45]
	v_ashrrev_i32_e32 v91, 31, v90
	s_and_saveexec_b64 s[46:47], s[48:49]
	s_cbranch_execz .LBB202_153
; %bb.149:
	s_and_b64 vcc, exec, s[0:1]
	s_cbranch_vccnz .LBB202_151
; %bb.150:
	v_lshl_add_u64 v[134:135], v[90:91], 3, v[132:133]
	global_load_dwordx2 v[134:135], v[134:135], off
	s_waitcnt vmcnt(0)
	v_mul_f64 v[134:135], s[70:71], v[134:135]
	s_branch .LBB202_152
.LBB202_151:
	v_mov_b64_e32 v[134:135], 0
.LBB202_152:
	v_add_f64 v[88:89], v[88:89], v[134:135]
	v_lshl_add_u64 v[134:135], v[90:91], 3, v[130:131]
	global_store_dwordx2 v[134:135], v[88:89], off
.LBB202_153:
	s_or_b64 exec, exec, s[46:47]
	v_add_u32_e32 v88, 0x50, v128
	v_cmp_gt_i32_e64 s[46:47], s72, v88
	s_and_b64 s[50:51], s[24:25], s[46:47]
	v_ashrrev_i32_e32 v89, 31, v88
	s_and_saveexec_b64 s[48:49], s[50:51]
	s_cbranch_execz .LBB202_158
; %bb.154:
	s_and_b64 vcc, exec, s[0:1]
	s_cbranch_vccnz .LBB202_156
; %bb.155:
	v_lshl_add_u64 v[134:135], v[88:89], 3, v[132:133]
	global_load_dwordx2 v[134:135], v[134:135], off
	s_waitcnt vmcnt(0)
	v_mul_f64 v[134:135], s[70:71], v[134:135]
	s_branch .LBB202_157
.LBB202_156:
	v_mov_b64_e32 v[134:135], 0
.LBB202_157:
	v_add_f64 v[86:87], v[86:87], v[134:135]
	v_lshl_add_u64 v[134:135], v[88:89], 3, v[130:131]
	global_store_dwordx2 v[134:135], v[86:87], off
.LBB202_158:
	s_or_b64 exec, exec, s[48:49]
	v_add_u32_e32 v86, 0x54, v128
	v_cmp_gt_i32_e64 s[48:49], s72, v86
	s_and_b64 s[52:53], s[24:25], s[48:49]
	v_ashrrev_i32_e32 v87, 31, v86
	s_and_saveexec_b64 s[50:51], s[52:53]
	s_cbranch_execz .LBB202_163
; %bb.159:
	s_and_b64 vcc, exec, s[0:1]
	s_cbranch_vccnz .LBB202_161
; %bb.160:
	v_lshl_add_u64 v[134:135], v[86:87], 3, v[132:133]
	global_load_dwordx2 v[134:135], v[134:135], off
	s_waitcnt vmcnt(0)
	v_mul_f64 v[134:135], s[70:71], v[134:135]
	s_branch .LBB202_162
.LBB202_161:
	v_mov_b64_e32 v[134:135], 0
.LBB202_162:
	v_add_f64 v[84:85], v[84:85], v[134:135]
	v_lshl_add_u64 v[134:135], v[86:87], 3, v[130:131]
	global_store_dwordx2 v[134:135], v[84:85], off
.LBB202_163:
	s_or_b64 exec, exec, s[50:51]
	v_add_u32_e32 v84, 0x58, v128
	v_cmp_gt_i32_e64 s[50:51], s72, v84
	s_and_b64 s[54:55], s[24:25], s[50:51]
	v_ashrrev_i32_e32 v85, 31, v84
	s_and_saveexec_b64 s[52:53], s[54:55]
	s_cbranch_execz .LBB202_168
; %bb.164:
	s_and_b64 vcc, exec, s[0:1]
	s_cbranch_vccnz .LBB202_166
; %bb.165:
	v_lshl_add_u64 v[134:135], v[84:85], 3, v[132:133]
	global_load_dwordx2 v[134:135], v[134:135], off
	s_waitcnt vmcnt(0)
	v_mul_f64 v[134:135], s[70:71], v[134:135]
	s_branch .LBB202_167
.LBB202_166:
	v_mov_b64_e32 v[134:135], 0
.LBB202_167:
	v_add_f64 v[82:83], v[82:83], v[134:135]
	v_lshl_add_u64 v[134:135], v[84:85], 3, v[130:131]
	global_store_dwordx2 v[134:135], v[82:83], off
.LBB202_168:
	s_or_b64 exec, exec, s[52:53]
	v_add_u32_e32 v82, 0x5c, v128
	v_cmp_gt_i32_e64 s[52:53], s72, v82
	s_and_b64 s[56:57], s[24:25], s[52:53]
	v_ashrrev_i32_e32 v83, 31, v82
	s_and_saveexec_b64 s[54:55], s[56:57]
	s_cbranch_execz .LBB202_173
; %bb.169:
	s_and_b64 vcc, exec, s[0:1]
	s_cbranch_vccnz .LBB202_171
; %bb.170:
	v_lshl_add_u64 v[134:135], v[82:83], 3, v[132:133]
	global_load_dwordx2 v[134:135], v[134:135], off
	s_waitcnt vmcnt(0)
	v_mul_f64 v[134:135], s[70:71], v[134:135]
	s_branch .LBB202_172
.LBB202_171:
	v_mov_b64_e32 v[134:135], 0
.LBB202_172:
	v_add_f64 v[80:81], v[80:81], v[134:135]
	v_lshl_add_u64 v[134:135], v[82:83], 3, v[130:131]
	global_store_dwordx2 v[134:135], v[80:81], off
.LBB202_173:
	s_or_b64 exec, exec, s[54:55]
	v_add_u32_e32 v80, 0x60, v128
	v_cmp_gt_i32_e64 s[54:55], s72, v80
	s_and_b64 s[58:59], s[24:25], s[54:55]
	v_ashrrev_i32_e32 v81, 31, v80
	s_and_saveexec_b64 s[56:57], s[58:59]
	s_cbranch_execz .LBB202_178
; %bb.174:
	s_and_b64 vcc, exec, s[0:1]
	s_cbranch_vccnz .LBB202_176
; %bb.175:
	v_lshl_add_u64 v[134:135], v[80:81], 3, v[132:133]
	global_load_dwordx2 v[134:135], v[134:135], off
	s_waitcnt vmcnt(0)
	v_mul_f64 v[134:135], s[70:71], v[134:135]
	s_branch .LBB202_177
.LBB202_176:
	v_mov_b64_e32 v[134:135], 0
.LBB202_177:
	v_add_f64 v[78:79], v[78:79], v[134:135]
	v_lshl_add_u64 v[134:135], v[80:81], 3, v[130:131]
	global_store_dwordx2 v[134:135], v[78:79], off
.LBB202_178:
	s_or_b64 exec, exec, s[56:57]
	v_add_u32_e32 v78, 0x64, v128
	v_cmp_gt_i32_e64 s[56:57], s72, v78
	s_and_b64 s[60:61], s[24:25], s[56:57]
	v_ashrrev_i32_e32 v79, 31, v78
	s_and_saveexec_b64 s[58:59], s[60:61]
	s_cbranch_execz .LBB202_183
; %bb.179:
	s_and_b64 vcc, exec, s[0:1]
	s_cbranch_vccnz .LBB202_181
; %bb.180:
	v_lshl_add_u64 v[134:135], v[78:79], 3, v[132:133]
	global_load_dwordx2 v[134:135], v[134:135], off
	s_waitcnt vmcnt(0)
	v_mul_f64 v[134:135], s[70:71], v[134:135]
	s_branch .LBB202_182
.LBB202_181:
	v_mov_b64_e32 v[134:135], 0
.LBB202_182:
	v_add_f64 v[76:77], v[76:77], v[134:135]
	v_lshl_add_u64 v[134:135], v[78:79], 3, v[130:131]
	global_store_dwordx2 v[134:135], v[76:77], off
.LBB202_183:
	s_or_b64 exec, exec, s[58:59]
	v_add_u32_e32 v76, 0x68, v128
	v_cmp_gt_i32_e64 s[58:59], s72, v76
	s_and_b64 s[62:63], s[24:25], s[58:59]
	v_ashrrev_i32_e32 v77, 31, v76
	s_and_saveexec_b64 s[60:61], s[62:63]
	s_cbranch_execz .LBB202_188
; %bb.184:
	s_and_b64 vcc, exec, s[0:1]
	s_cbranch_vccnz .LBB202_186
; %bb.185:
	v_lshl_add_u64 v[134:135], v[76:77], 3, v[132:133]
	global_load_dwordx2 v[134:135], v[134:135], off
	s_waitcnt vmcnt(0)
	v_mul_f64 v[134:135], s[70:71], v[134:135]
	s_branch .LBB202_187
.LBB202_186:
	v_mov_b64_e32 v[134:135], 0
.LBB202_187:
	v_add_f64 v[74:75], v[74:75], v[134:135]
	v_lshl_add_u64 v[134:135], v[76:77], 3, v[130:131]
	global_store_dwordx2 v[134:135], v[74:75], off
.LBB202_188:
	s_or_b64 exec, exec, s[60:61]
	v_add_u32_e32 v74, 0x6c, v128
	v_cmp_gt_i32_e64 s[60:61], s72, v74
	s_and_b64 s[64:65], s[24:25], s[60:61]
	v_ashrrev_i32_e32 v75, 31, v74
	s_and_saveexec_b64 s[62:63], s[64:65]
	s_cbranch_execz .LBB202_193
; %bb.189:
	s_and_b64 vcc, exec, s[0:1]
	s_cbranch_vccnz .LBB202_191
; %bb.190:
	v_lshl_add_u64 v[134:135], v[74:75], 3, v[132:133]
	global_load_dwordx2 v[134:135], v[134:135], off
	s_waitcnt vmcnt(0)
	v_mul_f64 v[134:135], s[70:71], v[134:135]
	s_branch .LBB202_192
.LBB202_191:
	v_mov_b64_e32 v[134:135], 0
.LBB202_192:
	v_add_f64 v[72:73], v[72:73], v[134:135]
	v_lshl_add_u64 v[134:135], v[74:75], 3, v[130:131]
	global_store_dwordx2 v[134:135], v[72:73], off
.LBB202_193:
	s_or_b64 exec, exec, s[62:63]
	v_add_u32_e32 v72, 0x70, v128
	v_cmp_gt_i32_e64 s[62:63], s72, v72
	s_and_b64 s[66:67], s[24:25], s[62:63]
	v_ashrrev_i32_e32 v73, 31, v72
	s_and_saveexec_b64 s[64:65], s[66:67]
	s_cbranch_execz .LBB202_198
; %bb.194:
	s_and_b64 vcc, exec, s[0:1]
	s_cbranch_vccnz .LBB202_196
; %bb.195:
	v_lshl_add_u64 v[134:135], v[72:73], 3, v[132:133]
	global_load_dwordx2 v[134:135], v[134:135], off
	s_waitcnt vmcnt(0)
	v_mul_f64 v[134:135], s[70:71], v[134:135]
	s_branch .LBB202_197
.LBB202_196:
	v_mov_b64_e32 v[134:135], 0
.LBB202_197:
	v_add_f64 v[70:71], v[70:71], v[134:135]
	v_lshl_add_u64 v[134:135], v[72:73], 3, v[130:131]
	global_store_dwordx2 v[134:135], v[70:71], off
.LBB202_198:
	s_or_b64 exec, exec, s[64:65]
	v_add_u32_e32 v70, 0x74, v128
	v_cmp_gt_i32_e64 s[64:65], s72, v70
	s_and_b64 s[68:69], s[24:25], s[64:65]
	v_ashrrev_i32_e32 v71, 31, v70
	s_and_saveexec_b64 s[66:67], s[68:69]
	s_cbranch_execz .LBB202_203
; %bb.199:
	s_and_b64 vcc, exec, s[0:1]
	s_cbranch_vccnz .LBB202_201
; %bb.200:
	v_lshl_add_u64 v[134:135], v[70:71], 3, v[132:133]
	global_load_dwordx2 v[134:135], v[134:135], off
	s_waitcnt vmcnt(0)
	v_mul_f64 v[134:135], s[70:71], v[134:135]
	s_branch .LBB202_202
.LBB202_201:
	v_mov_b64_e32 v[134:135], 0
.LBB202_202:
	v_add_f64 v[68:69], v[68:69], v[134:135]
	v_lshl_add_u64 v[134:135], v[70:71], 3, v[130:131]
	global_store_dwordx2 v[134:135], v[68:69], off
.LBB202_203:
	s_or_b64 exec, exec, s[66:67]
	v_add_u32_e32 v68, 0x78, v128
	v_cmp_gt_i32_e64 s[66:67], s72, v68
	s_and_b64 s[80:81], s[24:25], s[66:67]
	v_ashrrev_i32_e32 v69, 31, v68
	s_and_saveexec_b64 s[68:69], s[80:81]
	s_cbranch_execz .LBB202_208
; %bb.204:
	s_and_b64 vcc, exec, s[0:1]
	s_cbranch_vccnz .LBB202_206
; %bb.205:
	v_lshl_add_u64 v[134:135], v[68:69], 3, v[132:133]
	global_load_dwordx2 v[134:135], v[134:135], off
	s_waitcnt vmcnt(0)
	v_mul_f64 v[134:135], s[70:71], v[134:135]
	s_branch .LBB202_207
.LBB202_206:
	v_mov_b64_e32 v[134:135], 0
.LBB202_207:
	v_add_f64 v[66:67], v[66:67], v[134:135]
	v_lshl_add_u64 v[134:135], v[68:69], 3, v[130:131]
	global_store_dwordx2 v[134:135], v[66:67], off
.LBB202_208:
	s_or_b64 exec, exec, s[68:69]
	v_add_u32_e32 v66, 0x7c, v128
	v_cmp_gt_i32_e64 s[68:69], s72, v66
	s_and_b64 s[80:81], s[24:25], s[68:69]
	v_ashrrev_i32_e32 v67, 31, v66
	s_and_saveexec_b64 s[24:25], s[80:81]
	s_cbranch_execz .LBB202_213
; %bb.209:
	s_and_b64 vcc, exec, s[0:1]
	s_cbranch_vccnz .LBB202_211
; %bb.210:
	v_lshl_add_u64 v[132:133], v[66:67], 3, v[132:133]
	global_load_dwordx2 v[132:133], v[132:133], off
	s_waitcnt vmcnt(0)
	v_mul_f64 v[132:133], s[70:71], v[132:133]
	s_branch .LBB202_212
.LBB202_211:
	v_mov_b64_e32 v[132:133], 0
.LBB202_212:
	v_add_f64 v[64:65], v[64:65], v[132:133]
	v_lshl_add_u64 v[130:131], v[66:67], 3, v[130:131]
	global_store_dwordx2 v[130:131], v[64:65], off
.LBB202_213:
	s_or_b64 exec, exec, s[24:25]
	v_add_u32_e32 v132, 64, v136
	v_cmp_gt_i32_e64 s[24:25], s73, v132
	v_mad_i64_i32 v[64:65], s[72:73], v132, s78, 0
	v_lshl_add_u64 v[130:131], v[64:65], 3, s[76:77]
	v_mad_i64_i32 v[64:65], s[72:73], v132, s33, 0
	v_lshl_add_u64 v[64:65], v[64:65], 3, s[74:75]
	s_and_b64 s[2:3], s[24:25], s[2:3]
	s_and_saveexec_b64 s[72:73], s[2:3]
	s_xor_b64 s[2:3], exec, s[72:73]
	s_cbranch_execnz .LBB202_246
; %bb.214:
	s_or_b64 exec, exec, s[2:3]
	s_and_b64 s[4:5], s[24:25], s[4:5]
	s_and_saveexec_b64 s[2:3], s[4:5]
	s_cbranch_execnz .LBB202_250
.LBB202_215:
	s_or_b64 exec, exec, s[2:3]
	s_and_b64 s[4:5], s[24:25], s[6:7]
	s_and_saveexec_b64 s[2:3], s[4:5]
	s_cbranch_execnz .LBB202_254
.LBB202_216:
	s_or_b64 exec, exec, s[2:3]
	s_and_b64 s[4:5], s[24:25], s[8:9]
	s_and_saveexec_b64 s[2:3], s[4:5]
	s_cbranch_execnz .LBB202_258
.LBB202_217:
	s_or_b64 exec, exec, s[2:3]
	s_and_b64 s[4:5], s[24:25], s[10:11]
	s_and_saveexec_b64 s[2:3], s[4:5]
	s_cbranch_execnz .LBB202_262
.LBB202_218:
	s_or_b64 exec, exec, s[2:3]
	s_and_b64 s[4:5], s[24:25], s[12:13]
	s_and_saveexec_b64 s[2:3], s[4:5]
	s_cbranch_execnz .LBB202_266
.LBB202_219:
	s_or_b64 exec, exec, s[2:3]
	s_and_b64 s[4:5], s[24:25], s[14:15]
	s_and_saveexec_b64 s[2:3], s[4:5]
	s_cbranch_execnz .LBB202_270
.LBB202_220:
	s_or_b64 exec, exec, s[2:3]
	s_and_b64 s[4:5], s[24:25], s[16:17]
	s_and_saveexec_b64 s[2:3], s[4:5]
	s_cbranch_execnz .LBB202_274
.LBB202_221:
	s_or_b64 exec, exec, s[2:3]
	s_and_b64 s[4:5], s[24:25], s[18:19]
	s_and_saveexec_b64 s[2:3], s[4:5]
	s_cbranch_execnz .LBB202_278
.LBB202_222:
	s_or_b64 exec, exec, s[2:3]
	s_and_b64 s[4:5], s[24:25], s[20:21]
	s_and_saveexec_b64 s[2:3], s[4:5]
	s_cbranch_execnz .LBB202_282
.LBB202_223:
	s_or_b64 exec, exec, s[2:3]
	s_and_b64 s[4:5], s[24:25], s[22:23]
	s_and_saveexec_b64 s[2:3], s[4:5]
	s_cbranch_execnz .LBB202_286
.LBB202_224:
	s_or_b64 exec, exec, s[2:3]
	s_and_b64 s[4:5], s[24:25], s[26:27]
	s_and_saveexec_b64 s[2:3], s[4:5]
	s_cbranch_execnz .LBB202_290
.LBB202_225:
	s_or_b64 exec, exec, s[2:3]
	s_and_b64 s[4:5], s[24:25], s[28:29]
	s_and_saveexec_b64 s[2:3], s[4:5]
	s_cbranch_execnz .LBB202_294
.LBB202_226:
	s_or_b64 exec, exec, s[2:3]
	s_and_b64 s[4:5], s[24:25], s[30:31]
	s_and_saveexec_b64 s[2:3], s[4:5]
	s_cbranch_execnz .LBB202_298
.LBB202_227:
	s_or_b64 exec, exec, s[2:3]
	s_and_b64 s[4:5], s[24:25], s[34:35]
	s_and_saveexec_b64 s[2:3], s[4:5]
	s_cbranch_execnz .LBB202_302
.LBB202_228:
	s_or_b64 exec, exec, s[2:3]
	s_and_b64 s[4:5], s[24:25], s[36:37]
	s_and_saveexec_b64 s[2:3], s[4:5]
	s_cbranch_execnz .LBB202_306
.LBB202_229:
	s_or_b64 exec, exec, s[2:3]
	s_and_b64 s[4:5], s[24:25], s[38:39]
	s_and_saveexec_b64 s[2:3], s[4:5]
	s_cbranch_execnz .LBB202_310
.LBB202_230:
	s_or_b64 exec, exec, s[2:3]
	s_and_b64 s[4:5], s[24:25], s[40:41]
	s_and_saveexec_b64 s[2:3], s[4:5]
	s_cbranch_execnz .LBB202_314
.LBB202_231:
	s_or_b64 exec, exec, s[2:3]
	s_and_b64 s[4:5], s[24:25], s[42:43]
	s_and_saveexec_b64 s[2:3], s[4:5]
	s_cbranch_execnz .LBB202_318
.LBB202_232:
	s_or_b64 exec, exec, s[2:3]
	s_and_b64 s[4:5], s[24:25], s[44:45]
	s_and_saveexec_b64 s[2:3], s[4:5]
	s_cbranch_execnz .LBB202_322
.LBB202_233:
	s_or_b64 exec, exec, s[2:3]
	s_and_b64 s[4:5], s[24:25], s[46:47]
	s_and_saveexec_b64 s[2:3], s[4:5]
	s_cbranch_execnz .LBB202_326
.LBB202_234:
	s_or_b64 exec, exec, s[2:3]
	s_and_b64 s[4:5], s[24:25], s[48:49]
	s_and_saveexec_b64 s[2:3], s[4:5]
	s_cbranch_execnz .LBB202_330
.LBB202_235:
	s_or_b64 exec, exec, s[2:3]
	s_and_b64 s[4:5], s[24:25], s[50:51]
	s_and_saveexec_b64 s[2:3], s[4:5]
	s_cbranch_execnz .LBB202_334
.LBB202_236:
	s_or_b64 exec, exec, s[2:3]
	s_and_b64 s[4:5], s[24:25], s[52:53]
	s_and_saveexec_b64 s[2:3], s[4:5]
	s_cbranch_execnz .LBB202_338
.LBB202_237:
	s_or_b64 exec, exec, s[2:3]
	s_and_b64 s[4:5], s[24:25], s[54:55]
	s_and_saveexec_b64 s[2:3], s[4:5]
	s_cbranch_execnz .LBB202_342
.LBB202_238:
	s_or_b64 exec, exec, s[2:3]
	s_and_b64 s[4:5], s[24:25], s[56:57]
	s_and_saveexec_b64 s[2:3], s[4:5]
	s_cbranch_execnz .LBB202_346
.LBB202_239:
	s_or_b64 exec, exec, s[2:3]
	s_and_b64 s[4:5], s[24:25], s[58:59]
	s_and_saveexec_b64 s[2:3], s[4:5]
	s_cbranch_execnz .LBB202_350
.LBB202_240:
	s_or_b64 exec, exec, s[2:3]
	s_and_b64 s[4:5], s[24:25], s[60:61]
	s_and_saveexec_b64 s[2:3], s[4:5]
	s_cbranch_execnz .LBB202_354
.LBB202_241:
	s_or_b64 exec, exec, s[2:3]
	s_and_b64 s[4:5], s[24:25], s[62:63]
	s_and_saveexec_b64 s[2:3], s[4:5]
	s_cbranch_execnz .LBB202_358
.LBB202_242:
	s_or_b64 exec, exec, s[2:3]
	s_and_b64 s[4:5], s[24:25], s[64:65]
	s_and_saveexec_b64 s[2:3], s[4:5]
	s_cbranch_execnz .LBB202_362
.LBB202_243:
	s_or_b64 exec, exec, s[2:3]
	s_and_b64 s[4:5], s[24:25], s[66:67]
	s_and_saveexec_b64 s[2:3], s[4:5]
	s_cbranch_execnz .LBB202_366
.LBB202_244:
	s_or_b64 exec, exec, s[2:3]
	s_and_b64 s[2:3], s[24:25], s[68:69]
	s_and_saveexec_b64 s[4:5], s[2:3]
	s_cbranch_execnz .LBB202_370
.LBB202_245:
	s_endpgm
.LBB202_246:
	s_and_b64 vcc, exec, s[0:1]
	s_cbranch_vccnz .LBB202_248
; %bb.247:
	v_lshl_add_u64 v[132:133], v[128:129], 3, v[130:131]
	global_load_dwordx2 v[132:133], v[132:133], off
	s_waitcnt vmcnt(0)
	v_mul_f64 v[132:133], s[70:71], v[132:133]
	s_branch .LBB202_249
.LBB202_248:
	v_mov_b64_e32 v[132:133], 0
.LBB202_249:
	v_add_f64 v[62:63], v[62:63], v[132:133]
	v_lshl_add_u64 v[128:129], v[128:129], 3, v[64:65]
	global_store_dwordx2 v[128:129], v[62:63], off
	s_or_b64 exec, exec, s[2:3]
	s_and_b64 s[4:5], s[24:25], s[4:5]
	s_and_saveexec_b64 s[2:3], s[4:5]
	s_cbranch_execz .LBB202_215
.LBB202_250:
	s_and_b64 vcc, exec, s[0:1]
	s_cbranch_vccnz .LBB202_252
; %bb.251:
	v_lshl_add_u64 v[62:63], v[126:127], 3, v[130:131]
	global_load_dwordx2 v[62:63], v[62:63], off
	s_waitcnt vmcnt(0)
	v_mul_f64 v[62:63], s[70:71], v[62:63]
	s_branch .LBB202_253
.LBB202_252:
	v_mov_b64_e32 v[62:63], 0
.LBB202_253:
	v_add_f64 v[60:61], v[60:61], v[62:63]
	v_lshl_add_u64 v[62:63], v[126:127], 3, v[64:65]
	global_store_dwordx2 v[62:63], v[60:61], off
	s_or_b64 exec, exec, s[2:3]
	s_and_b64 s[4:5], s[24:25], s[6:7]
	s_and_saveexec_b64 s[2:3], s[4:5]
	s_cbranch_execz .LBB202_216
.LBB202_254:
	s_and_b64 vcc, exec, s[0:1]
	s_cbranch_vccnz .LBB202_256
; %bb.255:
	v_lshl_add_u64 v[60:61], v[124:125], 3, v[130:131]
	global_load_dwordx2 v[60:61], v[60:61], off
	s_waitcnt vmcnt(0)
	v_mul_f64 v[60:61], s[70:71], v[60:61]
	s_branch .LBB202_257
.LBB202_256:
	v_mov_b64_e32 v[60:61], 0
.LBB202_257:
	v_add_f64 v[58:59], v[58:59], v[60:61]
	v_lshl_add_u64 v[60:61], v[124:125], 3, v[64:65]
	global_store_dwordx2 v[60:61], v[58:59], off
	s_or_b64 exec, exec, s[2:3]
	s_and_b64 s[4:5], s[24:25], s[8:9]
	s_and_saveexec_b64 s[2:3], s[4:5]
	s_cbranch_execz .LBB202_217
.LBB202_258:
	s_and_b64 vcc, exec, s[0:1]
	s_cbranch_vccnz .LBB202_260
; %bb.259:
	v_lshl_add_u64 v[58:59], v[122:123], 3, v[130:131]
	global_load_dwordx2 v[58:59], v[58:59], off
	s_waitcnt vmcnt(0)
	v_mul_f64 v[58:59], s[70:71], v[58:59]
	s_branch .LBB202_261
.LBB202_260:
	v_mov_b64_e32 v[58:59], 0
.LBB202_261:
	v_add_f64 v[56:57], v[56:57], v[58:59]
	v_lshl_add_u64 v[58:59], v[122:123], 3, v[64:65]
	global_store_dwordx2 v[58:59], v[56:57], off
	s_or_b64 exec, exec, s[2:3]
	s_and_b64 s[4:5], s[24:25], s[10:11]
	s_and_saveexec_b64 s[2:3], s[4:5]
	s_cbranch_execz .LBB202_218
.LBB202_262:
	s_and_b64 vcc, exec, s[0:1]
	s_cbranch_vccnz .LBB202_264
; %bb.263:
	v_lshl_add_u64 v[56:57], v[120:121], 3, v[130:131]
	global_load_dwordx2 v[56:57], v[56:57], off
	s_waitcnt vmcnt(0)
	v_mul_f64 v[56:57], s[70:71], v[56:57]
	s_branch .LBB202_265
.LBB202_264:
	v_mov_b64_e32 v[56:57], 0
.LBB202_265:
	v_add_f64 v[54:55], v[54:55], v[56:57]
	v_lshl_add_u64 v[56:57], v[120:121], 3, v[64:65]
	global_store_dwordx2 v[56:57], v[54:55], off
	s_or_b64 exec, exec, s[2:3]
	s_and_b64 s[4:5], s[24:25], s[12:13]
	s_and_saveexec_b64 s[2:3], s[4:5]
	s_cbranch_execz .LBB202_219
.LBB202_266:
	s_and_b64 vcc, exec, s[0:1]
	s_cbranch_vccnz .LBB202_268
; %bb.267:
	v_lshl_add_u64 v[54:55], v[118:119], 3, v[130:131]
	global_load_dwordx2 v[54:55], v[54:55], off
	s_waitcnt vmcnt(0)
	v_mul_f64 v[54:55], s[70:71], v[54:55]
	s_branch .LBB202_269
.LBB202_268:
	v_mov_b64_e32 v[54:55], 0
.LBB202_269:
	v_add_f64 v[52:53], v[52:53], v[54:55]
	v_lshl_add_u64 v[54:55], v[118:119], 3, v[64:65]
	global_store_dwordx2 v[54:55], v[52:53], off
	s_or_b64 exec, exec, s[2:3]
	s_and_b64 s[4:5], s[24:25], s[14:15]
	s_and_saveexec_b64 s[2:3], s[4:5]
	s_cbranch_execz .LBB202_220
.LBB202_270:
	s_and_b64 vcc, exec, s[0:1]
	s_cbranch_vccnz .LBB202_272
; %bb.271:
	v_lshl_add_u64 v[52:53], v[116:117], 3, v[130:131]
	global_load_dwordx2 v[52:53], v[52:53], off
	s_waitcnt vmcnt(0)
	v_mul_f64 v[52:53], s[70:71], v[52:53]
	s_branch .LBB202_273
.LBB202_272:
	v_mov_b64_e32 v[52:53], 0
.LBB202_273:
	v_add_f64 v[50:51], v[50:51], v[52:53]
	v_lshl_add_u64 v[52:53], v[116:117], 3, v[64:65]
	global_store_dwordx2 v[52:53], v[50:51], off
	s_or_b64 exec, exec, s[2:3]
	s_and_b64 s[4:5], s[24:25], s[16:17]
	s_and_saveexec_b64 s[2:3], s[4:5]
	s_cbranch_execz .LBB202_221
.LBB202_274:
	s_and_b64 vcc, exec, s[0:1]
	s_cbranch_vccnz .LBB202_276
; %bb.275:
	v_lshl_add_u64 v[50:51], v[114:115], 3, v[130:131]
	global_load_dwordx2 v[50:51], v[50:51], off
	s_waitcnt vmcnt(0)
	v_mul_f64 v[50:51], s[70:71], v[50:51]
	s_branch .LBB202_277
.LBB202_276:
	v_mov_b64_e32 v[50:51], 0
.LBB202_277:
	v_add_f64 v[48:49], v[48:49], v[50:51]
	v_lshl_add_u64 v[50:51], v[114:115], 3, v[64:65]
	global_store_dwordx2 v[50:51], v[48:49], off
	s_or_b64 exec, exec, s[2:3]
	s_and_b64 s[4:5], s[24:25], s[18:19]
	s_and_saveexec_b64 s[2:3], s[4:5]
	s_cbranch_execz .LBB202_222
.LBB202_278:
	s_and_b64 vcc, exec, s[0:1]
	s_cbranch_vccnz .LBB202_280
; %bb.279:
	v_lshl_add_u64 v[48:49], v[112:113], 3, v[130:131]
	global_load_dwordx2 v[48:49], v[48:49], off
	s_waitcnt vmcnt(0)
	v_mul_f64 v[48:49], s[70:71], v[48:49]
	s_branch .LBB202_281
.LBB202_280:
	v_mov_b64_e32 v[48:49], 0
.LBB202_281:
	v_add_f64 v[46:47], v[46:47], v[48:49]
	v_lshl_add_u64 v[48:49], v[112:113], 3, v[64:65]
	global_store_dwordx2 v[48:49], v[46:47], off
	s_or_b64 exec, exec, s[2:3]
	s_and_b64 s[4:5], s[24:25], s[20:21]
	s_and_saveexec_b64 s[2:3], s[4:5]
	s_cbranch_execz .LBB202_223
.LBB202_282:
	s_and_b64 vcc, exec, s[0:1]
	s_cbranch_vccnz .LBB202_284
; %bb.283:
	v_lshl_add_u64 v[46:47], v[110:111], 3, v[130:131]
	global_load_dwordx2 v[46:47], v[46:47], off
	s_waitcnt vmcnt(0)
	v_mul_f64 v[46:47], s[70:71], v[46:47]
	s_branch .LBB202_285
.LBB202_284:
	v_mov_b64_e32 v[46:47], 0
.LBB202_285:
	v_add_f64 v[44:45], v[44:45], v[46:47]
	v_lshl_add_u64 v[46:47], v[110:111], 3, v[64:65]
	global_store_dwordx2 v[46:47], v[44:45], off
	s_or_b64 exec, exec, s[2:3]
	s_and_b64 s[4:5], s[24:25], s[22:23]
	s_and_saveexec_b64 s[2:3], s[4:5]
	s_cbranch_execz .LBB202_224
.LBB202_286:
	s_and_b64 vcc, exec, s[0:1]
	s_cbranch_vccnz .LBB202_288
; %bb.287:
	v_lshl_add_u64 v[44:45], v[108:109], 3, v[130:131]
	global_load_dwordx2 v[44:45], v[44:45], off
	s_waitcnt vmcnt(0)
	v_mul_f64 v[44:45], s[70:71], v[44:45]
	s_branch .LBB202_289
.LBB202_288:
	v_mov_b64_e32 v[44:45], 0
.LBB202_289:
	v_add_f64 v[42:43], v[42:43], v[44:45]
	v_lshl_add_u64 v[44:45], v[108:109], 3, v[64:65]
	global_store_dwordx2 v[44:45], v[42:43], off
	s_or_b64 exec, exec, s[2:3]
	s_and_b64 s[4:5], s[24:25], s[26:27]
	s_and_saveexec_b64 s[2:3], s[4:5]
	s_cbranch_execz .LBB202_225
.LBB202_290:
	s_and_b64 vcc, exec, s[0:1]
	s_cbranch_vccnz .LBB202_292
; %bb.291:
	v_lshl_add_u64 v[42:43], v[106:107], 3, v[130:131]
	global_load_dwordx2 v[42:43], v[42:43], off
	s_waitcnt vmcnt(0)
	v_mul_f64 v[42:43], s[70:71], v[42:43]
	s_branch .LBB202_293
.LBB202_292:
	v_mov_b64_e32 v[42:43], 0
.LBB202_293:
	v_add_f64 v[40:41], v[40:41], v[42:43]
	v_lshl_add_u64 v[42:43], v[106:107], 3, v[64:65]
	global_store_dwordx2 v[42:43], v[40:41], off
	s_or_b64 exec, exec, s[2:3]
	s_and_b64 s[4:5], s[24:25], s[28:29]
	s_and_saveexec_b64 s[2:3], s[4:5]
	s_cbranch_execz .LBB202_226
.LBB202_294:
	s_and_b64 vcc, exec, s[0:1]
	s_cbranch_vccnz .LBB202_296
; %bb.295:
	v_lshl_add_u64 v[40:41], v[104:105], 3, v[130:131]
	global_load_dwordx2 v[40:41], v[40:41], off
	s_waitcnt vmcnt(0)
	v_mul_f64 v[40:41], s[70:71], v[40:41]
	s_branch .LBB202_297
.LBB202_296:
	v_mov_b64_e32 v[40:41], 0
.LBB202_297:
	v_add_f64 v[38:39], v[38:39], v[40:41]
	v_lshl_add_u64 v[40:41], v[104:105], 3, v[64:65]
	global_store_dwordx2 v[40:41], v[38:39], off
	s_or_b64 exec, exec, s[2:3]
	s_and_b64 s[4:5], s[24:25], s[30:31]
	s_and_saveexec_b64 s[2:3], s[4:5]
	s_cbranch_execz .LBB202_227
.LBB202_298:
	s_and_b64 vcc, exec, s[0:1]
	s_cbranch_vccnz .LBB202_300
; %bb.299:
	v_lshl_add_u64 v[38:39], v[102:103], 3, v[130:131]
	global_load_dwordx2 v[38:39], v[38:39], off
	s_waitcnt vmcnt(0)
	v_mul_f64 v[38:39], s[70:71], v[38:39]
	s_branch .LBB202_301
.LBB202_300:
	v_mov_b64_e32 v[38:39], 0
.LBB202_301:
	v_add_f64 v[36:37], v[36:37], v[38:39]
	v_lshl_add_u64 v[38:39], v[102:103], 3, v[64:65]
	global_store_dwordx2 v[38:39], v[36:37], off
	s_or_b64 exec, exec, s[2:3]
	s_and_b64 s[4:5], s[24:25], s[34:35]
	s_and_saveexec_b64 s[2:3], s[4:5]
	s_cbranch_execz .LBB202_228
.LBB202_302:
	s_and_b64 vcc, exec, s[0:1]
	s_cbranch_vccnz .LBB202_304
; %bb.303:
	v_lshl_add_u64 v[36:37], v[100:101], 3, v[130:131]
	global_load_dwordx2 v[36:37], v[36:37], off
	s_waitcnt vmcnt(0)
	v_mul_f64 v[36:37], s[70:71], v[36:37]
	s_branch .LBB202_305
.LBB202_304:
	v_mov_b64_e32 v[36:37], 0
.LBB202_305:
	v_add_f64 v[34:35], v[34:35], v[36:37]
	v_lshl_add_u64 v[36:37], v[100:101], 3, v[64:65]
	global_store_dwordx2 v[36:37], v[34:35], off
	s_or_b64 exec, exec, s[2:3]
	s_and_b64 s[4:5], s[24:25], s[36:37]
	s_and_saveexec_b64 s[2:3], s[4:5]
	s_cbranch_execz .LBB202_229
.LBB202_306:
	s_and_b64 vcc, exec, s[0:1]
	s_cbranch_vccnz .LBB202_308
; %bb.307:
	v_lshl_add_u64 v[34:35], v[98:99], 3, v[130:131]
	global_load_dwordx2 v[34:35], v[34:35], off
	s_waitcnt vmcnt(0)
	v_mul_f64 v[34:35], s[70:71], v[34:35]
	s_branch .LBB202_309
.LBB202_308:
	v_mov_b64_e32 v[34:35], 0
.LBB202_309:
	v_add_f64 v[32:33], v[32:33], v[34:35]
	v_lshl_add_u64 v[34:35], v[98:99], 3, v[64:65]
	global_store_dwordx2 v[34:35], v[32:33], off
	s_or_b64 exec, exec, s[2:3]
	s_and_b64 s[4:5], s[24:25], s[38:39]
	s_and_saveexec_b64 s[2:3], s[4:5]
	s_cbranch_execz .LBB202_230
.LBB202_310:
	s_and_b64 vcc, exec, s[0:1]
	s_cbranch_vccnz .LBB202_312
; %bb.311:
	v_lshl_add_u64 v[32:33], v[96:97], 3, v[130:131]
	global_load_dwordx2 v[32:33], v[32:33], off
	s_waitcnt vmcnt(0)
	v_mul_f64 v[32:33], s[70:71], v[32:33]
	s_branch .LBB202_313
.LBB202_312:
	v_mov_b64_e32 v[32:33], 0
.LBB202_313:
	v_add_f64 v[30:31], v[30:31], v[32:33]
	v_lshl_add_u64 v[32:33], v[96:97], 3, v[64:65]
	global_store_dwordx2 v[32:33], v[30:31], off
	s_or_b64 exec, exec, s[2:3]
	s_and_b64 s[4:5], s[24:25], s[40:41]
	s_and_saveexec_b64 s[2:3], s[4:5]
	s_cbranch_execz .LBB202_231
.LBB202_314:
	s_and_b64 vcc, exec, s[0:1]
	s_cbranch_vccnz .LBB202_316
; %bb.315:
	v_lshl_add_u64 v[30:31], v[94:95], 3, v[130:131]
	global_load_dwordx2 v[30:31], v[30:31], off
	s_waitcnt vmcnt(0)
	v_mul_f64 v[30:31], s[70:71], v[30:31]
	s_branch .LBB202_317
.LBB202_316:
	v_mov_b64_e32 v[30:31], 0
.LBB202_317:
	v_add_f64 v[28:29], v[28:29], v[30:31]
	v_lshl_add_u64 v[30:31], v[94:95], 3, v[64:65]
	global_store_dwordx2 v[30:31], v[28:29], off
	s_or_b64 exec, exec, s[2:3]
	s_and_b64 s[4:5], s[24:25], s[42:43]
	s_and_saveexec_b64 s[2:3], s[4:5]
	s_cbranch_execz .LBB202_232
.LBB202_318:
	s_and_b64 vcc, exec, s[0:1]
	s_cbranch_vccnz .LBB202_320
; %bb.319:
	v_lshl_add_u64 v[28:29], v[92:93], 3, v[130:131]
	global_load_dwordx2 v[28:29], v[28:29], off
	s_waitcnt vmcnt(0)
	v_mul_f64 v[28:29], s[70:71], v[28:29]
	s_branch .LBB202_321
.LBB202_320:
	v_mov_b64_e32 v[28:29], 0
.LBB202_321:
	v_add_f64 v[26:27], v[26:27], v[28:29]
	v_lshl_add_u64 v[28:29], v[92:93], 3, v[64:65]
	global_store_dwordx2 v[28:29], v[26:27], off
	s_or_b64 exec, exec, s[2:3]
	s_and_b64 s[4:5], s[24:25], s[44:45]
	s_and_saveexec_b64 s[2:3], s[4:5]
	s_cbranch_execz .LBB202_233
.LBB202_322:
	s_and_b64 vcc, exec, s[0:1]
	s_cbranch_vccnz .LBB202_324
; %bb.323:
	v_lshl_add_u64 v[26:27], v[90:91], 3, v[130:131]
	global_load_dwordx2 v[26:27], v[26:27], off
	s_waitcnt vmcnt(0)
	v_mul_f64 v[26:27], s[70:71], v[26:27]
	s_branch .LBB202_325
.LBB202_324:
	v_mov_b64_e32 v[26:27], 0
.LBB202_325:
	v_add_f64 v[24:25], v[24:25], v[26:27]
	v_lshl_add_u64 v[26:27], v[90:91], 3, v[64:65]
	global_store_dwordx2 v[26:27], v[24:25], off
	s_or_b64 exec, exec, s[2:3]
	s_and_b64 s[4:5], s[24:25], s[46:47]
	s_and_saveexec_b64 s[2:3], s[4:5]
	s_cbranch_execz .LBB202_234
.LBB202_326:
	s_and_b64 vcc, exec, s[0:1]
	s_cbranch_vccnz .LBB202_328
; %bb.327:
	v_lshl_add_u64 v[24:25], v[88:89], 3, v[130:131]
	global_load_dwordx2 v[24:25], v[24:25], off
	s_waitcnt vmcnt(0)
	v_mul_f64 v[24:25], s[70:71], v[24:25]
	s_branch .LBB202_329
.LBB202_328:
	v_mov_b64_e32 v[24:25], 0
.LBB202_329:
	v_add_f64 v[22:23], v[22:23], v[24:25]
	v_lshl_add_u64 v[24:25], v[88:89], 3, v[64:65]
	global_store_dwordx2 v[24:25], v[22:23], off
	s_or_b64 exec, exec, s[2:3]
	s_and_b64 s[4:5], s[24:25], s[48:49]
	s_and_saveexec_b64 s[2:3], s[4:5]
	s_cbranch_execz .LBB202_235
.LBB202_330:
	s_and_b64 vcc, exec, s[0:1]
	s_cbranch_vccnz .LBB202_332
; %bb.331:
	v_lshl_add_u64 v[22:23], v[86:87], 3, v[130:131]
	global_load_dwordx2 v[22:23], v[22:23], off
	s_waitcnt vmcnt(0)
	v_mul_f64 v[22:23], s[70:71], v[22:23]
	s_branch .LBB202_333
.LBB202_332:
	v_mov_b64_e32 v[22:23], 0
.LBB202_333:
	v_add_f64 v[20:21], v[20:21], v[22:23]
	v_lshl_add_u64 v[22:23], v[86:87], 3, v[64:65]
	global_store_dwordx2 v[22:23], v[20:21], off
	s_or_b64 exec, exec, s[2:3]
	s_and_b64 s[4:5], s[24:25], s[50:51]
	s_and_saveexec_b64 s[2:3], s[4:5]
	s_cbranch_execz .LBB202_236
.LBB202_334:
	s_and_b64 vcc, exec, s[0:1]
	s_cbranch_vccnz .LBB202_336
; %bb.335:
	v_lshl_add_u64 v[20:21], v[84:85], 3, v[130:131]
	global_load_dwordx2 v[20:21], v[20:21], off
	s_waitcnt vmcnt(0)
	v_mul_f64 v[20:21], s[70:71], v[20:21]
	s_branch .LBB202_337
.LBB202_336:
	v_mov_b64_e32 v[20:21], 0
.LBB202_337:
	v_add_f64 v[18:19], v[18:19], v[20:21]
	v_lshl_add_u64 v[20:21], v[84:85], 3, v[64:65]
	global_store_dwordx2 v[20:21], v[18:19], off
	s_or_b64 exec, exec, s[2:3]
	s_and_b64 s[4:5], s[24:25], s[52:53]
	s_and_saveexec_b64 s[2:3], s[4:5]
	s_cbranch_execz .LBB202_237
.LBB202_338:
	s_and_b64 vcc, exec, s[0:1]
	s_cbranch_vccnz .LBB202_340
; %bb.339:
	v_lshl_add_u64 v[18:19], v[82:83], 3, v[130:131]
	global_load_dwordx2 v[18:19], v[18:19], off
	s_waitcnt vmcnt(0)
	v_mul_f64 v[18:19], s[70:71], v[18:19]
	s_branch .LBB202_341
.LBB202_340:
	v_mov_b64_e32 v[18:19], 0
.LBB202_341:
	v_add_f64 v[16:17], v[16:17], v[18:19]
	v_lshl_add_u64 v[18:19], v[82:83], 3, v[64:65]
	global_store_dwordx2 v[18:19], v[16:17], off
	s_or_b64 exec, exec, s[2:3]
	s_and_b64 s[4:5], s[24:25], s[54:55]
	s_and_saveexec_b64 s[2:3], s[4:5]
	s_cbranch_execz .LBB202_238
.LBB202_342:
	s_and_b64 vcc, exec, s[0:1]
	s_cbranch_vccnz .LBB202_344
; %bb.343:
	v_lshl_add_u64 v[16:17], v[80:81], 3, v[130:131]
	global_load_dwordx2 v[16:17], v[16:17], off
	s_waitcnt vmcnt(0)
	v_mul_f64 v[16:17], s[70:71], v[16:17]
	s_branch .LBB202_345
.LBB202_344:
	v_mov_b64_e32 v[16:17], 0
.LBB202_345:
	v_add_f64 v[14:15], v[14:15], v[16:17]
	v_lshl_add_u64 v[16:17], v[80:81], 3, v[64:65]
	global_store_dwordx2 v[16:17], v[14:15], off
	s_or_b64 exec, exec, s[2:3]
	s_and_b64 s[4:5], s[24:25], s[56:57]
	s_and_saveexec_b64 s[2:3], s[4:5]
	s_cbranch_execz .LBB202_239
.LBB202_346:
	s_and_b64 vcc, exec, s[0:1]
	s_cbranch_vccnz .LBB202_348
; %bb.347:
	v_lshl_add_u64 v[14:15], v[78:79], 3, v[130:131]
	global_load_dwordx2 v[14:15], v[14:15], off
	s_waitcnt vmcnt(0)
	v_mul_f64 v[14:15], s[70:71], v[14:15]
	s_branch .LBB202_349
.LBB202_348:
	v_mov_b64_e32 v[14:15], 0
.LBB202_349:
	v_add_f64 v[12:13], v[12:13], v[14:15]
	v_lshl_add_u64 v[14:15], v[78:79], 3, v[64:65]
	global_store_dwordx2 v[14:15], v[12:13], off
	s_or_b64 exec, exec, s[2:3]
	s_and_b64 s[4:5], s[24:25], s[58:59]
	s_and_saveexec_b64 s[2:3], s[4:5]
	s_cbranch_execz .LBB202_240
.LBB202_350:
	s_and_b64 vcc, exec, s[0:1]
	s_cbranch_vccnz .LBB202_352
; %bb.351:
	v_lshl_add_u64 v[12:13], v[76:77], 3, v[130:131]
	global_load_dwordx2 v[12:13], v[12:13], off
	s_waitcnt vmcnt(0)
	v_mul_f64 v[12:13], s[70:71], v[12:13]
	s_branch .LBB202_353
.LBB202_352:
	v_mov_b64_e32 v[12:13], 0
.LBB202_353:
	v_add_f64 v[10:11], v[10:11], v[12:13]
	v_lshl_add_u64 v[12:13], v[76:77], 3, v[64:65]
	global_store_dwordx2 v[12:13], v[10:11], off
	s_or_b64 exec, exec, s[2:3]
	s_and_b64 s[4:5], s[24:25], s[60:61]
	s_and_saveexec_b64 s[2:3], s[4:5]
	s_cbranch_execz .LBB202_241
.LBB202_354:
	s_and_b64 vcc, exec, s[0:1]
	s_cbranch_vccnz .LBB202_356
; %bb.355:
	v_lshl_add_u64 v[10:11], v[74:75], 3, v[130:131]
	global_load_dwordx2 v[10:11], v[10:11], off
	s_waitcnt vmcnt(0)
	v_mul_f64 v[10:11], s[70:71], v[10:11]
	s_branch .LBB202_357
.LBB202_356:
	v_mov_b64_e32 v[10:11], 0
.LBB202_357:
	v_add_f64 v[8:9], v[8:9], v[10:11]
	v_lshl_add_u64 v[10:11], v[74:75], 3, v[64:65]
	global_store_dwordx2 v[10:11], v[8:9], off
	s_or_b64 exec, exec, s[2:3]
	s_and_b64 s[4:5], s[24:25], s[62:63]
	s_and_saveexec_b64 s[2:3], s[4:5]
	s_cbranch_execz .LBB202_242
.LBB202_358:
	s_and_b64 vcc, exec, s[0:1]
	s_cbranch_vccnz .LBB202_360
; %bb.359:
	v_lshl_add_u64 v[8:9], v[72:73], 3, v[130:131]
	global_load_dwordx2 v[8:9], v[8:9], off
	s_waitcnt vmcnt(0)
	v_mul_f64 v[8:9], s[70:71], v[8:9]
	s_branch .LBB202_361
.LBB202_360:
	v_mov_b64_e32 v[8:9], 0
.LBB202_361:
	v_add_f64 v[6:7], v[6:7], v[8:9]
	v_lshl_add_u64 v[8:9], v[72:73], 3, v[64:65]
	global_store_dwordx2 v[8:9], v[6:7], off
	s_or_b64 exec, exec, s[2:3]
	s_and_b64 s[4:5], s[24:25], s[64:65]
	s_and_saveexec_b64 s[2:3], s[4:5]
	s_cbranch_execz .LBB202_243
.LBB202_362:
	s_and_b64 vcc, exec, s[0:1]
	s_cbranch_vccnz .LBB202_364
; %bb.363:
	v_lshl_add_u64 v[6:7], v[70:71], 3, v[130:131]
	global_load_dwordx2 v[6:7], v[6:7], off
	s_waitcnt vmcnt(0)
	v_mul_f64 v[6:7], s[70:71], v[6:7]
	s_branch .LBB202_365
.LBB202_364:
	v_mov_b64_e32 v[6:7], 0
.LBB202_365:
	v_add_f64 v[4:5], v[4:5], v[6:7]
	v_lshl_add_u64 v[6:7], v[70:71], 3, v[64:65]
	global_store_dwordx2 v[6:7], v[4:5], off
	s_or_b64 exec, exec, s[2:3]
	s_and_b64 s[4:5], s[24:25], s[66:67]
	s_and_saveexec_b64 s[2:3], s[4:5]
	s_cbranch_execz .LBB202_244
.LBB202_366:
	s_and_b64 vcc, exec, s[0:1]
	s_cbranch_vccnz .LBB202_368
; %bb.367:
	v_lshl_add_u64 v[4:5], v[68:69], 3, v[130:131]
	global_load_dwordx2 v[4:5], v[4:5], off
	s_waitcnt vmcnt(0)
	v_mul_f64 v[4:5], s[70:71], v[4:5]
	s_branch .LBB202_369
.LBB202_368:
	v_mov_b64_e32 v[4:5], 0
.LBB202_369:
	v_add_f64 v[2:3], v[2:3], v[4:5]
	v_lshl_add_u64 v[4:5], v[68:69], 3, v[64:65]
	global_store_dwordx2 v[4:5], v[2:3], off
	s_or_b64 exec, exec, s[2:3]
	s_and_b64 s[2:3], s[24:25], s[68:69]
	s_and_saveexec_b64 s[4:5], s[2:3]
	s_cbranch_execz .LBB202_245
.LBB202_370:
	s_and_b64 vcc, exec, s[0:1]
	s_cbranch_vccnz .LBB202_372
; %bb.371:
	v_lshl_add_u64 v[2:3], v[66:67], 3, v[130:131]
	global_load_dwordx2 v[2:3], v[2:3], off
	s_waitcnt vmcnt(0)
	v_mul_f64 v[2:3], s[70:71], v[2:3]
	v_add_f64 v[0:1], v[0:1], v[2:3]
	v_lshl_add_u64 v[2:3], v[66:67], 3, v[64:65]
	global_store_dwordx2 v[2:3], v[0:1], off
	s_endpgm
.LBB202_372:
	v_mov_b64_e32 v[2:3], 0
	v_add_f64 v[0:1], v[0:1], v[2:3]
	v_lshl_add_u64 v[2:3], v[66:67], 3, v[64:65]
	global_store_dwordx2 v[2:3], v[0:1], off
	s_endpgm
	.section	.rodata,"a",@progbits
	.p2align	6, 0x0
	.amdhsa_kernel _ZN12_GLOBAL__N_120geam_min_plus_kernelIdddLi4ELi64ELi128ELi128ELi4ELi4ELi64ELi64ELi4ELc84ELc84ELb1ELb1ELb0EdKddEEviiiT16_PT17_ilS4_ilS2_S4_ilPT18_ili26rocblas_geam_ex_operation_
		.amdhsa_group_segment_fixed_size 16384
		.amdhsa_private_segment_fixed_size 0
		.amdhsa_kernarg_size 136
		.amdhsa_user_sgpr_count 2
		.amdhsa_user_sgpr_dispatch_ptr 0
		.amdhsa_user_sgpr_queue_ptr 0
		.amdhsa_user_sgpr_kernarg_segment_ptr 1
		.amdhsa_user_sgpr_dispatch_id 0
		.amdhsa_user_sgpr_kernarg_preload_length 0
		.amdhsa_user_sgpr_kernarg_preload_offset 0
		.amdhsa_user_sgpr_private_segment_size 0
		.amdhsa_uses_dynamic_stack 0
		.amdhsa_enable_private_segment 0
		.amdhsa_system_sgpr_workgroup_id_x 1
		.amdhsa_system_sgpr_workgroup_id_y 0
		.amdhsa_system_sgpr_workgroup_id_z 1
		.amdhsa_system_sgpr_workgroup_info 0
		.amdhsa_system_vgpr_workitem_id 1
		.amdhsa_next_free_vgpr 254
		.amdhsa_next_free_sgpr 82
		.amdhsa_accum_offset 256
		.amdhsa_reserve_vcc 1
		.amdhsa_float_round_mode_32 0
		.amdhsa_float_round_mode_16_64 0
		.amdhsa_float_denorm_mode_32 3
		.amdhsa_float_denorm_mode_16_64 3
		.amdhsa_dx10_clamp 1
		.amdhsa_ieee_mode 1
		.amdhsa_fp16_overflow 0
		.amdhsa_tg_split 0
		.amdhsa_exception_fp_ieee_invalid_op 0
		.amdhsa_exception_fp_denorm_src 0
		.amdhsa_exception_fp_ieee_div_zero 0
		.amdhsa_exception_fp_ieee_overflow 0
		.amdhsa_exception_fp_ieee_underflow 0
		.amdhsa_exception_fp_ieee_inexact 0
		.amdhsa_exception_int_div_zero 0
	.end_amdhsa_kernel
	.section	.text._ZN12_GLOBAL__N_120geam_min_plus_kernelIdddLi4ELi64ELi128ELi128ELi4ELi4ELi64ELi64ELi4ELc84ELc84ELb1ELb1ELb0EdKddEEviiiT16_PT17_ilS4_ilS2_S4_ilPT18_ili26rocblas_geam_ex_operation_,"axG",@progbits,_ZN12_GLOBAL__N_120geam_min_plus_kernelIdddLi4ELi64ELi128ELi128ELi4ELi4ELi64ELi64ELi4ELc84ELc84ELb1ELb1ELb0EdKddEEviiiT16_PT17_ilS4_ilS2_S4_ilPT18_ili26rocblas_geam_ex_operation_,comdat
.Lfunc_end202:
	.size	_ZN12_GLOBAL__N_120geam_min_plus_kernelIdddLi4ELi64ELi128ELi128ELi4ELi4ELi64ELi64ELi4ELc84ELc84ELb1ELb1ELb0EdKddEEviiiT16_PT17_ilS4_ilS2_S4_ilPT18_ili26rocblas_geam_ex_operation_, .Lfunc_end202-_ZN12_GLOBAL__N_120geam_min_plus_kernelIdddLi4ELi64ELi128ELi128ELi4ELi4ELi64ELi64ELi4ELc84ELc84ELb1ELb1ELb0EdKddEEviiiT16_PT17_ilS4_ilS2_S4_ilPT18_ili26rocblas_geam_ex_operation_
                                        ; -- End function
	.set _ZN12_GLOBAL__N_120geam_min_plus_kernelIdddLi4ELi64ELi128ELi128ELi4ELi4ELi64ELi64ELi4ELc84ELc84ELb1ELb1ELb0EdKddEEviiiT16_PT17_ilS4_ilS2_S4_ilPT18_ili26rocblas_geam_ex_operation_.num_vgpr, 254
	.set _ZN12_GLOBAL__N_120geam_min_plus_kernelIdddLi4ELi64ELi128ELi128ELi4ELi4ELi64ELi64ELi4ELc84ELc84ELb1ELb1ELb0EdKddEEviiiT16_PT17_ilS4_ilS2_S4_ilPT18_ili26rocblas_geam_ex_operation_.num_agpr, 0
	.set _ZN12_GLOBAL__N_120geam_min_plus_kernelIdddLi4ELi64ELi128ELi128ELi4ELi4ELi64ELi64ELi4ELc84ELc84ELb1ELb1ELb0EdKddEEviiiT16_PT17_ilS4_ilS2_S4_ilPT18_ili26rocblas_geam_ex_operation_.numbered_sgpr, 82
	.set _ZN12_GLOBAL__N_120geam_min_plus_kernelIdddLi4ELi64ELi128ELi128ELi4ELi4ELi64ELi64ELi4ELc84ELc84ELb1ELb1ELb0EdKddEEviiiT16_PT17_ilS4_ilS2_S4_ilPT18_ili26rocblas_geam_ex_operation_.num_named_barrier, 0
	.set _ZN12_GLOBAL__N_120geam_min_plus_kernelIdddLi4ELi64ELi128ELi128ELi4ELi4ELi64ELi64ELi4ELc84ELc84ELb1ELb1ELb0EdKddEEviiiT16_PT17_ilS4_ilS2_S4_ilPT18_ili26rocblas_geam_ex_operation_.private_seg_size, 0
	.set _ZN12_GLOBAL__N_120geam_min_plus_kernelIdddLi4ELi64ELi128ELi128ELi4ELi4ELi64ELi64ELi4ELc84ELc84ELb1ELb1ELb0EdKddEEviiiT16_PT17_ilS4_ilS2_S4_ilPT18_ili26rocblas_geam_ex_operation_.uses_vcc, 1
	.set _ZN12_GLOBAL__N_120geam_min_plus_kernelIdddLi4ELi64ELi128ELi128ELi4ELi4ELi64ELi64ELi4ELc84ELc84ELb1ELb1ELb0EdKddEEviiiT16_PT17_ilS4_ilS2_S4_ilPT18_ili26rocblas_geam_ex_operation_.uses_flat_scratch, 0
	.set _ZN12_GLOBAL__N_120geam_min_plus_kernelIdddLi4ELi64ELi128ELi128ELi4ELi4ELi64ELi64ELi4ELc84ELc84ELb1ELb1ELb0EdKddEEviiiT16_PT17_ilS4_ilS2_S4_ilPT18_ili26rocblas_geam_ex_operation_.has_dyn_sized_stack, 0
	.set _ZN12_GLOBAL__N_120geam_min_plus_kernelIdddLi4ELi64ELi128ELi128ELi4ELi4ELi64ELi64ELi4ELc84ELc84ELb1ELb1ELb0EdKddEEviiiT16_PT17_ilS4_ilS2_S4_ilPT18_ili26rocblas_geam_ex_operation_.has_recursion, 0
	.set _ZN12_GLOBAL__N_120geam_min_plus_kernelIdddLi4ELi64ELi128ELi128ELi4ELi4ELi64ELi64ELi4ELc84ELc84ELb1ELb1ELb0EdKddEEviiiT16_PT17_ilS4_ilS2_S4_ilPT18_ili26rocblas_geam_ex_operation_.has_indirect_call, 0
	.section	.AMDGPU.csdata,"",@progbits
; Kernel info:
; codeLenInByte = 14376
; TotalNumSgprs: 88
; NumVgprs: 254
; NumAgprs: 0
; TotalNumVgprs: 254
; ScratchSize: 0
; MemoryBound: 0
; FloatMode: 240
; IeeeMode: 1
; LDSByteSize: 16384 bytes/workgroup (compile time only)
; SGPRBlocks: 10
; VGPRBlocks: 31
; NumSGPRsForWavesPerEU: 88
; NumVGPRsForWavesPerEU: 254
; AccumOffset: 256
; Occupancy: 2
; WaveLimiterHint : 0
; COMPUTE_PGM_RSRC2:SCRATCH_EN: 0
; COMPUTE_PGM_RSRC2:USER_SGPR: 2
; COMPUTE_PGM_RSRC2:TRAP_HANDLER: 0
; COMPUTE_PGM_RSRC2:TGID_X_EN: 1
; COMPUTE_PGM_RSRC2:TGID_Y_EN: 0
; COMPUTE_PGM_RSRC2:TGID_Z_EN: 1
; COMPUTE_PGM_RSRC2:TIDIG_COMP_CNT: 1
; COMPUTE_PGM_RSRC3_GFX90A:ACCUM_OFFSET: 63
; COMPUTE_PGM_RSRC3_GFX90A:TG_SPLIT: 0
	.section	.text._ZN12_GLOBAL__N_120geam_min_plus_kernelIdddLi4ELi64ELi128ELi128ELi4ELi4ELi64ELi64ELi4ELc84ELc84ELb0ELb1ELb0EdKddEEviiiT16_PT17_ilS4_ilS2_S4_ilPT18_ili26rocblas_geam_ex_operation_,"axG",@progbits,_ZN12_GLOBAL__N_120geam_min_plus_kernelIdddLi4ELi64ELi128ELi128ELi4ELi4ELi64ELi64ELi4ELc84ELc84ELb0ELb1ELb0EdKddEEviiiT16_PT17_ilS4_ilS2_S4_ilPT18_ili26rocblas_geam_ex_operation_,comdat
	.globl	_ZN12_GLOBAL__N_120geam_min_plus_kernelIdddLi4ELi64ELi128ELi128ELi4ELi4ELi64ELi64ELi4ELc84ELc84ELb0ELb1ELb0EdKddEEviiiT16_PT17_ilS4_ilS2_S4_ilPT18_ili26rocblas_geam_ex_operation_ ; -- Begin function _ZN12_GLOBAL__N_120geam_min_plus_kernelIdddLi4ELi64ELi128ELi128ELi4ELi4ELi64ELi64ELi4ELc84ELc84ELb0ELb1ELb0EdKddEEviiiT16_PT17_ilS4_ilS2_S4_ilPT18_ili26rocblas_geam_ex_operation_
	.p2align	8
	.type	_ZN12_GLOBAL__N_120geam_min_plus_kernelIdddLi4ELi64ELi128ELi128ELi4ELi4ELi64ELi64ELi4ELc84ELc84ELb0ELb1ELb0EdKddEEviiiT16_PT17_ilS4_ilS2_S4_ilPT18_ili26rocblas_geam_ex_operation_,@function
_ZN12_GLOBAL__N_120geam_min_plus_kernelIdddLi4ELi64ELi128ELi128ELi4ELi4ELi64ELi64ELi4ELc84ELc84ELb0ELb1ELb0EdKddEEviiiT16_PT17_ilS4_ilS2_S4_ilPT18_ili26rocblas_geam_ex_operation_: ; @_ZN12_GLOBAL__N_120geam_min_plus_kernelIdddLi4ELi64ELi128ELi128ELi4ELi4ELi64ELi64ELi4ELc84ELc84ELb0ELb1ELb0EdKddEEviiiT16_PT17_ilS4_ilS2_S4_ilPT18_ili26rocblas_geam_ex_operation_
; %bb.0:
	s_load_dwordx4 s[16:19], s[0:1], 0x10
	s_load_dwordx4 s[4:7], s[0:1], 0x28
	s_mov_b64 s[20:21], 0
	s_waitcnt lgkmcnt(0)
	v_cmp_eq_f64_e64 s[8:9], s[16:17], 0
	s_and_b64 vcc, exec, s[8:9]
	s_cbranch_vccnz .LBB203_2
; %bb.1:
	s_mul_i32 s5, s5, s3
	s_mul_hi_u32 s10, s4, s3
	s_add_i32 s5, s10, s5
	s_mul_i32 s4, s4, s3
	s_lshl_b64 s[4:5], s[4:5], 3
	s_add_u32 s20, s18, s4
	s_addc_u32 s21, s19, s5
.LBB203_2:
	s_load_dwordx4 s[68:71], s[0:1], 0x40
	s_load_dwordx2 s[4:5], s[0:1], 0x50
	s_andn2_b64 vcc, exec, s[8:9]
	s_mov_b64 s[8:9], -1
	s_cbranch_vccnz .LBB203_4
; %bb.3:
	s_mov_b64 s[8:9], 0
.LBB203_4:
	s_mov_b64 s[76:77], 0
	s_andn2_b64 vcc, exec, s[8:9]
	s_mov_b64 s[22:23], 0
	s_cbranch_vccnz .LBB203_6
; %bb.5:
	s_waitcnt lgkmcnt(0)
	s_mul_i32 s8, s69, s3
	s_mul_hi_u32 s9, s68, s3
	s_add_i32 s9, s9, s8
	s_mul_i32 s8, s68, s3
	s_lshl_b64 s[8:9], s[8:9], 3
	s_add_u32 s22, s6, s8
	s_addc_u32 s23, s7, s9
.LBB203_6:
	s_load_dwordx4 s[12:15], s[0:1], 0x60
	s_waitcnt lgkmcnt(0)
	v_cmp_eq_f64_e64 s[6:7], s[70:71], 0
	v_cmp_neq_f64_e64 s[18:19], s[70:71], 0
	s_and_b64 vcc, exec, s[6:7]
	s_cbranch_vccnz .LBB203_8
; %bb.7:
	s_mul_i32 s6, s13, s3
	s_mul_hi_u32 s7, s12, s3
	s_add_i32 s7, s7, s6
	s_mul_i32 s6, s12, s3
	s_lshl_b64 s[6:7], s[6:7], 3
	s_add_u32 s76, s4, s6
	s_addc_u32 s77, s5, s7
.LBB203_8:
	s_load_dwordx4 s[72:75], s[0:1], 0x0
	s_load_dword s30, s[0:1], 0x20
	v_and_b32_e32 v144, 0x3ff, v0
	v_bfe_u32 v145, v0, 10, 10
	v_and_b32_e32 v146, 3, v0
	s_waitcnt lgkmcnt(0)
	s_add_i32 s4, s72, -1
	s_ashr_i32 s5, s4, 31
	s_lshr_b32 s5, s5, 25
	s_add_i32 s4, s4, s5
	s_ashr_i32 s4, s4, 7
	s_add_i32 s5, s4, 1
	v_cvt_f32_u32_e32 v1, s5
	s_not_b32 s4, s4
	v_lshl_add_u32 v6, v145, 2, v144
	v_lshrrev_b32_e32 v139, 2, v6
	v_rcp_iflag_f32_e32 v1, v1
	v_cmp_le_i32_e32 vcc, s74, v146
	v_cmp_eq_f64_e64 s[12:13], s[16:17], 0
	v_mul_f32_e32 v0, 0x4f7ffffe, v1
	v_cvt_u32_f32_e32 v0, v0
	s_nop 0
	v_readfirstlane_b32 s6, v0
	s_mul_i32 s4, s4, s6
	s_mul_hi_u32 s4, s6, s4
	s_add_i32 s6, s6, s4
	s_mul_hi_u32 s4, s2, s6
	s_mul_i32 s6, s4, s5
	s_sub_i32 s6, s2, s6
	s_add_i32 s7, s4, 1
	s_sub_i32 s8, s6, s5
	s_cmp_ge_u32 s6, s5
	s_cselect_b32 s4, s7, s4
	s_cselect_b32 s6, s8, s6
	s_add_i32 s7, s4, 1
	s_cmp_ge_u32 s6, s5
	s_cselect_b32 s10, s7, s4
	s_mul_i32 s4, s10, s5
	s_sub_i32 s2, s2, s4
	s_lshl_b32 s2, s2, 7
	s_add_i32 s27, s74, -1
	v_add_u32_e32 v138, s2, v139
	v_min_i32_e32 v2, s27, v146
	v_cmp_le_i32_e64 s[6:7], s72, v138
	v_ashrrev_i32_e32 v3, 31, v2
	s_or_b64 s[4:5], vcc, s[6:7]
	v_mov_b64_e32 v[0:1], 0
	v_lshl_add_u64 v[4:5], v[2:3], 3, s[20:21]
	s_nor_b64 s[8:9], s[12:13], s[4:5]
	v_mov_b64_e32 v[2:3], 0
	s_and_saveexec_b64 s[4:5], s[8:9]
	s_cbranch_execz .LBB203_10
; %bb.9:
	v_mad_i64_i32 v[2:3], s[8:9], v138, s30, 0
	v_lshl_add_u64 v[2:3], v[2:3], 3, v[4:5]
	global_load_dwordx2 v[2:3], v[2:3], off
	s_waitcnt vmcnt(0)
	v_mul_f64 v[2:3], s[16:17], v[2:3]
.LBB203_10:
	s_or_b64 exec, exec, s[4:5]
	v_add_u32_e32 v140, 64, v138
	v_cmp_le_i32_e64 s[8:9], s72, v140
	s_or_b64 s[4:5], vcc, s[8:9]
	s_nor_b64 s[24:25], s[12:13], s[4:5]
	s_and_saveexec_b64 s[4:5], s[24:25]
	s_cbranch_execz .LBB203_12
; %bb.11:
	v_mad_i64_i32 v[0:1], s[24:25], v140, s30, 0
	v_lshl_add_u64 v[0:1], v[0:1], 3, v[4:5]
	global_load_dwordx2 v[0:1], v[0:1], off
	s_waitcnt vmcnt(0)
	v_mul_f64 v[0:1], s[16:17], v[0:1]
.LBB203_12:
	s_or_b64 exec, exec, s[4:5]
	s_load_dword s28, s[0:1], 0x38
	v_and_b32_e32 v10, 63, v6
	v_lshrrev_b32_e32 v147, 6, v6
	s_lshl_b32 s26, s10, 7
	v_or_b32_e32 v128, s26, v10
	v_min_i32_e32 v4, s27, v147
	v_cmp_le_i32_e32 vcc, s74, v147
	s_waitcnt lgkmcnt(0)
	v_mad_i64_i32 v[4:5], s[4:5], s28, v4, 0
	v_cmp_le_i32_e64 s[10:11], s73, v128
	s_or_b64 s[4:5], s[10:11], vcc
	v_lshl_add_u64 v[8:9], v[4:5], 3, s[22:23]
	s_nor_b64 s[24:25], s[12:13], s[4:5]
	v_mov_b64_e32 v[4:5], 0
	v_ashrrev_i32_e32 v129, 31, v128
	v_mov_b64_e32 v[6:7], 0
	s_and_saveexec_b64 s[4:5], s[24:25]
	s_cbranch_execz .LBB203_14
; %bb.13:
	v_lshl_add_u64 v[6:7], v[128:129], 3, v[8:9]
	global_load_dwordx2 v[6:7], v[6:7], off
	s_waitcnt vmcnt(0)
	v_mul_f64 v[6:7], s[16:17], v[6:7]
.LBB203_14:
	s_or_b64 exec, exec, s[4:5]
	v_or_b32_e32 v11, 64, v128
	v_cmp_le_i32_e64 s[4:5], s73, v11
	s_or_b64 s[24:25], s[4:5], vcc
	s_nor_b64 s[34:35], s[12:13], s[24:25]
	s_and_saveexec_b64 s[24:25], s[34:35]
	s_cbranch_execz .LBB203_16
; %bb.15:
	v_lshl_add_u64 v[4:5], v[128:129], 3, v[8:9]
	global_load_dwordx2 v[4:5], v[4:5], off offset:512
	s_waitcnt vmcnt(0)
	v_mul_f64 v[4:5], s[16:17], v[4:5]
.LBB203_16:
	s_or_b64 exec, exec, s[24:25]
	v_or_b32_e32 v8, 4, v146
	v_cmp_le_i32_e32 vcc, s74, v8
	v_min_i32_e32 v8, s27, v8
	v_ashrrev_i32_e32 v9, 31, v8
	s_or_b64 s[24:25], vcc, s[6:7]
	v_lshl_add_u64 v[8:9], v[8:9], 3, s[20:21]
	s_nor_b64 s[34:35], s[12:13], s[24:25]
	v_mov_b64_e32 v[130:131], 0
	v_mov_b64_e32 v[132:133], 0
	s_and_saveexec_b64 s[24:25], s[34:35]
	s_cbranch_execz .LBB203_18
; %bb.17:
	v_mad_i64_i32 v[12:13], s[34:35], v138, s30, 0
	v_lshl_add_u64 v[12:13], v[12:13], 3, v[8:9]
	global_load_dwordx2 v[12:13], v[12:13], off
	s_waitcnt vmcnt(0)
	v_mul_f64 v[132:133], s[16:17], v[12:13]
.LBB203_18:
	s_or_b64 exec, exec, s[24:25]
	s_or_b64 s[24:25], vcc, s[8:9]
	s_nor_b64 s[34:35], s[12:13], s[24:25]
	s_and_saveexec_b64 s[24:25], s[34:35]
	s_cbranch_execz .LBB203_20
; %bb.19:
	v_mad_i64_i32 v[12:13], s[34:35], v140, s30, 0
	v_lshl_add_u64 v[8:9], v[12:13], 3, v[8:9]
	global_load_dwordx2 v[8:9], v[8:9], off
	s_waitcnt vmcnt(0)
	v_mul_f64 v[130:131], s[16:17], v[8:9]
.LBB203_20:
	s_or_b64 exec, exec, s[24:25]
	v_add_u32_e32 v8, 4, v147
	v_cmp_le_i32_e32 vcc, s74, v8
	v_min_i32_e32 v8, s27, v8
	v_mad_i64_i32 v[8:9], s[24:25], s28, v8, 0
	s_or_b64 s[24:25], s[10:11], vcc
	v_lshl_add_u64 v[8:9], v[8:9], 3, s[22:23]
	s_nor_b64 s[34:35], s[12:13], s[24:25]
	v_mov_b64_e32 v[134:135], 0
	v_mov_b64_e32 v[136:137], 0
	s_and_saveexec_b64 s[24:25], s[34:35]
	s_cbranch_execz .LBB203_22
; %bb.21:
	v_lshl_add_u64 v[12:13], v[128:129], 3, v[8:9]
	global_load_dwordx2 v[12:13], v[12:13], off
	s_waitcnt vmcnt(0)
	v_mul_f64 v[136:137], s[16:17], v[12:13]
.LBB203_22:
	s_or_b64 exec, exec, s[24:25]
	s_or_b64 s[24:25], s[4:5], vcc
	s_nor_b64 s[34:35], s[12:13], s[24:25]
	s_and_saveexec_b64 s[24:25], s[34:35]
	s_cbranch_execz .LBB203_24
; %bb.23:
	v_lshl_add_u64 v[8:9], v[128:129], 3, v[8:9]
	global_load_dwordx2 v[8:9], v[8:9], off offset:512
	s_waitcnt vmcnt(0)
	v_mul_f64 v[134:135], s[16:17], v[8:9]
.LBB203_24:
	s_or_b64 exec, exec, s[24:25]
	v_lshlrev_b32_e32 v8, 5, v139
	v_lshl_or_b32 v149, v146, 3, v8
	ds_write2st64_b64 v149, v[2:3], v[0:1] offset1:4
	v_lshlrev_b32_e32 v0, 3, v147
	v_lshl_add_u32 v142, v10, 5, v0
	v_lshlrev_b32_e32 v141, 5, v145
	v_or_b32_e32 v150, 0x2000, v142
	ds_write2st64_b64 v142, v[6:7], v[4:5] offset0:16 offset1:20
	v_lshlrev_b32_e32 v151, 5, v144
	v_add_u32_e32 v152, 0x2000, v141
	v_mov_b64_e32 v[126:127], 0
	s_mov_b32 s24, 0
	v_mov_b64_e32 v[124:125], 0
	v_mov_b64_e32 v[122:123], 0
	;; [unrolled: 1-line block ×63, first 2 shown]
	s_waitcnt lgkmcnt(0)
	s_barrier
.LBB203_25:                             ; =>This Inner Loop Header: Depth=1
	v_add_u32_e32 v143, s24, v151
	v_add_u32_e32 v148, s24, v152
	ds_read2_b64 v[154:157], v143 offset1:16
	ds_read2_b64 v[158:161], v143 offset0:32 offset1:48
	ds_read2_b64 v[162:165], v143 offset0:64 offset1:80
	;; [unrolled: 1-line block ×7, first 2 shown]
	ds_read2st64_b64 v[186:189], v148 offset1:4
	v_add_u32_e32 v143, 0x800, v143
	ds_read2_b64 v[190:193], v143 offset1:16
	ds_read2_b64 v[194:197], v143 offset0:32 offset1:48
	ds_read2_b64 v[198:201], v143 offset0:64 offset1:80
	;; [unrolled: 1-line block ×7, first 2 shown]
	s_waitcnt lgkmcnt(14)
	v_max_f64 v[154:155], v[154:155], v[154:155]
	v_max_f64 v[156:157], v[156:157], v[156:157]
	;; [unrolled: 1-line block ×6, first 2 shown]
	s_waitcnt lgkmcnt(13)
	v_max_f64 v[166:167], v[166:167], v[166:167]
	v_max_f64 v[168:169], v[168:169], v[168:169]
	s_waitcnt lgkmcnt(12)
	v_max_f64 v[170:171], v[170:171], v[170:171]
	v_max_f64 v[172:173], v[172:173], v[172:173]
	;; [unrolled: 3-line block ×14, first 2 shown]
	v_min_f64 v[222:223], v[154:155], v[186:187]
	v_min_f64 v[224:225], v[156:157], v[186:187]
	;; [unrolled: 1-line block ×32, first 2 shown]
	s_add_i32 s24, s24, 8
	v_add_f64 v[62:63], v[62:63], v[154:155]
	v_add_f64 v[60:61], v[60:61], v[156:157]
	;; [unrolled: 1-line block ×16, first 2 shown]
	v_min_f64 v[154:155], v[190:191], v[186:187]
	v_min_f64 v[156:157], v[192:193], v[186:187]
	;; [unrolled: 1-line block ×32, first 2 shown]
	s_cmp_eq_u32 s24, 32
	v_add_f64 v[126:127], v[126:127], v[222:223]
	v_add_f64 v[124:125], v[124:125], v[224:225]
	;; [unrolled: 1-line block ×48, first 2 shown]
	s_cbranch_scc0 .LBB203_25
; %bb.26:
	v_lshlrev_b32_e32 v143, 3, v146
	v_lshl_or_b32 v139, v139, 5, v143
	s_cmp_gt_i32 s74, 8
	ds_write2st64_b64 v139, v[132:133], v[130:131] offset0:8 offset1:12
	ds_write2st64_b64 v142, v[136:137], v[134:135] offset0:24 offset1:28
	s_waitcnt lgkmcnt(0)
	s_barrier
	s_cbranch_scc1 .LBB203_28
; %bb.27:
	v_add_u32_e32 v148, 0x3000, v141
	s_cbranch_execz .LBB203_29
	s_branch .LBB203_51
.LBB203_28:
                                        ; implicit-def: $vgpr148
.LBB203_29:
	v_mov_b32_e32 v134, 0x1000
	v_add_u32_e32 v153, 0x1000, v139
	v_or_b32_e32 v154, 0x3000, v142
	s_add_i32 s29, s74, -8
	s_or_b64 s[6:7], s[6:7], s[12:13]
	s_or_b64 s[8:9], s[8:9], s[12:13]
	v_mad_i64_i32 v[130:131], s[24:25], v138, s30, 0
	v_mad_i64_i32 v[132:133], s[24:25], v140, s30, 0
	v_lshl_add_u32 v155, v144, 5, v134
	v_add_u32_e32 v148, 0x3000, v141
	s_mov_b32 s30, 8
	s_mov_b32 s31, 0
.LBB203_30:                             ; =>This Loop Header: Depth=1
                                        ;     Child Loop BB203_39 Depth 2
                                        ;     Child Loop BB203_49 Depth 2
	v_or_b32_e32 v156, s30, v146
	v_min_i32_e32 v134, s27, v156
	v_cmp_le_i32_e32 vcc, s74, v156
	v_ashrrev_i32_e32 v135, 31, v134
	v_lshl_add_u64 v[138:139], v[134:135], 3, s[20:21]
	s_nor_b64 s[34:35], vcc, s[6:7]
	v_mov_b64_e32 v[134:135], 0
	v_mov_b64_e32 v[136:137], 0
	s_and_saveexec_b64 s[24:25], s[34:35]
	s_cbranch_execz .LBB203_32
; %bb.31:                               ;   in Loop: Header=BB203_30 Depth=1
	v_lshl_add_u64 v[136:137], v[130:131], 3, v[138:139]
	global_load_dwordx2 v[136:137], v[136:137], off
	s_waitcnt vmcnt(0)
	v_mul_f64 v[136:137], s[16:17], v[136:137]
.LBB203_32:                             ;   in Loop: Header=BB203_30 Depth=1
	s_or_b64 exec, exec, s[24:25]
	s_nor_b64 s[34:35], vcc, s[8:9]
	s_and_saveexec_b64 s[24:25], s[34:35]
	s_cbranch_execz .LBB203_34
; %bb.33:                               ;   in Loop: Header=BB203_30 Depth=1
	v_lshl_add_u64 v[134:135], v[132:133], 3, v[138:139]
	global_load_dwordx2 v[134:135], v[134:135], off
	s_waitcnt vmcnt(0)
	v_mul_f64 v[134:135], s[16:17], v[134:135]
.LBB203_34:                             ;   in Loop: Header=BB203_30 Depth=1
	s_or_b64 exec, exec, s[24:25]
	v_add_u32_e32 v138, s30, v147
	v_cmp_le_i32_e32 vcc, s74, v138
	v_min_i32_e32 v138, s27, v138
	v_mad_i64_i32 v[138:139], s[24:25], v138, s28, 0
	v_lshl_add_u64 v[140:141], v[138:139], 3, s[22:23]
	s_or_b64 s[24:25], s[10:11], vcc
	s_nor_b64 s[34:35], s[12:13], s[24:25]
	v_mov_b64_e32 v[138:139], 0
	v_lshl_add_u64 v[142:143], v[128:129], 3, v[140:141]
	v_mov_b64_e32 v[140:141], 0
	s_and_saveexec_b64 s[24:25], s[34:35]
	s_cbranch_execz .LBB203_36
; %bb.35:                               ;   in Loop: Header=BB203_30 Depth=1
	global_load_dwordx2 v[140:141], v[142:143], off
	s_waitcnt vmcnt(0)
	v_mul_f64 v[140:141], s[16:17], v[140:141]
.LBB203_36:                             ;   in Loop: Header=BB203_30 Depth=1
	s_or_b64 exec, exec, s[24:25]
	s_or_b64 s[24:25], s[4:5], vcc
	s_nor_b64 s[34:35], s[12:13], s[24:25]
	s_and_saveexec_b64 s[24:25], s[34:35]
	s_cbranch_execz .LBB203_38
; %bb.37:                               ;   in Loop: Header=BB203_30 Depth=1
	global_load_dwordx2 v[138:139], v[142:143], off offset:512
	s_waitcnt vmcnt(0)
	v_mul_f64 v[138:139], s[16:17], v[138:139]
.LBB203_38:                             ;   in Loop: Header=BB203_30 Depth=1
	s_or_b64 exec, exec, s[24:25]
	s_mov_b32 s24, 0
.LBB203_39:                             ;   Parent Loop BB203_30 Depth=1
                                        ; =>  This Inner Loop Header: Depth=2
	v_add_u32_e32 v142, s24, v155
	ds_read2_b64 v[158:161], v142 offset1:16
	ds_read2_b64 v[162:165], v142 offset0:32 offset1:48
	ds_read2_b64 v[166:169], v142 offset0:64 offset1:80
	;; [unrolled: 1-line block ×7, first 2 shown]
	v_add_u32_e32 v142, 0x800, v142
	ds_read2_b64 v[190:193], v142 offset1:16
	ds_read2_b64 v[194:197], v142 offset0:32 offset1:48
	ds_read2_b64 v[198:201], v142 offset0:64 offset1:80
	;; [unrolled: 1-line block ×7, first 2 shown]
	v_add_u32_e32 v142, s24, v148
	ds_read2st64_b64 v[222:225], v142 offset1:4
	s_waitcnt lgkmcnt(14)
	v_max_f64 v[158:159], v[158:159], v[158:159]
	v_max_f64 v[160:161], v[160:161], v[160:161]
	;; [unrolled: 1-line block ×4, first 2 shown]
	s_waitcnt lgkmcnt(0)
	v_max_f64 v[142:143], v[222:223], v[222:223]
	v_min_f64 v[222:223], v[158:159], v[142:143]
	v_add_f64 v[126:127], v[126:127], v[222:223]
	v_min_f64 v[222:223], v[160:161], v[142:143]
	v_add_f64 v[124:125], v[124:125], v[222:223]
	;; [unrolled: 2-line block ×3, first 2 shown]
	v_min_f64 v[222:223], v[164:165], v[142:143]
	v_max_f64 v[166:167], v[166:167], v[166:167]
	v_add_f64 v[120:121], v[120:121], v[222:223]
	v_min_f64 v[222:223], v[166:167], v[142:143]
	v_max_f64 v[168:169], v[168:169], v[168:169]
	v_add_f64 v[118:119], v[118:119], v[222:223]
	;; [unrolled: 3-line block ×26, first 2 shown]
	v_min_f64 v[222:223], v[216:217], v[142:143]
	v_max_f64 v[218:219], v[218:219], v[218:219]
	v_max_f64 v[220:221], v[220:221], v[220:221]
	v_add_f64 v[68:69], v[68:69], v[222:223]
	v_min_f64 v[222:223], v[218:219], v[142:143]
	v_min_f64 v[142:143], v[220:221], v[142:143]
	v_add_f64 v[64:65], v[64:65], v[142:143]
	v_max_f64 v[142:143], v[224:225], v[224:225]
	v_min_f64 v[158:159], v[158:159], v[142:143]
	v_add_f64 v[62:63], v[62:63], v[158:159]
	v_min_f64 v[158:159], v[160:161], v[142:143]
	v_add_f64 v[60:61], v[60:61], v[158:159]
	v_min_f64 v[158:159], v[162:163], v[142:143]
	v_add_f64 v[58:59], v[58:59], v[158:159]
	v_min_f64 v[158:159], v[164:165], v[142:143]
	v_add_f64 v[56:57], v[56:57], v[158:159]
	v_min_f64 v[158:159], v[166:167], v[142:143]
	v_add_f64 v[54:55], v[54:55], v[158:159]
	v_min_f64 v[158:159], v[168:169], v[142:143]
	v_add_f64 v[52:53], v[52:53], v[158:159]
	v_min_f64 v[158:159], v[170:171], v[142:143]
	v_add_f64 v[50:51], v[50:51], v[158:159]
	v_min_f64 v[158:159], v[172:173], v[142:143]
	v_add_f64 v[48:49], v[48:49], v[158:159]
	v_min_f64 v[158:159], v[174:175], v[142:143]
	v_add_f64 v[46:47], v[46:47], v[158:159]
	v_min_f64 v[158:159], v[176:177], v[142:143]
	v_add_f64 v[44:45], v[44:45], v[158:159]
	v_min_f64 v[158:159], v[178:179], v[142:143]
	v_add_f64 v[42:43], v[42:43], v[158:159]
	v_min_f64 v[158:159], v[180:181], v[142:143]
	v_add_f64 v[40:41], v[40:41], v[158:159]
	v_min_f64 v[158:159], v[182:183], v[142:143]
	v_add_f64 v[38:39], v[38:39], v[158:159]
	v_min_f64 v[158:159], v[184:185], v[142:143]
	v_add_f64 v[36:37], v[36:37], v[158:159]
	v_min_f64 v[158:159], v[186:187], v[142:143]
	v_add_f64 v[34:35], v[34:35], v[158:159]
	v_min_f64 v[158:159], v[188:189], v[142:143]
	v_add_f64 v[32:33], v[32:33], v[158:159]
	v_min_f64 v[158:159], v[190:191], v[142:143]
	v_add_f64 v[30:31], v[30:31], v[158:159]
	v_min_f64 v[158:159], v[192:193], v[142:143]
	v_add_f64 v[28:29], v[28:29], v[158:159]
	v_min_f64 v[158:159], v[194:195], v[142:143]
	v_add_f64 v[26:27], v[26:27], v[158:159]
	v_min_f64 v[158:159], v[196:197], v[142:143]
	v_add_f64 v[24:25], v[24:25], v[158:159]
	v_min_f64 v[158:159], v[198:199], v[142:143]
	v_add_f64 v[22:23], v[22:23], v[158:159]
	v_min_f64 v[158:159], v[200:201], v[142:143]
	v_add_f64 v[20:21], v[20:21], v[158:159]
	v_min_f64 v[158:159], v[202:203], v[142:143]
	v_add_f64 v[18:19], v[18:19], v[158:159]
	v_min_f64 v[158:159], v[204:205], v[142:143]
	v_add_f64 v[16:17], v[16:17], v[158:159]
	v_min_f64 v[158:159], v[206:207], v[142:143]
	v_add_f64 v[14:15], v[14:15], v[158:159]
	v_min_f64 v[158:159], v[208:209], v[142:143]
	v_add_f64 v[12:13], v[12:13], v[158:159]
	v_min_f64 v[158:159], v[210:211], v[142:143]
	v_add_f64 v[10:11], v[10:11], v[158:159]
	v_min_f64 v[158:159], v[212:213], v[142:143]
	v_add_f64 v[8:9], v[8:9], v[158:159]
	v_min_f64 v[158:159], v[214:215], v[142:143]
	v_add_f64 v[6:7], v[6:7], v[158:159]
	v_min_f64 v[158:159], v[216:217], v[142:143]
	v_add_f64 v[4:5], v[4:5], v[158:159]
	v_min_f64 v[158:159], v[218:219], v[142:143]
	v_min_f64 v[142:143], v[220:221], v[142:143]
	s_add_i32 s24, s24, 8
	v_add_f64 v[66:67], v[66:67], v[222:223]
	v_add_f64 v[2:3], v[2:3], v[158:159]
	;; [unrolled: 1-line block ×3, first 2 shown]
	s_cmp_eq_u32 s24, 32
	s_cbranch_scc0 .LBB203_39
; %bb.40:                               ;   in Loop: Header=BB203_30 Depth=1
	ds_write2st64_b64 v149, v[136:137], v[134:135] offset1:4
	ds_write2st64_b64 v150, v[140:141], v[138:139] offset1:4
	v_or_b32_e32 v134, 4, v156
	v_cmp_le_i32_e32 vcc, s74, v134
	v_min_i32_e32 v134, s27, v134
	v_ashrrev_i32_e32 v135, 31, v134
	v_lshl_add_u64 v[138:139], v[134:135], 3, s[20:21]
	s_nor_b64 s[34:35], vcc, s[6:7]
	v_mov_b64_e32 v[134:135], 0
	v_mov_b64_e32 v[136:137], 0
	s_waitcnt lgkmcnt(0)
	s_barrier
	s_and_saveexec_b64 s[24:25], s[34:35]
	s_cbranch_execz .LBB203_42
; %bb.41:                               ;   in Loop: Header=BB203_30 Depth=1
	v_lshl_add_u64 v[136:137], v[130:131], 3, v[138:139]
	global_load_dwordx2 v[136:137], v[136:137], off
	s_waitcnt vmcnt(0)
	v_mul_f64 v[136:137], s[16:17], v[136:137]
.LBB203_42:                             ;   in Loop: Header=BB203_30 Depth=1
	s_or_b64 exec, exec, s[24:25]
	s_nor_b64 s[34:35], vcc, s[8:9]
	s_and_saveexec_b64 s[24:25], s[34:35]
	s_cbranch_execz .LBB203_44
; %bb.43:                               ;   in Loop: Header=BB203_30 Depth=1
	v_lshl_add_u64 v[134:135], v[132:133], 3, v[138:139]
	global_load_dwordx2 v[134:135], v[134:135], off
	s_waitcnt vmcnt(0)
	v_mul_f64 v[134:135], s[16:17], v[134:135]
.LBB203_44:                             ;   in Loop: Header=BB203_30 Depth=1
	s_or_b64 exec, exec, s[24:25]
	v_add3_u32 v138, v147, s30, 4
	v_cmp_le_i32_e32 vcc, s74, v138
	v_min_i32_e32 v138, s27, v138
	v_mad_i64_i32 v[138:139], s[24:25], v138, s28, 0
	v_lshl_add_u64 v[140:141], v[138:139], 3, s[22:23]
	s_or_b64 s[24:25], s[10:11], vcc
	s_nor_b64 s[34:35], s[12:13], s[24:25]
	v_mov_b64_e32 v[138:139], 0
	v_lshl_add_u64 v[142:143], v[128:129], 3, v[140:141]
	v_mov_b64_e32 v[140:141], 0
	s_and_saveexec_b64 s[24:25], s[34:35]
	s_cbranch_execz .LBB203_46
; %bb.45:                               ;   in Loop: Header=BB203_30 Depth=1
	global_load_dwordx2 v[140:141], v[142:143], off
	s_waitcnt vmcnt(0)
	v_mul_f64 v[140:141], s[16:17], v[140:141]
.LBB203_46:                             ;   in Loop: Header=BB203_30 Depth=1
	s_or_b64 exec, exec, s[24:25]
	s_or_b64 s[24:25], s[4:5], vcc
	s_nor_b64 s[34:35], s[12:13], s[24:25]
	s_and_saveexec_b64 s[24:25], s[34:35]
	s_cbranch_execz .LBB203_48
; %bb.47:                               ;   in Loop: Header=BB203_30 Depth=1
	global_load_dwordx2 v[138:139], v[142:143], off offset:512
	s_waitcnt vmcnt(0)
	v_mul_f64 v[138:139], s[16:17], v[138:139]
.LBB203_48:                             ;   in Loop: Header=BB203_30 Depth=1
	s_or_b64 exec, exec, s[24:25]
	s_mov_b32 s24, 0
.LBB203_49:                             ;   Parent Loop BB203_30 Depth=1
                                        ; =>  This Inner Loop Header: Depth=2
	v_add_u32_e32 v142, s24, v151
	v_add_u32_e32 v143, s24, v152
	ds_read2_b64 v[156:159], v142 offset1:16
	ds_read2_b64 v[160:163], v142 offset0:32 offset1:48
	ds_read2_b64 v[164:167], v142 offset0:64 offset1:80
	;; [unrolled: 1-line block ×7, first 2 shown]
	v_add_u32_e32 v142, 0x800, v142
	ds_read2st64_b64 v[188:191], v143 offset1:4
	ds_read2_b64 v[192:195], v142 offset1:16
	ds_read2_b64 v[196:199], v142 offset0:32 offset1:48
	ds_read2_b64 v[200:203], v142 offset0:64 offset1:80
	;; [unrolled: 1-line block ×7, first 2 shown]
	s_waitcnt lgkmcnt(14)
	v_max_f64 v[156:157], v[156:157], v[156:157]
	v_max_f64 v[158:159], v[158:159], v[158:159]
	;; [unrolled: 1-line block ×3, first 2 shown]
	s_waitcnt lgkmcnt(8)
	v_max_f64 v[142:143], v[188:189], v[188:189]
	v_max_f64 v[162:163], v[162:163], v[162:163]
	;; [unrolled: 1-line block ×15, first 2 shown]
	v_min_f64 v[190:191], v[156:157], v[142:143]
	v_min_f64 v[224:225], v[158:159], v[142:143]
	;; [unrolled: 1-line block ×16, first 2 shown]
	s_waitcnt lgkmcnt(7)
	v_max_f64 v[192:193], v[192:193], v[192:193]
	v_max_f64 v[194:195], v[194:195], v[194:195]
	s_waitcnt lgkmcnt(6)
	v_max_f64 v[196:197], v[196:197], v[196:197]
	v_max_f64 v[198:199], v[198:199], v[198:199]
	;; [unrolled: 3-line block ×8, first 2 shown]
	v_min_f64 v[156:157], v[156:157], v[188:189]
	v_min_f64 v[158:159], v[158:159], v[188:189]
	;; [unrolled: 1-line block ×16, first 2 shown]
	s_add_i32 s24, s24, 8
	v_add_f64 v[126:127], v[126:127], v[190:191]
	v_add_f64 v[124:125], v[124:125], v[224:225]
	;; [unrolled: 1-line block ×15, first 2 shown]
	v_min_f64 v[190:191], v[192:193], v[142:143]
	v_min_f64 v[224:225], v[194:195], v[142:143]
	;; [unrolled: 1-line block ×16, first 2 shown]
	v_add_f64 v[62:63], v[62:63], v[156:157]
	v_add_f64 v[60:61], v[60:61], v[158:159]
	;; [unrolled: 1-line block ×16, first 2 shown]
	v_min_f64 v[156:157], v[192:193], v[188:189]
	v_min_f64 v[158:159], v[194:195], v[188:189]
	;; [unrolled: 1-line block ×16, first 2 shown]
	s_cmp_eq_u32 s24, 32
	v_add_f64 v[96:97], v[96:97], v[252:253]
	v_add_f64 v[94:95], v[94:95], v[190:191]
	;; [unrolled: 1-line block ×33, first 2 shown]
	s_cbranch_scc0 .LBB203_49
; %bb.50:                               ;   in Loop: Header=BB203_30 Depth=1
	s_add_i32 s30, s30, 8
	s_add_i32 s31, s31, 8
	s_cmp_ge_i32 s31, s29
	ds_write2st64_b64 v153, v[136:137], v[134:135] offset1:4
	ds_write2st64_b64 v154, v[140:141], v[138:139] offset1:4
	s_waitcnt lgkmcnt(0)
	s_barrier
	s_cbranch_scc0 .LBB203_30
.LBB203_51:
	v_mov_b32_e32 v128, 0x1000
	v_lshl_add_u32 v128, v144, 5, v128
	s_mov_b32 s4, 0
.LBB203_52:                             ; =>This Inner Loop Header: Depth=1
	v_add_u32_e32 v129, s4, v128
	v_add_u32_e32 v142, s4, v148
	ds_read2_b64 v[130:133], v129 offset1:16
	ds_read2_b64 v[134:137], v129 offset0:32 offset1:48
	ds_read2_b64 v[138:141], v129 offset0:64 offset1:80
	;; [unrolled: 1-line block ×7, first 2 shown]
	v_add_u32_e32 v129, 0x800, v129
	ds_read2st64_b64 v[170:173], v142 offset1:4
	ds_read2_b64 v[174:177], v129 offset1:16
	ds_read2_b64 v[178:181], v129 offset0:32 offset1:48
	ds_read2_b64 v[182:185], v129 offset0:64 offset1:80
	ds_read2_b64 v[186:189], v129 offset0:96 offset1:112
	ds_read2_b64 v[190:193], v129 offset0:128 offset1:144
	ds_read2_b64 v[194:197], v129 offset0:160 offset1:176
	ds_read2_b64 v[198:201], v129 offset0:192 offset1:208
	ds_read2_b64 v[202:205], v129 offset0:224 offset1:240
	s_waitcnt lgkmcnt(14)
	v_max_f64 v[130:131], v[130:131], v[130:131]
	v_max_f64 v[132:133], v[132:133], v[132:133]
	;; [unrolled: 1-line block ×3, first 2 shown]
	s_waitcnt lgkmcnt(8)
	v_max_f64 v[142:143], v[170:171], v[170:171]
	v_max_f64 v[136:137], v[136:137], v[136:137]
	;; [unrolled: 1-line block ×15, first 2 shown]
	v_min_f64 v[170:171], v[130:131], v[142:143]
	v_min_f64 v[172:173], v[132:133], v[142:143]
	;; [unrolled: 1-line block ×16, first 2 shown]
	s_waitcnt lgkmcnt(7)
	v_max_f64 v[174:175], v[174:175], v[174:175]
	v_max_f64 v[176:177], v[176:177], v[176:177]
	s_waitcnt lgkmcnt(6)
	v_max_f64 v[178:179], v[178:179], v[178:179]
	v_max_f64 v[180:181], v[180:181], v[180:181]
	;; [unrolled: 3-line block ×8, first 2 shown]
	v_min_f64 v[130:131], v[130:131], v[168:169]
	v_min_f64 v[132:133], v[132:133], v[168:169]
	;; [unrolled: 1-line block ×16, first 2 shown]
	s_add_i32 s4, s4, 8
	v_add_f64 v[126:127], v[126:127], v[170:171]
	v_add_f64 v[124:125], v[124:125], v[172:173]
	;; [unrolled: 1-line block ×15, first 2 shown]
	v_min_f64 v[170:171], v[174:175], v[142:143]
	v_min_f64 v[172:173], v[176:177], v[142:143]
	;; [unrolled: 1-line block ×16, first 2 shown]
	v_add_f64 v[62:63], v[62:63], v[130:131]
	v_add_f64 v[60:61], v[60:61], v[132:133]
	;; [unrolled: 1-line block ×16, first 2 shown]
	v_min_f64 v[130:131], v[174:175], v[168:169]
	v_min_f64 v[132:133], v[176:177], v[168:169]
	;; [unrolled: 1-line block ×16, first 2 shown]
	s_cmp_eq_u32 s4, 32
	v_add_f64 v[96:97], v[96:97], v[232:233]
	v_add_f64 v[94:95], v[94:95], v[170:171]
	;; [unrolled: 1-line block ×33, first 2 shown]
	s_cbranch_scc0 .LBB203_52
; %bb.53:
	s_load_dwordx2 s[4:5], s[0:1], 0x78
	s_load_dword s78, s[0:1], 0x58
	s_load_dword s33, s[0:1], 0x70
	v_add_u32_e32 v136, s26, v145
	v_add_u32_e32 v128, s2, v144
	s_waitcnt lgkmcnt(0)
	s_mul_i32 s1, s5, s3
	s_mul_hi_u32 s5, s4, s3
	s_mul_i32 s0, s4, s3
	s_add_i32 s1, s5, s1
	s_lshl_b64 s[0:1], s[0:1], 3
	s_add_u32 s74, s14, s0
	s_addc_u32 s75, s15, s1
	v_mad_i64_i32 v[130:131], s[0:1], v136, s78, 0
	v_cmp_gt_i32_e64 s[24:25], s73, v136
	v_lshl_add_u64 v[132:133], v[130:131], 3, s[76:77]
	v_mad_i64_i32 v[130:131], s[0:1], v136, s33, 0
	v_cmp_gt_i32_e64 s[2:3], s72, v128
	v_cndmask_b32_e64 v134, 0, 1, s[18:19]
	v_lshl_add_u64 v[130:131], v[130:131], 3, s[74:75]
	s_and_b64 s[6:7], s[24:25], s[2:3]
	v_ashrrev_i32_e32 v129, 31, v128
	v_cmp_ne_u32_e64 s[0:1], 1, v134
	s_and_saveexec_b64 s[4:5], s[6:7]
	s_cbranch_execz .LBB203_58
; %bb.54:
	s_and_b64 vcc, exec, s[0:1]
	s_cbranch_vccnz .LBB203_56
; %bb.55:
	v_lshl_add_u64 v[134:135], v[128:129], 3, v[132:133]
	global_load_dwordx2 v[134:135], v[134:135], off
	s_waitcnt vmcnt(0)
	v_mul_f64 v[134:135], s[70:71], v[134:135]
	s_branch .LBB203_57
.LBB203_56:
	v_mov_b64_e32 v[134:135], 0
.LBB203_57:
	v_add_f64 v[126:127], v[126:127], v[134:135]
	v_lshl_add_u64 v[134:135], v[128:129], 3, v[130:131]
	global_store_dwordx2 v[134:135], v[126:127], off
.LBB203_58:
	s_or_b64 exec, exec, s[4:5]
	v_add_u32_e32 v126, 4, v128
	v_cmp_gt_i32_e64 s[4:5], s72, v126
	s_and_b64 s[8:9], s[24:25], s[4:5]
	v_ashrrev_i32_e32 v127, 31, v126
	s_and_saveexec_b64 s[6:7], s[8:9]
	s_cbranch_execz .LBB203_63
; %bb.59:
	s_and_b64 vcc, exec, s[0:1]
	s_cbranch_vccnz .LBB203_61
; %bb.60:
	v_lshl_add_u64 v[134:135], v[126:127], 3, v[132:133]
	global_load_dwordx2 v[134:135], v[134:135], off
	s_waitcnt vmcnt(0)
	v_mul_f64 v[134:135], s[70:71], v[134:135]
	s_branch .LBB203_62
.LBB203_61:
	v_mov_b64_e32 v[134:135], 0
.LBB203_62:
	v_add_f64 v[124:125], v[124:125], v[134:135]
	v_lshl_add_u64 v[134:135], v[126:127], 3, v[130:131]
	global_store_dwordx2 v[134:135], v[124:125], off
.LBB203_63:
	s_or_b64 exec, exec, s[6:7]
	v_add_u32_e32 v124, 8, v128
	v_cmp_gt_i32_e64 s[6:7], s72, v124
	s_and_b64 s[10:11], s[24:25], s[6:7]
	v_ashrrev_i32_e32 v125, 31, v124
	;; [unrolled: 23-line block ×31, first 2 shown]
	s_and_saveexec_b64 s[24:25], s[80:81]
	s_cbranch_execz .LBB203_213
; %bb.209:
	s_and_b64 vcc, exec, s[0:1]
	s_cbranch_vccnz .LBB203_211
; %bb.210:
	v_lshl_add_u64 v[132:133], v[66:67], 3, v[132:133]
	global_load_dwordx2 v[132:133], v[132:133], off
	s_waitcnt vmcnt(0)
	v_mul_f64 v[132:133], s[70:71], v[132:133]
	s_branch .LBB203_212
.LBB203_211:
	v_mov_b64_e32 v[132:133], 0
.LBB203_212:
	v_add_f64 v[64:65], v[64:65], v[132:133]
	v_lshl_add_u64 v[130:131], v[66:67], 3, v[130:131]
	global_store_dwordx2 v[130:131], v[64:65], off
.LBB203_213:
	s_or_b64 exec, exec, s[24:25]
	v_add_u32_e32 v132, 64, v136
	v_cmp_gt_i32_e64 s[24:25], s73, v132
	v_mad_i64_i32 v[64:65], s[72:73], v132, s78, 0
	v_lshl_add_u64 v[130:131], v[64:65], 3, s[76:77]
	v_mad_i64_i32 v[64:65], s[72:73], v132, s33, 0
	v_lshl_add_u64 v[64:65], v[64:65], 3, s[74:75]
	s_and_b64 s[2:3], s[24:25], s[2:3]
	s_and_saveexec_b64 s[72:73], s[2:3]
	s_xor_b64 s[2:3], exec, s[72:73]
	s_cbranch_execnz .LBB203_246
; %bb.214:
	s_or_b64 exec, exec, s[2:3]
	s_and_b64 s[4:5], s[24:25], s[4:5]
	s_and_saveexec_b64 s[2:3], s[4:5]
	s_cbranch_execnz .LBB203_250
.LBB203_215:
	s_or_b64 exec, exec, s[2:3]
	s_and_b64 s[4:5], s[24:25], s[6:7]
	s_and_saveexec_b64 s[2:3], s[4:5]
	s_cbranch_execnz .LBB203_254
.LBB203_216:
	s_or_b64 exec, exec, s[2:3]
	s_and_b64 s[4:5], s[24:25], s[8:9]
	s_and_saveexec_b64 s[2:3], s[4:5]
	s_cbranch_execnz .LBB203_258
.LBB203_217:
	s_or_b64 exec, exec, s[2:3]
	s_and_b64 s[4:5], s[24:25], s[10:11]
	s_and_saveexec_b64 s[2:3], s[4:5]
	s_cbranch_execnz .LBB203_262
.LBB203_218:
	s_or_b64 exec, exec, s[2:3]
	s_and_b64 s[4:5], s[24:25], s[12:13]
	s_and_saveexec_b64 s[2:3], s[4:5]
	s_cbranch_execnz .LBB203_266
.LBB203_219:
	s_or_b64 exec, exec, s[2:3]
	s_and_b64 s[4:5], s[24:25], s[14:15]
	s_and_saveexec_b64 s[2:3], s[4:5]
	s_cbranch_execnz .LBB203_270
.LBB203_220:
	s_or_b64 exec, exec, s[2:3]
	s_and_b64 s[4:5], s[24:25], s[16:17]
	s_and_saveexec_b64 s[2:3], s[4:5]
	s_cbranch_execnz .LBB203_274
.LBB203_221:
	s_or_b64 exec, exec, s[2:3]
	s_and_b64 s[4:5], s[24:25], s[18:19]
	s_and_saveexec_b64 s[2:3], s[4:5]
	s_cbranch_execnz .LBB203_278
.LBB203_222:
	s_or_b64 exec, exec, s[2:3]
	s_and_b64 s[4:5], s[24:25], s[20:21]
	s_and_saveexec_b64 s[2:3], s[4:5]
	s_cbranch_execnz .LBB203_282
.LBB203_223:
	s_or_b64 exec, exec, s[2:3]
	s_and_b64 s[4:5], s[24:25], s[22:23]
	s_and_saveexec_b64 s[2:3], s[4:5]
	s_cbranch_execnz .LBB203_286
.LBB203_224:
	s_or_b64 exec, exec, s[2:3]
	s_and_b64 s[4:5], s[24:25], s[26:27]
	s_and_saveexec_b64 s[2:3], s[4:5]
	s_cbranch_execnz .LBB203_290
.LBB203_225:
	s_or_b64 exec, exec, s[2:3]
	s_and_b64 s[4:5], s[24:25], s[28:29]
	s_and_saveexec_b64 s[2:3], s[4:5]
	s_cbranch_execnz .LBB203_294
.LBB203_226:
	s_or_b64 exec, exec, s[2:3]
	s_and_b64 s[4:5], s[24:25], s[30:31]
	s_and_saveexec_b64 s[2:3], s[4:5]
	s_cbranch_execnz .LBB203_298
.LBB203_227:
	s_or_b64 exec, exec, s[2:3]
	s_and_b64 s[4:5], s[24:25], s[34:35]
	s_and_saveexec_b64 s[2:3], s[4:5]
	s_cbranch_execnz .LBB203_302
.LBB203_228:
	s_or_b64 exec, exec, s[2:3]
	s_and_b64 s[4:5], s[24:25], s[36:37]
	s_and_saveexec_b64 s[2:3], s[4:5]
	s_cbranch_execnz .LBB203_306
.LBB203_229:
	s_or_b64 exec, exec, s[2:3]
	s_and_b64 s[4:5], s[24:25], s[38:39]
	s_and_saveexec_b64 s[2:3], s[4:5]
	s_cbranch_execnz .LBB203_310
.LBB203_230:
	s_or_b64 exec, exec, s[2:3]
	s_and_b64 s[4:5], s[24:25], s[40:41]
	s_and_saveexec_b64 s[2:3], s[4:5]
	s_cbranch_execnz .LBB203_314
.LBB203_231:
	s_or_b64 exec, exec, s[2:3]
	s_and_b64 s[4:5], s[24:25], s[42:43]
	s_and_saveexec_b64 s[2:3], s[4:5]
	s_cbranch_execnz .LBB203_318
.LBB203_232:
	s_or_b64 exec, exec, s[2:3]
	s_and_b64 s[4:5], s[24:25], s[44:45]
	s_and_saveexec_b64 s[2:3], s[4:5]
	s_cbranch_execnz .LBB203_322
.LBB203_233:
	s_or_b64 exec, exec, s[2:3]
	s_and_b64 s[4:5], s[24:25], s[46:47]
	s_and_saveexec_b64 s[2:3], s[4:5]
	s_cbranch_execnz .LBB203_326
.LBB203_234:
	s_or_b64 exec, exec, s[2:3]
	s_and_b64 s[4:5], s[24:25], s[48:49]
	s_and_saveexec_b64 s[2:3], s[4:5]
	s_cbranch_execnz .LBB203_330
.LBB203_235:
	s_or_b64 exec, exec, s[2:3]
	s_and_b64 s[4:5], s[24:25], s[50:51]
	s_and_saveexec_b64 s[2:3], s[4:5]
	s_cbranch_execnz .LBB203_334
.LBB203_236:
	s_or_b64 exec, exec, s[2:3]
	s_and_b64 s[4:5], s[24:25], s[52:53]
	s_and_saveexec_b64 s[2:3], s[4:5]
	s_cbranch_execnz .LBB203_338
.LBB203_237:
	s_or_b64 exec, exec, s[2:3]
	s_and_b64 s[4:5], s[24:25], s[54:55]
	s_and_saveexec_b64 s[2:3], s[4:5]
	s_cbranch_execnz .LBB203_342
.LBB203_238:
	s_or_b64 exec, exec, s[2:3]
	s_and_b64 s[4:5], s[24:25], s[56:57]
	s_and_saveexec_b64 s[2:3], s[4:5]
	s_cbranch_execnz .LBB203_346
.LBB203_239:
	s_or_b64 exec, exec, s[2:3]
	s_and_b64 s[4:5], s[24:25], s[58:59]
	s_and_saveexec_b64 s[2:3], s[4:5]
	s_cbranch_execnz .LBB203_350
.LBB203_240:
	s_or_b64 exec, exec, s[2:3]
	s_and_b64 s[4:5], s[24:25], s[60:61]
	s_and_saveexec_b64 s[2:3], s[4:5]
	s_cbranch_execnz .LBB203_354
.LBB203_241:
	s_or_b64 exec, exec, s[2:3]
	s_and_b64 s[4:5], s[24:25], s[62:63]
	s_and_saveexec_b64 s[2:3], s[4:5]
	s_cbranch_execnz .LBB203_358
.LBB203_242:
	s_or_b64 exec, exec, s[2:3]
	s_and_b64 s[4:5], s[24:25], s[64:65]
	s_and_saveexec_b64 s[2:3], s[4:5]
	s_cbranch_execnz .LBB203_362
.LBB203_243:
	s_or_b64 exec, exec, s[2:3]
	s_and_b64 s[4:5], s[24:25], s[66:67]
	s_and_saveexec_b64 s[2:3], s[4:5]
	s_cbranch_execnz .LBB203_366
.LBB203_244:
	s_or_b64 exec, exec, s[2:3]
	s_and_b64 s[2:3], s[24:25], s[68:69]
	s_and_saveexec_b64 s[4:5], s[2:3]
	s_cbranch_execnz .LBB203_370
.LBB203_245:
	s_endpgm
.LBB203_246:
	s_and_b64 vcc, exec, s[0:1]
	s_cbranch_vccnz .LBB203_248
; %bb.247:
	v_lshl_add_u64 v[132:133], v[128:129], 3, v[130:131]
	global_load_dwordx2 v[132:133], v[132:133], off
	s_waitcnt vmcnt(0)
	v_mul_f64 v[132:133], s[70:71], v[132:133]
	s_branch .LBB203_249
.LBB203_248:
	v_mov_b64_e32 v[132:133], 0
.LBB203_249:
	v_add_f64 v[62:63], v[62:63], v[132:133]
	v_lshl_add_u64 v[128:129], v[128:129], 3, v[64:65]
	global_store_dwordx2 v[128:129], v[62:63], off
	s_or_b64 exec, exec, s[2:3]
	s_and_b64 s[4:5], s[24:25], s[4:5]
	s_and_saveexec_b64 s[2:3], s[4:5]
	s_cbranch_execz .LBB203_215
.LBB203_250:
	s_and_b64 vcc, exec, s[0:1]
	s_cbranch_vccnz .LBB203_252
; %bb.251:
	v_lshl_add_u64 v[62:63], v[126:127], 3, v[130:131]
	global_load_dwordx2 v[62:63], v[62:63], off
	s_waitcnt vmcnt(0)
	v_mul_f64 v[62:63], s[70:71], v[62:63]
	s_branch .LBB203_253
.LBB203_252:
	v_mov_b64_e32 v[62:63], 0
.LBB203_253:
	v_add_f64 v[60:61], v[60:61], v[62:63]
	v_lshl_add_u64 v[62:63], v[126:127], 3, v[64:65]
	global_store_dwordx2 v[62:63], v[60:61], off
	s_or_b64 exec, exec, s[2:3]
	s_and_b64 s[4:5], s[24:25], s[6:7]
	s_and_saveexec_b64 s[2:3], s[4:5]
	s_cbranch_execz .LBB203_216
.LBB203_254:
	s_and_b64 vcc, exec, s[0:1]
	s_cbranch_vccnz .LBB203_256
; %bb.255:
	v_lshl_add_u64 v[60:61], v[124:125], 3, v[130:131]
	global_load_dwordx2 v[60:61], v[60:61], off
	s_waitcnt vmcnt(0)
	v_mul_f64 v[60:61], s[70:71], v[60:61]
	s_branch .LBB203_257
.LBB203_256:
	v_mov_b64_e32 v[60:61], 0
.LBB203_257:
	v_add_f64 v[58:59], v[58:59], v[60:61]
	v_lshl_add_u64 v[60:61], v[124:125], 3, v[64:65]
	global_store_dwordx2 v[60:61], v[58:59], off
	s_or_b64 exec, exec, s[2:3]
	s_and_b64 s[4:5], s[24:25], s[8:9]
	s_and_saveexec_b64 s[2:3], s[4:5]
	s_cbranch_execz .LBB203_217
.LBB203_258:
	s_and_b64 vcc, exec, s[0:1]
	s_cbranch_vccnz .LBB203_260
; %bb.259:
	v_lshl_add_u64 v[58:59], v[122:123], 3, v[130:131]
	global_load_dwordx2 v[58:59], v[58:59], off
	s_waitcnt vmcnt(0)
	v_mul_f64 v[58:59], s[70:71], v[58:59]
	s_branch .LBB203_261
.LBB203_260:
	v_mov_b64_e32 v[58:59], 0
.LBB203_261:
	v_add_f64 v[56:57], v[56:57], v[58:59]
	v_lshl_add_u64 v[58:59], v[122:123], 3, v[64:65]
	global_store_dwordx2 v[58:59], v[56:57], off
	s_or_b64 exec, exec, s[2:3]
	s_and_b64 s[4:5], s[24:25], s[10:11]
	s_and_saveexec_b64 s[2:3], s[4:5]
	s_cbranch_execz .LBB203_218
.LBB203_262:
	s_and_b64 vcc, exec, s[0:1]
	s_cbranch_vccnz .LBB203_264
; %bb.263:
	v_lshl_add_u64 v[56:57], v[120:121], 3, v[130:131]
	global_load_dwordx2 v[56:57], v[56:57], off
	s_waitcnt vmcnt(0)
	v_mul_f64 v[56:57], s[70:71], v[56:57]
	s_branch .LBB203_265
.LBB203_264:
	v_mov_b64_e32 v[56:57], 0
.LBB203_265:
	v_add_f64 v[54:55], v[54:55], v[56:57]
	v_lshl_add_u64 v[56:57], v[120:121], 3, v[64:65]
	global_store_dwordx2 v[56:57], v[54:55], off
	s_or_b64 exec, exec, s[2:3]
	s_and_b64 s[4:5], s[24:25], s[12:13]
	s_and_saveexec_b64 s[2:3], s[4:5]
	s_cbranch_execz .LBB203_219
.LBB203_266:
	s_and_b64 vcc, exec, s[0:1]
	s_cbranch_vccnz .LBB203_268
; %bb.267:
	v_lshl_add_u64 v[54:55], v[118:119], 3, v[130:131]
	global_load_dwordx2 v[54:55], v[54:55], off
	s_waitcnt vmcnt(0)
	v_mul_f64 v[54:55], s[70:71], v[54:55]
	s_branch .LBB203_269
.LBB203_268:
	v_mov_b64_e32 v[54:55], 0
.LBB203_269:
	v_add_f64 v[52:53], v[52:53], v[54:55]
	v_lshl_add_u64 v[54:55], v[118:119], 3, v[64:65]
	global_store_dwordx2 v[54:55], v[52:53], off
	s_or_b64 exec, exec, s[2:3]
	s_and_b64 s[4:5], s[24:25], s[14:15]
	s_and_saveexec_b64 s[2:3], s[4:5]
	s_cbranch_execz .LBB203_220
.LBB203_270:
	s_and_b64 vcc, exec, s[0:1]
	s_cbranch_vccnz .LBB203_272
; %bb.271:
	v_lshl_add_u64 v[52:53], v[116:117], 3, v[130:131]
	global_load_dwordx2 v[52:53], v[52:53], off
	s_waitcnt vmcnt(0)
	v_mul_f64 v[52:53], s[70:71], v[52:53]
	s_branch .LBB203_273
.LBB203_272:
	v_mov_b64_e32 v[52:53], 0
.LBB203_273:
	v_add_f64 v[50:51], v[50:51], v[52:53]
	v_lshl_add_u64 v[52:53], v[116:117], 3, v[64:65]
	global_store_dwordx2 v[52:53], v[50:51], off
	s_or_b64 exec, exec, s[2:3]
	s_and_b64 s[4:5], s[24:25], s[16:17]
	s_and_saveexec_b64 s[2:3], s[4:5]
	s_cbranch_execz .LBB203_221
.LBB203_274:
	s_and_b64 vcc, exec, s[0:1]
	s_cbranch_vccnz .LBB203_276
; %bb.275:
	v_lshl_add_u64 v[50:51], v[114:115], 3, v[130:131]
	global_load_dwordx2 v[50:51], v[50:51], off
	s_waitcnt vmcnt(0)
	v_mul_f64 v[50:51], s[70:71], v[50:51]
	s_branch .LBB203_277
.LBB203_276:
	v_mov_b64_e32 v[50:51], 0
.LBB203_277:
	v_add_f64 v[48:49], v[48:49], v[50:51]
	v_lshl_add_u64 v[50:51], v[114:115], 3, v[64:65]
	global_store_dwordx2 v[50:51], v[48:49], off
	s_or_b64 exec, exec, s[2:3]
	s_and_b64 s[4:5], s[24:25], s[18:19]
	s_and_saveexec_b64 s[2:3], s[4:5]
	s_cbranch_execz .LBB203_222
.LBB203_278:
	s_and_b64 vcc, exec, s[0:1]
	s_cbranch_vccnz .LBB203_280
; %bb.279:
	v_lshl_add_u64 v[48:49], v[112:113], 3, v[130:131]
	global_load_dwordx2 v[48:49], v[48:49], off
	s_waitcnt vmcnt(0)
	v_mul_f64 v[48:49], s[70:71], v[48:49]
	s_branch .LBB203_281
.LBB203_280:
	v_mov_b64_e32 v[48:49], 0
.LBB203_281:
	v_add_f64 v[46:47], v[46:47], v[48:49]
	v_lshl_add_u64 v[48:49], v[112:113], 3, v[64:65]
	global_store_dwordx2 v[48:49], v[46:47], off
	s_or_b64 exec, exec, s[2:3]
	s_and_b64 s[4:5], s[24:25], s[20:21]
	s_and_saveexec_b64 s[2:3], s[4:5]
	s_cbranch_execz .LBB203_223
.LBB203_282:
	s_and_b64 vcc, exec, s[0:1]
	s_cbranch_vccnz .LBB203_284
; %bb.283:
	v_lshl_add_u64 v[46:47], v[110:111], 3, v[130:131]
	global_load_dwordx2 v[46:47], v[46:47], off
	s_waitcnt vmcnt(0)
	v_mul_f64 v[46:47], s[70:71], v[46:47]
	s_branch .LBB203_285
.LBB203_284:
	v_mov_b64_e32 v[46:47], 0
.LBB203_285:
	v_add_f64 v[44:45], v[44:45], v[46:47]
	v_lshl_add_u64 v[46:47], v[110:111], 3, v[64:65]
	global_store_dwordx2 v[46:47], v[44:45], off
	s_or_b64 exec, exec, s[2:3]
	s_and_b64 s[4:5], s[24:25], s[22:23]
	s_and_saveexec_b64 s[2:3], s[4:5]
	s_cbranch_execz .LBB203_224
.LBB203_286:
	s_and_b64 vcc, exec, s[0:1]
	s_cbranch_vccnz .LBB203_288
; %bb.287:
	v_lshl_add_u64 v[44:45], v[108:109], 3, v[130:131]
	global_load_dwordx2 v[44:45], v[44:45], off
	s_waitcnt vmcnt(0)
	v_mul_f64 v[44:45], s[70:71], v[44:45]
	s_branch .LBB203_289
.LBB203_288:
	v_mov_b64_e32 v[44:45], 0
.LBB203_289:
	v_add_f64 v[42:43], v[42:43], v[44:45]
	v_lshl_add_u64 v[44:45], v[108:109], 3, v[64:65]
	global_store_dwordx2 v[44:45], v[42:43], off
	s_or_b64 exec, exec, s[2:3]
	s_and_b64 s[4:5], s[24:25], s[26:27]
	s_and_saveexec_b64 s[2:3], s[4:5]
	s_cbranch_execz .LBB203_225
.LBB203_290:
	s_and_b64 vcc, exec, s[0:1]
	s_cbranch_vccnz .LBB203_292
; %bb.291:
	v_lshl_add_u64 v[42:43], v[106:107], 3, v[130:131]
	global_load_dwordx2 v[42:43], v[42:43], off
	s_waitcnt vmcnt(0)
	v_mul_f64 v[42:43], s[70:71], v[42:43]
	s_branch .LBB203_293
.LBB203_292:
	v_mov_b64_e32 v[42:43], 0
.LBB203_293:
	v_add_f64 v[40:41], v[40:41], v[42:43]
	v_lshl_add_u64 v[42:43], v[106:107], 3, v[64:65]
	global_store_dwordx2 v[42:43], v[40:41], off
	s_or_b64 exec, exec, s[2:3]
	s_and_b64 s[4:5], s[24:25], s[28:29]
	s_and_saveexec_b64 s[2:3], s[4:5]
	s_cbranch_execz .LBB203_226
.LBB203_294:
	s_and_b64 vcc, exec, s[0:1]
	s_cbranch_vccnz .LBB203_296
; %bb.295:
	v_lshl_add_u64 v[40:41], v[104:105], 3, v[130:131]
	global_load_dwordx2 v[40:41], v[40:41], off
	s_waitcnt vmcnt(0)
	v_mul_f64 v[40:41], s[70:71], v[40:41]
	s_branch .LBB203_297
.LBB203_296:
	v_mov_b64_e32 v[40:41], 0
.LBB203_297:
	v_add_f64 v[38:39], v[38:39], v[40:41]
	v_lshl_add_u64 v[40:41], v[104:105], 3, v[64:65]
	global_store_dwordx2 v[40:41], v[38:39], off
	s_or_b64 exec, exec, s[2:3]
	s_and_b64 s[4:5], s[24:25], s[30:31]
	s_and_saveexec_b64 s[2:3], s[4:5]
	s_cbranch_execz .LBB203_227
.LBB203_298:
	s_and_b64 vcc, exec, s[0:1]
	s_cbranch_vccnz .LBB203_300
; %bb.299:
	v_lshl_add_u64 v[38:39], v[102:103], 3, v[130:131]
	global_load_dwordx2 v[38:39], v[38:39], off
	s_waitcnt vmcnt(0)
	v_mul_f64 v[38:39], s[70:71], v[38:39]
	s_branch .LBB203_301
.LBB203_300:
	v_mov_b64_e32 v[38:39], 0
.LBB203_301:
	v_add_f64 v[36:37], v[36:37], v[38:39]
	v_lshl_add_u64 v[38:39], v[102:103], 3, v[64:65]
	global_store_dwordx2 v[38:39], v[36:37], off
	s_or_b64 exec, exec, s[2:3]
	s_and_b64 s[4:5], s[24:25], s[34:35]
	s_and_saveexec_b64 s[2:3], s[4:5]
	s_cbranch_execz .LBB203_228
.LBB203_302:
	s_and_b64 vcc, exec, s[0:1]
	s_cbranch_vccnz .LBB203_304
; %bb.303:
	v_lshl_add_u64 v[36:37], v[100:101], 3, v[130:131]
	global_load_dwordx2 v[36:37], v[36:37], off
	s_waitcnt vmcnt(0)
	v_mul_f64 v[36:37], s[70:71], v[36:37]
	s_branch .LBB203_305
.LBB203_304:
	v_mov_b64_e32 v[36:37], 0
.LBB203_305:
	v_add_f64 v[34:35], v[34:35], v[36:37]
	v_lshl_add_u64 v[36:37], v[100:101], 3, v[64:65]
	global_store_dwordx2 v[36:37], v[34:35], off
	s_or_b64 exec, exec, s[2:3]
	s_and_b64 s[4:5], s[24:25], s[36:37]
	s_and_saveexec_b64 s[2:3], s[4:5]
	s_cbranch_execz .LBB203_229
.LBB203_306:
	s_and_b64 vcc, exec, s[0:1]
	s_cbranch_vccnz .LBB203_308
; %bb.307:
	v_lshl_add_u64 v[34:35], v[98:99], 3, v[130:131]
	global_load_dwordx2 v[34:35], v[34:35], off
	s_waitcnt vmcnt(0)
	v_mul_f64 v[34:35], s[70:71], v[34:35]
	s_branch .LBB203_309
.LBB203_308:
	v_mov_b64_e32 v[34:35], 0
.LBB203_309:
	v_add_f64 v[32:33], v[32:33], v[34:35]
	v_lshl_add_u64 v[34:35], v[98:99], 3, v[64:65]
	global_store_dwordx2 v[34:35], v[32:33], off
	s_or_b64 exec, exec, s[2:3]
	s_and_b64 s[4:5], s[24:25], s[38:39]
	s_and_saveexec_b64 s[2:3], s[4:5]
	s_cbranch_execz .LBB203_230
.LBB203_310:
	s_and_b64 vcc, exec, s[0:1]
	s_cbranch_vccnz .LBB203_312
; %bb.311:
	v_lshl_add_u64 v[32:33], v[96:97], 3, v[130:131]
	global_load_dwordx2 v[32:33], v[32:33], off
	s_waitcnt vmcnt(0)
	v_mul_f64 v[32:33], s[70:71], v[32:33]
	s_branch .LBB203_313
.LBB203_312:
	v_mov_b64_e32 v[32:33], 0
.LBB203_313:
	v_add_f64 v[30:31], v[30:31], v[32:33]
	v_lshl_add_u64 v[32:33], v[96:97], 3, v[64:65]
	global_store_dwordx2 v[32:33], v[30:31], off
	s_or_b64 exec, exec, s[2:3]
	s_and_b64 s[4:5], s[24:25], s[40:41]
	s_and_saveexec_b64 s[2:3], s[4:5]
	s_cbranch_execz .LBB203_231
.LBB203_314:
	s_and_b64 vcc, exec, s[0:1]
	s_cbranch_vccnz .LBB203_316
; %bb.315:
	v_lshl_add_u64 v[30:31], v[94:95], 3, v[130:131]
	global_load_dwordx2 v[30:31], v[30:31], off
	s_waitcnt vmcnt(0)
	v_mul_f64 v[30:31], s[70:71], v[30:31]
	s_branch .LBB203_317
.LBB203_316:
	v_mov_b64_e32 v[30:31], 0
.LBB203_317:
	v_add_f64 v[28:29], v[28:29], v[30:31]
	v_lshl_add_u64 v[30:31], v[94:95], 3, v[64:65]
	global_store_dwordx2 v[30:31], v[28:29], off
	s_or_b64 exec, exec, s[2:3]
	s_and_b64 s[4:5], s[24:25], s[42:43]
	s_and_saveexec_b64 s[2:3], s[4:5]
	s_cbranch_execz .LBB203_232
.LBB203_318:
	s_and_b64 vcc, exec, s[0:1]
	s_cbranch_vccnz .LBB203_320
; %bb.319:
	v_lshl_add_u64 v[28:29], v[92:93], 3, v[130:131]
	global_load_dwordx2 v[28:29], v[28:29], off
	s_waitcnt vmcnt(0)
	v_mul_f64 v[28:29], s[70:71], v[28:29]
	s_branch .LBB203_321
.LBB203_320:
	v_mov_b64_e32 v[28:29], 0
.LBB203_321:
	v_add_f64 v[26:27], v[26:27], v[28:29]
	v_lshl_add_u64 v[28:29], v[92:93], 3, v[64:65]
	global_store_dwordx2 v[28:29], v[26:27], off
	s_or_b64 exec, exec, s[2:3]
	s_and_b64 s[4:5], s[24:25], s[44:45]
	s_and_saveexec_b64 s[2:3], s[4:5]
	s_cbranch_execz .LBB203_233
.LBB203_322:
	s_and_b64 vcc, exec, s[0:1]
	s_cbranch_vccnz .LBB203_324
; %bb.323:
	v_lshl_add_u64 v[26:27], v[90:91], 3, v[130:131]
	global_load_dwordx2 v[26:27], v[26:27], off
	s_waitcnt vmcnt(0)
	v_mul_f64 v[26:27], s[70:71], v[26:27]
	s_branch .LBB203_325
.LBB203_324:
	v_mov_b64_e32 v[26:27], 0
.LBB203_325:
	v_add_f64 v[24:25], v[24:25], v[26:27]
	v_lshl_add_u64 v[26:27], v[90:91], 3, v[64:65]
	global_store_dwordx2 v[26:27], v[24:25], off
	s_or_b64 exec, exec, s[2:3]
	s_and_b64 s[4:5], s[24:25], s[46:47]
	s_and_saveexec_b64 s[2:3], s[4:5]
	s_cbranch_execz .LBB203_234
.LBB203_326:
	s_and_b64 vcc, exec, s[0:1]
	s_cbranch_vccnz .LBB203_328
; %bb.327:
	v_lshl_add_u64 v[24:25], v[88:89], 3, v[130:131]
	global_load_dwordx2 v[24:25], v[24:25], off
	s_waitcnt vmcnt(0)
	v_mul_f64 v[24:25], s[70:71], v[24:25]
	s_branch .LBB203_329
.LBB203_328:
	v_mov_b64_e32 v[24:25], 0
.LBB203_329:
	v_add_f64 v[22:23], v[22:23], v[24:25]
	v_lshl_add_u64 v[24:25], v[88:89], 3, v[64:65]
	global_store_dwordx2 v[24:25], v[22:23], off
	s_or_b64 exec, exec, s[2:3]
	s_and_b64 s[4:5], s[24:25], s[48:49]
	s_and_saveexec_b64 s[2:3], s[4:5]
	s_cbranch_execz .LBB203_235
.LBB203_330:
	s_and_b64 vcc, exec, s[0:1]
	s_cbranch_vccnz .LBB203_332
; %bb.331:
	v_lshl_add_u64 v[22:23], v[86:87], 3, v[130:131]
	global_load_dwordx2 v[22:23], v[22:23], off
	s_waitcnt vmcnt(0)
	v_mul_f64 v[22:23], s[70:71], v[22:23]
	s_branch .LBB203_333
.LBB203_332:
	v_mov_b64_e32 v[22:23], 0
.LBB203_333:
	v_add_f64 v[20:21], v[20:21], v[22:23]
	v_lshl_add_u64 v[22:23], v[86:87], 3, v[64:65]
	global_store_dwordx2 v[22:23], v[20:21], off
	s_or_b64 exec, exec, s[2:3]
	s_and_b64 s[4:5], s[24:25], s[50:51]
	s_and_saveexec_b64 s[2:3], s[4:5]
	s_cbranch_execz .LBB203_236
.LBB203_334:
	s_and_b64 vcc, exec, s[0:1]
	s_cbranch_vccnz .LBB203_336
; %bb.335:
	v_lshl_add_u64 v[20:21], v[84:85], 3, v[130:131]
	global_load_dwordx2 v[20:21], v[20:21], off
	s_waitcnt vmcnt(0)
	v_mul_f64 v[20:21], s[70:71], v[20:21]
	s_branch .LBB203_337
.LBB203_336:
	v_mov_b64_e32 v[20:21], 0
.LBB203_337:
	v_add_f64 v[18:19], v[18:19], v[20:21]
	v_lshl_add_u64 v[20:21], v[84:85], 3, v[64:65]
	global_store_dwordx2 v[20:21], v[18:19], off
	s_or_b64 exec, exec, s[2:3]
	s_and_b64 s[4:5], s[24:25], s[52:53]
	s_and_saveexec_b64 s[2:3], s[4:5]
	s_cbranch_execz .LBB203_237
.LBB203_338:
	s_and_b64 vcc, exec, s[0:1]
	s_cbranch_vccnz .LBB203_340
; %bb.339:
	v_lshl_add_u64 v[18:19], v[82:83], 3, v[130:131]
	global_load_dwordx2 v[18:19], v[18:19], off
	s_waitcnt vmcnt(0)
	v_mul_f64 v[18:19], s[70:71], v[18:19]
	s_branch .LBB203_341
.LBB203_340:
	v_mov_b64_e32 v[18:19], 0
.LBB203_341:
	v_add_f64 v[16:17], v[16:17], v[18:19]
	v_lshl_add_u64 v[18:19], v[82:83], 3, v[64:65]
	global_store_dwordx2 v[18:19], v[16:17], off
	s_or_b64 exec, exec, s[2:3]
	s_and_b64 s[4:5], s[24:25], s[54:55]
	s_and_saveexec_b64 s[2:3], s[4:5]
	s_cbranch_execz .LBB203_238
.LBB203_342:
	s_and_b64 vcc, exec, s[0:1]
	s_cbranch_vccnz .LBB203_344
; %bb.343:
	v_lshl_add_u64 v[16:17], v[80:81], 3, v[130:131]
	global_load_dwordx2 v[16:17], v[16:17], off
	s_waitcnt vmcnt(0)
	v_mul_f64 v[16:17], s[70:71], v[16:17]
	s_branch .LBB203_345
.LBB203_344:
	v_mov_b64_e32 v[16:17], 0
.LBB203_345:
	v_add_f64 v[14:15], v[14:15], v[16:17]
	v_lshl_add_u64 v[16:17], v[80:81], 3, v[64:65]
	global_store_dwordx2 v[16:17], v[14:15], off
	s_or_b64 exec, exec, s[2:3]
	s_and_b64 s[4:5], s[24:25], s[56:57]
	s_and_saveexec_b64 s[2:3], s[4:5]
	s_cbranch_execz .LBB203_239
.LBB203_346:
	s_and_b64 vcc, exec, s[0:1]
	s_cbranch_vccnz .LBB203_348
; %bb.347:
	v_lshl_add_u64 v[14:15], v[78:79], 3, v[130:131]
	global_load_dwordx2 v[14:15], v[14:15], off
	s_waitcnt vmcnt(0)
	v_mul_f64 v[14:15], s[70:71], v[14:15]
	s_branch .LBB203_349
.LBB203_348:
	v_mov_b64_e32 v[14:15], 0
.LBB203_349:
	v_add_f64 v[12:13], v[12:13], v[14:15]
	v_lshl_add_u64 v[14:15], v[78:79], 3, v[64:65]
	global_store_dwordx2 v[14:15], v[12:13], off
	s_or_b64 exec, exec, s[2:3]
	s_and_b64 s[4:5], s[24:25], s[58:59]
	s_and_saveexec_b64 s[2:3], s[4:5]
	s_cbranch_execz .LBB203_240
.LBB203_350:
	s_and_b64 vcc, exec, s[0:1]
	s_cbranch_vccnz .LBB203_352
; %bb.351:
	v_lshl_add_u64 v[12:13], v[76:77], 3, v[130:131]
	global_load_dwordx2 v[12:13], v[12:13], off
	s_waitcnt vmcnt(0)
	v_mul_f64 v[12:13], s[70:71], v[12:13]
	s_branch .LBB203_353
.LBB203_352:
	v_mov_b64_e32 v[12:13], 0
.LBB203_353:
	v_add_f64 v[10:11], v[10:11], v[12:13]
	v_lshl_add_u64 v[12:13], v[76:77], 3, v[64:65]
	global_store_dwordx2 v[12:13], v[10:11], off
	s_or_b64 exec, exec, s[2:3]
	s_and_b64 s[4:5], s[24:25], s[60:61]
	s_and_saveexec_b64 s[2:3], s[4:5]
	s_cbranch_execz .LBB203_241
.LBB203_354:
	s_and_b64 vcc, exec, s[0:1]
	s_cbranch_vccnz .LBB203_356
; %bb.355:
	v_lshl_add_u64 v[10:11], v[74:75], 3, v[130:131]
	global_load_dwordx2 v[10:11], v[10:11], off
	s_waitcnt vmcnt(0)
	v_mul_f64 v[10:11], s[70:71], v[10:11]
	s_branch .LBB203_357
.LBB203_356:
	v_mov_b64_e32 v[10:11], 0
.LBB203_357:
	v_add_f64 v[8:9], v[8:9], v[10:11]
	v_lshl_add_u64 v[10:11], v[74:75], 3, v[64:65]
	global_store_dwordx2 v[10:11], v[8:9], off
	s_or_b64 exec, exec, s[2:3]
	s_and_b64 s[4:5], s[24:25], s[62:63]
	s_and_saveexec_b64 s[2:3], s[4:5]
	s_cbranch_execz .LBB203_242
.LBB203_358:
	s_and_b64 vcc, exec, s[0:1]
	s_cbranch_vccnz .LBB203_360
; %bb.359:
	v_lshl_add_u64 v[8:9], v[72:73], 3, v[130:131]
	global_load_dwordx2 v[8:9], v[8:9], off
	s_waitcnt vmcnt(0)
	v_mul_f64 v[8:9], s[70:71], v[8:9]
	s_branch .LBB203_361
.LBB203_360:
	v_mov_b64_e32 v[8:9], 0
.LBB203_361:
	v_add_f64 v[6:7], v[6:7], v[8:9]
	v_lshl_add_u64 v[8:9], v[72:73], 3, v[64:65]
	global_store_dwordx2 v[8:9], v[6:7], off
	s_or_b64 exec, exec, s[2:3]
	s_and_b64 s[4:5], s[24:25], s[64:65]
	s_and_saveexec_b64 s[2:3], s[4:5]
	s_cbranch_execz .LBB203_243
.LBB203_362:
	s_and_b64 vcc, exec, s[0:1]
	s_cbranch_vccnz .LBB203_364
; %bb.363:
	v_lshl_add_u64 v[6:7], v[70:71], 3, v[130:131]
	global_load_dwordx2 v[6:7], v[6:7], off
	s_waitcnt vmcnt(0)
	v_mul_f64 v[6:7], s[70:71], v[6:7]
	s_branch .LBB203_365
.LBB203_364:
	v_mov_b64_e32 v[6:7], 0
.LBB203_365:
	v_add_f64 v[4:5], v[4:5], v[6:7]
	v_lshl_add_u64 v[6:7], v[70:71], 3, v[64:65]
	global_store_dwordx2 v[6:7], v[4:5], off
	s_or_b64 exec, exec, s[2:3]
	s_and_b64 s[4:5], s[24:25], s[66:67]
	s_and_saveexec_b64 s[2:3], s[4:5]
	s_cbranch_execz .LBB203_244
.LBB203_366:
	s_and_b64 vcc, exec, s[0:1]
	s_cbranch_vccnz .LBB203_368
; %bb.367:
	v_lshl_add_u64 v[4:5], v[68:69], 3, v[130:131]
	global_load_dwordx2 v[4:5], v[4:5], off
	s_waitcnt vmcnt(0)
	v_mul_f64 v[4:5], s[70:71], v[4:5]
	s_branch .LBB203_369
.LBB203_368:
	v_mov_b64_e32 v[4:5], 0
.LBB203_369:
	v_add_f64 v[2:3], v[2:3], v[4:5]
	v_lshl_add_u64 v[4:5], v[68:69], 3, v[64:65]
	global_store_dwordx2 v[4:5], v[2:3], off
	s_or_b64 exec, exec, s[2:3]
	s_and_b64 s[2:3], s[24:25], s[68:69]
	s_and_saveexec_b64 s[4:5], s[2:3]
	s_cbranch_execz .LBB203_245
.LBB203_370:
	s_and_b64 vcc, exec, s[0:1]
	s_cbranch_vccnz .LBB203_372
; %bb.371:
	v_lshl_add_u64 v[2:3], v[66:67], 3, v[130:131]
	global_load_dwordx2 v[2:3], v[2:3], off
	s_waitcnt vmcnt(0)
	v_mul_f64 v[2:3], s[70:71], v[2:3]
	v_add_f64 v[0:1], v[0:1], v[2:3]
	v_lshl_add_u64 v[2:3], v[66:67], 3, v[64:65]
	global_store_dwordx2 v[2:3], v[0:1], off
	s_endpgm
.LBB203_372:
	v_mov_b64_e32 v[2:3], 0
	v_add_f64 v[0:1], v[0:1], v[2:3]
	v_lshl_add_u64 v[2:3], v[66:67], 3, v[64:65]
	global_store_dwordx2 v[2:3], v[0:1], off
	s_endpgm
	.section	.rodata,"a",@progbits
	.p2align	6, 0x0
	.amdhsa_kernel _ZN12_GLOBAL__N_120geam_min_plus_kernelIdddLi4ELi64ELi128ELi128ELi4ELi4ELi64ELi64ELi4ELc84ELc84ELb0ELb1ELb0EdKddEEviiiT16_PT17_ilS4_ilS2_S4_ilPT18_ili26rocblas_geam_ex_operation_
		.amdhsa_group_segment_fixed_size 16384
		.amdhsa_private_segment_fixed_size 0
		.amdhsa_kernarg_size 136
		.amdhsa_user_sgpr_count 2
		.amdhsa_user_sgpr_dispatch_ptr 0
		.amdhsa_user_sgpr_queue_ptr 0
		.amdhsa_user_sgpr_kernarg_segment_ptr 1
		.amdhsa_user_sgpr_dispatch_id 0
		.amdhsa_user_sgpr_kernarg_preload_length 0
		.amdhsa_user_sgpr_kernarg_preload_offset 0
		.amdhsa_user_sgpr_private_segment_size 0
		.amdhsa_uses_dynamic_stack 0
		.amdhsa_enable_private_segment 0
		.amdhsa_system_sgpr_workgroup_id_x 1
		.amdhsa_system_sgpr_workgroup_id_y 0
		.amdhsa_system_sgpr_workgroup_id_z 1
		.amdhsa_system_sgpr_workgroup_info 0
		.amdhsa_system_vgpr_workitem_id 1
		.amdhsa_next_free_vgpr 254
		.amdhsa_next_free_sgpr 82
		.amdhsa_accum_offset 256
		.amdhsa_reserve_vcc 1
		.amdhsa_float_round_mode_32 0
		.amdhsa_float_round_mode_16_64 0
		.amdhsa_float_denorm_mode_32 3
		.amdhsa_float_denorm_mode_16_64 3
		.amdhsa_dx10_clamp 1
		.amdhsa_ieee_mode 1
		.amdhsa_fp16_overflow 0
		.amdhsa_tg_split 0
		.amdhsa_exception_fp_ieee_invalid_op 0
		.amdhsa_exception_fp_denorm_src 0
		.amdhsa_exception_fp_ieee_div_zero 0
		.amdhsa_exception_fp_ieee_overflow 0
		.amdhsa_exception_fp_ieee_underflow 0
		.amdhsa_exception_fp_ieee_inexact 0
		.amdhsa_exception_int_div_zero 0
	.end_amdhsa_kernel
	.section	.text._ZN12_GLOBAL__N_120geam_min_plus_kernelIdddLi4ELi64ELi128ELi128ELi4ELi4ELi64ELi64ELi4ELc84ELc84ELb0ELb1ELb0EdKddEEviiiT16_PT17_ilS4_ilS2_S4_ilPT18_ili26rocblas_geam_ex_operation_,"axG",@progbits,_ZN12_GLOBAL__N_120geam_min_plus_kernelIdddLi4ELi64ELi128ELi128ELi4ELi4ELi64ELi64ELi4ELc84ELc84ELb0ELb1ELb0EdKddEEviiiT16_PT17_ilS4_ilS2_S4_ilPT18_ili26rocblas_geam_ex_operation_,comdat
.Lfunc_end203:
	.size	_ZN12_GLOBAL__N_120geam_min_plus_kernelIdddLi4ELi64ELi128ELi128ELi4ELi4ELi64ELi64ELi4ELc84ELc84ELb0ELb1ELb0EdKddEEviiiT16_PT17_ilS4_ilS2_S4_ilPT18_ili26rocblas_geam_ex_operation_, .Lfunc_end203-_ZN12_GLOBAL__N_120geam_min_plus_kernelIdddLi4ELi64ELi128ELi128ELi4ELi4ELi64ELi64ELi4ELc84ELc84ELb0ELb1ELb0EdKddEEviiiT16_PT17_ilS4_ilS2_S4_ilPT18_ili26rocblas_geam_ex_operation_
                                        ; -- End function
	.set _ZN12_GLOBAL__N_120geam_min_plus_kernelIdddLi4ELi64ELi128ELi128ELi4ELi4ELi64ELi64ELi4ELc84ELc84ELb0ELb1ELb0EdKddEEviiiT16_PT17_ilS4_ilS2_S4_ilPT18_ili26rocblas_geam_ex_operation_.num_vgpr, 254
	.set _ZN12_GLOBAL__N_120geam_min_plus_kernelIdddLi4ELi64ELi128ELi128ELi4ELi4ELi64ELi64ELi4ELc84ELc84ELb0ELb1ELb0EdKddEEviiiT16_PT17_ilS4_ilS2_S4_ilPT18_ili26rocblas_geam_ex_operation_.num_agpr, 0
	.set _ZN12_GLOBAL__N_120geam_min_plus_kernelIdddLi4ELi64ELi128ELi128ELi4ELi4ELi64ELi64ELi4ELc84ELc84ELb0ELb1ELb0EdKddEEviiiT16_PT17_ilS4_ilS2_S4_ilPT18_ili26rocblas_geam_ex_operation_.numbered_sgpr, 82
	.set _ZN12_GLOBAL__N_120geam_min_plus_kernelIdddLi4ELi64ELi128ELi128ELi4ELi4ELi64ELi64ELi4ELc84ELc84ELb0ELb1ELb0EdKddEEviiiT16_PT17_ilS4_ilS2_S4_ilPT18_ili26rocblas_geam_ex_operation_.num_named_barrier, 0
	.set _ZN12_GLOBAL__N_120geam_min_plus_kernelIdddLi4ELi64ELi128ELi128ELi4ELi4ELi64ELi64ELi4ELc84ELc84ELb0ELb1ELb0EdKddEEviiiT16_PT17_ilS4_ilS2_S4_ilPT18_ili26rocblas_geam_ex_operation_.private_seg_size, 0
	.set _ZN12_GLOBAL__N_120geam_min_plus_kernelIdddLi4ELi64ELi128ELi128ELi4ELi4ELi64ELi64ELi4ELc84ELc84ELb0ELb1ELb0EdKddEEviiiT16_PT17_ilS4_ilS2_S4_ilPT18_ili26rocblas_geam_ex_operation_.uses_vcc, 1
	.set _ZN12_GLOBAL__N_120geam_min_plus_kernelIdddLi4ELi64ELi128ELi128ELi4ELi4ELi64ELi64ELi4ELc84ELc84ELb0ELb1ELb0EdKddEEviiiT16_PT17_ilS4_ilS2_S4_ilPT18_ili26rocblas_geam_ex_operation_.uses_flat_scratch, 0
	.set _ZN12_GLOBAL__N_120geam_min_plus_kernelIdddLi4ELi64ELi128ELi128ELi4ELi4ELi64ELi64ELi4ELc84ELc84ELb0ELb1ELb0EdKddEEviiiT16_PT17_ilS4_ilS2_S4_ilPT18_ili26rocblas_geam_ex_operation_.has_dyn_sized_stack, 0
	.set _ZN12_GLOBAL__N_120geam_min_plus_kernelIdddLi4ELi64ELi128ELi128ELi4ELi4ELi64ELi64ELi4ELc84ELc84ELb0ELb1ELb0EdKddEEviiiT16_PT17_ilS4_ilS2_S4_ilPT18_ili26rocblas_geam_ex_operation_.has_recursion, 0
	.set _ZN12_GLOBAL__N_120geam_min_plus_kernelIdddLi4ELi64ELi128ELi128ELi4ELi4ELi64ELi64ELi4ELc84ELc84ELb0ELb1ELb0EdKddEEviiiT16_PT17_ilS4_ilS2_S4_ilPT18_ili26rocblas_geam_ex_operation_.has_indirect_call, 0
	.section	.AMDGPU.csdata,"",@progbits
; Kernel info:
; codeLenInByte = 14696
; TotalNumSgprs: 88
; NumVgprs: 254
; NumAgprs: 0
; TotalNumVgprs: 254
; ScratchSize: 0
; MemoryBound: 0
; FloatMode: 240
; IeeeMode: 1
; LDSByteSize: 16384 bytes/workgroup (compile time only)
; SGPRBlocks: 10
; VGPRBlocks: 31
; NumSGPRsForWavesPerEU: 88
; NumVGPRsForWavesPerEU: 254
; AccumOffset: 256
; Occupancy: 2
; WaveLimiterHint : 0
; COMPUTE_PGM_RSRC2:SCRATCH_EN: 0
; COMPUTE_PGM_RSRC2:USER_SGPR: 2
; COMPUTE_PGM_RSRC2:TRAP_HANDLER: 0
; COMPUTE_PGM_RSRC2:TGID_X_EN: 1
; COMPUTE_PGM_RSRC2:TGID_Y_EN: 0
; COMPUTE_PGM_RSRC2:TGID_Z_EN: 1
; COMPUTE_PGM_RSRC2:TIDIG_COMP_CNT: 1
; COMPUTE_PGM_RSRC3_GFX90A:ACCUM_OFFSET: 63
; COMPUTE_PGM_RSRC3_GFX90A:TG_SPLIT: 0
	.section	.text._ZN12_GLOBAL__N_120geam_ex_scale_kernelILi32ELi32EDF16_DF16_PKPKDF16_PKPDF16_EEviiT2_T3_lilT4_lil,"axG",@progbits,_ZN12_GLOBAL__N_120geam_ex_scale_kernelILi32ELi32EDF16_DF16_PKPKDF16_PKPDF16_EEviiT2_T3_lilT4_lil,comdat
	.globl	_ZN12_GLOBAL__N_120geam_ex_scale_kernelILi32ELi32EDF16_DF16_PKPKDF16_PKPDF16_EEviiT2_T3_lilT4_lil ; -- Begin function _ZN12_GLOBAL__N_120geam_ex_scale_kernelILi32ELi32EDF16_DF16_PKPKDF16_PKPDF16_EEviiT2_T3_lilT4_lil
	.p2align	8
	.type	_ZN12_GLOBAL__N_120geam_ex_scale_kernelILi32ELi32EDF16_DF16_PKPKDF16_PKPDF16_EEviiT2_T3_lilT4_lil,@function
_ZN12_GLOBAL__N_120geam_ex_scale_kernelILi32ELi32EDF16_DF16_PKPKDF16_PKPDF16_EEviiT2_T3_lilT4_lil: ; @_ZN12_GLOBAL__N_120geam_ex_scale_kernelILi32ELi32EDF16_DF16_PKPKDF16_PKPDF16_EEviiT2_T3_lilT4_lil
; %bb.0:
	s_load_dwordx4 s[4:7], s[0:1], 0x0
	s_mov_b32 s16, s3
	s_mov_b32 s17, 0
	s_waitcnt lgkmcnt(0)
	v_cmp_eq_f16_e64 s[14:15], s6, 0
	s_and_b64 vcc, exec, s[14:15]
	s_cbranch_vccnz .LBB204_2
; %bb.1:
	s_load_dwordx4 s[8:11], s[0:1], 0x10
	s_lshl_b64 s[12:13], s[16:17], 3
	s_waitcnt lgkmcnt(0)
	s_add_u32 s8, s8, s12
	s_addc_u32 s9, s9, s13
	s_load_dwordx2 s[8:9], s[8:9], 0x0
	s_lshl_b64 s[10:11], s[10:11], 1
	s_waitcnt lgkmcnt(0)
	s_add_u32 s12, s8, s10
	s_addc_u32 s13, s9, s11
	s_branch .LBB204_3
.LBB204_2:
	s_mov_b64 s[12:13], 0
.LBB204_3:
	s_add_i32 s3, s4, -1
	s_ashr_i32 s7, s3, 31
	s_lshr_b32 s7, s7, 27
	s_add_i32 s3, s3, s7
	s_ashr_i32 s3, s3, 5
	s_add_i32 s7, s3, 1
	v_cvt_f32_u32_e32 v1, s7
	s_not_b32 s3, s3
	v_and_b32_e32 v2, 0x3ff, v0
	v_bfe_u32 v0, v0, 10, 10
	v_rcp_iflag_f32_e32 v1, v1
	s_nop 0
	v_mul_f32_e32 v1, 0x4f7ffffe, v1
	v_cvt_u32_f32_e32 v1, v1
	s_nop 0
	v_readfirstlane_b32 s8, v1
	s_mul_i32 s3, s3, s8
	s_mul_hi_u32 s3, s8, s3
	s_add_i32 s8, s8, s3
	s_mul_hi_u32 s3, s2, s8
	s_mul_i32 s8, s3, s7
	s_sub_i32 s8, s2, s8
	s_add_i32 s9, s3, 1
	s_sub_i32 s10, s8, s7
	s_cmp_ge_u32 s8, s7
	s_cselect_b32 s3, s9, s3
	s_cselect_b32 s8, s10, s8
	s_add_i32 s9, s3, 1
	s_cmp_ge_u32 s8, s7
	s_cselect_b32 s3, s9, s3
	s_mul_i32 s7, s3, s7
	s_sub_i32 s2, s2, s7
	v_lshl_add_u32 v4, s3, 5, v0
	v_lshl_add_u32 v0, s2, 5, v2
	v_cmp_gt_u32_e32 vcc, s4, v0
	v_cmp_gt_u32_e64 s[2:3], s5, v4
	s_and_b64 s[2:3], vcc, s[2:3]
	s_and_saveexec_b64 s[4:5], s[2:3]
	s_cbranch_execz .LBB204_9
; %bb.4:
	s_load_dwordx4 s[8:11], s[0:1], 0x30
	s_lshl_b64 s[2:3], s[16:17], 3
	v_mov_b32_e32 v1, 0
	s_waitcnt lgkmcnt(0)
	s_add_u32 s2, s8, s2
	s_addc_u32 s3, s9, s3
	s_load_dwordx2 s[2:3], s[2:3], 0x0
	s_andn2_b64 vcc, exec, s[14:15]
	s_cbranch_vccnz .LBB204_6
; %bb.5:
	v_mov_b32_e32 v3, 0
	v_mov_b32_e32 v2, v0
	s_cbranch_execz .LBB204_7
	s_branch .LBB204_8
.LBB204_6:
	v_mov_b64_e32 v[2:3], v[0:1]
.LBB204_7:
	s_load_dword s4, s[0:1], 0x20
	s_waitcnt lgkmcnt(0)
	s_ashr_i32 s7, s4, 31
	v_mad_u64_u32 v[6:7], s[4:5], v4, s4, 0
	v_mov_b32_e32 v8, v7
	v_mad_u64_u32 v[8:9], s[4:5], v4, s7, v[8:9]
	v_mov_b32_e32 v7, v8
	v_lshl_add_u64 v[6:7], v[6:7], 1, s[12:13]
	v_lshl_add_u64 v[0:1], v[0:1], 1, v[6:7]
	flat_load_ushort v0, v[0:1]
	s_waitcnt vmcnt(0) lgkmcnt(0)
	v_mul_f16_e32 v1, s6, v0
.LBB204_8:
	s_load_dword s4, s[0:1], 0x40
	s_lshl_b64 s[0:1], s[10:11], 1
	s_waitcnt lgkmcnt(0)
	s_add_u32 s0, s2, s0
	s_addc_u32 s1, s3, s1
	v_mad_u64_u32 v[6:7], s[2:3], v4, s4, 0
	s_ashr_i32 s5, s4, 31
	v_mov_b32_e32 v0, v7
	v_mad_u64_u32 v[4:5], s[2:3], v4, s5, v[0:1]
	v_mov_b32_e32 v7, v4
	v_lshl_add_u64 v[4:5], v[6:7], 1, s[0:1]
	v_lshl_add_u64 v[2:3], v[2:3], 1, v[4:5]
	flat_store_short v[2:3], v1
.LBB204_9:
	s_endpgm
	.section	.rodata,"a",@progbits
	.p2align	6, 0x0
	.amdhsa_kernel _ZN12_GLOBAL__N_120geam_ex_scale_kernelILi32ELi32EDF16_DF16_PKPKDF16_PKPDF16_EEviiT2_T3_lilT4_lil
		.amdhsa_group_segment_fixed_size 0
		.amdhsa_private_segment_fixed_size 0
		.amdhsa_kernarg_size 80
		.amdhsa_user_sgpr_count 2
		.amdhsa_user_sgpr_dispatch_ptr 0
		.amdhsa_user_sgpr_queue_ptr 0
		.amdhsa_user_sgpr_kernarg_segment_ptr 1
		.amdhsa_user_sgpr_dispatch_id 0
		.amdhsa_user_sgpr_kernarg_preload_length 0
		.amdhsa_user_sgpr_kernarg_preload_offset 0
		.amdhsa_user_sgpr_private_segment_size 0
		.amdhsa_uses_dynamic_stack 0
		.amdhsa_enable_private_segment 0
		.amdhsa_system_sgpr_workgroup_id_x 1
		.amdhsa_system_sgpr_workgroup_id_y 0
		.amdhsa_system_sgpr_workgroup_id_z 1
		.amdhsa_system_sgpr_workgroup_info 0
		.amdhsa_system_vgpr_workitem_id 1
		.amdhsa_next_free_vgpr 10
		.amdhsa_next_free_sgpr 18
		.amdhsa_accum_offset 12
		.amdhsa_reserve_vcc 1
		.amdhsa_float_round_mode_32 0
		.amdhsa_float_round_mode_16_64 0
		.amdhsa_float_denorm_mode_32 3
		.amdhsa_float_denorm_mode_16_64 3
		.amdhsa_dx10_clamp 1
		.amdhsa_ieee_mode 1
		.amdhsa_fp16_overflow 0
		.amdhsa_tg_split 0
		.amdhsa_exception_fp_ieee_invalid_op 0
		.amdhsa_exception_fp_denorm_src 0
		.amdhsa_exception_fp_ieee_div_zero 0
		.amdhsa_exception_fp_ieee_overflow 0
		.amdhsa_exception_fp_ieee_underflow 0
		.amdhsa_exception_fp_ieee_inexact 0
		.amdhsa_exception_int_div_zero 0
	.end_amdhsa_kernel
	.section	.text._ZN12_GLOBAL__N_120geam_ex_scale_kernelILi32ELi32EDF16_DF16_PKPKDF16_PKPDF16_EEviiT2_T3_lilT4_lil,"axG",@progbits,_ZN12_GLOBAL__N_120geam_ex_scale_kernelILi32ELi32EDF16_DF16_PKPKDF16_PKPDF16_EEviiT2_T3_lilT4_lil,comdat
.Lfunc_end204:
	.size	_ZN12_GLOBAL__N_120geam_ex_scale_kernelILi32ELi32EDF16_DF16_PKPKDF16_PKPDF16_EEviiT2_T3_lilT4_lil, .Lfunc_end204-_ZN12_GLOBAL__N_120geam_ex_scale_kernelILi32ELi32EDF16_DF16_PKPKDF16_PKPDF16_EEviiT2_T3_lilT4_lil
                                        ; -- End function
	.set _ZN12_GLOBAL__N_120geam_ex_scale_kernelILi32ELi32EDF16_DF16_PKPKDF16_PKPDF16_EEviiT2_T3_lilT4_lil.num_vgpr, 10
	.set _ZN12_GLOBAL__N_120geam_ex_scale_kernelILi32ELi32EDF16_DF16_PKPKDF16_PKPDF16_EEviiT2_T3_lilT4_lil.num_agpr, 0
	.set _ZN12_GLOBAL__N_120geam_ex_scale_kernelILi32ELi32EDF16_DF16_PKPKDF16_PKPDF16_EEviiT2_T3_lilT4_lil.numbered_sgpr, 18
	.set _ZN12_GLOBAL__N_120geam_ex_scale_kernelILi32ELi32EDF16_DF16_PKPKDF16_PKPDF16_EEviiT2_T3_lilT4_lil.num_named_barrier, 0
	.set _ZN12_GLOBAL__N_120geam_ex_scale_kernelILi32ELi32EDF16_DF16_PKPKDF16_PKPDF16_EEviiT2_T3_lilT4_lil.private_seg_size, 0
	.set _ZN12_GLOBAL__N_120geam_ex_scale_kernelILi32ELi32EDF16_DF16_PKPKDF16_PKPDF16_EEviiT2_T3_lilT4_lil.uses_vcc, 1
	.set _ZN12_GLOBAL__N_120geam_ex_scale_kernelILi32ELi32EDF16_DF16_PKPKDF16_PKPDF16_EEviiT2_T3_lilT4_lil.uses_flat_scratch, 0
	.set _ZN12_GLOBAL__N_120geam_ex_scale_kernelILi32ELi32EDF16_DF16_PKPKDF16_PKPDF16_EEviiT2_T3_lilT4_lil.has_dyn_sized_stack, 0
	.set _ZN12_GLOBAL__N_120geam_ex_scale_kernelILi32ELi32EDF16_DF16_PKPKDF16_PKPDF16_EEviiT2_T3_lilT4_lil.has_recursion, 0
	.set _ZN12_GLOBAL__N_120geam_ex_scale_kernelILi32ELi32EDF16_DF16_PKPKDF16_PKPDF16_EEviiT2_T3_lilT4_lil.has_indirect_call, 0
	.section	.AMDGPU.csdata,"",@progbits
; Kernel info:
; codeLenInByte = 488
; TotalNumSgprs: 24
; NumVgprs: 10
; NumAgprs: 0
; TotalNumVgprs: 10
; ScratchSize: 0
; MemoryBound: 0
; FloatMode: 240
; IeeeMode: 1
; LDSByteSize: 0 bytes/workgroup (compile time only)
; SGPRBlocks: 2
; VGPRBlocks: 1
; NumSGPRsForWavesPerEU: 24
; NumVGPRsForWavesPerEU: 10
; AccumOffset: 12
; Occupancy: 8
; WaveLimiterHint : 1
; COMPUTE_PGM_RSRC2:SCRATCH_EN: 0
; COMPUTE_PGM_RSRC2:USER_SGPR: 2
; COMPUTE_PGM_RSRC2:TRAP_HANDLER: 0
; COMPUTE_PGM_RSRC2:TGID_X_EN: 1
; COMPUTE_PGM_RSRC2:TGID_Y_EN: 0
; COMPUTE_PGM_RSRC2:TGID_Z_EN: 1
; COMPUTE_PGM_RSRC2:TIDIG_COMP_CNT: 1
; COMPUTE_PGM_RSRC3_GFX90A:ACCUM_OFFSET: 2
; COMPUTE_PGM_RSRC3_GFX90A:TG_SPLIT: 0
	.section	.text._ZN12_GLOBAL__N_120geam_ex_scale_kernelILi32ELi32EDF16_PKDF16_PKS2_PKPDF16_EEviiT2_T3_lilT4_lil,"axG",@progbits,_ZN12_GLOBAL__N_120geam_ex_scale_kernelILi32ELi32EDF16_PKDF16_PKS2_PKPDF16_EEviiT2_T3_lilT4_lil,comdat
	.globl	_ZN12_GLOBAL__N_120geam_ex_scale_kernelILi32ELi32EDF16_PKDF16_PKS2_PKPDF16_EEviiT2_T3_lilT4_lil ; -- Begin function _ZN12_GLOBAL__N_120geam_ex_scale_kernelILi32ELi32EDF16_PKDF16_PKS2_PKPDF16_EEviiT2_T3_lilT4_lil
	.p2align	8
	.type	_ZN12_GLOBAL__N_120geam_ex_scale_kernelILi32ELi32EDF16_PKDF16_PKS2_PKPDF16_EEviiT2_T3_lilT4_lil,@function
_ZN12_GLOBAL__N_120geam_ex_scale_kernelILi32ELi32EDF16_PKDF16_PKS2_PKPDF16_EEviiT2_T3_lilT4_lil: ; @_ZN12_GLOBAL__N_120geam_ex_scale_kernelILi32ELi32EDF16_PKDF16_PKS2_PKPDF16_EEviiT2_T3_lilT4_lil
; %bb.0:
	s_load_dwordx4 s[4:7], s[0:1], 0x8
	v_mov_b32_e32 v1, 0
	s_mov_b32 s12, s3
	s_mov_b32 s13, 0
	s_waitcnt lgkmcnt(0)
	global_load_ushort v4, v1, s[4:5]
	s_waitcnt vmcnt(0)
	v_cmp_eq_f16_e64 s[4:5], 0, v4
	s_and_b64 vcc, exec, s[4:5]
	s_cbranch_vccnz .LBB205_2
; %bb.1:
	s_lshl_b64 s[10:11], s[12:13], 3
	s_add_u32 s6, s6, s10
	s_load_dwordx2 s[8:9], s[0:1], 0x18
	s_addc_u32 s7, s7, s11
	s_load_dwordx2 s[6:7], s[6:7], 0x0
	s_waitcnt lgkmcnt(0)
	s_lshl_b64 s[8:9], s[8:9], 1
	s_add_u32 s6, s6, s8
	s_addc_u32 s7, s7, s9
	s_branch .LBB205_3
.LBB205_2:
	s_mov_b64 s[6:7], 0
.LBB205_3:
	s_load_dwordx2 s[8:9], s[0:1], 0x0
	v_and_b32_e32 v2, 0x3ff, v0
	v_bfe_u32 v0, v0, 10, 10
	s_waitcnt lgkmcnt(0)
	s_add_i32 s3, s8, -1
	s_ashr_i32 s10, s3, 31
	s_lshr_b32 s10, s10, 27
	s_add_i32 s3, s3, s10
	s_ashr_i32 s3, s3, 5
	s_add_i32 s10, s3, 1
	v_cvt_f32_u32_e32 v1, s10
	s_not_b32 s3, s3
	v_rcp_iflag_f32_e32 v1, v1
	s_nop 0
	v_mul_f32_e32 v1, 0x4f7ffffe, v1
	v_cvt_u32_f32_e32 v1, v1
	s_nop 0
	v_readfirstlane_b32 s11, v1
	s_mul_i32 s3, s3, s11
	s_mul_hi_u32 s3, s11, s3
	s_add_i32 s11, s11, s3
	s_mul_hi_u32 s3, s2, s11
	s_mul_i32 s11, s3, s10
	s_sub_i32 s11, s2, s11
	s_add_i32 s14, s3, 1
	s_sub_i32 s15, s11, s10
	s_cmp_ge_u32 s11, s10
	s_cselect_b32 s3, s14, s3
	s_cselect_b32 s11, s15, s11
	s_add_i32 s14, s3, 1
	s_cmp_ge_u32 s11, s10
	s_cselect_b32 s3, s14, s3
	s_mul_i32 s10, s3, s10
	s_sub_i32 s2, s2, s10
	v_lshl_add_u32 v5, s3, 5, v0
	v_lshl_add_u32 v0, s2, 5, v2
	v_cmp_gt_u32_e32 vcc, s8, v0
	v_cmp_gt_u32_e64 s[2:3], s9, v5
	s_and_b64 s[2:3], vcc, s[2:3]
	s_and_saveexec_b64 s[8:9], s[2:3]
	s_cbranch_execz .LBB205_9
; %bb.4:
	s_load_dwordx4 s[8:11], s[0:1], 0x30
	s_lshl_b64 s[2:3], s[12:13], 3
	v_mov_b32_e32 v1, 0
	s_waitcnt lgkmcnt(0)
	s_add_u32 s2, s8, s2
	s_addc_u32 s3, s9, s3
	s_load_dwordx2 s[2:3], s[2:3], 0x0
	s_andn2_b64 vcc, exec, s[4:5]
	s_cbranch_vccnz .LBB205_6
; %bb.5:
	v_mov_b32_e32 v3, 0
	v_mov_b32_e32 v2, v0
	s_cbranch_execz .LBB205_7
	s_branch .LBB205_8
.LBB205_6:
	v_mov_b64_e32 v[2:3], v[0:1]
.LBB205_7:
	s_load_dword s4, s[0:1], 0x20
	s_waitcnt lgkmcnt(0)
	s_ashr_i32 s8, s4, 31
	v_mad_u64_u32 v[6:7], s[4:5], v5, s4, 0
	v_mov_b32_e32 v8, v7
	v_mad_u64_u32 v[8:9], s[4:5], v5, s8, v[8:9]
	v_mov_b32_e32 v7, v8
	v_lshl_add_u64 v[6:7], v[6:7], 1, s[6:7]
	v_lshl_add_u64 v[0:1], v[0:1], 1, v[6:7]
	flat_load_ushort v0, v[0:1]
	s_waitcnt vmcnt(0) lgkmcnt(0)
	v_mul_f16_e32 v1, v4, v0
.LBB205_8:
	s_load_dword s4, s[0:1], 0x40
	s_lshl_b64 s[0:1], s[10:11], 1
	s_waitcnt lgkmcnt(0)
	s_add_u32 s0, s2, s0
	s_addc_u32 s1, s3, s1
	v_mad_u64_u32 v[6:7], s[2:3], v5, s4, 0
	s_ashr_i32 s5, s4, 31
	v_mov_b32_e32 v0, v7
	v_mad_u64_u32 v[4:5], s[2:3], v5, s5, v[0:1]
	v_mov_b32_e32 v7, v4
	v_lshl_add_u64 v[4:5], v[6:7], 1, s[0:1]
	v_lshl_add_u64 v[2:3], v[2:3], 1, v[4:5]
	flat_store_short v[2:3], v1
.LBB205_9:
	s_endpgm
	.section	.rodata,"a",@progbits
	.p2align	6, 0x0
	.amdhsa_kernel _ZN12_GLOBAL__N_120geam_ex_scale_kernelILi32ELi32EDF16_PKDF16_PKS2_PKPDF16_EEviiT2_T3_lilT4_lil
		.amdhsa_group_segment_fixed_size 0
		.amdhsa_private_segment_fixed_size 0
		.amdhsa_kernarg_size 80
		.amdhsa_user_sgpr_count 2
		.amdhsa_user_sgpr_dispatch_ptr 0
		.amdhsa_user_sgpr_queue_ptr 0
		.amdhsa_user_sgpr_kernarg_segment_ptr 1
		.amdhsa_user_sgpr_dispatch_id 0
		.amdhsa_user_sgpr_kernarg_preload_length 0
		.amdhsa_user_sgpr_kernarg_preload_offset 0
		.amdhsa_user_sgpr_private_segment_size 0
		.amdhsa_uses_dynamic_stack 0
		.amdhsa_enable_private_segment 0
		.amdhsa_system_sgpr_workgroup_id_x 1
		.amdhsa_system_sgpr_workgroup_id_y 0
		.amdhsa_system_sgpr_workgroup_id_z 1
		.amdhsa_system_sgpr_workgroup_info 0
		.amdhsa_system_vgpr_workitem_id 1
		.amdhsa_next_free_vgpr 10
		.amdhsa_next_free_sgpr 16
		.amdhsa_accum_offset 12
		.amdhsa_reserve_vcc 1
		.amdhsa_float_round_mode_32 0
		.amdhsa_float_round_mode_16_64 0
		.amdhsa_float_denorm_mode_32 3
		.amdhsa_float_denorm_mode_16_64 3
		.amdhsa_dx10_clamp 1
		.amdhsa_ieee_mode 1
		.amdhsa_fp16_overflow 0
		.amdhsa_tg_split 0
		.amdhsa_exception_fp_ieee_invalid_op 0
		.amdhsa_exception_fp_denorm_src 0
		.amdhsa_exception_fp_ieee_div_zero 0
		.amdhsa_exception_fp_ieee_overflow 0
		.amdhsa_exception_fp_ieee_underflow 0
		.amdhsa_exception_fp_ieee_inexact 0
		.amdhsa_exception_int_div_zero 0
	.end_amdhsa_kernel
	.section	.text._ZN12_GLOBAL__N_120geam_ex_scale_kernelILi32ELi32EDF16_PKDF16_PKS2_PKPDF16_EEviiT2_T3_lilT4_lil,"axG",@progbits,_ZN12_GLOBAL__N_120geam_ex_scale_kernelILi32ELi32EDF16_PKDF16_PKS2_PKPDF16_EEviiT2_T3_lilT4_lil,comdat
.Lfunc_end205:
	.size	_ZN12_GLOBAL__N_120geam_ex_scale_kernelILi32ELi32EDF16_PKDF16_PKS2_PKPDF16_EEviiT2_T3_lilT4_lil, .Lfunc_end205-_ZN12_GLOBAL__N_120geam_ex_scale_kernelILi32ELi32EDF16_PKDF16_PKS2_PKPDF16_EEviiT2_T3_lilT4_lil
                                        ; -- End function
	.set _ZN12_GLOBAL__N_120geam_ex_scale_kernelILi32ELi32EDF16_PKDF16_PKS2_PKPDF16_EEviiT2_T3_lilT4_lil.num_vgpr, 10
	.set _ZN12_GLOBAL__N_120geam_ex_scale_kernelILi32ELi32EDF16_PKDF16_PKS2_PKPDF16_EEviiT2_T3_lilT4_lil.num_agpr, 0
	.set _ZN12_GLOBAL__N_120geam_ex_scale_kernelILi32ELi32EDF16_PKDF16_PKS2_PKPDF16_EEviiT2_T3_lilT4_lil.numbered_sgpr, 16
	.set _ZN12_GLOBAL__N_120geam_ex_scale_kernelILi32ELi32EDF16_PKDF16_PKS2_PKPDF16_EEviiT2_T3_lilT4_lil.num_named_barrier, 0
	.set _ZN12_GLOBAL__N_120geam_ex_scale_kernelILi32ELi32EDF16_PKDF16_PKS2_PKPDF16_EEviiT2_T3_lilT4_lil.private_seg_size, 0
	.set _ZN12_GLOBAL__N_120geam_ex_scale_kernelILi32ELi32EDF16_PKDF16_PKS2_PKPDF16_EEviiT2_T3_lilT4_lil.uses_vcc, 1
	.set _ZN12_GLOBAL__N_120geam_ex_scale_kernelILi32ELi32EDF16_PKDF16_PKS2_PKPDF16_EEviiT2_T3_lilT4_lil.uses_flat_scratch, 0
	.set _ZN12_GLOBAL__N_120geam_ex_scale_kernelILi32ELi32EDF16_PKDF16_PKS2_PKPDF16_EEviiT2_T3_lilT4_lil.has_dyn_sized_stack, 0
	.set _ZN12_GLOBAL__N_120geam_ex_scale_kernelILi32ELi32EDF16_PKDF16_PKS2_PKPDF16_EEviiT2_T3_lilT4_lil.has_recursion, 0
	.set _ZN12_GLOBAL__N_120geam_ex_scale_kernelILi32ELi32EDF16_PKDF16_PKS2_PKPDF16_EEviiT2_T3_lilT4_lil.has_indirect_call, 0
	.section	.AMDGPU.csdata,"",@progbits
; Kernel info:
; codeLenInByte = 512
; TotalNumSgprs: 22
; NumVgprs: 10
; NumAgprs: 0
; TotalNumVgprs: 10
; ScratchSize: 0
; MemoryBound: 0
; FloatMode: 240
; IeeeMode: 1
; LDSByteSize: 0 bytes/workgroup (compile time only)
; SGPRBlocks: 2
; VGPRBlocks: 1
; NumSGPRsForWavesPerEU: 22
; NumVGPRsForWavesPerEU: 10
; AccumOffset: 12
; Occupancy: 8
; WaveLimiterHint : 1
; COMPUTE_PGM_RSRC2:SCRATCH_EN: 0
; COMPUTE_PGM_RSRC2:USER_SGPR: 2
; COMPUTE_PGM_RSRC2:TRAP_HANDLER: 0
; COMPUTE_PGM_RSRC2:TGID_X_EN: 1
; COMPUTE_PGM_RSRC2:TGID_Y_EN: 0
; COMPUTE_PGM_RSRC2:TGID_Z_EN: 1
; COMPUTE_PGM_RSRC2:TIDIG_COMP_CNT: 1
; COMPUTE_PGM_RSRC3_GFX90A:ACCUM_OFFSET: 2
; COMPUTE_PGM_RSRC3_GFX90A:TG_SPLIT: 0
	.section	.text._ZN12_GLOBAL__N_120geam_ex_round_kernelILi32ELi32EDF16_DF16_PKPKDF16_PKPDF16_EEviiT2_T3_lilT4_lil,"axG",@progbits,_ZN12_GLOBAL__N_120geam_ex_round_kernelILi32ELi32EDF16_DF16_PKPKDF16_PKPDF16_EEviiT2_T3_lilT4_lil,comdat
	.globl	_ZN12_GLOBAL__N_120geam_ex_round_kernelILi32ELi32EDF16_DF16_PKPKDF16_PKPDF16_EEviiT2_T3_lilT4_lil ; -- Begin function _ZN12_GLOBAL__N_120geam_ex_round_kernelILi32ELi32EDF16_DF16_PKPKDF16_PKPDF16_EEviiT2_T3_lilT4_lil
	.p2align	8
	.type	_ZN12_GLOBAL__N_120geam_ex_round_kernelILi32ELi32EDF16_DF16_PKPKDF16_PKPDF16_EEviiT2_T3_lilT4_lil,@function
_ZN12_GLOBAL__N_120geam_ex_round_kernelILi32ELi32EDF16_DF16_PKPKDF16_PKPDF16_EEviiT2_T3_lilT4_lil: ; @_ZN12_GLOBAL__N_120geam_ex_round_kernelILi32ELi32EDF16_DF16_PKPKDF16_PKPDF16_EEviiT2_T3_lilT4_lil
; %bb.0:
	s_load_dwordx4 s[4:7], s[0:1], 0x0
	s_mov_b32 s16, s3
	s_mov_b32 s17, 0
	s_waitcnt lgkmcnt(0)
	v_cmp_eq_f16_e64 s[14:15], s6, 0
	s_and_b64 vcc, exec, s[14:15]
	s_cbranch_vccnz .LBB206_2
; %bb.1:
	s_load_dwordx4 s[8:11], s[0:1], 0x10
	s_lshl_b64 s[12:13], s[16:17], 3
	s_waitcnt lgkmcnt(0)
	s_add_u32 s8, s8, s12
	s_addc_u32 s9, s9, s13
	s_load_dwordx2 s[8:9], s[8:9], 0x0
	s_lshl_b64 s[10:11], s[10:11], 1
	s_waitcnt lgkmcnt(0)
	s_add_u32 s12, s8, s10
	s_addc_u32 s13, s9, s11
	s_branch .LBB206_3
.LBB206_2:
	s_mov_b64 s[12:13], 0
.LBB206_3:
	s_add_i32 s3, s4, -1
	s_ashr_i32 s7, s3, 31
	s_lshr_b32 s7, s7, 27
	s_add_i32 s3, s3, s7
	s_ashr_i32 s3, s3, 5
	s_add_i32 s7, s3, 1
	v_cvt_f32_u32_e32 v1, s7
	s_not_b32 s3, s3
	v_and_b32_e32 v3, 0x3ff, v0
	v_bfe_u32 v0, v0, 10, 10
	v_rcp_iflag_f32_e32 v1, v1
	s_nop 0
	v_mul_f32_e32 v1, 0x4f7ffffe, v1
	v_cvt_u32_f32_e32 v1, v1
	s_nop 0
	v_readfirstlane_b32 s8, v1
	s_mul_i32 s3, s3, s8
	s_mul_hi_u32 s3, s8, s3
	s_add_i32 s8, s8, s3
	s_mul_hi_u32 s3, s2, s8
	s_mul_i32 s8, s3, s7
	s_sub_i32 s8, s2, s8
	s_add_i32 s9, s3, 1
	s_sub_i32 s10, s8, s7
	s_cmp_ge_u32 s8, s7
	s_cselect_b32 s3, s9, s3
	s_cselect_b32 s8, s10, s8
	s_add_i32 s9, s3, 1
	s_cmp_ge_u32 s8, s7
	s_cselect_b32 s3, s9, s3
	s_mul_i32 s7, s3, s7
	s_sub_i32 s2, s2, s7
	v_lshl_add_u32 v2, s3, 5, v0
	v_lshl_add_u32 v0, s2, 5, v3
	v_cmp_gt_u32_e32 vcc, s4, v0
	v_cmp_gt_u32_e64 s[2:3], s5, v2
	s_and_b64 s[2:3], vcc, s[2:3]
	s_and_saveexec_b64 s[4:5], s[2:3]
	s_cbranch_execz .LBB206_9
; %bb.4:
	s_load_dwordx4 s[8:11], s[0:1], 0x30
	s_lshl_b64 s[2:3], s[16:17], 3
	v_mov_b32_e32 v1, 0
	s_waitcnt lgkmcnt(0)
	s_add_u32 s2, s8, s2
	s_addc_u32 s3, s9, s3
	s_load_dwordx2 s[2:3], s[2:3], 0x0
	s_andn2_b64 vcc, exec, s[14:15]
	s_cbranch_vccnz .LBB206_6
; %bb.5:
	v_mov_b32_e32 v5, 0
	v_mov_b32_e32 v4, v0
	s_cbranch_execz .LBB206_7
	s_branch .LBB206_8
.LBB206_6:
	v_mov_b64_e32 v[4:5], v[0:1]
.LBB206_7:
	s_load_dword s4, s[0:1], 0x20
	s_waitcnt lgkmcnt(0)
	s_ashr_i32 s7, s4, 31
	v_mad_u64_u32 v[6:7], s[4:5], v2, s4, 0
	v_mov_b32_e32 v8, v7
	v_mad_u64_u32 v[8:9], s[4:5], v2, s7, v[8:9]
	v_mov_b32_e32 v7, v8
	v_lshl_add_u64 v[6:7], v[6:7], 1, s[12:13]
	v_lshl_add_u64 v[0:1], v[0:1], 1, v[6:7]
	flat_load_ushort v0, v[0:1]
	s_waitcnt vmcnt(0) lgkmcnt(0)
	v_mul_f16_e32 v1, s6, v0
.LBB206_8:
	s_load_dword s4, s[0:1], 0x40
	s_lshl_b64 s[0:1], s[10:11], 1
	s_waitcnt lgkmcnt(0)
	s_add_u32 s0, s2, s0
	s_addc_u32 s1, s3, s1
	v_cmp_nlt_f16_e32 vcc, 0, v1
	v_mad_u64_u32 v[6:7], s[2:3], v2, s4, 0
	s_ashr_i32 s5, s4, 31
	v_mov_b32_e32 v0, v7
	v_mad_u64_u32 v[2:3], s[2:3], v2, s5, v[0:1]
	v_mov_b32_e32 v7, v2
	v_lshl_add_u64 v[2:3], v[6:7], 1, s[0:1]
	v_lshl_add_u64 v[2:3], v[4:5], 1, v[2:3]
	v_cndmask_b32_e32 v0, 0, v1, vcc
	flat_store_short v[2:3], v0
.LBB206_9:
	s_endpgm
	.section	.rodata,"a",@progbits
	.p2align	6, 0x0
	.amdhsa_kernel _ZN12_GLOBAL__N_120geam_ex_round_kernelILi32ELi32EDF16_DF16_PKPKDF16_PKPDF16_EEviiT2_T3_lilT4_lil
		.amdhsa_group_segment_fixed_size 0
		.amdhsa_private_segment_fixed_size 0
		.amdhsa_kernarg_size 80
		.amdhsa_user_sgpr_count 2
		.amdhsa_user_sgpr_dispatch_ptr 0
		.amdhsa_user_sgpr_queue_ptr 0
		.amdhsa_user_sgpr_kernarg_segment_ptr 1
		.amdhsa_user_sgpr_dispatch_id 0
		.amdhsa_user_sgpr_kernarg_preload_length 0
		.amdhsa_user_sgpr_kernarg_preload_offset 0
		.amdhsa_user_sgpr_private_segment_size 0
		.amdhsa_uses_dynamic_stack 0
		.amdhsa_enable_private_segment 0
		.amdhsa_system_sgpr_workgroup_id_x 1
		.amdhsa_system_sgpr_workgroup_id_y 0
		.amdhsa_system_sgpr_workgroup_id_z 1
		.amdhsa_system_sgpr_workgroup_info 0
		.amdhsa_system_vgpr_workitem_id 1
		.amdhsa_next_free_vgpr 10
		.amdhsa_next_free_sgpr 18
		.amdhsa_accum_offset 12
		.amdhsa_reserve_vcc 1
		.amdhsa_float_round_mode_32 0
		.amdhsa_float_round_mode_16_64 0
		.amdhsa_float_denorm_mode_32 3
		.amdhsa_float_denorm_mode_16_64 3
		.amdhsa_dx10_clamp 1
		.amdhsa_ieee_mode 1
		.amdhsa_fp16_overflow 0
		.amdhsa_tg_split 0
		.amdhsa_exception_fp_ieee_invalid_op 0
		.amdhsa_exception_fp_denorm_src 0
		.amdhsa_exception_fp_ieee_div_zero 0
		.amdhsa_exception_fp_ieee_overflow 0
		.amdhsa_exception_fp_ieee_underflow 0
		.amdhsa_exception_fp_ieee_inexact 0
		.amdhsa_exception_int_div_zero 0
	.end_amdhsa_kernel
	.section	.text._ZN12_GLOBAL__N_120geam_ex_round_kernelILi32ELi32EDF16_DF16_PKPKDF16_PKPDF16_EEviiT2_T3_lilT4_lil,"axG",@progbits,_ZN12_GLOBAL__N_120geam_ex_round_kernelILi32ELi32EDF16_DF16_PKPKDF16_PKPDF16_EEviiT2_T3_lilT4_lil,comdat
.Lfunc_end206:
	.size	_ZN12_GLOBAL__N_120geam_ex_round_kernelILi32ELi32EDF16_DF16_PKPKDF16_PKPDF16_EEviiT2_T3_lilT4_lil, .Lfunc_end206-_ZN12_GLOBAL__N_120geam_ex_round_kernelILi32ELi32EDF16_DF16_PKPKDF16_PKPDF16_EEviiT2_T3_lilT4_lil
                                        ; -- End function
	.set _ZN12_GLOBAL__N_120geam_ex_round_kernelILi32ELi32EDF16_DF16_PKPKDF16_PKPDF16_EEviiT2_T3_lilT4_lil.num_vgpr, 10
	.set _ZN12_GLOBAL__N_120geam_ex_round_kernelILi32ELi32EDF16_DF16_PKPKDF16_PKPDF16_EEviiT2_T3_lilT4_lil.num_agpr, 0
	.set _ZN12_GLOBAL__N_120geam_ex_round_kernelILi32ELi32EDF16_DF16_PKPKDF16_PKPDF16_EEviiT2_T3_lilT4_lil.numbered_sgpr, 18
	.set _ZN12_GLOBAL__N_120geam_ex_round_kernelILi32ELi32EDF16_DF16_PKPKDF16_PKPDF16_EEviiT2_T3_lilT4_lil.num_named_barrier, 0
	.set _ZN12_GLOBAL__N_120geam_ex_round_kernelILi32ELi32EDF16_DF16_PKPKDF16_PKPDF16_EEviiT2_T3_lilT4_lil.private_seg_size, 0
	.set _ZN12_GLOBAL__N_120geam_ex_round_kernelILi32ELi32EDF16_DF16_PKPKDF16_PKPDF16_EEviiT2_T3_lilT4_lil.uses_vcc, 1
	.set _ZN12_GLOBAL__N_120geam_ex_round_kernelILi32ELi32EDF16_DF16_PKPKDF16_PKPDF16_EEviiT2_T3_lilT4_lil.uses_flat_scratch, 0
	.set _ZN12_GLOBAL__N_120geam_ex_round_kernelILi32ELi32EDF16_DF16_PKPKDF16_PKPDF16_EEviiT2_T3_lilT4_lil.has_dyn_sized_stack, 0
	.set _ZN12_GLOBAL__N_120geam_ex_round_kernelILi32ELi32EDF16_DF16_PKPKDF16_PKPDF16_EEviiT2_T3_lilT4_lil.has_recursion, 0
	.set _ZN12_GLOBAL__N_120geam_ex_round_kernelILi32ELi32EDF16_DF16_PKPKDF16_PKPDF16_EEviiT2_T3_lilT4_lil.has_indirect_call, 0
	.section	.AMDGPU.csdata,"",@progbits
; Kernel info:
; codeLenInByte = 496
; TotalNumSgprs: 24
; NumVgprs: 10
; NumAgprs: 0
; TotalNumVgprs: 10
; ScratchSize: 0
; MemoryBound: 0
; FloatMode: 240
; IeeeMode: 1
; LDSByteSize: 0 bytes/workgroup (compile time only)
; SGPRBlocks: 2
; VGPRBlocks: 1
; NumSGPRsForWavesPerEU: 24
; NumVGPRsForWavesPerEU: 10
; AccumOffset: 12
; Occupancy: 8
; WaveLimiterHint : 1
; COMPUTE_PGM_RSRC2:SCRATCH_EN: 0
; COMPUTE_PGM_RSRC2:USER_SGPR: 2
; COMPUTE_PGM_RSRC2:TRAP_HANDLER: 0
; COMPUTE_PGM_RSRC2:TGID_X_EN: 1
; COMPUTE_PGM_RSRC2:TGID_Y_EN: 0
; COMPUTE_PGM_RSRC2:TGID_Z_EN: 1
; COMPUTE_PGM_RSRC2:TIDIG_COMP_CNT: 1
; COMPUTE_PGM_RSRC3_GFX90A:ACCUM_OFFSET: 2
; COMPUTE_PGM_RSRC3_GFX90A:TG_SPLIT: 0
	.section	.text._ZN12_GLOBAL__N_120geam_min_plus_kernelIDF16_Dv2_DF16_S1_Li32ELi8ELi256ELi64ELi4ELi64ELi4ELi4ELi64ELc78ELc78ELb0ELb0ELb1EPKDF16_KS3_KPDF16_EEviiiT16_PT17_ilS9_ilS7_S9_ilPT18_ili26rocblas_geam_ex_operation_,"axG",@progbits,_ZN12_GLOBAL__N_120geam_min_plus_kernelIDF16_Dv2_DF16_S1_Li32ELi8ELi256ELi64ELi4ELi64ELi4ELi4ELi64ELc78ELc78ELb0ELb0ELb1EPKDF16_KS3_KPDF16_EEviiiT16_PT17_ilS9_ilS7_S9_ilPT18_ili26rocblas_geam_ex_operation_,comdat
	.globl	_ZN12_GLOBAL__N_120geam_min_plus_kernelIDF16_Dv2_DF16_S1_Li32ELi8ELi256ELi64ELi4ELi64ELi4ELi4ELi64ELc78ELc78ELb0ELb0ELb1EPKDF16_KS3_KPDF16_EEviiiT16_PT17_ilS9_ilS7_S9_ilPT18_ili26rocblas_geam_ex_operation_ ; -- Begin function _ZN12_GLOBAL__N_120geam_min_plus_kernelIDF16_Dv2_DF16_S1_Li32ELi8ELi256ELi64ELi4ELi64ELi4ELi4ELi64ELc78ELc78ELb0ELb0ELb1EPKDF16_KS3_KPDF16_EEviiiT16_PT17_ilS9_ilS7_S9_ilPT18_ili26rocblas_geam_ex_operation_
	.p2align	8
	.type	_ZN12_GLOBAL__N_120geam_min_plus_kernelIDF16_Dv2_DF16_S1_Li32ELi8ELi256ELi64ELi4ELi64ELi4ELi4ELi64ELc78ELc78ELb0ELb0ELb1EPKDF16_KS3_KPDF16_EEviiiT16_PT17_ilS9_ilS7_S9_ilPT18_ili26rocblas_geam_ex_operation_,@function
_ZN12_GLOBAL__N_120geam_min_plus_kernelIDF16_Dv2_DF16_S1_Li32ELi8ELi256ELi64ELi4ELi64ELi4ELi4ELi64ELc78ELc78ELb0ELb0ELb1EPKDF16_KS3_KPDF16_EEviiiT16_PT17_ilS9_ilS7_S9_ilPT18_ili26rocblas_geam_ex_operation_: ; @_ZN12_GLOBAL__N_120geam_min_plus_kernelIDF16_Dv2_DF16_S1_Li32ELi8ELi256ELi64ELi4ELi64ELi4ELi4ELi64ELc78ELc78ELb0ELb0ELb1EPKDF16_KS3_KPDF16_EEviiiT16_PT17_ilS9_ilS7_S9_ilPT18_ili26rocblas_geam_ex_operation_
; %bb.0:
	s_load_dwordx4 s[4:7], s[0:1], 0x10
	s_load_dwordx4 s[12:15], s[0:1], 0x28
	s_mov_b32 s22, s3
	s_mov_b32 s23, 0
	s_lshl_b64 s[8:9], s[22:23], 1
	s_waitcnt lgkmcnt(0)
	s_add_u32 s4, s4, s8
	s_addc_u32 s5, s5, s9
	v_mov_b32_e32 v1, 0
	global_load_ushort v82, v1, s[4:5]
	s_load_dwordx4 s[16:19], s[0:1], 0x40
	s_load_dwordx2 s[10:11], s[0:1], 0x50
	s_mov_b64 s[20:21], 0
	s_waitcnt lgkmcnt(0)
	s_add_u32 s24, s18, s8
	s_addc_u32 s25, s19, s9
	s_mov_b64 s[18:19], 0
	s_waitcnt vmcnt(0)
	v_cmp_eq_f16_e32 vcc, 0, v82
	s_and_b64 s[4:5], exec, vcc
	v_cmp_neq_f16_e64 s[8:9], 0, v82
	s_mov_b64 vcc, s[4:5]
	s_cbranch_vccnz .LBB207_2
; %bb.1:
	s_lshl_b64 s[18:19], s[22:23], 3
	s_add_u32 s6, s6, s18
	s_addc_u32 s7, s7, s19
	s_load_dwordx2 s[6:7], s[6:7], 0x0
	s_lshl_b64 s[12:13], s[12:13], 1
	s_waitcnt lgkmcnt(0)
	s_add_u32 s18, s6, s12
	s_addc_u32 s19, s7, s13
.LBB207_2:
	global_load_ushort v52, v1, s[24:25]
	v_cndmask_b32_e64 v1, 0, 1, s[8:9]
	v_cmp_ne_u32_e64 s[6:7], 1, v1
	s_andn2_b64 vcc, exec, s[8:9]
	s_cbranch_vccnz .LBB207_4
; %bb.3:
	s_lshl_b64 s[8:9], s[22:23], 3
	s_add_u32 s8, s14, s8
	s_addc_u32 s9, s15, s9
	s_load_dwordx2 s[8:9], s[8:9], 0x0
	s_lshl_b64 s[12:13], s[16:17], 1
	s_waitcnt lgkmcnt(0)
	s_add_u32 s20, s8, s12
	s_addc_u32 s21, s9, s13
.LBB207_4:
	s_load_dwordx4 s[12:15], s[0:1], 0x60
	s_waitcnt vmcnt(0)
	v_cmp_eq_f16_e32 vcc, 0, v52
	s_and_b64 s[8:9], exec, vcc
	s_mov_b64 vcc, s[8:9]
	s_cbranch_vccnz .LBB207_6
; %bb.5:
	s_lshl_b64 s[16:17], s[22:23], 3
	s_add_u32 s10, s10, s16
	s_addc_u32 s11, s11, s17
	s_load_dwordx2 s[10:11], s[10:11], 0x0
	s_waitcnt lgkmcnt(0)
	s_lshl_b64 s[12:13], s[12:13], 1
	s_add_u32 s10, s10, s12
	s_addc_u32 s11, s11, s13
	s_branch .LBB207_7
.LBB207_6:
	s_mov_b64 s[10:11], 0
.LBB207_7:
	s_load_dword s3, s[0:1], 0x0
	s_load_dword s16, s[0:1], 0x20
	s_waitcnt lgkmcnt(0)
	s_lshl_b64 s[12:13], s[22:23], 3
	s_add_u32 s14, s14, s12
	s_addc_u32 s15, s15, s13
	s_add_i32 s3, s3, -1
	s_ashr_i32 s12, s3, 31
	s_lshr_b32 s12, s12, 24
	s_add_i32 s3, s3, s12
	s_ashr_i32 s3, s3, 8
	s_add_i32 s12, s3, 1
	v_cvt_f32_u32_e32 v1, s12
	v_and_b32_e32 v50, 0x3ff, v0
	v_bfe_u32 v51, v0, 10, 10
	s_not_b32 s3, s3
	v_rcp_iflag_f32_e32 v1, v1
	v_lshl_add_u32 v5, v51, 5, v50
	v_and_b32_e32 v31, 63, v5
	v_lshrrev_b32_e32 v30, 6, v5
	v_mul_f32_e32 v0, 0x4f7ffffe, v1
	v_cvt_u32_f32_e32 v0, v0
	s_nop 0
	v_readfirstlane_b32 s13, v0
	s_mul_i32 s3, s3, s13
	s_mul_hi_u32 s3, s13, s3
	s_add_i32 s13, s13, s3
	s_mul_hi_u32 s3, s2, s13
	s_mul_i32 s13, s3, s12
	s_sub_i32 s13, s2, s13
	s_add_i32 s17, s3, 1
	s_sub_i32 s22, s13, s12
	s_cmp_ge_u32 s13, s12
	s_cselect_b32 s3, s17, s3
	s_cselect_b32 s13, s22, s13
	s_add_i32 s17, s3, 1
	s_cmp_ge_u32 s13, s12
	s_cselect_b32 s23, s17, s3
	s_mul_i32 s3, s23, s12
	s_sub_i32 s12, s2, s3
	s_lshl_b32 s22, s12, 8
	v_or_b32_e32 v0, s22, v31
	v_mad_i64_i32 v[2:3], s[12:13], s16, v30, 0
	v_lshl_add_u64 v[2:3], v[2:3], 1, s[18:19]
	s_and_b64 vcc, exec, s[6:7]
	v_ashrrev_i32_e32 v1, 31, v0
	s_cbranch_vccnz .LBB207_9
; %bb.8:
	v_lshl_add_u64 v[6:7], v[0:1], 1, v[2:3]
	flat_load_ushort v4, v[6:7]
	flat_load_ushort v8, v[6:7] offset:128
	s_waitcnt vmcnt(0) lgkmcnt(0)
	v_mul_f16_e32 v6, v82, v4
	v_mul_f16_e32 v4, v82, v8
	v_pack_b32_f16 v7, v6, 0
	s_branch .LBB207_10
.LBB207_9:
	v_mov_b32_e32 v7, 0
	v_mov_b32_e32 v4, 0
.LBB207_10:
	s_mov_b32 s12, 0x5040100
	v_mov_b32_e32 v6, 0
	s_ashr_i32 s17, s16, 31
	v_perm_b32 v32, v4, v7, s12
	s_mov_b64 vcc, s[4:5]
	s_cbranch_vccz .LBB207_12
; %bb.11:
	v_and_b32_e32 v33, 0xffff0000, v6
	v_mov_b32_e32 v4, 0
	v_mov_b32_e32 v34, 0
	s_cbranch_execz .LBB207_13
	s_branch .LBB207_14
.LBB207_12:
	v_mov_b32_e32 v4, 0
	v_mov_b32_e32 v34, 0
.LBB207_13:
	v_lshl_add_u64 v[2:3], v[0:1], 1, v[2:3]
	flat_load_ushort v7, v[2:3] offset:256
	flat_load_ushort v8, v[2:3] offset:384
	s_mov_b32 s12, 0xffff
	s_waitcnt vmcnt(0) lgkmcnt(0)
	v_mul_f16_e32 v2, v82, v7
	v_bfi_b32 v33, s12, v2, v6
	v_mul_f16_e32 v34, v82, v8
.LBB207_14:
	s_load_dword s26, s[0:1], 0x38
	v_and_b32_e32 v2, 3, v50
	v_lshrrev_b32_e32 v5, 2, v5
	s_lshl_b32 s23, s23, 6
	s_and_b64 vcc, exec, s[6:7]
	v_add_u32_e32 v35, s23, v5
	v_lshlrev_b32_e32 v28, 1, v2
	s_cbranch_vccnz .LBB207_16
; %bb.15:
	s_waitcnt lgkmcnt(0)
	v_mad_i64_i32 v[2:3], s[12:13], v35, s26, 0
	v_lshl_add_u64 v[2:3], v[2:3], 1, s[20:21]
	v_mov_b32_e32 v29, 0
	v_lshl_add_u64 v[2:3], v[2:3], 0, v[28:29]
	flat_load_ushort v2, v[2:3]
	s_waitcnt vmcnt(0) lgkmcnt(0)
	v_mul_f16_e32 v4, v82, v2
.LBB207_16:
	v_add_u32_e32 v2, 4, v30
	v_mad_i64_i32 v[2:3], s[12:13], s16, v2, 0
	s_and_b64 vcc, exec, s[6:7]
	v_lshl_add_u64 v[2:3], v[2:3], 1, s[18:19]
	s_cbranch_vccnz .LBB207_18
; %bb.17:
	v_lshl_add_u64 v[6:7], v[0:1], 1, v[2:3]
	flat_load_ushort v8, v[6:7]
	flat_load_ushort v9, v[6:7] offset:128
	s_waitcnt vmcnt(0) lgkmcnt(0)
	v_mul_f16_e32 v6, v82, v8
	v_mul_f16_e32 v7, v82, v9
	v_pack_b32_f16 v8, v6, 0
	s_branch .LBB207_19
.LBB207_18:
	v_mov_b32_e32 v8, 0
	v_mov_b32_e32 v7, 0
.LBB207_19:
	s_mov_b32 s12, 0x5040100
	v_mov_b32_e32 v6, 0
	v_perm_b32 v42, v7, v8, s12
	s_mov_b64 vcc, s[4:5]
	s_cbranch_vccz .LBB207_21
; %bb.20:
	v_and_b32_e32 v43, 0xffff0000, v6
	v_mov_b32_e32 v29, 0
	v_mov_b32_e32 v36, 0
	s_cbranch_execz .LBB207_22
	s_branch .LBB207_23
.LBB207_21:
	v_mov_b32_e32 v29, 0
	v_mov_b32_e32 v36, 0
.LBB207_22:
	v_lshl_add_u64 v[0:1], v[0:1], 1, v[2:3]
	flat_load_ushort v2, v[0:1] offset:256
	flat_load_ushort v3, v[0:1] offset:384
	s_mov_b32 s12, 0xffff
	s_waitcnt vmcnt(0) lgkmcnt(0)
	v_mul_f16_e32 v0, v82, v2
	v_bfi_b32 v43, s12, v0, v6
	v_mul_f16_e32 v36, v82, v3
.LBB207_23:
	s_and_b64 vcc, exec, s[6:7]
	s_cbranch_vccnz .LBB207_25
; %bb.24:
	s_waitcnt lgkmcnt(0)
	v_mad_i64_i32 v[0:1], s[12:13], v35, s26, 0
	v_lshl_add_u64 v[0:1], v[0:1], 1, s[20:21]
	v_mov_b32_e32 v29, 0
	v_lshl_add_u64 v[0:1], v[0:1], 0, v[28:29]
	flat_load_ushort v0, v[0:1] offset:8
	s_waitcnt vmcnt(0) lgkmcnt(0)
	v_mul_f16_e32 v29, v82, v0
.LBB207_25:
	v_lshlrev_b32_e32 v0, 3, v31
	v_lshlrev_b32_e32 v90, 3, v51
	v_lshl_add_u32 v105, v30, 1, v0
	v_lshl_or_b32 v37, v5, 3, v28
	v_lshlrev_b32_e32 v92, 3, v50
	v_add_u32_e32 v107, 0x1000, v90
	s_load_dwordx2 s[12:13], s[14:15], 0x0
	s_load_dword s24, s[0:1], 0x8
	ds_write_b16 v105, v32
	ds_write_b16_d16_hi v105, v32 offset:512
	ds_write_b16 v105, v33 offset:1024
	ds_write_b16 v105, v34 offset:1536
	;; [unrolled: 1-line block ×3, first 2 shown]
	s_waitcnt lgkmcnt(0)
	s_barrier
	ds_read2_b64 v[16:19], v92 offset1:32
	ds_read2_b64 v[12:15], v92 offset0:64 offset1:96
	ds_read2_b64 v[4:7], v92 offset0:128 offset1:160
	ds_read2_b64 v[38:41], v107 offset1:8
	ds_read2_b64 v[0:3], v92 offset0:192 offset1:224
	ds_read2_b64 v[24:27], v107 offset0:16 offset1:24
	;; [unrolled: 1-line block ×4, first 2 shown]
	s_movk_i32 s14, 0x7c00
	s_waitcnt lgkmcnt(4)
	v_pk_add_f16 v44, v16, v38
	v_pk_add_f16 v45, v18, v38
	;; [unrolled: 1-line block ×6, first 2 shown]
	s_waitcnt lgkmcnt(3)
	v_pk_add_f16 v53, v0, v38
	v_pk_add_f16 v38, v2, v38
	v_pk_add_f16 v54, v16, v40
	v_pk_add_f16 v55, v18, v40
	v_pk_add_f16 v56, v12, v40
	v_pk_add_f16 v57, v14, v40
	v_pk_add_f16 v58, v4, v40
	v_pk_add_f16 v59, v6, v40
	v_pk_add_f16 v60, v0, v40
	v_pk_add_f16 v40, v2, v40
	s_waitcnt lgkmcnt(2)
	v_pk_add_f16 v61, v16, v24
	v_pk_add_f16 v62, v18, v24
	v_pk_add_f16 v63, v12, v24
	v_pk_add_f16 v64, v14, v24
	v_pk_add_f16 v65, v4, v24
	v_pk_add_f16 v66, v6, v24
	v_pk_add_f16 v67, v0, v24
	v_pk_add_f16 v24, v2, v24
	v_pk_add_f16 v68, v16, v26
	v_pk_add_f16 v69, v18, v26
	v_pk_add_f16 v70, v12, v26
	v_pk_add_f16 v71, v14, v26
	v_pk_add_f16 v72, v4, v26
	v_pk_add_f16 v73, v6, v26
	v_pk_add_f16 v74, v0, v26
	v_pk_add_f16 v26, v2, v26
	s_waitcnt lgkmcnt(1)
	v_pk_add_f16 v75, v16, v20
	v_pk_add_f16 v76, v18, v20
	v_pk_add_f16 v77, v12, v20
	v_pk_add_f16 v78, v14, v20
	v_pk_add_f16 v79, v4, v20
	v_pk_add_f16 v122, v6, v20
	;; [unrolled: 17-line block ×3, first 2 shown]
	v_pk_add_f16 v137, v0, v8
	v_pk_add_f16 v8, v2, v8
	;; [unrolled: 1-line block ×11, first 2 shown]
	v_pk_min_f16 v10, v44, s14 op_sel_hi:[1,0]
	v_pk_min_f16 v8, v8, s14 op_sel_hi:[1,0]
	v_pk_min_f16 v121, v10, v2
	v_pk_add_f16 v2, v19, v39
	v_pk_min_f16 v10, v45, s14 op_sel_hi:[1,0]
	v_pk_min_f16 v4, v4, s14 op_sel_hi:[1,0]
	v_pk_min_f16 v120, v10, v2
	v_pk_add_f16 v2, v13, v39
	;; [unrolled: 4-line block ×3, first 2 shown]
	v_pk_min_f16 v10, v47, s14 op_sel_hi:[1,0]
	s_cmp_lt_i32 s24, 9
	v_pk_min_f16 v118, v10, v2
	v_pk_add_f16 v2, v5, v39
	v_pk_min_f16 v10, v48, s14 op_sel_hi:[1,0]
	ds_write_b16 v105, v42 offset:2048
	ds_write_b16_d16_hi v105, v42 offset:2560
	ds_write_b16 v105, v43 offset:3072
	ds_write_b16 v105, v36 offset:3584
	;; [unrolled: 1-line block ×3, first 2 shown]
	v_pk_min_f16 v117, v10, v2
	v_pk_add_f16 v2, v7, v39
	v_pk_min_f16 v10, v49, s14 op_sel_hi:[1,0]
	s_waitcnt lgkmcnt(0)
	v_pk_min_f16 v116, v10, v2
	v_pk_add_f16 v2, v1, v39
	v_pk_min_f16 v10, v53, s14 op_sel_hi:[1,0]
	s_barrier
	v_pk_min_f16 v114, v10, v2
	v_pk_add_f16 v2, v3, v39
	v_pk_min_f16 v10, v38, s14 op_sel_hi:[1,0]
	s_nop 0
	v_pk_min_f16 v115, v10, v2
	v_pk_add_f16 v2, v17, v41
	v_pk_min_f16 v10, v54, s14 op_sel_hi:[1,0]
	s_nop 0
	;; [unrolled: 4-line block ×47, first 2 shown]
	v_pk_min_f16 v63, v10, v2
	v_pk_add_f16 v2, v1, v9
	v_pk_min_f16 v10, v137, s14 op_sel_hi:[1,0]
	v_pk_add_f16 v1, v1, v11
	v_pk_min_f16 v62, v10, v2
	v_pk_add_f16 v2, v3, v9
	s_nop 0
	v_pk_min_f16 v61, v8, v2
	v_pk_add_f16 v2, v17, v11
	v_pk_min_f16 v8, v16, s14 op_sel_hi:[1,0]
	s_nop 0
	v_pk_min_f16 v60, v8, v2
	v_pk_add_f16 v2, v19, v11
	v_pk_min_f16 v8, v18, s14 op_sel_hi:[1,0]
	;; [unrolled: 4-line block ×4, first 2 shown]
	s_nop 0
	v_pk_min_f16 v56, v8, v2
	v_pk_add_f16 v2, v5, v11
	s_nop 0
	v_pk_min_f16 v55, v4, v2
	v_pk_add_f16 v2, v7, v11
	v_pk_min_f16 v4, v6, s14 op_sel_hi:[1,0]
	s_nop 0
	v_pk_min_f16 v53, v4, v2
	v_pk_min_f16 v2, v138, s14 op_sel_hi:[1,0]
	s_nop 0
	v_pk_min_f16 v54, v2, v1
	v_pk_add_f16 v1, v3, v11
	s_nop 0
	v_pk_min_f16 v58, v0, v1
	s_cbranch_scc1 .LBB207_48
; %bb.26:
	v_mov_b32_e32 v0, 0x800
	v_lshl_add_u32 v125, v50, 3, v0
	v_mov_b32_e32 v0, 0x1200
	v_lshl_add_u32 v126, v51, 3, v0
	v_mad_i64_i32 v[0:1], s[14:15], s26, v35, 0
	v_mov_b32_e32 v29, 0
	v_lshl_add_u64 v[0:1], v[0:1], 1, v[28:29]
	s_mov_b32 s25, 0x5040100
	v_lshl_add_u64 v[0:1], s[20:21], 0, v[0:1]
	v_perm_b32 v33, v34, v33, s25
	v_lshl_add_u64 v[34:35], v[0:1], 0, 16
	v_add_u32_e32 v0, 12, v30
	v_mad_i64_i32 v[0:1], s[14:15], v0, s16, 0
	v_add_u32_e32 v122, 0x1000, v37
	v_add_u32_e32 v124, 0x1200, v37
	v_perm_b32 v43, v36, v43, s25
	v_lshlrev_b64 v[36:37], 1, v[0:1]
	v_lshl_or_b32 v0, s2, 8, v31
	s_lshl_b32 s2, s3, 8
	v_subrev_u32_e32 v0, s2, v0
	v_ashrrev_i32_e32 v1, 31, v0
	v_lshl_add_u64 v[38:39], v[0:1], 1, s[18:19]
	v_add_u32_e32 v0, 8, v30
	v_mad_i64_i32 v[0:1], s[14:15], v0, s16, 0
	v_add_u32_e32 v123, 0x800, v105
	s_add_i32 s24, s24, -8
	s_lshl_b64 s[2:3], s[16:17], 4
	v_lshlrev_b64 v[40:41], 1, v[0:1]
	s_mov_b32 s16, 0
	s_mov_b32 s17, 0xffff
	s_mov_b64 s[14:15], -1
	s_mov_b64 vcc, s[4:5]
                                        ; implicit-def: $vgpr0_vgpr1
	s_cbranch_vccz .LBB207_42
.LBB207_27:
	v_and_b32_e32 v0, 0xffff0000, v32
	v_mov_b32_e32 v1, v33
	v_mov_b32_e32 v4, 0
	v_lshl_add_u64 v[2:3], v[38:39], 0, v[40:41]
	s_cbranch_execz .LBB207_43
.LBB207_28:
	v_perm_b32 v32, v4, v0, s25
	s_mov_b64 s[14:15], -1
	s_mov_b64 vcc, s[4:5]
	s_cbranch_vccz .LBB207_44
.LBB207_29:
	v_and_b32_e32 v33, 0xffff0000, v1
	v_mov_b32_e32 v44, 0
	v_mov_b32_e32 v128, 0
	s_cbranch_execz .LBB207_45
.LBB207_30:
	s_and_b64 vcc, exec, s[6:7]
	s_cbranch_vccnz .LBB207_32
.LBB207_31:
	flat_load_ushort v0, v[34:35]
	s_waitcnt vmcnt(0) lgkmcnt(0)
	v_mul_f16_e32 v44, v82, v0
.LBB207_32:
	ds_read2_b64 v[12:15], v125 offset1:32
	ds_read2_b64 v[8:11], v125 offset0:64 offset1:96
	ds_read2_b64 v[4:7], v125 offset0:128 offset1:160
	ds_read2_b64 v[0:3], v125 offset0:192 offset1:224
	ds_read2_b64 v[28:31], v126 offset1:8
	ds_read2_b64 v[24:27], v126 offset0:16 offset1:24
	ds_read2_b64 v[20:23], v126 offset0:32 offset1:40
	;; [unrolled: 1-line block ×3, first 2 shown]
	s_mov_b64 s[14:15], -1
	s_mov_b64 vcc, s[4:5]
	ds_write_b16 v105, v32
	ds_write_b16_d16_hi v105, v32 offset:512
	ds_write_b16 v105, v33 offset:1024
	ds_write_b16 v105, v128 offset:1536
	ds_write_b16 v122, v44
	s_waitcnt lgkmcnt(0)
	s_barrier
                                        ; implicit-def: $vgpr46_vgpr47
	s_cbranch_vccz .LBB207_34
; %bb.33:
	v_and_b32_e32 v46, 0xffff0000, v42
	v_mov_b32_e32 v47, v43
	v_mov_b32_e32 v44, 0
	v_lshl_add_u64 v[48:49], v[38:39], 0, v[36:37]
	s_cbranch_execnz .LBB207_36
	s_branch .LBB207_35
.LBB207_34:
	v_mov_b32_e32 v44, 0
	s_andn2_b64 vcc, exec, s[14:15]
	v_lshl_add_u64 v[48:49], v[38:39], 0, v[36:37]
	s_cbranch_vccnz .LBB207_36
.LBB207_35:
	flat_load_ushort v44, v[48:49]
	flat_load_ushort v45, v[48:49] offset:128
	s_waitcnt vmcnt(0) lgkmcnt(0)
	v_mul_f16_e32 v44, v82, v44
	v_bfi_b32 v42, s17, v44, v42
	v_mul_f16_e32 v44, v82, v45
	v_mov_b64_e32 v[46:47], v[42:43]
.LBB207_36:
	v_perm_b32 v44, v44, v46, s25
	s_mov_b64 s[14:15], -1
	s_mov_b64 vcc, s[4:5]
                                        ; implicit-def: $vgpr45
	s_cbranch_vccz .LBB207_46
; %bb.37:
	v_and_b32_e32 v45, 0xffff0000, v47
	v_mov_b32_e32 v46, 0
	v_mov_b32_e32 v127, 0
	s_cbranch_execz .LBB207_47
.LBB207_38:
	s_and_b64 vcc, exec, s[6:7]
	s_cbranch_vccnz .LBB207_40
.LBB207_39:
	flat_load_ushort v42, v[34:35] offset:8
	s_waitcnt vmcnt(0) lgkmcnt(0)
	v_mul_f16_e32 v46, v82, v42
.LBB207_40:
	v_pk_add_f16 v42, v12, v28
	v_pk_max_f16 v43, v121, v121
	v_pk_max_f16 v47, v120, v120
	v_pk_min_f16 v42, v43, v42
	v_pk_add_f16 v43, v14, v28
	v_pk_max_f16 v48, v119, v119
	v_pk_min_f16 v43, v47, v43
	v_pk_add_f16 v47, v8, v28
	v_pk_max_f16 v49, v118, v118
	v_pk_min_f16 v47, v48, v47
	v_pk_add_f16 v48, v10, v28
	v_pk_max_f16 v117, v117, v117
	v_pk_min_f16 v48, v49, v48
	v_pk_add_f16 v49, v4, v28
	v_pk_max_f16 v116, v116, v116
	v_pk_min_f16 v49, v117, v49
	v_pk_add_f16 v117, v6, v28
	v_pk_max_f16 v115, v115, v115
	v_pk_min_f16 v116, v116, v117
	v_pk_add_f16 v117, v0, v28
	v_pk_add_f16 v28, v2, v28
	v_pk_max_f16 v113, v113, v113
	v_pk_min_f16 v28, v115, v28
	v_pk_add_f16 v115, v12, v30
	v_pk_max_f16 v112, v112, v112
	v_pk_min_f16 v113, v113, v115
	v_pk_add_f16 v115, v14, v30
	v_pk_max_f16 v111, v111, v111
	v_pk_min_f16 v112, v112, v115
	v_pk_add_f16 v115, v8, v30
	v_pk_max_f16 v110, v110, v110
	v_pk_min_f16 v111, v111, v115
	v_pk_add_f16 v115, v10, v30
	v_pk_max_f16 v109, v109, v109
	v_pk_min_f16 v110, v110, v115
	v_pk_add_f16 v115, v4, v30
	v_pk_max_f16 v108, v108, v108
	v_pk_min_f16 v109, v109, v115
	v_pk_add_f16 v115, v6, v30
	v_pk_max_f16 v104, v104, v104
	v_pk_min_f16 v108, v108, v115
	v_pk_add_f16 v115, v0, v30
	v_pk_add_f16 v30, v2, v30
	v_pk_max_f16 v103, v103, v103
	v_pk_min_f16 v30, v104, v30
	v_pk_add_f16 v104, v12, v24
	;; [unrolled: 22-line block ×6, first 2 shown]
	v_pk_max_f16 v67, v67, v67
	v_pk_min_f16 v68, v68, v69
	v_pk_add_f16 v69, v14, v16
	v_pk_max_f16 v66, v66, v66
	v_pk_min_f16 v67, v67, v69
	v_pk_add_f16 v69, v8, v16
	;; [unrolled: 3-line block ×5, first 2 shown]
	v_pk_add_f16 v12, v12, v18
	v_pk_min_f16 v63, v63, v69
	v_pk_add_f16 v69, v0, v16
	v_pk_add_f16 v16, v2, v16
	;; [unrolled: 1-line block ×9, first 2 shown]
	v_pk_max_f16 v18, v58, v58
	v_pk_max_f16 v53, v53, v53
	v_pk_min_f16 v2, v18, v2
	v_pk_add_f16 v18, v13, v29
	v_pk_min_f16 v6, v53, v6
	v_pk_min_f16 v42, v42, v18
	v_pk_add_f16 v18, v15, v29
	v_pk_max_f16 v53, v54, v54
	v_pk_min_f16 v43, v43, v18
	v_pk_add_f16 v18, v9, v29
	v_pk_min_f16 v0, v53, v0
	v_pk_min_f16 v53, v47, v18
	v_pk_add_f16 v18, v11, v29
	;; [unrolled: 6-line block ×3, first 2 shown]
	v_pk_max_f16 v59, v59, v59
	v_pk_min_f16 v58, v116, v18
	v_pk_add_f16 v18, v1, v29
	v_pk_max_f16 v62, v62, v62
	v_pk_min_f16 v14, v59, v14
	v_pk_min_f16 v59, v114, v18
	v_pk_add_f16 v18, v3, v29
	v_pk_max_f16 v70, v70, v70
	v_pk_min_f16 v62, v62, v69
	;; [unrolled: 4-line block ×5, first 2 shown]
	v_pk_min_f16 v97, v111, v18
	v_pk_add_f16 v18, v11, v31
	v_pk_min_f16 v96, v96, v104
	v_pk_min_f16 v104, v110, v18
	v_pk_add_f16 v18, v5, v31
	v_pk_max_f16 v106, v106, v106
	v_pk_min_f16 v109, v109, v18
	v_pk_add_f16 v18, v7, v31
	v_pk_min_f16 v106, v106, v115
	v_pk_min_f16 v108, v108, v18
	v_pk_add_f16 v18, v1, v31
	v_pk_max_f16 v57, v57, v57
	;; [unrolled: 6-line block ×5, first 2 shown]
	v_pk_min_f16 v99, v99, v18
	v_pk_add_f16 v18, v7, v25
	v_pk_max_f16 v60, v60, v60
	v_pk_min_f16 v98, v98, v18
	v_pk_add_f16 v18, v1, v25
	v_pk_min_f16 v16, v61, v16
	v_pk_min_f16 v96, v96, v18
	v_pk_add_f16 v18, v3, v25
	v_pk_min_f16 v12, v60, v12
	v_pk_min_f16 v130, v24, v18
	v_pk_add_f16 v18, v13, v27
	v_pk_max_f16 v42, v42, v42
	v_pk_min_f16 v95, v95, v18
	v_pk_add_f16 v18, v15, v27
	v_perm_b32 v33, v128, v33, s25
	v_pk_min_f16 v94, v94, v18
	v_pk_add_f16 v18, v9, v27
	s_add_i32 s16, s16, 8
	v_pk_min_f16 v93, v93, v18
	v_pk_add_f16 v18, v11, v27
	v_lshl_add_u64 v[34:35], v[34:35], 0, 16
	v_pk_min_f16 v91, v91, v18
	v_pk_add_f16 v18, v5, v27
	s_cmp_ge_i32 s16, s24
	v_pk_min_f16 v89, v89, v18
	v_pk_add_f16 v18, v7, v27
	v_lshl_add_u64 v[38:39], v[38:39], 0, s[2:3]
	v_pk_min_f16 v88, v88, v18
	v_pk_add_f16 v18, v1, v27
	s_nop 0
	v_pk_min_f16 v87, v87, v18
	v_pk_add_f16 v18, v3, v27
	s_nop 0
	;; [unrolled: 3-line block ×18, first 2 shown]
	v_pk_min_f16 v133, v22, v18
	v_pk_add_f16 v18, v13, v17
	v_pk_add_f16 v13, v13, v19
	v_pk_min_f16 v47, v68, v18
	v_pk_add_f16 v18, v15, v17
	v_pk_min_f16 v24, v12, v13
	v_pk_min_f16 v31, v67, v18
	v_pk_add_f16 v18, v9, v17
	v_pk_add_f16 v9, v9, v19
	v_pk_min_f16 v30, v66, v18
	v_pk_min_f16 v22, v8, v9
	v_pk_add_f16 v8, v11, v19
	v_pk_add_f16 v18, v11, v17
	v_pk_min_f16 v21, v10, v8
	ds_read2_b64 v[8:11], v92 offset1:32
	ds_read2_b64 v[54:57], v107 offset1:8
	v_pk_min_f16 v29, v65, v18
	v_pk_add_f16 v18, v5, v17
	v_pk_add_f16 v5, v5, v19
	v_pk_min_f16 v28, v64, v18
	v_pk_add_f16 v18, v7, v17
	v_pk_add_f16 v12, v15, v19
	;; [unrolled: 3-line block ×3, first 2 shown]
	v_pk_add_f16 v1, v1, v19
	v_pk_min_f16 v25, v16, v17
	v_pk_min_f16 v20, v4, v5
	v_pk_add_f16 v4, v7, v19
	v_pk_min_f16 v17, v0, v1
	v_pk_add_f16 v0, v3, v19
	v_pk_min_f16 v26, v62, v18
	v_pk_min_f16 v23, v14, v12
	;; [unrolled: 1-line block ×4, first 2 shown]
	ds_read2_b64 v[12:15], v92 offset0:64 offset1:96
	ds_read2_b64 v[4:7], v92 offset0:128 offset1:160
	;; [unrolled: 1-line block ×3, first 2 shown]
	s_waitcnt lgkmcnt(3)
	v_pk_add_f16 v19, v8, v54
	v_pk_add_f16 v60, v10, v54
	;; [unrolled: 1-line block ×3, first 2 shown]
	v_pk_min_f16 v19, v42, v19
	v_pk_max_f16 v42, v43, v43
	v_pk_min_f16 v121, v19, v111
	v_pk_add_f16 v19, v11, v55
	v_pk_min_f16 v42, v42, v60
	s_waitcnt lgkmcnt(2)
	v_pk_add_f16 v61, v12, v54
	v_pk_min_f16 v120, v42, v19
	v_pk_max_f16 v42, v53, v53
	v_pk_add_f16 v19, v13, v55
	v_pk_min_f16 v42, v42, v61
	v_pk_add_f16 v62, v14, v54
	v_pk_min_f16 v119, v42, v19
	v_pk_max_f16 v42, v48, v48
	v_pk_add_f16 v19, v15, v55
	v_pk_min_f16 v42, v42, v62
	s_waitcnt lgkmcnt(1)
	v_pk_add_f16 v63, v4, v54
	v_pk_min_f16 v118, v42, v19
	v_pk_max_f16 v42, v49, v49
	v_pk_add_f16 v19, v5, v55
	v_pk_min_f16 v42, v42, v63
	v_pk_add_f16 v64, v6, v54
	v_pk_min_f16 v117, v42, v19
	v_pk_max_f16 v42, v58, v58
	v_pk_add_f16 v19, v7, v55
	v_pk_min_f16 v42, v42, v64
	s_waitcnt lgkmcnt(0)
	v_pk_add_f16 v65, v0, v54
	v_pk_min_f16 v116, v42, v19
	v_pk_max_f16 v42, v59, v59
	v_pk_add_f16 v54, v2, v54
	v_pk_add_f16 v19, v1, v55
	v_pk_min_f16 v42, v42, v65
	v_pk_max_f16 v63, v69, v69
	v_pk_min_f16 v114, v42, v19
	v_pk_add_f16 v19, v3, v55
	v_pk_min_f16 v54, v63, v54
	v_pk_add_f16 v66, v8, v56
	v_pk_min_f16 v115, v54, v19
	v_pk_max_f16 v54, v79, v79
	v_pk_add_f16 v42, v9, v57
	v_pk_min_f16 v54, v54, v66
	v_pk_add_f16 v67, v10, v56
	v_pk_min_f16 v113, v54, v42
	v_pk_max_f16 v54, v86, v86
	;; [unrolled: 5-line block ×5, first 2 shown]
	v_pk_add_f16 v53, v5, v57
	v_pk_min_f16 v54, v54, v128
	v_pk_add_f16 v134, v6, v56
	ds_read2_b64 v[58:61], v107 offset0:16 offset1:24
	v_pk_min_f16 v109, v54, v53
	v_pk_max_f16 v54, v108, v108
	v_pk_add_f16 v55, v7, v57
	v_pk_min_f16 v54, v54, v134
	v_pk_add_f16 v135, v0, v56
	v_pk_min_f16 v108, v54, v55
	v_pk_max_f16 v54, v106, v106
	v_pk_add_f16 v62, v1, v57
	v_pk_min_f16 v54, v54, v135
	v_pk_add_f16 v56, v2, v56
	v_pk_min_f16 v106, v54, v62
	v_pk_max_f16 v54, v129, v129
	v_pk_add_f16 v57, v3, v57
	s_waitcnt lgkmcnt(0)
	v_pk_add_f16 v19, v8, v58
	v_pk_min_f16 v54, v54, v56
	v_pk_max_f16 v55, v103, v103
	v_pk_min_f16 v104, v54, v57
	v_pk_add_f16 v54, v9, v59
	v_pk_min_f16 v19, v55, v19
	v_pk_add_f16 v63, v10, v58
	v_pk_min_f16 v103, v19, v54
	v_pk_max_f16 v54, v102, v102
	v_pk_add_f16 v19, v11, v59
	v_pk_min_f16 v54, v54, v63
	v_pk_add_f16 v42, v12, v58
	v_pk_min_f16 v102, v54, v19
	v_pk_max_f16 v54, v101, v101
	;; [unrolled: 5-line block ×6, first 2 shown]
	v_pk_add_f16 v58, v2, v58
	v_pk_add_f16 v19, v1, v59
	v_pk_min_f16 v42, v42, v48
	v_pk_max_f16 v79, v130, v130
	v_pk_min_f16 v96, v42, v19
	v_pk_add_f16 v19, v3, v59
	v_pk_min_f16 v58, v79, v58
	v_pk_add_f16 v49, v8, v60
	v_pk_min_f16 v97, v58, v19
	v_pk_max_f16 v58, v95, v95
	v_pk_add_f16 v42, v9, v61
	v_pk_min_f16 v49, v58, v49
	v_pk_add_f16 v66, v10, v60
	v_pk_min_f16 v95, v49, v42
	v_pk_max_f16 v49, v94, v94
	;; [unrolled: 5-line block ×6, first 2 shown]
	v_pk_add_f16 v64, v7, v61
	ds_read2_b64 v[54:57], v107 offset0:32 offset1:40
	v_pk_min_f16 v63, v63, v69
	v_pk_add_f16 v62, v0, v60
	v_pk_min_f16 v88, v63, v64
	v_pk_max_f16 v64, v87, v87
	v_pk_add_f16 v65, v1, v61
	v_pk_min_f16 v62, v64, v62
	v_pk_add_f16 v60, v2, v60
	v_pk_min_f16 v87, v62, v65
	v_pk_max_f16 v65, v131, v131
	v_pk_add_f16 v61, v3, v61
	v_pk_min_f16 v60, v65, v60
	s_waitcnt lgkmcnt(0)
	v_pk_add_f16 v19, v8, v54
	v_pk_min_f16 v86, v60, v61
	v_pk_max_f16 v60, v85, v85
	v_pk_add_f16 v58, v10, v54
	v_pk_min_f16 v19, v60, v19
	v_pk_add_f16 v60, v9, v55
	v_pk_add_f16 v42, v12, v54
	v_pk_min_f16 v85, v19, v60
	v_pk_max_f16 v19, v84, v84
	v_pk_add_f16 v66, v14, v54
	v_pk_min_f16 v19, v19, v58
	v_pk_add_f16 v58, v11, v55
	;; [unrolled: 6-line block ×4, first 2 shown]
	v_pk_min_f16 v81, v19, v42
	v_pk_max_f16 v19, v80, v80
	v_pk_add_f16 v42, v5, v55
	v_pk_min_f16 v19, v19, v43
	v_pk_add_f16 v49, v8, v56
	v_pk_min_f16 v80, v19, v42
	v_pk_max_f16 v19, v78, v78
	v_pk_add_f16 v42, v7, v55
	v_pk_min_f16 v19, v19, v53
	ds_read2_b64 v[128:131], v107 offset0:48 offset1:56
	v_pk_min_f16 v78, v19, v42
	v_pk_max_f16 v19, v77, v77
	v_pk_add_f16 v42, v1, v55
	v_pk_min_f16 v19, v19, v48
	v_pk_add_f16 v48, v9, v57
	v_pk_min_f16 v77, v19, v42
	v_pk_max_f16 v19, v132, v132
	v_pk_add_f16 v42, v3, v55
	v_pk_min_f16 v19, v19, v54
	v_pk_add_f16 v67, v10, v56
	;; [unrolled: 5-line block ×3, first 2 shown]
	v_pk_min_f16 v76, v19, v48
	v_pk_max_f16 v48, v75, v75
	v_pk_add_f16 v54, v13, v57
	v_pk_min_f16 v48, v48, v67
	s_waitcnt lgkmcnt(0)
	v_pk_add_f16 v19, v8, v128
	v_pk_min_f16 v75, v48, v53
	v_pk_max_f16 v53, v74, v74
	v_pk_max_f16 v47, v47, v47
	v_pk_min_f16 v53, v53, v59
	v_pk_add_f16 v68, v14, v56
	v_pk_min_f16 v74, v53, v54
	v_pk_max_f16 v54, v73, v73
	v_pk_min_f16 v19, v47, v19
	v_pk_add_f16 v47, v9, v129
	v_pk_add_f16 v49, v10, v128
	v_pk_min_f16 v54, v54, v68
	v_pk_min_f16 v68, v19, v47
	v_pk_max_f16 v19, v31, v31
	v_pk_add_f16 v55, v15, v57
	v_pk_add_f16 v48, v12, v128
	v_pk_min_f16 v19, v19, v49
	v_pk_add_f16 v31, v11, v129
	v_pk_max_f16 v30, v30, v30
	v_pk_add_f16 v63, v4, v56
	v_pk_add_f16 v59, v14, v128
	v_pk_min_f16 v73, v54, v55
	v_pk_max_f16 v55, v72, v72
	v_pk_min_f16 v67, v19, v31
	v_pk_add_f16 v19, v13, v129
	v_pk_min_f16 v30, v30, v48
	v_pk_max_f16 v29, v29, v29
	v_pk_add_f16 v58, v5, v57
	v_pk_add_f16 v53, v4, v128
	v_pk_min_f16 v55, v55, v63
	v_pk_min_f16 v66, v30, v19
	v_pk_add_f16 v19, v15, v129
	v_pk_min_f16 v29, v29, v59
	v_pk_max_f16 v28, v28, v28
	v_pk_add_f16 v64, v6, v56
	v_pk_add_f16 v132, v6, v128
	v_pk_min_f16 v72, v55, v58
	v_pk_max_f16 v55, v71, v71
	v_pk_min_f16 v65, v29, v19
	v_pk_add_f16 v19, v5, v129
	v_pk_min_f16 v28, v28, v53
	v_pk_max_f16 v27, v27, v27
	v_pk_add_f16 v60, v7, v57
	v_pk_add_f16 v54, v0, v128
	v_pk_min_f16 v55, v55, v64
	v_pk_min_f16 v64, v28, v19
	v_pk_add_f16 v19, v7, v129
	v_pk_min_f16 v27, v27, v132
	v_pk_max_f16 v26, v26, v26
	v_pk_add_f16 v62, v0, v56
	v_pk_add_f16 v128, v2, v128
	v_pk_min_f16 v71, v55, v60
	v_pk_max_f16 v55, v70, v70
	v_pk_min_f16 v63, v27, v19
	v_pk_add_f16 v19, v1, v129
	v_pk_min_f16 v26, v26, v54
	v_pk_max_f16 v25, v25, v25
	v_pk_add_f16 v61, v1, v57
	v_pk_min_f16 v55, v55, v62
	v_pk_min_f16 v62, v26, v19
	v_pk_add_f16 v19, v3, v129
	v_pk_min_f16 v25, v25, v128
	v_pk_add_f16 v8, v8, v130
	v_pk_min_f16 v70, v55, v61
	v_pk_min_f16 v61, v25, v19
	v_pk_max_f16 v19, v24, v24
	v_pk_add_f16 v9, v9, v131
	v_pk_min_f16 v8, v19, v8
	v_pk_add_f16 v10, v10, v130
	v_pk_min_f16 v60, v8, v9
	v_pk_max_f16 v9, v23, v23
	v_pk_add_f16 v8, v11, v131
	v_pk_min_f16 v9, v9, v10
	v_pk_add_f16 v56, v2, v56
	v_pk_add_f16 v12, v12, v130
	v_pk_max_f16 v55, v133, v133
	v_pk_min_f16 v59, v9, v8
	v_pk_max_f16 v9, v22, v22
	v_pk_add_f16 v57, v3, v57
	v_pk_min_f16 v55, v55, v56
	v_pk_add_f16 v8, v13, v131
	v_pk_min_f16 v9, v9, v12
	;; [unrolled: 2-line block ×3, first 2 shown]
	v_pk_min_f16 v57, v9, v8
	v_pk_max_f16 v9, v21, v21
	v_pk_add_f16 v8, v15, v131
	v_pk_min_f16 v9, v9, v14
	v_pk_add_f16 v4, v4, v130
	v_pk_min_f16 v56, v9, v8
	v_pk_max_f16 v8, v20, v20
	v_pk_add_f16 v5, v5, v131
	v_pk_min_f16 v4, v8, v4
	v_pk_add_f16 v6, v6, v130
	;; [unrolled: 5-line block ×4, first 2 shown]
	v_pk_min_f16 v54, v0, v1
	v_pk_max_f16 v1, v16, v16
	v_pk_add_f16 v0, v3, v131
	v_pk_min_f16 v1, v1, v2
	v_perm_b32 v43, v127, v45, s25
	v_pk_min_f16 v58, v1, v0
	ds_write_b16 v123, v44
	ds_write_b16_d16_hi v123, v44 offset:512
	ds_write_b16 v123, v45 offset:1024
	ds_write_b16 v123, v127 offset:1536
	ds_write_b16 v124, v46
	s_waitcnt lgkmcnt(0)
	s_barrier
	s_cbranch_scc1 .LBB207_48
; %bb.41:
	v_mov_b32_e32 v42, v44
	s_mov_b64 s[14:15], -1
	s_mov_b64 vcc, s[4:5]
                                        ; implicit-def: $vgpr0_vgpr1
	s_cbranch_vccnz .LBB207_27
.LBB207_42:
	v_mov_b32_e32 v4, 0
	s_andn2_b64 vcc, exec, s[14:15]
	v_lshl_add_u64 v[2:3], v[38:39], 0, v[40:41]
	s_cbranch_vccnz .LBB207_28
.LBB207_43:
	flat_load_ushort v0, v[2:3]
	flat_load_ushort v1, v[2:3] offset:128
	s_waitcnt vmcnt(0) lgkmcnt(0)
	v_mul_f16_e32 v0, v82, v0
	v_bfi_b32 v32, s17, v0, v32
	v_mul_f16_e32 v4, v82, v1
	v_mov_b64_e32 v[0:1], v[32:33]
	v_perm_b32 v32, v4, v0, s25
	s_mov_b64 s[14:15], -1
	s_mov_b64 vcc, s[4:5]
	s_cbranch_vccnz .LBB207_29
.LBB207_44:
	v_mov_b32_e32 v44, 0
	s_andn2_b64 vcc, exec, s[14:15]
	v_mov_b32_e32 v128, 0
	s_cbranch_vccnz .LBB207_30
.LBB207_45:
	flat_load_ushort v0, v[2:3] offset:256
	flat_load_ushort v4, v[2:3] offset:384
	s_waitcnt vmcnt(0) lgkmcnt(0)
	v_mul_f16_e32 v0, v82, v0
	v_bfi_b32 v33, s17, v0, v1
	v_mul_f16_e32 v128, v82, v4
	s_and_b64 vcc, exec, s[6:7]
	s_cbranch_vccz .LBB207_31
	s_branch .LBB207_32
.LBB207_46:
	v_mov_b32_e32 v46, 0
	s_andn2_b64 vcc, exec, s[14:15]
	v_mov_b32_e32 v127, 0
	s_cbranch_vccnz .LBB207_38
.LBB207_47:
	flat_load_ushort v42, v[48:49] offset:256
	flat_load_ushort v43, v[48:49] offset:384
	s_waitcnt vmcnt(0) lgkmcnt(0)
	v_mul_f16_e32 v42, v82, v42
	v_bfi_b32 v45, s17, v42, v47
	v_mul_f16_e32 v127, v82, v43
	s_and_b64 vcc, exec, s[6:7]
	s_cbranch_vccz .LBB207_39
	s_branch .LBB207_40
.LBB207_48:
	s_load_dword s6, s[0:1], 0x58
	ds_read_b64 v[30:31], v92 offset:2048
	ds_read_b64 v[46:47], v90 offset:4608
	v_add_u32_e32 v82, s23, v51
	v_cmp_neq_f16_e64 s[4:5], 0, v52
	v_add_u32_e32 v28, s22, v50
	s_waitcnt lgkmcnt(0)
	v_mad_i64_i32 v[0:1], s[2:3], v82, s6, 0
	v_ashrrev_i32_e32 v29, 31, v28
	v_lshl_add_u64 v[48:49], v[0:1], 1, s[10:11]
	v_mov_b32_e32 v34, 0
	s_and_b64 vcc, exec, s[4:5]
	v_mov_b32_e32 v35, 0
	s_cbranch_vccz .LBB207_50
; %bb.49:
	v_lshl_add_u64 v[0:1], v[28:29], 1, v[48:49]
	flat_load_ushort v0, v[0:1]
	s_waitcnt vmcnt(0) lgkmcnt(0)
	v_mul_f16_e32 v0, v52, v0
	v_cvt_f32_f16_e32 v35, v0
.LBB207_50:
	v_pk_add_f16 v32, v30, v46
	v_max_f16_e32 v33, v121, v121
	v_pk_add_f16 v37, v31, v47
	v_min_f16_e32 v36, v33, v32
	v_lshrrev_b32_e32 v33, 16, v121
	v_lshrrev_b32_e32 v32, 16, v32
	;; [unrolled: 1-line block ×3, first 2 shown]
	v_add_u32_e32 v0, 0x800, v92
	v_min3_f16 v38, v33, v32, v38
	ds_read2_b64 v[8:11], v0 offset0:32 offset1:64
	ds_read2_b64 v[4:7], v0 offset0:96 offset1:128
	;; [unrolled: 1-line block ×3, first 2 shown]
	ds_read_b64 v[24:25], v92 offset:3840
	s_load_dword s7, s[0:1], 0x70
	s_load_dwordx2 s[2:3], s[0:1], 0x78
	v_min3_f16 v36, v36, v37, v38
	v_cvt_f32_f16_e32 v38, v36
	v_add_u32_e32 v12, 0x1000, v90
	ds_read2_b64 v[20:23], v12 offset0:72 offset1:80
	ds_read2_b64 v[16:19], v12 offset0:88 offset1:96
	;; [unrolled: 1-line block ×3, first 2 shown]
	ds_read_b64 v[26:27], v90 offset:5056
	v_max_f32_e32 v35, v35, v35
	s_waitcnt lgkmcnt(0)
	s_lshl_b64 s[0:1], s[2:3], 1
	v_min_f32_e32 v35, v35, v38
	s_add_u32 s2, s12, s0
	v_cvt_f16_f32_e32 v35, v35
	s_addc_u32 s3, s13, s1
	v_mad_i64_i32 v[36:37], s[0:1], v82, s7, 0
	v_add_u32_e32 v32, 32, v28
	v_lshl_add_u64 v[50:51], v[36:37], 1, s[2:3]
	v_cndmask_b32_e64 v38, 0, 1, s[4:5]
	v_ashrrev_i32_e32 v33, 31, v32
	v_lshl_add_u64 v[36:37], v[28:29], 1, v[50:51]
	v_cmp_ne_u32_e64 s[0:1], 1, v38
	s_andn2_b64 vcc, exec, s[4:5]
	flat_store_short v[36:37], v35
	s_cbranch_vccnz .LBB207_52
; %bb.51:
	v_lshl_add_u64 v[34:35], v[32:33], 1, v[48:49]
	flat_load_ushort v34, v[34:35]
	s_waitcnt vmcnt(0) lgkmcnt(0)
	v_mul_f16_e32 v34, v52, v34
	v_cvt_f32_f16_e32 v34, v34
.LBB207_52:
	v_pk_add_f16 v35, v8, v46
	v_max_f16_e32 v36, v120, v120
	v_pk_add_f16 v38, v9, v47
	v_min_f16_e32 v36, v36, v35
	v_lshrrev_b32_e32 v37, 16, v120
	v_lshrrev_b32_e32 v35, 16, v35
	;; [unrolled: 1-line block ×3, first 2 shown]
	v_min3_f16 v35, v37, v35, v39
	v_min3_f16 v35, v36, v38, v35
	v_cvt_f32_f16_e32 v35, v35
	v_max_f32_e32 v34, v34, v34
	v_lshl_add_u64 v[36:37], v[32:33], 1, v[50:51]
	s_and_b64 vcc, exec, s[0:1]
	v_min_f32_e32 v34, v34, v35
	v_cvt_f16_f32_e32 v38, v34
	v_add_u32_e32 v34, 64, v28
	v_ashrrev_i32_e32 v35, 31, v34
	flat_store_short v[36:37], v38
	v_mov_b32_e32 v38, 0
	v_mov_b32_e32 v37, 0
	s_cbranch_vccnz .LBB207_54
; %bb.53:
	v_lshl_add_u64 v[36:37], v[34:35], 1, v[48:49]
	flat_load_ushort v36, v[36:37]
	s_waitcnt vmcnt(0) lgkmcnt(0)
	v_mul_f16_e32 v36, v52, v36
	v_cvt_f32_f16_e32 v37, v36
.LBB207_54:
	v_pk_add_f16 v36, v10, v46
	v_max_f16_e32 v39, v119, v119
	v_pk_add_f16 v41, v11, v47
	v_min_f16_e32 v39, v39, v36
	v_lshrrev_b32_e32 v40, 16, v119
	v_lshrrev_b32_e32 v36, 16, v36
	;; [unrolled: 1-line block ×3, first 2 shown]
	v_min3_f16 v36, v40, v36, v42
	v_min3_f16 v36, v39, v41, v36
	v_cvt_f32_f16_e32 v39, v36
	v_max_f32_e32 v37, v37, v37
	v_add_u32_e32 v36, 0x60, v28
	v_lshl_add_u64 v[40:41], v[34:35], 1, v[50:51]
	v_min_f32_e32 v37, v37, v39
	v_cvt_f16_f32_e32 v39, v37
	v_ashrrev_i32_e32 v37, 31, v36
	s_and_b64 vcc, exec, s[0:1]
	flat_store_short v[40:41], v39
	s_cbranch_vccnz .LBB207_56
; %bb.55:
	v_lshl_add_u64 v[38:39], v[36:37], 1, v[48:49]
	flat_load_ushort v38, v[38:39]
	s_waitcnt vmcnt(0) lgkmcnt(0)
	v_mul_f16_e32 v38, v52, v38
	v_cvt_f32_f16_e32 v38, v38
.LBB207_56:
	v_pk_add_f16 v39, v4, v46
	v_max_f16_e32 v40, v118, v118
	v_pk_add_f16 v42, v5, v47
	v_min_f16_e32 v40, v40, v39
	v_lshrrev_b32_e32 v41, 16, v118
	v_lshrrev_b32_e32 v39, 16, v39
	;; [unrolled: 1-line block ×3, first 2 shown]
	v_min3_f16 v39, v41, v39, v43
	v_min3_f16 v39, v40, v42, v39
	v_cvt_f32_f16_e32 v39, v39
	v_max_f32_e32 v38, v38, v38
	v_add_u32_e32 v40, 0x80, v28
	v_ashrrev_i32_e32 v41, 31, v40
	v_min_f32_e32 v38, v38, v39
	v_cvt_f16_f32_e32 v42, v38
	v_lshl_add_u64 v[38:39], v[36:37], 1, v[50:51]
	s_and_b64 vcc, exec, s[0:1]
	flat_store_short v[38:39], v42
	v_mov_b32_e32 v42, 0
	v_mov_b32_e32 v39, 0
	s_cbranch_vccnz .LBB207_58
; %bb.57:
	v_lshl_add_u64 v[38:39], v[40:41], 1, v[48:49]
	flat_load_ushort v38, v[38:39]
	s_waitcnt vmcnt(0) lgkmcnt(0)
	v_mul_f16_e32 v38, v52, v38
	v_cvt_f32_f16_e32 v39, v38
.LBB207_58:
	v_pk_add_f16 v38, v6, v46
	v_max_f16_e32 v43, v117, v117
	v_pk_add_f16 v45, v7, v47
	v_min_f16_e32 v43, v43, v38
	v_lshrrev_b32_e32 v44, 16, v117
	v_lshrrev_b32_e32 v38, 16, v38
	;; [unrolled: 1-line block ×3, first 2 shown]
	v_min3_f16 v38, v44, v38, v90
	v_min3_f16 v38, v43, v45, v38
	v_cvt_f32_f16_e32 v43, v38
	v_max_f32_e32 v39, v39, v39
	v_add_u32_e32 v38, 0xa0, v28
	v_lshl_add_u64 v[44:45], v[40:41], 1, v[50:51]
	v_min_f32_e32 v39, v39, v43
	v_cvt_f16_f32_e32 v43, v39
	v_ashrrev_i32_e32 v39, 31, v38
	s_and_b64 vcc, exec, s[0:1]
	flat_store_short v[44:45], v43
	s_cbranch_vccnz .LBB207_60
; %bb.59:
	v_lshl_add_u64 v[42:43], v[38:39], 1, v[48:49]
	flat_load_ushort v42, v[42:43]
	s_waitcnt vmcnt(0) lgkmcnt(0)
	v_mul_f16_e32 v42, v52, v42
	v_cvt_f32_f16_e32 v42, v42
.LBB207_60:
	v_pk_add_f16 v43, v0, v46
	v_max_f16_e32 v44, v116, v116
	v_pk_add_f16 v90, v1, v47
	v_min_f16_e32 v44, v44, v43
	v_lshrrev_b32_e32 v45, 16, v116
	v_lshrrev_b32_e32 v43, 16, v43
	;; [unrolled: 1-line block ×3, first 2 shown]
	v_min3_f16 v43, v45, v43, v92
	v_min3_f16 v43, v44, v90, v43
	v_cvt_f32_f16_e32 v43, v43
	v_max_f32_e32 v42, v42, v42
	v_lshl_add_u64 v[44:45], v[38:39], 1, v[50:51]
	s_and_b64 vcc, exec, s[0:1]
	v_min_f32_e32 v42, v42, v43
	v_cvt_f16_f32_e32 v90, v42
	v_add_u32_e32 v42, 0xc0, v28
	v_ashrrev_i32_e32 v43, 31, v42
	flat_store_short v[44:45], v90
	v_mov_b32_e32 v90, 0
	v_mov_b32_e32 v45, 0
	s_cbranch_vccnz .LBB207_62
; %bb.61:
	v_lshl_add_u64 v[44:45], v[42:43], 1, v[48:49]
	flat_load_ushort v44, v[44:45]
	s_waitcnt vmcnt(0) lgkmcnt(0)
	v_mul_f16_e32 v44, v52, v44
	v_cvt_f32_f16_e32 v45, v44
.LBB207_62:
	v_pk_add_f16 v44, v2, v46
	v_max_f16_e32 v92, v114, v114
	v_pk_add_f16 v107, v3, v47
	v_min_f16_e32 v92, v92, v44
	v_lshrrev_b32_e32 v105, 16, v114
	v_lshrrev_b32_e32 v44, 16, v44
	;; [unrolled: 1-line block ×3, first 2 shown]
	v_min3_f16 v44, v105, v44, v114
	v_min3_f16 v44, v92, v107, v44
	v_cvt_f32_f16_e32 v92, v44
	v_max_f32_e32 v45, v45, v45
	v_add_u32_e32 v44, 0xe0, v28
	v_lshl_add_u64 v[116:117], v[42:43], 1, v[50:51]
	v_min_f32_e32 v45, v45, v92
	v_cvt_f16_f32_e32 v92, v45
	v_ashrrev_i32_e32 v45, 31, v44
	s_and_b64 vcc, exec, s[0:1]
	flat_store_short v[116:117], v92
	s_cbranch_vccnz .LBB207_64
; %bb.63:
	v_lshl_add_u64 v[48:49], v[44:45], 1, v[48:49]
	flat_load_ushort v48, v[48:49]
	s_waitcnt vmcnt(0) lgkmcnt(0)
	v_mul_f16_e32 v48, v52, v48
	v_cvt_f32_f16_e32 v90, v48
.LBB207_64:
	v_pk_add_f16 v46, v24, v46
	v_max_f16_e32 v48, v115, v115
	v_pk_add_f16 v47, v25, v47
	v_min_f16_e32 v48, v48, v46
	v_lshrrev_b32_e32 v49, 16, v115
	v_lshrrev_b32_e32 v46, 16, v46
	;; [unrolled: 1-line block ×3, first 2 shown]
	v_min3_f16 v46, v49, v46, v92
	v_min3_f16 v46, v48, v47, v46
	v_cvt_f32_f16_e32 v46, v46
	v_max_f32_e32 v47, v90, v90
	s_and_b64 vcc, exec, s[0:1]
	v_mov_b32_e32 v49, 0
	v_min_f32_e32 v46, v47, v46
	v_cvt_f16_f32_e32 v48, v46
	v_lshl_add_u64 v[46:47], v[44:45], 1, v[50:51]
	v_mov_b32_e32 v50, 0
	flat_store_short v[46:47], v48
	v_add_u32_e32 v48, 8, v82
	v_mad_i64_i32 v[46:47], s[4:5], v48, s6, 0
	v_lshl_add_u64 v[46:47], v[46:47], 1, s[10:11]
	s_cbranch_vccnz .LBB207_66
; %bb.65:
	v_lshl_add_u64 v[114:115], v[28:29], 1, v[46:47]
	flat_load_ushort v49, v[114:115]
	s_waitcnt vmcnt(0) lgkmcnt(0)
	v_mul_f16_e32 v49, v52, v49
	v_cvt_f32_f16_e32 v49, v49
.LBB207_66:
	v_pk_add_f16 v51, v30, v20
	v_max_f16_e32 v90, v113, v113
	v_pk_add_f16 v105, v31, v21
	v_min_f16_e32 v90, v90, v51
	v_lshrrev_b32_e32 v92, 16, v113
	v_lshrrev_b32_e32 v51, 16, v51
	;; [unrolled: 1-line block ×3, first 2 shown]
	v_min3_f16 v51, v92, v51, v107
	v_min3_f16 v51, v90, v105, v51
	v_cvt_f32_f16_e32 v51, v51
	v_mad_i64_i32 v[114:115], s[4:5], v48, s7, 0
	v_max_f32_e32 v48, v49, v49
	v_min_f32_e32 v48, v48, v51
	v_cvt_f16_f32_e32 v51, v48
	v_lshl_add_u64 v[48:49], v[114:115], 1, s[2:3]
	v_lshl_add_u64 v[114:115], v[28:29], 1, v[48:49]
	s_and_b64 vcc, exec, s[0:1]
	flat_store_short v[114:115], v51
	s_cbranch_vccnz .LBB207_68
; %bb.67:
	v_lshl_add_u64 v[50:51], v[32:33], 1, v[46:47]
	flat_load_ushort v50, v[50:51]
	s_waitcnt vmcnt(0) lgkmcnt(0)
	v_mul_f16_e32 v50, v52, v50
	v_cvt_f32_f16_e32 v50, v50
.LBB207_68:
	v_pk_add_f16 v51, v8, v20
	v_max_f16_e32 v90, v112, v112
	v_pk_add_f16 v105, v9, v21
	v_min_f16_e32 v90, v90, v51
	v_lshrrev_b32_e32 v92, 16, v112
	v_lshrrev_b32_e32 v51, 16, v51
	;; [unrolled: 1-line block ×3, first 2 shown]
	v_min3_f16 v51, v92, v51, v107
	v_min3_f16 v51, v90, v105, v51
	v_cvt_f32_f16_e32 v51, v51
	v_max_f32_e32 v50, v50, v50
	s_and_b64 vcc, exec, s[0:1]
	v_min_f32_e32 v50, v50, v51
	v_cvt_f16_f32_e32 v90, v50
	v_lshl_add_u64 v[50:51], v[32:33], 1, v[48:49]
	flat_store_short v[50:51], v90
	v_mov_b32_e32 v50, 0
	v_mov_b32_e32 v51, 0
	s_cbranch_vccnz .LBB207_70
; %bb.69:
	v_lshl_add_u64 v[112:113], v[34:35], 1, v[46:47]
	flat_load_ushort v51, v[112:113]
	s_waitcnt vmcnt(0) lgkmcnt(0)
	v_mul_f16_e32 v51, v52, v51
	v_cvt_f32_f16_e32 v51, v51
.LBB207_70:
	v_pk_add_f16 v90, v10, v20
	v_max_f16_e32 v92, v111, v111
	v_pk_add_f16 v107, v11, v21
	v_min_f16_e32 v92, v92, v90
	v_lshrrev_b32_e32 v105, 16, v111
	v_lshrrev_b32_e32 v90, 16, v90
	;; [unrolled: 1-line block ×3, first 2 shown]
	v_min3_f16 v90, v105, v90, v111
	v_min3_f16 v90, v92, v107, v90
	v_cvt_f32_f16_e32 v90, v90
	v_max_f32_e32 v51, v51, v51
	v_lshl_add_u64 v[112:113], v[34:35], 1, v[48:49]
	s_and_b64 vcc, exec, s[0:1]
	v_min_f32_e32 v51, v51, v90
	v_cvt_f16_f32_e32 v51, v51
	flat_store_short v[112:113], v51
	s_cbranch_vccnz .LBB207_72
; %bb.71:
	v_lshl_add_u64 v[50:51], v[36:37], 1, v[46:47]
	flat_load_ushort v50, v[50:51]
	s_waitcnt vmcnt(0) lgkmcnt(0)
	v_mul_f16_e32 v50, v52, v50
	v_cvt_f32_f16_e32 v50, v50
.LBB207_72:
	v_pk_add_f16 v51, v4, v20
	v_max_f16_e32 v90, v110, v110
	v_pk_add_f16 v105, v5, v21
	v_min_f16_e32 v90, v90, v51
	v_lshrrev_b32_e32 v92, 16, v110
	v_lshrrev_b32_e32 v51, 16, v51
	;; [unrolled: 1-line block ×3, first 2 shown]
	v_min3_f16 v51, v92, v51, v107
	v_min3_f16 v51, v90, v105, v51
	v_cvt_f32_f16_e32 v51, v51
	v_max_f32_e32 v50, v50, v50
	s_and_b64 vcc, exec, s[0:1]
	v_min_f32_e32 v50, v50, v51
	v_cvt_f16_f32_e32 v90, v50
	v_lshl_add_u64 v[50:51], v[36:37], 1, v[48:49]
	flat_store_short v[50:51], v90
	v_mov_b32_e32 v50, 0
	v_mov_b32_e32 v51, 0
	s_cbranch_vccnz .LBB207_74
; %bb.73:
	v_lshl_add_u64 v[110:111], v[40:41], 1, v[46:47]
	flat_load_ushort v51, v[110:111]
	s_waitcnt vmcnt(0) lgkmcnt(0)
	v_mul_f16_e32 v51, v52, v51
	v_cvt_f32_f16_e32 v51, v51
.LBB207_74:
	v_pk_add_f16 v90, v6, v20
	v_max_f16_e32 v92, v109, v109
	v_pk_add_f16 v107, v7, v21
	v_min_f16_e32 v92, v92, v90
	v_lshrrev_b32_e32 v105, 16, v109
	v_lshrrev_b32_e32 v90, 16, v90
	;; [unrolled: 1-line block ×3, first 2 shown]
	v_min3_f16 v90, v105, v90, v109
	v_min3_f16 v90, v92, v107, v90
	v_cvt_f32_f16_e32 v90, v90
	v_max_f32_e32 v51, v51, v51
	v_lshl_add_u64 v[110:111], v[40:41], 1, v[48:49]
	s_and_b64 vcc, exec, s[0:1]
	v_min_f32_e32 v51, v51, v90
	v_cvt_f16_f32_e32 v51, v51
	flat_store_short v[110:111], v51
	s_cbranch_vccnz .LBB207_76
; %bb.75:
	v_lshl_add_u64 v[50:51], v[38:39], 1, v[46:47]
	flat_load_ushort v50, v[50:51]
	s_waitcnt vmcnt(0) lgkmcnt(0)
	v_mul_f16_e32 v50, v52, v50
	v_cvt_f32_f16_e32 v50, v50
.LBB207_76:
	v_pk_add_f16 v51, v0, v20
	v_max_f16_e32 v90, v108, v108
	v_pk_add_f16 v105, v1, v21
	v_min_f16_e32 v90, v90, v51
	v_lshrrev_b32_e32 v92, 16, v108
	v_lshrrev_b32_e32 v51, 16, v51
	;; [unrolled: 1-line block ×3, first 2 shown]
	v_min3_f16 v51, v92, v51, v107
	v_min3_f16 v51, v90, v105, v51
	v_cvt_f32_f16_e32 v51, v51
	v_max_f32_e32 v50, v50, v50
	s_and_b64 vcc, exec, s[0:1]
	v_min_f32_e32 v50, v50, v51
	v_cvt_f16_f32_e32 v90, v50
	v_lshl_add_u64 v[50:51], v[38:39], 1, v[48:49]
	flat_store_short v[50:51], v90
	v_mov_b32_e32 v50, 0
	v_mov_b32_e32 v51, 0
	s_cbranch_vccnz .LBB207_78
; %bb.77:
	v_lshl_add_u64 v[108:109], v[42:43], 1, v[46:47]
	flat_load_ushort v51, v[108:109]
	s_waitcnt vmcnt(0) lgkmcnt(0)
	v_mul_f16_e32 v51, v52, v51
	v_cvt_f32_f16_e32 v51, v51
.LBB207_78:
	v_pk_add_f16 v90, v2, v20
	v_max_f16_e32 v92, v106, v106
	v_lshrrev_b32_e32 v105, 16, v106
	v_pk_add_f16 v106, v3, v21
	v_min_f16_e32 v92, v92, v90
	v_lshrrev_b32_e32 v90, 16, v90
	v_lshrrev_b32_e32 v107, 16, v106
	v_min3_f16 v90, v105, v90, v107
	v_min3_f16 v90, v92, v106, v90
	v_cvt_f32_f16_e32 v90, v90
	v_max_f32_e32 v51, v51, v51
	v_lshl_add_u64 v[106:107], v[42:43], 1, v[48:49]
	s_and_b64 vcc, exec, s[0:1]
	v_min_f32_e32 v51, v51, v90
	v_cvt_f16_f32_e32 v51, v51
	flat_store_short v[106:107], v51
	s_cbranch_vccnz .LBB207_80
; %bb.79:
	v_lshl_add_u64 v[46:47], v[44:45], 1, v[46:47]
	flat_load_ushort v46, v[46:47]
	s_waitcnt vmcnt(0) lgkmcnt(0)
	v_mul_f16_e32 v46, v52, v46
	v_cvt_f32_f16_e32 v50, v46
.LBB207_80:
	v_pk_add_f16 v20, v24, v20
	v_max_f16_e32 v46, v104, v104
	v_pk_add_f16 v21, v25, v21
	v_min_f16_e32 v46, v46, v20
	v_lshrrev_b32_e32 v47, 16, v104
	v_lshrrev_b32_e32 v20, 16, v20
	;; [unrolled: 1-line block ×3, first 2 shown]
	v_min3_f16 v20, v47, v20, v51
	v_min3_f16 v20, v46, v21, v20
	v_cvt_f32_f16_e32 v20, v20
	v_max_f32_e32 v21, v50, v50
	s_and_b64 vcc, exec, s[0:1]
	v_mov_b32_e32 v47, 0
	v_min_f32_e32 v20, v21, v20
	v_cvt_f16_f32_e32 v46, v20
	v_lshl_add_u64 v[20:21], v[44:45], 1, v[48:49]
	v_mov_b32_e32 v48, 0
	flat_store_short v[20:21], v46
	v_add_u32_e32 v46, 16, v82
	v_mad_i64_i32 v[20:21], s[4:5], v46, s6, 0
	v_lshl_add_u64 v[20:21], v[20:21], 1, s[10:11]
	s_cbranch_vccnz .LBB207_82
; %bb.81:
	v_lshl_add_u64 v[50:51], v[28:29], 1, v[20:21]
	flat_load_ushort v47, v[50:51]
	s_waitcnt vmcnt(0) lgkmcnt(0)
	v_mul_f16_e32 v47, v52, v47
	v_cvt_f32_f16_e32 v47, v47
.LBB207_82:
	v_pk_add_f16 v49, v30, v22
	v_max_f16_e32 v50, v103, v103
	v_pk_add_f16 v90, v31, v23
	v_min_f16_e32 v50, v50, v49
	v_lshrrev_b32_e32 v51, 16, v103
	v_lshrrev_b32_e32 v49, 16, v49
	;; [unrolled: 1-line block ×3, first 2 shown]
	v_min3_f16 v49, v51, v49, v92
	v_min3_f16 v49, v50, v90, v49
	v_cvt_f32_f16_e32 v49, v49
	v_mad_i64_i32 v[50:51], s[4:5], v46, s7, 0
	v_max_f32_e32 v46, v47, v47
	v_min_f32_e32 v46, v46, v49
	v_cvt_f16_f32_e32 v49, v46
	v_lshl_add_u64 v[46:47], v[50:51], 1, s[2:3]
	v_lshl_add_u64 v[50:51], v[28:29], 1, v[46:47]
	s_and_b64 vcc, exec, s[0:1]
	flat_store_short v[50:51], v49
	s_cbranch_vccnz .LBB207_84
; %bb.83:
	v_lshl_add_u64 v[48:49], v[32:33], 1, v[20:21]
	flat_load_ushort v48, v[48:49]
	s_waitcnt vmcnt(0) lgkmcnt(0)
	v_mul_f16_e32 v48, v52, v48
	v_cvt_f32_f16_e32 v48, v48
.LBB207_84:
	v_pk_add_f16 v49, v8, v22
	v_max_f16_e32 v50, v102, v102
	v_pk_add_f16 v90, v9, v23
	v_min_f16_e32 v50, v50, v49
	v_lshrrev_b32_e32 v51, 16, v102
	v_lshrrev_b32_e32 v49, 16, v49
	v_lshrrev_b32_e32 v92, 16, v90
	v_min3_f16 v49, v51, v49, v92
	v_min3_f16 v49, v50, v90, v49
	v_cvt_f32_f16_e32 v49, v49
	v_max_f32_e32 v48, v48, v48
	s_and_b64 vcc, exec, s[0:1]
	v_min_f32_e32 v48, v48, v49
	v_cvt_f16_f32_e32 v50, v48
	v_lshl_add_u64 v[48:49], v[32:33], 1, v[46:47]
	flat_store_short v[48:49], v50
	v_mov_b32_e32 v48, 0
	v_mov_b32_e32 v49, 0
	s_cbranch_vccnz .LBB207_86
; %bb.85:
	v_lshl_add_u64 v[50:51], v[34:35], 1, v[20:21]
	flat_load_ushort v49, v[50:51]
	s_waitcnt vmcnt(0) lgkmcnt(0)
	v_mul_f16_e32 v49, v52, v49
	v_cvt_f32_f16_e32 v49, v49
.LBB207_86:
	v_pk_add_f16 v50, v10, v22
	v_max_f16_e32 v51, v101, v101
	v_pk_add_f16 v92, v11, v23
	v_min_f16_e32 v51, v51, v50
	v_lshrrev_b32_e32 v90, 16, v101
	v_lshrrev_b32_e32 v50, 16, v50
	v_lshrrev_b32_e32 v101, 16, v92
	v_min3_f16 v50, v90, v50, v101
	v_min3_f16 v50, v51, v92, v50
	v_cvt_f32_f16_e32 v50, v50
	v_max_f32_e32 v49, v49, v49
	s_and_b64 vcc, exec, s[0:1]
	v_min_f32_e32 v49, v49, v50
	v_cvt_f16_f32_e32 v49, v49
	v_lshl_add_u64 v[50:51], v[34:35], 1, v[46:47]
	flat_store_short v[50:51], v49
	s_cbranch_vccnz .LBB207_88
; %bb.87:
	v_lshl_add_u64 v[48:49], v[36:37], 1, v[20:21]
	flat_load_ushort v48, v[48:49]
	s_waitcnt vmcnt(0) lgkmcnt(0)
	v_mul_f16_e32 v48, v52, v48
	v_cvt_f32_f16_e32 v48, v48
.LBB207_88:
	v_pk_add_f16 v49, v4, v22
	v_max_f16_e32 v50, v100, v100
	v_pk_add_f16 v90, v5, v23
	v_min_f16_e32 v50, v50, v49
	v_lshrrev_b32_e32 v51, 16, v100
	v_lshrrev_b32_e32 v49, 16, v49
	v_lshrrev_b32_e32 v92, 16, v90
	v_min3_f16 v49, v51, v49, v92
	v_min3_f16 v49, v50, v90, v49
	v_cvt_f32_f16_e32 v49, v49
	v_max_f32_e32 v48, v48, v48
	s_and_b64 vcc, exec, s[0:1]
	v_min_f32_e32 v48, v48, v49
	v_cvt_f16_f32_e32 v50, v48
	v_lshl_add_u64 v[48:49], v[36:37], 1, v[46:47]
	flat_store_short v[48:49], v50
	v_mov_b32_e32 v48, 0
	v_mov_b32_e32 v49, 0
	s_cbranch_vccnz .LBB207_90
; %bb.89:
	v_lshl_add_u64 v[50:51], v[40:41], 1, v[20:21]
	flat_load_ushort v49, v[50:51]
	s_waitcnt vmcnt(0) lgkmcnt(0)
	v_mul_f16_e32 v49, v52, v49
	v_cvt_f32_f16_e32 v49, v49
.LBB207_90:
	v_pk_add_f16 v50, v6, v22
	v_max_f16_e32 v51, v99, v99
	v_pk_add_f16 v92, v7, v23
	v_min_f16_e32 v51, v51, v50
	v_lshrrev_b32_e32 v90, 16, v99
	v_lshrrev_b32_e32 v50, 16, v50
	v_lshrrev_b32_e32 v99, 16, v92
	v_min3_f16 v50, v90, v50, v99
	v_min3_f16 v50, v51, v92, v50
	v_cvt_f32_f16_e32 v50, v50
	v_max_f32_e32 v49, v49, v49
	s_and_b64 vcc, exec, s[0:1]
	v_min_f32_e32 v49, v49, v50
	v_cvt_f16_f32_e32 v49, v49
	v_lshl_add_u64 v[50:51], v[40:41], 1, v[46:47]
	;; [unrolled: 50-line block ×3, first 2 shown]
	flat_store_short v[50:51], v49
	s_cbranch_vccnz .LBB207_96
; %bb.95:
	v_lshl_add_u64 v[20:21], v[44:45], 1, v[20:21]
	flat_load_ushort v20, v[20:21]
	s_waitcnt vmcnt(0) lgkmcnt(0)
	v_mul_f16_e32 v20, v52, v20
	v_cvt_f32_f16_e32 v48, v20
.LBB207_96:
	v_pk_add_f16 v20, v24, v22
	v_max_f16_e32 v21, v97, v97
	v_pk_add_f16 v23, v25, v23
	v_min_f16_e32 v21, v21, v20
	v_lshrrev_b32_e32 v22, 16, v97
	v_lshrrev_b32_e32 v20, 16, v20
	;; [unrolled: 1-line block ×3, first 2 shown]
	v_min3_f16 v20, v22, v20, v49
	v_min3_f16 v20, v21, v23, v20
	v_cvt_f32_f16_e32 v20, v20
	v_max_f32_e32 v21, v48, v48
	s_and_b64 vcc, exec, s[0:1]
	v_mov_b32_e32 v23, 0
	v_min_f32_e32 v20, v21, v20
	v_cvt_f16_f32_e32 v22, v20
	v_lshl_add_u64 v[20:21], v[44:45], 1, v[46:47]
	v_mov_b32_e32 v46, 0
	flat_store_short v[20:21], v22
	v_add_u32_e32 v22, 24, v82
	v_mad_i64_i32 v[20:21], s[4:5], v22, s6, 0
	v_lshl_add_u64 v[20:21], v[20:21], 1, s[10:11]
	s_cbranch_vccnz .LBB207_98
; %bb.97:
	v_lshl_add_u64 v[48:49], v[28:29], 1, v[20:21]
	flat_load_ushort v23, v[48:49]
	s_waitcnt vmcnt(0) lgkmcnt(0)
	v_mul_f16_e32 v23, v52, v23
	v_cvt_f32_f16_e32 v23, v23
.LBB207_98:
	v_pk_add_f16 v47, v30, v16
	v_max_f16_e32 v48, v95, v95
	v_pk_add_f16 v50, v31, v17
	v_min_f16_e32 v48, v48, v47
	v_lshrrev_b32_e32 v49, 16, v95
	v_lshrrev_b32_e32 v47, 16, v47
	;; [unrolled: 1-line block ×3, first 2 shown]
	v_min3_f16 v47, v49, v47, v51
	v_min3_f16 v47, v48, v50, v47
	v_cvt_f32_f16_e32 v47, v47
	v_mad_i64_i32 v[48:49], s[4:5], v22, s7, 0
	v_max_f32_e32 v22, v23, v23
	v_min_f32_e32 v22, v22, v47
	v_cvt_f16_f32_e32 v47, v22
	v_lshl_add_u64 v[22:23], v[48:49], 1, s[2:3]
	v_lshl_add_u64 v[48:49], v[28:29], 1, v[22:23]
	s_and_b64 vcc, exec, s[0:1]
	flat_store_short v[48:49], v47
	s_cbranch_vccnz .LBB207_100
; %bb.99:
	v_lshl_add_u64 v[46:47], v[32:33], 1, v[20:21]
	flat_load_ushort v46, v[46:47]
	s_waitcnt vmcnt(0) lgkmcnt(0)
	v_mul_f16_e32 v46, v52, v46
	v_cvt_f32_f16_e32 v46, v46
.LBB207_100:
	v_pk_add_f16 v47, v8, v16
	v_max_f16_e32 v48, v94, v94
	v_pk_add_f16 v50, v9, v17
	v_min_f16_e32 v48, v48, v47
	v_lshrrev_b32_e32 v49, 16, v94
	v_lshrrev_b32_e32 v47, 16, v47
	v_lshrrev_b32_e32 v51, 16, v50
	v_min3_f16 v47, v49, v47, v51
	v_min3_f16 v47, v48, v50, v47
	v_cvt_f32_f16_e32 v47, v47
	v_max_f32_e32 v46, v46, v46
	s_and_b64 vcc, exec, s[0:1]
	v_min_f32_e32 v46, v46, v47
	v_cvt_f16_f32_e32 v48, v46
	v_lshl_add_u64 v[46:47], v[32:33], 1, v[22:23]
	flat_store_short v[46:47], v48
	v_mov_b32_e32 v46, 0
	v_mov_b32_e32 v47, 0
	s_cbranch_vccnz .LBB207_102
; %bb.101:
	v_lshl_add_u64 v[48:49], v[34:35], 1, v[20:21]
	flat_load_ushort v47, v[48:49]
	s_waitcnt vmcnt(0) lgkmcnt(0)
	v_mul_f16_e32 v47, v52, v47
	v_cvt_f32_f16_e32 v47, v47
.LBB207_102:
	v_pk_add_f16 v48, v10, v16
	v_max_f16_e32 v49, v93, v93
	v_pk_add_f16 v51, v11, v17
	v_min_f16_e32 v49, v49, v48
	v_lshrrev_b32_e32 v50, 16, v93
	v_lshrrev_b32_e32 v48, 16, v48
	v_lshrrev_b32_e32 v90, 16, v51
	v_min3_f16 v48, v50, v48, v90
	v_min3_f16 v48, v49, v51, v48
	v_cvt_f32_f16_e32 v48, v48
	v_max_f32_e32 v47, v47, v47
	s_and_b64 vcc, exec, s[0:1]
	v_min_f32_e32 v47, v47, v48
	v_cvt_f16_f32_e32 v47, v47
	v_lshl_add_u64 v[48:49], v[34:35], 1, v[22:23]
	flat_store_short v[48:49], v47
	s_cbranch_vccnz .LBB207_104
; %bb.103:
	v_lshl_add_u64 v[46:47], v[36:37], 1, v[20:21]
	flat_load_ushort v46, v[46:47]
	s_waitcnt vmcnt(0) lgkmcnt(0)
	v_mul_f16_e32 v46, v52, v46
	v_cvt_f32_f16_e32 v46, v46
.LBB207_104:
	v_pk_add_f16 v47, v4, v16
	v_max_f16_e32 v48, v91, v91
	v_pk_add_f16 v50, v5, v17
	v_min_f16_e32 v48, v48, v47
	v_lshrrev_b32_e32 v49, 16, v91
	v_lshrrev_b32_e32 v47, 16, v47
	v_lshrrev_b32_e32 v51, 16, v50
	v_min3_f16 v47, v49, v47, v51
	v_min3_f16 v47, v48, v50, v47
	v_cvt_f32_f16_e32 v47, v47
	v_max_f32_e32 v46, v46, v46
	s_and_b64 vcc, exec, s[0:1]
	v_min_f32_e32 v46, v46, v47
	v_cvt_f16_f32_e32 v48, v46
	v_lshl_add_u64 v[46:47], v[36:37], 1, v[22:23]
	flat_store_short v[46:47], v48
	v_mov_b32_e32 v46, 0
	v_mov_b32_e32 v47, 0
	s_cbranch_vccnz .LBB207_106
; %bb.105:
	v_lshl_add_u64 v[48:49], v[40:41], 1, v[20:21]
	flat_load_ushort v47, v[48:49]
	s_waitcnt vmcnt(0) lgkmcnt(0)
	v_mul_f16_e32 v47, v52, v47
	v_cvt_f32_f16_e32 v47, v47
.LBB207_106:
	v_pk_add_f16 v48, v6, v16
	v_max_f16_e32 v49, v89, v89
	v_pk_add_f16 v51, v7, v17
	v_min_f16_e32 v49, v49, v48
	v_lshrrev_b32_e32 v50, 16, v89
	v_lshrrev_b32_e32 v48, 16, v48
	v_lshrrev_b32_e32 v89, 16, v51
	v_min3_f16 v48, v50, v48, v89
	v_min3_f16 v48, v49, v51, v48
	v_cvt_f32_f16_e32 v48, v48
	v_max_f32_e32 v47, v47, v47
	s_and_b64 vcc, exec, s[0:1]
	v_min_f32_e32 v47, v47, v48
	v_cvt_f16_f32_e32 v47, v47
	v_lshl_add_u64 v[48:49], v[40:41], 1, v[22:23]
	flat_store_short v[48:49], v47
	s_cbranch_vccnz .LBB207_108
; %bb.107:
	v_lshl_add_u64 v[46:47], v[38:39], 1, v[20:21]
	flat_load_ushort v46, v[46:47]
	s_waitcnt vmcnt(0) lgkmcnt(0)
	v_mul_f16_e32 v46, v52, v46
	v_cvt_f32_f16_e32 v46, v46
.LBB207_108:
	v_pk_add_f16 v47, v0, v16
	v_max_f16_e32 v48, v88, v88
	v_pk_add_f16 v50, v1, v17
	v_min_f16_e32 v48, v48, v47
	v_lshrrev_b32_e32 v49, 16, v88
	v_lshrrev_b32_e32 v47, 16, v47
	v_lshrrev_b32_e32 v51, 16, v50
	v_min3_f16 v47, v49, v47, v51
	v_min3_f16 v47, v48, v50, v47
	v_cvt_f32_f16_e32 v47, v47
	v_max_f32_e32 v46, v46, v46
	s_and_b64 vcc, exec, s[0:1]
	v_min_f32_e32 v46, v46, v47
	v_cvt_f16_f32_e32 v48, v46
	v_lshl_add_u64 v[46:47], v[38:39], 1, v[22:23]
	flat_store_short v[46:47], v48
	v_mov_b32_e32 v46, 0
	v_mov_b32_e32 v47, 0
	s_cbranch_vccnz .LBB207_110
; %bb.109:
	v_lshl_add_u64 v[48:49], v[42:43], 1, v[20:21]
	flat_load_ushort v47, v[48:49]
	s_waitcnt vmcnt(0) lgkmcnt(0)
	v_mul_f16_e32 v47, v52, v47
	v_cvt_f32_f16_e32 v47, v47
.LBB207_110:
	v_pk_add_f16 v48, v2, v16
	v_max_f16_e32 v49, v87, v87
	v_pk_add_f16 v51, v3, v17
	v_min_f16_e32 v49, v49, v48
	v_lshrrev_b32_e32 v50, 16, v87
	v_lshrrev_b32_e32 v48, 16, v48
	v_lshrrev_b32_e32 v87, 16, v51
	v_min3_f16 v48, v50, v48, v87
	v_min3_f16 v48, v49, v51, v48
	v_cvt_f32_f16_e32 v48, v48
	v_max_f32_e32 v47, v47, v47
	s_and_b64 vcc, exec, s[0:1]
	v_min_f32_e32 v47, v47, v48
	v_cvt_f16_f32_e32 v47, v47
	v_lshl_add_u64 v[48:49], v[42:43], 1, v[22:23]
	flat_store_short v[48:49], v47
	s_cbranch_vccnz .LBB207_112
; %bb.111:
	v_lshl_add_u64 v[20:21], v[44:45], 1, v[20:21]
	flat_load_ushort v20, v[20:21]
	s_waitcnt vmcnt(0) lgkmcnt(0)
	v_mul_f16_e32 v20, v52, v20
	v_cvt_f32_f16_e32 v46, v20
.LBB207_112:
	v_pk_add_f16 v16, v24, v16
	v_max_f16_e32 v20, v86, v86
	v_pk_add_f16 v17, v25, v17
	v_min_f16_e32 v20, v20, v16
	v_lshrrev_b32_e32 v21, 16, v86
	v_lshrrev_b32_e32 v16, 16, v16
	;; [unrolled: 1-line block ×3, first 2 shown]
	v_min3_f16 v16, v21, v16, v47
	v_min3_f16 v16, v20, v17, v16
	v_cvt_f32_f16_e32 v16, v16
	v_max_f32_e32 v17, v46, v46
	s_and_b64 vcc, exec, s[0:1]
	v_mov_b32_e32 v21, 0
	v_min_f32_e32 v16, v17, v16
	v_cvt_f16_f32_e32 v20, v16
	v_lshl_add_u64 v[16:17], v[44:45], 1, v[22:23]
	v_mov_b32_e32 v22, 0
	flat_store_short v[16:17], v20
	v_add_u32_e32 v20, 32, v82
	v_mad_i64_i32 v[16:17], s[4:5], v20, s6, 0
	v_lshl_add_u64 v[16:17], v[16:17], 1, s[10:11]
	s_cbranch_vccnz .LBB207_114
; %bb.113:
	v_lshl_add_u64 v[46:47], v[28:29], 1, v[16:17]
	flat_load_ushort v21, v[46:47]
	s_waitcnt vmcnt(0) lgkmcnt(0)
	v_mul_f16_e32 v21, v52, v21
	v_cvt_f32_f16_e32 v21, v21
.LBB207_114:
	v_pk_add_f16 v23, v30, v18
	v_max_f16_e32 v46, v85, v85
	v_pk_add_f16 v48, v31, v19
	v_min_f16_e32 v46, v46, v23
	v_lshrrev_b32_e32 v47, 16, v85
	v_lshrrev_b32_e32 v23, 16, v23
	;; [unrolled: 1-line block ×3, first 2 shown]
	v_min3_f16 v23, v47, v23, v49
	v_min3_f16 v23, v46, v48, v23
	v_cvt_f32_f16_e32 v23, v23
	v_mad_i64_i32 v[46:47], s[4:5], v20, s7, 0
	v_max_f32_e32 v20, v21, v21
	v_min_f32_e32 v20, v20, v23
	v_cvt_f16_f32_e32 v23, v20
	v_lshl_add_u64 v[20:21], v[46:47], 1, s[2:3]
	v_lshl_add_u64 v[46:47], v[28:29], 1, v[20:21]
	s_and_b64 vcc, exec, s[0:1]
	flat_store_short v[46:47], v23
	s_cbranch_vccnz .LBB207_116
; %bb.115:
	v_lshl_add_u64 v[22:23], v[32:33], 1, v[16:17]
	flat_load_ushort v22, v[22:23]
	s_waitcnt vmcnt(0) lgkmcnt(0)
	v_mul_f16_e32 v22, v52, v22
	v_cvt_f32_f16_e32 v22, v22
.LBB207_116:
	v_pk_add_f16 v23, v8, v18
	v_max_f16_e32 v46, v84, v84
	v_pk_add_f16 v48, v9, v19
	v_min_f16_e32 v46, v46, v23
	v_lshrrev_b32_e32 v47, 16, v84
	v_lshrrev_b32_e32 v23, 16, v23
	v_lshrrev_b32_e32 v49, 16, v48
	v_min3_f16 v23, v47, v23, v49
	v_min3_f16 v23, v46, v48, v23
	v_cvt_f32_f16_e32 v23, v23
	v_max_f32_e32 v22, v22, v22
	s_and_b64 vcc, exec, s[0:1]
	v_min_f32_e32 v22, v22, v23
	v_cvt_f16_f32_e32 v46, v22
	v_lshl_add_u64 v[22:23], v[32:33], 1, v[20:21]
	flat_store_short v[22:23], v46
	v_mov_b32_e32 v22, 0
	v_mov_b32_e32 v23, 0
	s_cbranch_vccnz .LBB207_118
; %bb.117:
	v_lshl_add_u64 v[46:47], v[34:35], 1, v[16:17]
	flat_load_ushort v23, v[46:47]
	s_waitcnt vmcnt(0) lgkmcnt(0)
	v_mul_f16_e32 v23, v52, v23
	v_cvt_f32_f16_e32 v23, v23
.LBB207_118:
	v_pk_add_f16 v46, v10, v18
	v_max_f16_e32 v47, v83, v83
	v_pk_add_f16 v49, v11, v19
	v_min_f16_e32 v47, v47, v46
	v_lshrrev_b32_e32 v48, 16, v83
	v_lshrrev_b32_e32 v46, 16, v46
	v_lshrrev_b32_e32 v50, 16, v49
	v_min3_f16 v46, v48, v46, v50
	v_min3_f16 v46, v47, v49, v46
	v_cvt_f32_f16_e32 v46, v46
	v_max_f32_e32 v23, v23, v23
	s_and_b64 vcc, exec, s[0:1]
	v_min_f32_e32 v23, v23, v46
	v_cvt_f16_f32_e32 v23, v23
	v_lshl_add_u64 v[46:47], v[34:35], 1, v[20:21]
	flat_store_short v[46:47], v23
	s_cbranch_vccnz .LBB207_120
; %bb.119:
	v_lshl_add_u64 v[22:23], v[36:37], 1, v[16:17]
	flat_load_ushort v22, v[22:23]
	s_waitcnt vmcnt(0) lgkmcnt(0)
	v_mul_f16_e32 v22, v52, v22
	v_cvt_f32_f16_e32 v22, v22
.LBB207_120:
	v_pk_add_f16 v23, v4, v18
	v_max_f16_e32 v46, v81, v81
	v_pk_add_f16 v48, v5, v19
	v_min_f16_e32 v46, v46, v23
	v_lshrrev_b32_e32 v47, 16, v81
	v_lshrrev_b32_e32 v23, 16, v23
	v_lshrrev_b32_e32 v49, 16, v48
	v_min3_f16 v23, v47, v23, v49
	v_min3_f16 v23, v46, v48, v23
	v_cvt_f32_f16_e32 v23, v23
	v_max_f32_e32 v22, v22, v22
	s_and_b64 vcc, exec, s[0:1]
	v_min_f32_e32 v22, v22, v23
	v_cvt_f16_f32_e32 v46, v22
	v_lshl_add_u64 v[22:23], v[36:37], 1, v[20:21]
	flat_store_short v[22:23], v46
	v_mov_b32_e32 v22, 0
	v_mov_b32_e32 v23, 0
	s_cbranch_vccnz .LBB207_122
; %bb.121:
	v_lshl_add_u64 v[46:47], v[40:41], 1, v[16:17]
	flat_load_ushort v23, v[46:47]
	s_waitcnt vmcnt(0) lgkmcnt(0)
	v_mul_f16_e32 v23, v52, v23
	v_cvt_f32_f16_e32 v23, v23
.LBB207_122:
	v_pk_add_f16 v46, v6, v18
	v_max_f16_e32 v47, v80, v80
	v_pk_add_f16 v49, v7, v19
	v_min_f16_e32 v47, v47, v46
	v_lshrrev_b32_e32 v48, 16, v80
	v_lshrrev_b32_e32 v46, 16, v46
	v_lshrrev_b32_e32 v50, 16, v49
	v_min3_f16 v46, v48, v46, v50
	v_min3_f16 v46, v47, v49, v46
	v_cvt_f32_f16_e32 v46, v46
	v_max_f32_e32 v23, v23, v23
	s_and_b64 vcc, exec, s[0:1]
	v_min_f32_e32 v23, v23, v46
	v_cvt_f16_f32_e32 v23, v23
	v_lshl_add_u64 v[46:47], v[40:41], 1, v[20:21]
	;; [unrolled: 50-line block ×3, first 2 shown]
	flat_store_short v[46:47], v23
	s_cbranch_vccnz .LBB207_128
; %bb.127:
	v_lshl_add_u64 v[16:17], v[44:45], 1, v[16:17]
	flat_load_ushort v16, v[16:17]
	s_waitcnt vmcnt(0) lgkmcnt(0)
	v_mul_f16_e32 v16, v52, v16
	v_cvt_f32_f16_e32 v22, v16
.LBB207_128:
	v_pk_add_f16 v16, v24, v18
	v_max_f16_e32 v17, v79, v79
	v_pk_add_f16 v19, v25, v19
	v_min_f16_e32 v17, v17, v16
	v_lshrrev_b32_e32 v18, 16, v79
	v_lshrrev_b32_e32 v16, 16, v16
	;; [unrolled: 1-line block ×3, first 2 shown]
	v_min3_f16 v16, v18, v16, v23
	v_min3_f16 v16, v17, v19, v16
	v_cvt_f32_f16_e32 v16, v16
	v_max_f32_e32 v17, v22, v22
	s_and_b64 vcc, exec, s[0:1]
	v_mov_b32_e32 v19, 0
	v_min_f32_e32 v16, v17, v16
	v_cvt_f16_f32_e32 v18, v16
	v_lshl_add_u64 v[16:17], v[44:45], 1, v[20:21]
	v_mov_b32_e32 v20, 0
	flat_store_short v[16:17], v18
	v_add_u32_e32 v18, 40, v82
	v_mad_i64_i32 v[16:17], s[4:5], v18, s6, 0
	v_lshl_add_u64 v[16:17], v[16:17], 1, s[10:11]
	s_cbranch_vccnz .LBB207_130
; %bb.129:
	v_lshl_add_u64 v[22:23], v[28:29], 1, v[16:17]
	flat_load_ushort v19, v[22:23]
	s_waitcnt vmcnt(0) lgkmcnt(0)
	v_mul_f16_e32 v19, v52, v19
	v_cvt_f32_f16_e32 v19, v19
.LBB207_130:
	v_pk_add_f16 v21, v30, v12
	v_max_f16_e32 v22, v76, v76
	v_pk_add_f16 v46, v31, v13
	v_min_f16_e32 v22, v22, v21
	v_lshrrev_b32_e32 v23, 16, v76
	v_lshrrev_b32_e32 v21, 16, v21
	;; [unrolled: 1-line block ×3, first 2 shown]
	v_min3_f16 v21, v23, v21, v47
	v_min3_f16 v21, v22, v46, v21
	v_cvt_f32_f16_e32 v21, v21
	v_mad_i64_i32 v[22:23], s[4:5], v18, s7, 0
	v_max_f32_e32 v18, v19, v19
	v_min_f32_e32 v18, v18, v21
	v_cvt_f16_f32_e32 v21, v18
	v_lshl_add_u64 v[18:19], v[22:23], 1, s[2:3]
	v_lshl_add_u64 v[22:23], v[28:29], 1, v[18:19]
	s_and_b64 vcc, exec, s[0:1]
	flat_store_short v[22:23], v21
	s_cbranch_vccnz .LBB207_132
; %bb.131:
	v_lshl_add_u64 v[20:21], v[32:33], 1, v[16:17]
	flat_load_ushort v20, v[20:21]
	s_waitcnt vmcnt(0) lgkmcnt(0)
	v_mul_f16_e32 v20, v52, v20
	v_cvt_f32_f16_e32 v20, v20
.LBB207_132:
	v_pk_add_f16 v21, v8, v12
	v_max_f16_e32 v22, v75, v75
	v_pk_add_f16 v46, v9, v13
	v_min_f16_e32 v22, v22, v21
	v_lshrrev_b32_e32 v23, 16, v75
	v_lshrrev_b32_e32 v21, 16, v21
	v_lshrrev_b32_e32 v47, 16, v46
	v_min3_f16 v21, v23, v21, v47
	v_min3_f16 v21, v22, v46, v21
	v_cvt_f32_f16_e32 v21, v21
	v_max_f32_e32 v20, v20, v20
	s_and_b64 vcc, exec, s[0:1]
	v_min_f32_e32 v20, v20, v21
	v_cvt_f16_f32_e32 v22, v20
	v_lshl_add_u64 v[20:21], v[32:33], 1, v[18:19]
	flat_store_short v[20:21], v22
	v_mov_b32_e32 v20, 0
	v_mov_b32_e32 v21, 0
	s_cbranch_vccnz .LBB207_134
; %bb.133:
	v_lshl_add_u64 v[22:23], v[34:35], 1, v[16:17]
	flat_load_ushort v21, v[22:23]
	s_waitcnt vmcnt(0) lgkmcnt(0)
	v_mul_f16_e32 v21, v52, v21
	v_cvt_f32_f16_e32 v21, v21
.LBB207_134:
	v_pk_add_f16 v22, v10, v12
	v_max_f16_e32 v23, v74, v74
	v_pk_add_f16 v47, v11, v13
	v_min_f16_e32 v23, v23, v22
	v_lshrrev_b32_e32 v46, 16, v74
	v_lshrrev_b32_e32 v22, 16, v22
	v_lshrrev_b32_e32 v48, 16, v47
	v_min3_f16 v22, v46, v22, v48
	v_min3_f16 v22, v23, v47, v22
	v_cvt_f32_f16_e32 v22, v22
	v_max_f32_e32 v21, v21, v21
	s_and_b64 vcc, exec, s[0:1]
	v_min_f32_e32 v21, v21, v22
	v_cvt_f16_f32_e32 v21, v21
	v_lshl_add_u64 v[22:23], v[34:35], 1, v[18:19]
	flat_store_short v[22:23], v21
	s_cbranch_vccnz .LBB207_136
; %bb.135:
	v_lshl_add_u64 v[20:21], v[36:37], 1, v[16:17]
	flat_load_ushort v20, v[20:21]
	s_waitcnt vmcnt(0) lgkmcnt(0)
	v_mul_f16_e32 v20, v52, v20
	v_cvt_f32_f16_e32 v20, v20
.LBB207_136:
	v_pk_add_f16 v21, v4, v12
	v_max_f16_e32 v22, v73, v73
	v_pk_add_f16 v46, v5, v13
	v_min_f16_e32 v22, v22, v21
	v_lshrrev_b32_e32 v23, 16, v73
	v_lshrrev_b32_e32 v21, 16, v21
	v_lshrrev_b32_e32 v47, 16, v46
	v_min3_f16 v21, v23, v21, v47
	v_min3_f16 v21, v22, v46, v21
	v_cvt_f32_f16_e32 v21, v21
	v_max_f32_e32 v20, v20, v20
	s_and_b64 vcc, exec, s[0:1]
	v_min_f32_e32 v20, v20, v21
	v_cvt_f16_f32_e32 v22, v20
	v_lshl_add_u64 v[20:21], v[36:37], 1, v[18:19]
	flat_store_short v[20:21], v22
	v_mov_b32_e32 v20, 0
	v_mov_b32_e32 v21, 0
	s_cbranch_vccnz .LBB207_138
; %bb.137:
	v_lshl_add_u64 v[22:23], v[40:41], 1, v[16:17]
	flat_load_ushort v21, v[22:23]
	s_waitcnt vmcnt(0) lgkmcnt(0)
	v_mul_f16_e32 v21, v52, v21
	v_cvt_f32_f16_e32 v21, v21
.LBB207_138:
	v_pk_add_f16 v22, v6, v12
	v_max_f16_e32 v23, v72, v72
	v_pk_add_f16 v47, v7, v13
	v_min_f16_e32 v23, v23, v22
	v_lshrrev_b32_e32 v46, 16, v72
	v_lshrrev_b32_e32 v22, 16, v22
	v_lshrrev_b32_e32 v48, 16, v47
	v_min3_f16 v22, v46, v22, v48
	v_min3_f16 v22, v23, v47, v22
	v_cvt_f32_f16_e32 v22, v22
	v_max_f32_e32 v21, v21, v21
	s_and_b64 vcc, exec, s[0:1]
	v_min_f32_e32 v21, v21, v22
	v_cvt_f16_f32_e32 v21, v21
	v_lshl_add_u64 v[22:23], v[40:41], 1, v[18:19]
	;; [unrolled: 50-line block ×3, first 2 shown]
	flat_store_short v[22:23], v21
	s_cbranch_vccnz .LBB207_144
; %bb.143:
	v_lshl_add_u64 v[16:17], v[44:45], 1, v[16:17]
	flat_load_ushort v16, v[16:17]
	s_waitcnt vmcnt(0) lgkmcnt(0)
	v_mul_f16_e32 v16, v52, v16
	v_cvt_f32_f16_e32 v20, v16
.LBB207_144:
	v_pk_add_f16 v12, v24, v12
	v_max_f16_e32 v16, v69, v69
	v_pk_add_f16 v13, v25, v13
	v_min_f16_e32 v16, v16, v12
	v_lshrrev_b32_e32 v17, 16, v69
	v_lshrrev_b32_e32 v12, 16, v12
	;; [unrolled: 1-line block ×3, first 2 shown]
	v_min3_f16 v12, v17, v12, v21
	v_min3_f16 v12, v16, v13, v12
	v_cvt_f32_f16_e32 v12, v12
	v_max_f32_e32 v13, v20, v20
	s_and_b64 vcc, exec, s[0:1]
	v_mov_b32_e32 v17, 0
	v_min_f32_e32 v12, v13, v12
	v_cvt_f16_f32_e32 v16, v12
	v_lshl_add_u64 v[12:13], v[44:45], 1, v[18:19]
	v_mov_b32_e32 v18, 0
	flat_store_short v[12:13], v16
	v_add_u32_e32 v16, 48, v82
	v_mad_i64_i32 v[12:13], s[4:5], v16, s6, 0
	v_lshl_add_u64 v[12:13], v[12:13], 1, s[10:11]
	s_cbranch_vccnz .LBB207_146
; %bb.145:
	v_lshl_add_u64 v[20:21], v[28:29], 1, v[12:13]
	flat_load_ushort v17, v[20:21]
	s_waitcnt vmcnt(0) lgkmcnt(0)
	v_mul_f16_e32 v17, v52, v17
	v_cvt_f32_f16_e32 v17, v17
.LBB207_146:
	v_pk_add_f16 v19, v30, v14
	v_max_f16_e32 v20, v68, v68
	v_pk_add_f16 v22, v31, v15
	v_min_f16_e32 v20, v20, v19
	v_lshrrev_b32_e32 v21, 16, v68
	v_lshrrev_b32_e32 v19, 16, v19
	;; [unrolled: 1-line block ×3, first 2 shown]
	v_min3_f16 v19, v21, v19, v23
	v_min3_f16 v19, v20, v22, v19
	v_cvt_f32_f16_e32 v19, v19
	v_mad_i64_i32 v[20:21], s[4:5], v16, s7, 0
	v_max_f32_e32 v16, v17, v17
	v_min_f32_e32 v16, v16, v19
	v_cvt_f16_f32_e32 v19, v16
	v_lshl_add_u64 v[16:17], v[20:21], 1, s[2:3]
	v_lshl_add_u64 v[20:21], v[28:29], 1, v[16:17]
	s_and_b64 vcc, exec, s[0:1]
	flat_store_short v[20:21], v19
	s_cbranch_vccnz .LBB207_148
; %bb.147:
	v_lshl_add_u64 v[18:19], v[32:33], 1, v[12:13]
	flat_load_ushort v18, v[18:19]
	s_waitcnt vmcnt(0) lgkmcnt(0)
	v_mul_f16_e32 v18, v52, v18
	v_cvt_f32_f16_e32 v18, v18
.LBB207_148:
	v_pk_add_f16 v19, v8, v14
	v_max_f16_e32 v20, v67, v67
	v_pk_add_f16 v22, v9, v15
	v_min_f16_e32 v20, v20, v19
	v_lshrrev_b32_e32 v21, 16, v67
	v_lshrrev_b32_e32 v19, 16, v19
	v_lshrrev_b32_e32 v23, 16, v22
	v_min3_f16 v19, v21, v19, v23
	v_min3_f16 v19, v20, v22, v19
	v_cvt_f32_f16_e32 v19, v19
	v_max_f32_e32 v18, v18, v18
	s_and_b64 vcc, exec, s[0:1]
	v_min_f32_e32 v18, v18, v19
	v_cvt_f16_f32_e32 v20, v18
	v_lshl_add_u64 v[18:19], v[32:33], 1, v[16:17]
	flat_store_short v[18:19], v20
	v_mov_b32_e32 v18, 0
	v_mov_b32_e32 v19, 0
	s_cbranch_vccnz .LBB207_150
; %bb.149:
	v_lshl_add_u64 v[20:21], v[34:35], 1, v[12:13]
	flat_load_ushort v19, v[20:21]
	s_waitcnt vmcnt(0) lgkmcnt(0)
	v_mul_f16_e32 v19, v52, v19
	v_cvt_f32_f16_e32 v19, v19
.LBB207_150:
	v_pk_add_f16 v20, v10, v14
	v_max_f16_e32 v21, v66, v66
	v_pk_add_f16 v23, v11, v15
	v_min_f16_e32 v21, v21, v20
	v_lshrrev_b32_e32 v22, 16, v66
	v_lshrrev_b32_e32 v20, 16, v20
	v_lshrrev_b32_e32 v46, 16, v23
	v_min3_f16 v20, v22, v20, v46
	v_min3_f16 v20, v21, v23, v20
	v_cvt_f32_f16_e32 v20, v20
	v_max_f32_e32 v19, v19, v19
	s_and_b64 vcc, exec, s[0:1]
	v_min_f32_e32 v19, v19, v20
	v_cvt_f16_f32_e32 v19, v19
	v_lshl_add_u64 v[20:21], v[34:35], 1, v[16:17]
	flat_store_short v[20:21], v19
	s_cbranch_vccnz .LBB207_152
; %bb.151:
	v_lshl_add_u64 v[18:19], v[36:37], 1, v[12:13]
	flat_load_ushort v18, v[18:19]
	s_waitcnt vmcnt(0) lgkmcnt(0)
	v_mul_f16_e32 v18, v52, v18
	v_cvt_f32_f16_e32 v18, v18
.LBB207_152:
	v_pk_add_f16 v19, v4, v14
	v_max_f16_e32 v20, v65, v65
	v_pk_add_f16 v22, v5, v15
	v_min_f16_e32 v20, v20, v19
	v_lshrrev_b32_e32 v21, 16, v65
	v_lshrrev_b32_e32 v19, 16, v19
	v_lshrrev_b32_e32 v23, 16, v22
	v_min3_f16 v19, v21, v19, v23
	v_min3_f16 v19, v20, v22, v19
	v_cvt_f32_f16_e32 v19, v19
	v_max_f32_e32 v18, v18, v18
	s_and_b64 vcc, exec, s[0:1]
	v_min_f32_e32 v18, v18, v19
	v_cvt_f16_f32_e32 v20, v18
	v_lshl_add_u64 v[18:19], v[36:37], 1, v[16:17]
	flat_store_short v[18:19], v20
	v_mov_b32_e32 v18, 0
	v_mov_b32_e32 v19, 0
	s_cbranch_vccnz .LBB207_154
; %bb.153:
	v_lshl_add_u64 v[20:21], v[40:41], 1, v[12:13]
	flat_load_ushort v19, v[20:21]
	s_waitcnt vmcnt(0) lgkmcnt(0)
	v_mul_f16_e32 v19, v52, v19
	v_cvt_f32_f16_e32 v19, v19
.LBB207_154:
	v_pk_add_f16 v20, v6, v14
	v_max_f16_e32 v21, v64, v64
	v_pk_add_f16 v23, v7, v15
	v_min_f16_e32 v21, v21, v20
	v_lshrrev_b32_e32 v22, 16, v64
	v_lshrrev_b32_e32 v20, 16, v20
	v_lshrrev_b32_e32 v46, 16, v23
	v_min3_f16 v20, v22, v20, v46
	v_min3_f16 v20, v21, v23, v20
	v_cvt_f32_f16_e32 v20, v20
	v_max_f32_e32 v19, v19, v19
	s_and_b64 vcc, exec, s[0:1]
	v_min_f32_e32 v19, v19, v20
	v_cvt_f16_f32_e32 v19, v19
	v_lshl_add_u64 v[20:21], v[40:41], 1, v[16:17]
	;; [unrolled: 50-line block ×3, first 2 shown]
	flat_store_short v[20:21], v19
	s_cbranch_vccnz .LBB207_160
; %bb.159:
	v_lshl_add_u64 v[12:13], v[44:45], 1, v[12:13]
	flat_load_ushort v12, v[12:13]
	s_waitcnt vmcnt(0) lgkmcnt(0)
	v_mul_f16_e32 v12, v52, v12
	v_cvt_f32_f16_e32 v18, v12
.LBB207_160:
	v_pk_add_f16 v12, v24, v14
	v_max_f16_e32 v13, v61, v61
	v_pk_add_f16 v15, v25, v15
	v_min_f16_e32 v13, v13, v12
	v_lshrrev_b32_e32 v14, 16, v61
	v_lshrrev_b32_e32 v12, 16, v12
	;; [unrolled: 1-line block ×3, first 2 shown]
	v_min3_f16 v12, v14, v12, v19
	v_min3_f16 v12, v13, v15, v12
	v_cvt_f32_f16_e32 v12, v12
	v_max_f32_e32 v13, v18, v18
	s_and_b64 vcc, exec, s[0:1]
	v_mov_b32_e32 v15, 0
	v_min_f32_e32 v12, v13, v12
	v_cvt_f16_f32_e32 v14, v12
	v_lshl_add_u64 v[12:13], v[44:45], 1, v[16:17]
	v_mov_b32_e32 v16, 0
	flat_store_short v[12:13], v14
	v_add_u32_e32 v14, 56, v82
	v_mad_i64_i32 v[12:13], s[4:5], v14, s6, 0
	v_lshl_add_u64 v[12:13], v[12:13], 1, s[10:11]
	s_cbranch_vccnz .LBB207_162
; %bb.161:
	v_lshl_add_u64 v[18:19], v[28:29], 1, v[12:13]
	flat_load_ushort v15, v[18:19]
	s_waitcnt vmcnt(0) lgkmcnt(0)
	v_mul_f16_e32 v15, v52, v15
	v_cvt_f32_f16_e32 v15, v15
.LBB207_162:
	v_pk_add_f16 v17, v30, v26
	v_max_f16_e32 v18, v60, v60
	v_pk_add_f16 v20, v31, v27
	v_min_f16_e32 v18, v18, v17
	v_lshrrev_b32_e32 v19, 16, v60
	v_lshrrev_b32_e32 v17, 16, v17
	;; [unrolled: 1-line block ×3, first 2 shown]
	v_min3_f16 v17, v19, v17, v21
	v_min3_f16 v17, v18, v20, v17
	v_cvt_f32_f16_e32 v17, v17
	v_mad_i64_i32 v[18:19], s[4:5], v14, s7, 0
	v_max_f32_e32 v14, v15, v15
	v_min_f32_e32 v14, v14, v17
	v_cvt_f16_f32_e32 v17, v14
	v_lshl_add_u64 v[14:15], v[18:19], 1, s[2:3]
	v_lshl_add_u64 v[18:19], v[28:29], 1, v[14:15]
	s_and_b64 vcc, exec, s[0:1]
	flat_store_short v[18:19], v17
	s_cbranch_vccnz .LBB207_164
; %bb.163:
	v_lshl_add_u64 v[16:17], v[32:33], 1, v[12:13]
	flat_load_ushort v16, v[16:17]
	s_waitcnt vmcnt(0) lgkmcnt(0)
	v_mul_f16_e32 v16, v52, v16
	v_cvt_f32_f16_e32 v16, v16
.LBB207_164:
	v_pk_add_f16 v8, v8, v26
	v_max_f16_e32 v17, v59, v59
	v_pk_add_f16 v9, v9, v27
	v_min_f16_e32 v17, v17, v8
	v_lshrrev_b32_e32 v18, 16, v59
	v_lshrrev_b32_e32 v8, 16, v8
	;; [unrolled: 1-line block ×3, first 2 shown]
	v_min3_f16 v8, v18, v8, v19
	v_min3_f16 v8, v17, v9, v8
	v_cvt_f32_f16_e32 v8, v8
	v_max_f32_e32 v9, v16, v16
	s_and_b64 vcc, exec, s[0:1]
	v_min_f32_e32 v8, v9, v8
	v_cvt_f16_f32_e32 v16, v8
	v_lshl_add_u64 v[8:9], v[32:33], 1, v[14:15]
	flat_store_short v[8:9], v16
	v_mov_b32_e32 v8, 0
	v_mov_b32_e32 v9, 0
	s_cbranch_vccnz .LBB207_166
; %bb.165:
	v_lshl_add_u64 v[16:17], v[34:35], 1, v[12:13]
	flat_load_ushort v9, v[16:17]
	s_waitcnt vmcnt(0) lgkmcnt(0)
	v_mul_f16_e32 v9, v52, v9
	v_cvt_f32_f16_e32 v9, v9
.LBB207_166:
	v_pk_add_f16 v10, v10, v26
	v_max_f16_e32 v16, v57, v57
	v_pk_add_f16 v11, v11, v27
	v_min_f16_e32 v16, v16, v10
	v_lshrrev_b32_e32 v17, 16, v57
	v_lshrrev_b32_e32 v10, 16, v10
	;; [unrolled: 1-line block ×3, first 2 shown]
	v_min3_f16 v10, v17, v10, v18
	v_min3_f16 v10, v16, v11, v10
	v_cvt_f32_f16_e32 v10, v10
	v_max_f32_e32 v9, v9, v9
	s_and_b64 vcc, exec, s[0:1]
	v_min_f32_e32 v9, v9, v10
	v_cvt_f16_f32_e32 v9, v9
	v_lshl_add_u64 v[10:11], v[34:35], 1, v[14:15]
	flat_store_short v[10:11], v9
	s_cbranch_vccnz .LBB207_168
; %bb.167:
	v_lshl_add_u64 v[8:9], v[36:37], 1, v[12:13]
	flat_load_ushort v8, v[8:9]
	s_waitcnt vmcnt(0) lgkmcnt(0)
	v_mul_f16_e32 v8, v52, v8
	v_cvt_f32_f16_e32 v8, v8
.LBB207_168:
	v_pk_add_f16 v4, v4, v26
	v_max_f16_e32 v9, v56, v56
	v_pk_add_f16 v5, v5, v27
	v_min_f16_e32 v9, v9, v4
	v_lshrrev_b32_e32 v10, 16, v56
	v_lshrrev_b32_e32 v4, 16, v4
	;; [unrolled: 1-line block ×3, first 2 shown]
	v_min3_f16 v4, v10, v4, v11
	v_min3_f16 v4, v9, v5, v4
	v_cvt_f32_f16_e32 v4, v4
	v_max_f32_e32 v5, v8, v8
	s_and_b64 vcc, exec, s[0:1]
	v_min_f32_e32 v4, v5, v4
	v_cvt_f16_f32_e32 v8, v4
	v_lshl_add_u64 v[4:5], v[36:37], 1, v[14:15]
	flat_store_short v[4:5], v8
	v_mov_b32_e32 v4, 0
	v_mov_b32_e32 v5, 0
	s_cbranch_vccnz .LBB207_170
; %bb.169:
	v_lshl_add_u64 v[8:9], v[40:41], 1, v[12:13]
	flat_load_ushort v5, v[8:9]
	s_waitcnt vmcnt(0) lgkmcnt(0)
	v_mul_f16_e32 v5, v52, v5
	v_cvt_f32_f16_e32 v5, v5
.LBB207_170:
	v_pk_add_f16 v6, v6, v26
	v_max_f16_e32 v8, v55, v55
	v_pk_add_f16 v7, v7, v27
	v_min_f16_e32 v8, v8, v6
	v_lshrrev_b32_e32 v9, 16, v55
	v_lshrrev_b32_e32 v6, 16, v6
	;; [unrolled: 1-line block ×3, first 2 shown]
	v_min3_f16 v6, v9, v6, v10
	v_min3_f16 v6, v8, v7, v6
	v_cvt_f32_f16_e32 v6, v6
	v_max_f32_e32 v5, v5, v5
	s_and_b64 vcc, exec, s[0:1]
	v_min_f32_e32 v5, v5, v6
	v_cvt_f16_f32_e32 v5, v5
	v_lshl_add_u64 v[6:7], v[40:41], 1, v[14:15]
	flat_store_short v[6:7], v5
	s_cbranch_vccnz .LBB207_172
; %bb.171:
	v_lshl_add_u64 v[4:5], v[38:39], 1, v[12:13]
	flat_load_ushort v4, v[4:5]
	s_waitcnt vmcnt(0) lgkmcnt(0)
	v_mul_f16_e32 v4, v52, v4
	v_cvt_f32_f16_e32 v4, v4
.LBB207_172:
	v_pk_add_f16 v0, v0, v26
	v_max_f16_e32 v5, v53, v53
	v_pk_add_f16 v1, v1, v27
	v_min_f16_e32 v5, v5, v0
	v_lshrrev_b32_e32 v6, 16, v53
	v_lshrrev_b32_e32 v0, 16, v0
	;; [unrolled: 1-line block ×3, first 2 shown]
	v_min3_f16 v0, v6, v0, v7
	v_min3_f16 v0, v5, v1, v0
	v_cvt_f32_f16_e32 v0, v0
	v_max_f32_e32 v4, v4, v4
	v_pk_add_f16 v1, v2, v26
	v_max_f16_e32 v2, v54, v54
	v_min_f32_e32 v0, v4, v0
	v_cvt_f16_f32_e32 v4, v0
	v_pk_add_f16 v3, v3, v27
	v_min_f16_e32 v2, v2, v1
	v_lshrrev_b32_e32 v5, 16, v54
	v_lshrrev_b32_e32 v1, 16, v1
	;; [unrolled: 1-line block ×3, first 2 shown]
	v_min3_f16 v5, v5, v1, v0
	v_lshl_add_u64 v[0:1], v[38:39], 1, v[14:15]
	flat_store_short v[0:1], v4
	v_min3_f16 v0, v2, v3, v5
	s_mov_b64 s[0:1], -1
	s_mov_b64 vcc, s[8:9]
	s_cbranch_vccz .LBB207_174
; %bb.173:
	v_cvt_f32_f16_e32 v1, v0
	v_lshl_add_u64 v[2:3], v[42:43], 1, v[14:15]
	s_mov_b64 s[0:1], 0
	v_min_f32_e32 v1, 0, v1
	v_cvt_f16_f32_e32 v1, v1
	flat_store_short v[2:3], v1
.LBB207_174:
	s_andn2_b64 vcc, exec, s[0:1]
	v_mov_b32_e32 v1, 0
	s_cbranch_vccnz .LBB207_176
; %bb.175:
	v_lshlrev_b64 v[2:3], 1, v[42:43]
	v_lshl_add_u64 v[4:5], v[12:13], 0, v[2:3]
	flat_load_ushort v4, v[4:5]
	v_max_f16_e32 v5, v0, v0
	v_lshl_add_u64 v[0:1], v[14:15], 0, v[2:3]
	s_waitcnt vmcnt(0) lgkmcnt(0)
	v_mul_f16_e32 v2, v52, v4
	v_min_f16_e32 v2, v2, v5
	flat_store_short v[0:1], v2
	v_lshl_add_u64 v[0:1], v[44:45], 1, v[12:13]
	flat_load_ushort v0, v[0:1]
	s_waitcnt vmcnt(0) lgkmcnt(0)
	v_mul_f16_e32 v0, v52, v0
	v_cvt_f32_f16_e32 v1, v0
.LBB207_176:
	v_pk_add_f16 v0, v24, v26
	v_max_f16_e32 v2, v58, v58
	v_pk_add_f16 v3, v25, v27
	v_min_f16_e32 v2, v2, v0
	v_lshrrev_b32_e32 v4, 16, v58
	v_lshrrev_b32_e32 v0, 16, v0
	;; [unrolled: 1-line block ×3, first 2 shown]
	v_min3_f16 v0, v4, v0, v5
	v_min3_f16 v0, v2, v3, v0
	v_cvt_f32_f16_e32 v0, v0
	v_max_f32_e32 v1, v1, v1
	v_min_f32_e32 v0, v1, v0
	v_cvt_f16_f32_e32 v2, v0
	v_lshl_add_u64 v[0:1], v[44:45], 1, v[14:15]
	flat_store_short v[0:1], v2
	s_endpgm
	.section	.rodata,"a",@progbits
	.p2align	6, 0x0
	.amdhsa_kernel _ZN12_GLOBAL__N_120geam_min_plus_kernelIDF16_Dv2_DF16_S1_Li32ELi8ELi256ELi64ELi4ELi64ELi4ELi4ELi64ELc78ELc78ELb0ELb0ELb1EPKDF16_KS3_KPDF16_EEviiiT16_PT17_ilS9_ilS7_S9_ilPT18_ili26rocblas_geam_ex_operation_
		.amdhsa_group_segment_fixed_size 5120
		.amdhsa_private_segment_fixed_size 0
		.amdhsa_kernarg_size 136
		.amdhsa_user_sgpr_count 2
		.amdhsa_user_sgpr_dispatch_ptr 0
		.amdhsa_user_sgpr_queue_ptr 0
		.amdhsa_user_sgpr_kernarg_segment_ptr 1
		.amdhsa_user_sgpr_dispatch_id 0
		.amdhsa_user_sgpr_kernarg_preload_length 0
		.amdhsa_user_sgpr_kernarg_preload_offset 0
		.amdhsa_user_sgpr_private_segment_size 0
		.amdhsa_uses_dynamic_stack 0
		.amdhsa_enable_private_segment 0
		.amdhsa_system_sgpr_workgroup_id_x 1
		.amdhsa_system_sgpr_workgroup_id_y 0
		.amdhsa_system_sgpr_workgroup_id_z 1
		.amdhsa_system_sgpr_workgroup_info 0
		.amdhsa_system_vgpr_workitem_id 1
		.amdhsa_next_free_vgpr 139
		.amdhsa_next_free_sgpr 27
		.amdhsa_accum_offset 140
		.amdhsa_reserve_vcc 1
		.amdhsa_float_round_mode_32 0
		.amdhsa_float_round_mode_16_64 0
		.amdhsa_float_denorm_mode_32 3
		.amdhsa_float_denorm_mode_16_64 3
		.amdhsa_dx10_clamp 1
		.amdhsa_ieee_mode 1
		.amdhsa_fp16_overflow 0
		.amdhsa_tg_split 0
		.amdhsa_exception_fp_ieee_invalid_op 0
		.amdhsa_exception_fp_denorm_src 0
		.amdhsa_exception_fp_ieee_div_zero 0
		.amdhsa_exception_fp_ieee_overflow 0
		.amdhsa_exception_fp_ieee_underflow 0
		.amdhsa_exception_fp_ieee_inexact 0
		.amdhsa_exception_int_div_zero 0
	.end_amdhsa_kernel
	.section	.text._ZN12_GLOBAL__N_120geam_min_plus_kernelIDF16_Dv2_DF16_S1_Li32ELi8ELi256ELi64ELi4ELi64ELi4ELi4ELi64ELc78ELc78ELb0ELb0ELb1EPKDF16_KS3_KPDF16_EEviiiT16_PT17_ilS9_ilS7_S9_ilPT18_ili26rocblas_geam_ex_operation_,"axG",@progbits,_ZN12_GLOBAL__N_120geam_min_plus_kernelIDF16_Dv2_DF16_S1_Li32ELi8ELi256ELi64ELi4ELi64ELi4ELi4ELi64ELc78ELc78ELb0ELb0ELb1EPKDF16_KS3_KPDF16_EEviiiT16_PT17_ilS9_ilS7_S9_ilPT18_ili26rocblas_geam_ex_operation_,comdat
.Lfunc_end207:
	.size	_ZN12_GLOBAL__N_120geam_min_plus_kernelIDF16_Dv2_DF16_S1_Li32ELi8ELi256ELi64ELi4ELi64ELi4ELi4ELi64ELc78ELc78ELb0ELb0ELb1EPKDF16_KS3_KPDF16_EEviiiT16_PT17_ilS9_ilS7_S9_ilPT18_ili26rocblas_geam_ex_operation_, .Lfunc_end207-_ZN12_GLOBAL__N_120geam_min_plus_kernelIDF16_Dv2_DF16_S1_Li32ELi8ELi256ELi64ELi4ELi64ELi4ELi4ELi64ELc78ELc78ELb0ELb0ELb1EPKDF16_KS3_KPDF16_EEviiiT16_PT17_ilS9_ilS7_S9_ilPT18_ili26rocblas_geam_ex_operation_
                                        ; -- End function
	.set _ZN12_GLOBAL__N_120geam_min_plus_kernelIDF16_Dv2_DF16_S1_Li32ELi8ELi256ELi64ELi4ELi64ELi4ELi4ELi64ELc78ELc78ELb0ELb0ELb1EPKDF16_KS3_KPDF16_EEviiiT16_PT17_ilS9_ilS7_S9_ilPT18_ili26rocblas_geam_ex_operation_.num_vgpr, 139
	.set _ZN12_GLOBAL__N_120geam_min_plus_kernelIDF16_Dv2_DF16_S1_Li32ELi8ELi256ELi64ELi4ELi64ELi4ELi4ELi64ELc78ELc78ELb0ELb0ELb1EPKDF16_KS3_KPDF16_EEviiiT16_PT17_ilS9_ilS7_S9_ilPT18_ili26rocblas_geam_ex_operation_.num_agpr, 0
	.set _ZN12_GLOBAL__N_120geam_min_plus_kernelIDF16_Dv2_DF16_S1_Li32ELi8ELi256ELi64ELi4ELi64ELi4ELi4ELi64ELc78ELc78ELb0ELb0ELb1EPKDF16_KS3_KPDF16_EEviiiT16_PT17_ilS9_ilS7_S9_ilPT18_ili26rocblas_geam_ex_operation_.numbered_sgpr, 27
	.set _ZN12_GLOBAL__N_120geam_min_plus_kernelIDF16_Dv2_DF16_S1_Li32ELi8ELi256ELi64ELi4ELi64ELi4ELi4ELi64ELc78ELc78ELb0ELb0ELb1EPKDF16_KS3_KPDF16_EEviiiT16_PT17_ilS9_ilS7_S9_ilPT18_ili26rocblas_geam_ex_operation_.num_named_barrier, 0
	.set _ZN12_GLOBAL__N_120geam_min_plus_kernelIDF16_Dv2_DF16_S1_Li32ELi8ELi256ELi64ELi4ELi64ELi4ELi4ELi64ELc78ELc78ELb0ELb0ELb1EPKDF16_KS3_KPDF16_EEviiiT16_PT17_ilS9_ilS7_S9_ilPT18_ili26rocblas_geam_ex_operation_.private_seg_size, 0
	.set _ZN12_GLOBAL__N_120geam_min_plus_kernelIDF16_Dv2_DF16_S1_Li32ELi8ELi256ELi64ELi4ELi64ELi4ELi4ELi64ELc78ELc78ELb0ELb0ELb1EPKDF16_KS3_KPDF16_EEviiiT16_PT17_ilS9_ilS7_S9_ilPT18_ili26rocblas_geam_ex_operation_.uses_vcc, 1
	.set _ZN12_GLOBAL__N_120geam_min_plus_kernelIDF16_Dv2_DF16_S1_Li32ELi8ELi256ELi64ELi4ELi64ELi4ELi4ELi64ELc78ELc78ELb0ELb0ELb1EPKDF16_KS3_KPDF16_EEviiiT16_PT17_ilS9_ilS7_S9_ilPT18_ili26rocblas_geam_ex_operation_.uses_flat_scratch, 0
	.set _ZN12_GLOBAL__N_120geam_min_plus_kernelIDF16_Dv2_DF16_S1_Li32ELi8ELi256ELi64ELi4ELi64ELi4ELi4ELi64ELc78ELc78ELb0ELb0ELb1EPKDF16_KS3_KPDF16_EEviiiT16_PT17_ilS9_ilS7_S9_ilPT18_ili26rocblas_geam_ex_operation_.has_dyn_sized_stack, 0
	.set _ZN12_GLOBAL__N_120geam_min_plus_kernelIDF16_Dv2_DF16_S1_Li32ELi8ELi256ELi64ELi4ELi64ELi4ELi4ELi64ELc78ELc78ELb0ELb0ELb1EPKDF16_KS3_KPDF16_EEviiiT16_PT17_ilS9_ilS7_S9_ilPT18_ili26rocblas_geam_ex_operation_.has_recursion, 0
	.set _ZN12_GLOBAL__N_120geam_min_plus_kernelIDF16_Dv2_DF16_S1_Li32ELi8ELi256ELi64ELi4ELi64ELi4ELi4ELi64ELc78ELc78ELb0ELb0ELb1EPKDF16_KS3_KPDF16_EEviiiT16_PT17_ilS9_ilS7_S9_ilPT18_ili26rocblas_geam_ex_operation_.has_indirect_call, 0
	.section	.AMDGPU.csdata,"",@progbits
; Kernel info:
; codeLenInByte = 18228
; TotalNumSgprs: 33
; NumVgprs: 139
; NumAgprs: 0
; TotalNumVgprs: 139
; ScratchSize: 0
; MemoryBound: 0
; FloatMode: 240
; IeeeMode: 1
; LDSByteSize: 5120 bytes/workgroup (compile time only)
; SGPRBlocks: 4
; VGPRBlocks: 17
; NumSGPRsForWavesPerEU: 33
; NumVGPRsForWavesPerEU: 139
; AccumOffset: 140
; Occupancy: 3
; WaveLimiterHint : 1
; COMPUTE_PGM_RSRC2:SCRATCH_EN: 0
; COMPUTE_PGM_RSRC2:USER_SGPR: 2
; COMPUTE_PGM_RSRC2:TRAP_HANDLER: 0
; COMPUTE_PGM_RSRC2:TGID_X_EN: 1
; COMPUTE_PGM_RSRC2:TGID_Y_EN: 0
; COMPUTE_PGM_RSRC2:TGID_Z_EN: 1
; COMPUTE_PGM_RSRC2:TIDIG_COMP_CNT: 1
; COMPUTE_PGM_RSRC3_GFX90A:ACCUM_OFFSET: 34
; COMPUTE_PGM_RSRC3_GFX90A:TG_SPLIT: 0
	.section	.text._ZN12_GLOBAL__N_120geam_min_plus_kernelIDF16_Dv2_DF16_S1_Li32ELi8ELi256ELi64ELi4ELi64ELi4ELi4ELi64ELc78ELc78ELb1ELb0ELb1EDF16_KPKDF16_KPDF16_EEviiiT16_PT17_ilS9_ilS7_S9_ilPT18_ili26rocblas_geam_ex_operation_,"axG",@progbits,_ZN12_GLOBAL__N_120geam_min_plus_kernelIDF16_Dv2_DF16_S1_Li32ELi8ELi256ELi64ELi4ELi64ELi4ELi4ELi64ELc78ELc78ELb1ELb0ELb1EDF16_KPKDF16_KPDF16_EEviiiT16_PT17_ilS9_ilS7_S9_ilPT18_ili26rocblas_geam_ex_operation_,comdat
	.globl	_ZN12_GLOBAL__N_120geam_min_plus_kernelIDF16_Dv2_DF16_S1_Li32ELi8ELi256ELi64ELi4ELi64ELi4ELi4ELi64ELc78ELc78ELb1ELb0ELb1EDF16_KPKDF16_KPDF16_EEviiiT16_PT17_ilS9_ilS7_S9_ilPT18_ili26rocblas_geam_ex_operation_ ; -- Begin function _ZN12_GLOBAL__N_120geam_min_plus_kernelIDF16_Dv2_DF16_S1_Li32ELi8ELi256ELi64ELi4ELi64ELi4ELi4ELi64ELc78ELc78ELb1ELb0ELb1EDF16_KPKDF16_KPDF16_EEviiiT16_PT17_ilS9_ilS7_S9_ilPT18_ili26rocblas_geam_ex_operation_
	.p2align	8
	.type	_ZN12_GLOBAL__N_120geam_min_plus_kernelIDF16_Dv2_DF16_S1_Li32ELi8ELi256ELi64ELi4ELi64ELi4ELi4ELi64ELc78ELc78ELb1ELb0ELb1EDF16_KPKDF16_KPDF16_EEviiiT16_PT17_ilS9_ilS7_S9_ilPT18_ili26rocblas_geam_ex_operation_,@function
_ZN12_GLOBAL__N_120geam_min_plus_kernelIDF16_Dv2_DF16_S1_Li32ELi8ELi256ELi64ELi4ELi64ELi4ELi4ELi64ELc78ELc78ELb1ELb0ELb1EDF16_KPKDF16_KPDF16_EEviiiT16_PT17_ilS9_ilS7_S9_ilPT18_ili26rocblas_geam_ex_operation_: ; @_ZN12_GLOBAL__N_120geam_min_plus_kernelIDF16_Dv2_DF16_S1_Li32ELi8ELi256ELi64ELi4ELi64ELi4ELi4ELi64ELc78ELc78ELb1ELb0ELb1EDF16_KPKDF16_KPDF16_EEviiiT16_PT17_ilS9_ilS7_S9_ilPT18_ili26rocblas_geam_ex_operation_
; %bb.0:
	s_load_dwordx2 s[14:15], s[0:1], 0x8
	s_load_dwordx4 s[4:7], s[0:1], 0x20
	s_mov_b32 s8, s3
	s_mov_b32 s9, 0
	s_waitcnt lgkmcnt(0)
	v_cmp_eq_f16_e64 s[10:11], s15, 0
	s_and_b64 vcc, exec, s[10:11]
	s_cbranch_vccnz .LBB208_3
; %bb.1:
	s_load_dwordx2 s[12:13], s[0:1], 0x10
	s_lshl_b64 s[16:17], s[8:9], 3
	s_waitcnt lgkmcnt(0)
	s_add_u32 s12, s12, s16
	s_addc_u32 s13, s13, s17
	s_load_dwordx2 s[12:13], s[12:13], 0x0
	s_lshl_b64 s[4:5], s[4:5], 1
	s_waitcnt lgkmcnt(0)
	s_add_u32 s16, s12, s4
	s_addc_u32 s17, s13, s5
	s_andn2_b64 vcc, exec, s[10:11]
	s_cbranch_vccnz .LBB208_4
.LBB208_2:
	s_mov_b32 s21, 0
	s_mov_b32 s20, s8
	s_mov_b64 s[12:13], 0
	s_mov_b64 s[18:19], 0
	s_cbranch_execz .LBB208_5
	s_branch .LBB208_6
.LBB208_3:
	s_mov_b64 s[16:17], 0
	s_andn2_b64 vcc, exec, s[10:11]
	s_cbranch_vccz .LBB208_2
.LBB208_4:
	s_mov_b64 s[20:21], s[8:9]
	s_mov_b64 s[12:13], 0
	;; [unrolled: 1-line block ×3, first 2 shown]
.LBB208_5:
	s_lshl_b64 s[8:9], s[8:9], 3
	s_add_u32 s6, s6, s8
	s_load_dwordx2 s[4:5], s[0:1], 0x38
	s_addc_u32 s7, s7, s9
	s_load_dwordx2 s[6:7], s[6:7], 0x0
	s_waitcnt lgkmcnt(0)
	s_lshl_b64 s[4:5], s[4:5], 1
	s_add_u32 s18, s6, s4
	s_addc_u32 s19, s7, s5
.LBB208_6:
	s_load_dword s15, s[0:1], 0x40
	s_load_dwordx4 s[8:11], s[0:1], 0x58
	s_waitcnt lgkmcnt(0)
	v_cmp_eq_f16_e64 s[4:5], s15, 0
	s_and_b64 s[4:5], exec, s[4:5]
	s_mov_b64 vcc, s[4:5]
	s_cbranch_vccnz .LBB208_8
; %bb.7:
	s_load_dwordx2 s[6:7], s[0:1], 0x48
	s_lshl_b64 s[12:13], s[20:21], 3
	s_waitcnt lgkmcnt(0)
	s_add_u32 s6, s6, s12
	s_addc_u32 s7, s7, s13
	s_load_dwordx2 s[6:7], s[6:7], 0x0
	s_lshl_b64 s[8:9], s[8:9], 1
	s_waitcnt lgkmcnt(0)
	s_add_u32 s12, s6, s8
	s_addc_u32 s13, s7, s9
.LBB208_8:
	s_load_dword s3, s[0:1], 0x0
	s_load_dword s8, s[0:1], 0x18
	s_load_dword s9, s[0:1], 0x30
	s_lshl_b64 s[6:7], s[20:21], 3
	s_add_u32 s6, s10, s6
	s_addc_u32 s7, s11, s7
	s_waitcnt lgkmcnt(0)
	s_add_i32 s3, s3, -1
	s_ashr_i32 s10, s3, 31
	s_lshr_b32 s10, s10, 24
	s_add_i32 s3, s3, s10
	s_ashr_i32 s3, s3, 8
	s_add_i32 s10, s3, 1
	v_cvt_f32_u32_e32 v1, s10
	s_not_b32 s3, s3
	v_and_b32_e32 v44, 0x3ff, v0
	v_bfe_u32 v45, v0, 10, 10
	v_rcp_iflag_f32_e32 v1, v1
	v_lshl_add_u32 v2, v45, 5, v44
	v_lshrrev_b32_e32 v9, 2, v2
	v_and_b32_e32 v8, 63, v2
	v_mul_f32_e32 v1, 0x4f7ffffe, v1
	v_cvt_u32_f32_e32 v1, v1
	v_lshrrev_b32_e32 v38, 6, v2
	v_lshlrev_b32_e32 v0, 1, v0
	v_and_b32_e32 v34, 6, v0
	v_readfirstlane_b32 s11, v1
	s_mul_i32 s3, s3, s11
	s_mul_hi_u32 s3, s11, s3
	s_add_i32 s11, s11, s3
	s_mul_hi_u32 s3, s2, s11
	s_mul_i32 s11, s3, s10
	s_sub_i32 s11, s2, s11
	s_add_i32 s20, s3, 1
	s_sub_i32 s21, s11, s10
	s_cmp_ge_u32 s11, s10
	s_cselect_b32 s3, s20, s3
	s_cselect_b32 s11, s21, s11
	s_add_i32 s20, s3, 1
	s_cmp_ge_u32 s11, s10
	s_cselect_b32 s3, s20, s3
	s_mul_i32 s10, s3, s10
	s_sub_i32 s2, s2, s10
	s_lshl_b32 s11, s3, 6
	s_lshl_b32 s10, s2, 8
	v_add_u32_e32 v1, s11, v9
	v_or_b32_e32 v28, s10, v8
	v_mad_i64_i32 v[30:31], s[2:3], v1, s9, 0
	v_mad_i64_i32 v[2:3], s[2:3], s8, v38, 0
	v_ashrrev_i32_e32 v29, 31, v28
	v_lshl_add_u64 v[6:7], v[30:31], 1, s[18:19]
	v_mov_b32_e32 v35, 0
	v_lshl_add_u64 v[2:3], v[2:3], 1, s[16:17]
	v_lshlrev_b64 v[4:5], 1, v[28:29]
	v_lshl_add_u64 v[0:1], v[6:7], 0, v[34:35]
	v_lshl_add_u64 v[2:3], v[2:3], 0, v[4:5]
	flat_load_ushort v6, v[0:1]
	flat_load_ushort v7, v[2:3]
	flat_load_ushort v10, v[2:3] offset:128
	flat_load_ushort v11, v[2:3] offset:256
	;; [unrolled: 1-line block ×3, first 2 shown]
	v_add_u32_e32 v2, 4, v38
	v_lshlrev_b32_e32 v3, 3, v8
	s_load_dwordx2 s[2:3], s[6:7], 0x0
	v_lshl_add_u32 v47, v38, 1, v3
	v_mad_i64_i32 v[2:3], s[6:7], s8, v2, 0
	v_lshl_add_u64 v[2:3], v[2:3], 1, s[16:17]
	flat_load_ushort v33, v[0:1] offset:8
	v_lshl_add_u64 v[0:1], v[2:3], 0, v[4:5]
	v_lshl_or_b32 v32, v9, 3, v34
	flat_load_ushort v34, v[0:1]
	flat_load_ushort v36, v[0:1] offset:128
	flat_load_ushort v37, v[0:1] offset:256
	flat_load_ushort v39, v[0:1] offset:384
	v_lshlrev_b32_e32 v51, 3, v44
	v_lshlrev_b32_e32 v50, 3, v45
	v_add_u32_e32 v46, 0x1000, v50
	s_movk_i32 s6, 0x7c00
	s_cmp_lt_i32 s14, 9
	s_waitcnt vmcnt(0) lgkmcnt(0)
	ds_write_b16 v32, v6 offset:4096
	ds_write_b16 v47, v7
	ds_write_b16 v47, v10 offset:512
	ds_write_b16 v47, v11 offset:1024
	;; [unrolled: 1-line block ×3, first 2 shown]
	s_waitcnt lgkmcnt(0)
	s_barrier
	ds_read2_b64 v[16:19], v51 offset1:32
	ds_read2_b64 v[12:15], v51 offset0:64 offset1:96
	ds_read2_b64 v[0:3], v51 offset0:128 offset1:160
	ds_read2_b64 v[40:43], v46 offset1:8
	ds_read2_b64 v[4:7], v51 offset0:192 offset1:224
	ds_read2_b64 v[24:27], v46 offset0:16 offset1:24
	;; [unrolled: 1-line block ×4, first 2 shown]
	s_waitcnt lgkmcnt(4)
	v_pk_add_f16 v48, v16, v40
	v_pk_add_f16 v49, v18, v40
	;; [unrolled: 1-line block ×6, first 2 shown]
	s_waitcnt lgkmcnt(3)
	v_pk_add_f16 v56, v4, v40
	v_pk_add_f16 v40, v6, v40
	v_pk_add_f16 v57, v16, v42
	v_pk_add_f16 v58, v18, v42
	v_pk_add_f16 v59, v12, v42
	v_pk_add_f16 v60, v14, v42
	v_pk_add_f16 v61, v0, v42
	v_pk_add_f16 v62, v2, v42
	v_pk_add_f16 v63, v4, v42
	v_pk_add_f16 v42, v6, v42
	s_waitcnt lgkmcnt(2)
	v_pk_add_f16 v64, v16, v24
	v_pk_add_f16 v65, v18, v24
	v_pk_add_f16 v66, v12, v24
	v_pk_add_f16 v67, v14, v24
	v_pk_add_f16 v68, v0, v24
	v_pk_add_f16 v69, v2, v24
	v_pk_add_f16 v70, v4, v24
	v_pk_add_f16 v24, v6, v24
	v_pk_add_f16 v71, v16, v26
	v_pk_add_f16 v72, v18, v26
	v_pk_add_f16 v73, v12, v26
	v_pk_add_f16 v74, v14, v26
	v_pk_add_f16 v75, v0, v26
	v_pk_add_f16 v76, v2, v26
	v_pk_add_f16 v77, v4, v26
	v_pk_add_f16 v26, v6, v26
	s_waitcnt lgkmcnt(1)
	v_pk_add_f16 v78, v16, v20
	v_pk_add_f16 v79, v18, v20
	v_pk_add_f16 v80, v12, v20
	v_pk_add_f16 v95, v14, v20
	v_pk_add_f16 v96, v0, v20
	v_pk_add_f16 v97, v2, v20
	;; [unrolled: 17-line block ×3, first 2 shown]
	v_pk_add_f16 v133, v4, v8
	v_pk_add_f16 v8, v6, v8
	;; [unrolled: 1-line block ×11, first 2 shown]
	v_pk_min_f16 v10, v48, s6 op_sel_hi:[1,0]
	v_pk_min_f16 v8, v8, s6 op_sel_hi:[1,0]
	v_pk_min_f16 v118, v10, v6
	v_pk_add_f16 v6, v19, v41
	v_pk_min_f16 v10, v49, s6 op_sel_hi:[1,0]
	v_pk_min_f16 v2, v2, s6 op_sel_hi:[1,0]
	v_pk_min_f16 v117, v10, v6
	v_pk_add_f16 v6, v13, v41
	;; [unrolled: 4-line block ×3, first 2 shown]
	v_pk_min_f16 v10, v53, s6 op_sel_hi:[1,0]
	ds_write_b16 v47, v34 offset:2048
	ds_write_b16 v47, v36 offset:2560
	;; [unrolled: 1-line block ×5, first 2 shown]
	v_pk_min_f16 v115, v10, v6
	v_pk_add_f16 v6, v1, v41
	v_pk_min_f16 v10, v54, s6 op_sel_hi:[1,0]
	s_waitcnt lgkmcnt(0)
	v_pk_min_f16 v114, v10, v6
	v_pk_add_f16 v6, v3, v41
	v_pk_min_f16 v10, v55, s6 op_sel_hi:[1,0]
	s_barrier
	v_pk_min_f16 v113, v10, v6
	v_pk_add_f16 v6, v5, v41
	v_pk_min_f16 v10, v56, s6 op_sel_hi:[1,0]
	s_nop 0
	v_pk_min_f16 v112, v10, v6
	v_pk_add_f16 v6, v7, v41
	v_pk_min_f16 v10, v40, s6 op_sel_hi:[1,0]
	s_nop 0
	;; [unrolled: 4-line block ×46, first 2 shown]
	v_pk_min_f16 v64, v10, v6
	v_pk_add_f16 v6, v1, v9
	v_pk_min_f16 v10, v131, s6 op_sel_hi:[1,0]
	v_pk_add_f16 v1, v1, v11
	v_pk_min_f16 v63, v10, v6
	v_pk_add_f16 v6, v3, v9
	v_pk_min_f16 v10, v132, s6 op_sel_hi:[1,0]
	s_nop 0
	v_pk_min_f16 v62, v10, v6
	v_pk_add_f16 v6, v5, v9
	v_pk_min_f16 v10, v133, s6 op_sel_hi:[1,0]
	s_nop 0
	v_pk_min_f16 v61, v10, v6
	v_pk_add_f16 v6, v7, v9
	s_nop 0
	v_pk_min_f16 v60, v8, v6
	v_pk_add_f16 v6, v17, v11
	v_pk_min_f16 v8, v16, s6 op_sel_hi:[1,0]
	s_nop 0
	v_pk_min_f16 v59, v8, v6
	v_pk_add_f16 v6, v19, v11
	v_pk_min_f16 v8, v18, s6 op_sel_hi:[1,0]
	;; [unrolled: 4-line block ×4, first 2 shown]
	s_nop 0
	v_pk_min_f16 v56, v8, v6
	v_pk_min_f16 v6, v134, s6 op_sel_hi:[1,0]
	s_nop 0
	v_pk_min_f16 v55, v6, v1
	v_pk_add_f16 v1, v3, v11
	s_nop 0
	v_pk_min_f16 v54, v2, v1
	v_pk_add_f16 v1, v5, v11
	v_pk_min_f16 v2, v4, s6 op_sel_hi:[1,0]
	s_nop 0
	v_pk_min_f16 v52, v2, v1
	v_pk_add_f16 v1, v7, v11
	s_nop 0
	v_pk_min_f16 v53, v0, v1
	s_cbranch_scc1 .LBB208_11
; %bb.9:
	v_mov_b32_e32 v0, 0x800
	v_lshl_add_u32 v96, v44, 3, v0
	v_mov_b32_e32 v0, 0x1200
	v_lshl_add_u32 v97, v45, 3, v0
	v_and_b32_e32 v0, 3, v44
	v_lshlrev_b32_e32 v34, 1, v0
	v_lshl_add_u64 v[0:1], v[30:31], 1, v[34:35]
	v_lshl_add_u64 v[0:1], s[18:19], 0, v[0:1]
	;; [unrolled: 1-line block ×3, first 2 shown]
	v_add_u32_e32 v0, 8, v38
	v_mad_i64_i32 v[0:1], s[6:7], v0, s8, 0
	s_ashr_i32 s9, s8, 31
	v_lshlrev_b64 v[36:37], 1, v[0:1]
	v_add_u32_e32 v0, 12, v38
	s_lshl_b64 s[6:7], s[8:9], 4
	v_mad_i64_i32 v[0:1], s[8:9], v0, s8, 0
	v_add_u32_e32 v48, 0x1000, v32
	v_add_u32_e32 v49, 0x800, v47
	;; [unrolled: 1-line block ×3, first 2 shown]
	s_add_i32 s14, s14, -8
	v_lshl_add_u64 v[32:33], v[28:29], 1, s[16:17]
	v_lshlrev_b64 v[38:39], 1, v[0:1]
	s_mov_b32 s8, 0
.LBB208_10:                             ; =>This Inner Loop Header: Depth=1
	v_lshl_add_u64 v[40:41], v[32:33], 0, v[36:37]
	ds_read2_b64 v[12:15], v96 offset1:32
	ds_read2_b64 v[8:11], v96 offset0:64 offset1:96
	ds_read2_b64 v[4:7], v96 offset0:128 offset1:160
	;; [unrolled: 1-line block ×3, first 2 shown]
	ds_read2_b64 v[28:31], v97 offset1:8
	ds_read2_b64 v[24:27], v97 offset0:16 offset1:24
	ds_read2_b64 v[20:23], v97 offset0:32 offset1:40
	ds_read2_b64 v[16:19], v97 offset0:48 offset1:56
	flat_load_ushort v119, v[40:41]
	flat_load_ushort v122, v[40:41] offset:128
	flat_load_ushort v123, v[40:41] offset:256
	flat_load_ushort v124, v[40:41] offset:384
	v_add_co_u32_e32 v120, vcc, -8, v34
	v_lshl_add_u64 v[42:43], v[32:33], 0, v[38:39]
	s_nop 0
	v_addc_co_u32_e32 v121, vcc, -1, v35, vcc
	flat_load_ushort v40, v[120:121]
	v_pk_max_f16 v118, v118, v118
	v_pk_max_f16 v117, v117, v117
	;; [unrolled: 1-line block ×3, first 2 shown]
	s_waitcnt lgkmcnt(0)
	v_pk_add_f16 v41, v12, v28
	v_pk_add_f16 v120, v14, v28
	;; [unrolled: 1-line block ×128, first 2 shown]
	v_pk_min_f16 v19, v118, v41
	v_pk_min_f16 v41, v117, v120
	;; [unrolled: 1-line block ×3, first 2 shown]
	s_waitcnt vmcnt(0)
	ds_write_b16 v47, v119
	ds_write_b16 v47, v122 offset:512
	ds_write_b16 v47, v123 offset:1024
	;; [unrolled: 1-line block ×3, first 2 shown]
	ds_write_b16 v48, v40
	s_waitcnt lgkmcnt(0)
	s_barrier
	flat_load_ushort v40, v[42:43]
	flat_load_ushort v119, v[42:43] offset:128
	flat_load_ushort v120, v[42:43] offset:256
	flat_load_ushort v121, v[42:43] offset:384
	flat_load_ushort v122, v[34:35]
	v_pk_max_f16 v115, v115, v115
	v_pk_max_f16 v114, v114, v114
	;; [unrolled: 1-line block ×26, first 2 shown]
	v_pk_min_f16 v115, v115, v125
	v_pk_min_f16 v114, v114, v126
	;; [unrolled: 1-line block ×54, first 2 shown]
	ds_read2_b64 v[0:3], v51 offset1:32
	ds_read2_b64 v[4:7], v51 offset0:64 offset1:96
	ds_read2_b64 v[8:11], v51 offset0:128 offset1:160
	;; [unrolled: 1-line block ×3, first 2 shown]
	ds_read2_b64 v[16:19], v46 offset1:8
	ds_read2_b64 v[20:23], v46 offset0:16 offset1:24
	ds_read2_b64 v[24:27], v46 offset0:32 offset1:40
	;; [unrolled: 1-line block ×3, first 2 shown]
	v_pk_max_f16 v102, v102, v102
	v_pk_max_f16 v101, v101, v101
	;; [unrolled: 1-line block ×35, first 2 shown]
	v_pk_min_f16 v102, v102, v136
	v_pk_min_f16 v101, v101, v137
	;; [unrolled: 1-line block ×71, first 2 shown]
	s_waitcnt lgkmcnt(0)
	v_pk_add_f16 v42, v0, v16
	v_pk_add_f16 v43, v2, v16
	;; [unrolled: 1-line block ×64, first 2 shown]
	s_add_i32 s8, s8, 8
	v_pk_add_f16 v30, v1, v17
	v_pk_add_f16 v169, v3, v17
	;; [unrolled: 1-line block ×64, first 2 shown]
	v_pk_min_f16 v31, v52, v42
	v_pk_min_f16 v41, v41, v43
	;; [unrolled: 1-line block ×64, first 2 shown]
	v_lshl_add_u64 v[32:33], v[32:33], 0, s[6:7]
	s_cmp_ge_i32 s8, s14
	v_lshl_add_u64 v[34:35], v[34:35], 0, 16
	v_pk_min_f16 v118, v31, v30
	v_pk_min_f16 v117, v41, v169
	v_pk_min_f16 v116, v42, v170
	v_pk_min_f16 v115, v43, v171
	v_pk_min_f16 v114, v52, v172
	v_pk_min_f16 v113, v53, v173
	v_pk_min_f16 v112, v54, v174
	v_pk_min_f16 v111, v16, v17
	v_pk_min_f16 v110, v55, v175
	v_pk_min_f16 v109, v56, v176
	v_pk_min_f16 v108, v57, v177
	v_pk_min_f16 v107, v58, v178
	v_pk_min_f16 v106, v59, v179
	v_pk_min_f16 v105, v60, v180
	v_pk_min_f16 v104, v68, v181
	v_pk_min_f16 v103, v18, v19
	v_pk_min_f16 v102, v76, v182
	v_pk_min_f16 v101, v84, v183
	v_pk_min_f16 v100, v92, v184
	v_pk_min_f16 v99, v99, v185
	v_pk_min_f16 v98, v98, v186
	v_pk_min_f16 v94, v94, v187
	v_pk_min_f16 v93, v93, v188
	v_pk_min_f16 v92, v20, v21
	v_pk_min_f16 v91, v91, v189
	v_pk_min_f16 v90, v90, v190
	v_pk_min_f16 v89, v89, v191
	v_pk_min_f16 v88, v88, v192
	v_pk_min_f16 v87, v87, v193
	v_pk_min_f16 v86, v86, v194
	v_pk_min_f16 v85, v85, v195
	v_pk_min_f16 v84, v22, v23
	v_pk_min_f16 v83, v83, v196
	v_pk_min_f16 v82, v82, v197
	v_pk_min_f16 v81, v81, v198
	v_pk_min_f16 v80, v80, v199
	v_pk_min_f16 v79, v79, v200
	v_pk_min_f16 v78, v78, v201
	v_pk_min_f16 v77, v77, v202
	v_pk_min_f16 v76, v24, v25
	v_pk_min_f16 v75, v75, v203
	v_pk_min_f16 v74, v74, v204
	v_pk_min_f16 v73, v73, v205
	v_pk_min_f16 v72, v72, v206
	v_pk_min_f16 v71, v71, v207
	v_pk_min_f16 v70, v70, v208
	v_pk_min_f16 v69, v69, v209
	v_pk_min_f16 v68, v26, v27
	v_pk_min_f16 v67, v67, v210
	v_pk_min_f16 v66, v66, v211
	v_pk_min_f16 v65, v65, v212
	v_pk_min_f16 v64, v64, v213
	v_pk_min_f16 v63, v63, v214
	v_pk_min_f16 v62, v62, v215
	v_pk_min_f16 v61, v61, v216
	v_pk_min_f16 v60, v28, v29
	v_pk_min_f16 v59, v0, v1
	v_pk_min_f16 v58, v2, v3
	v_pk_min_f16 v57, v4, v5
	v_pk_min_f16 v56, v6, v7
	v_pk_min_f16 v55, v8, v9
	v_pk_min_f16 v54, v10, v11
	v_pk_min_f16 v52, v12, v13
	v_pk_min_f16 v53, v14, v15
	s_waitcnt vmcnt(0)
	ds_write_b16 v49, v40
	ds_write_b16 v49, v119 offset:512
	ds_write_b16 v49, v120 offset:1024
	;; [unrolled: 1-line block ×3, first 2 shown]
	ds_write_b16 v95, v122
	s_waitcnt lgkmcnt(0)
	s_barrier
	s_cbranch_scc0 .LBB208_10
.LBB208_11:
	s_load_dword s8, s[0:1], 0x50
	ds_read_b64 v[30:31], v51 offset:2048
	ds_read_b64 v[46:47], v50 offset:4608
	v_add_u32_e32 v95, s11, v45
	v_cmp_neq_f16_e64 s[6:7], s15, 0
	v_add_u32_e32 v28, s10, v44
	s_waitcnt lgkmcnt(0)
	v_mad_i64_i32 v[0:1], s[10:11], v95, s8, 0
	v_ashrrev_i32_e32 v29, 31, v28
	v_lshl_add_u64 v[48:49], v[0:1], 1, s[12:13]
	v_mov_b32_e32 v34, 0
	s_and_b64 vcc, exec, s[6:7]
	v_mov_b32_e32 v35, 0
	s_cbranch_vccz .LBB208_13
; %bb.12:
	v_lshl_add_u64 v[0:1], v[28:29], 1, v[48:49]
	flat_load_ushort v0, v[0:1]
	s_waitcnt vmcnt(0) lgkmcnt(0)
	v_mul_f16_e32 v0, s15, v0
	v_cvt_f32_f16_e32 v35, v0
.LBB208_13:
	v_pk_add_f16 v32, v30, v46
	v_max_f16_e32 v33, v118, v118
	v_pk_add_f16 v37, v31, v47
	v_min_f16_e32 v36, v33, v32
	v_lshrrev_b32_e32 v33, 16, v118
	v_lshrrev_b32_e32 v32, 16, v32
	;; [unrolled: 1-line block ×3, first 2 shown]
	v_add_u32_e32 v0, 0x800, v51
	v_min3_f16 v38, v33, v32, v38
	ds_read2_b64 v[8:11], v0 offset0:32 offset1:64
	ds_read2_b64 v[4:7], v0 offset0:96 offset1:128
	;; [unrolled: 1-line block ×3, first 2 shown]
	ds_read_b64 v[24:25], v51 offset:3840
	s_load_dword s9, s[0:1], 0x68
	s_load_dwordx2 s[10:11], s[0:1], 0x70
	v_min3_f16 v36, v36, v37, v38
	v_cvt_f32_f16_e32 v38, v36
	v_add_u32_e32 v12, 0x1000, v50
	ds_read2_b64 v[20:23], v12 offset0:72 offset1:80
	ds_read2_b64 v[16:19], v12 offset0:88 offset1:96
	;; [unrolled: 1-line block ×3, first 2 shown]
	ds_read_b64 v[26:27], v50 offset:5056
	v_max_f32_e32 v35, v35, v35
	s_waitcnt lgkmcnt(0)
	s_lshl_b64 s[0:1], s[10:11], 1
	v_min_f32_e32 v35, v35, v38
	s_add_u32 s2, s2, s0
	v_cvt_f16_f32_e32 v35, v35
	s_addc_u32 s3, s3, s1
	v_mad_i64_i32 v[36:37], s[0:1], v95, s9, 0
	v_add_u32_e32 v32, 32, v28
	v_lshl_add_u64 v[50:51], v[36:37], 1, s[2:3]
	v_cndmask_b32_e64 v38, 0, 1, s[6:7]
	v_ashrrev_i32_e32 v33, 31, v32
	v_lshl_add_u64 v[36:37], v[28:29], 1, v[50:51]
	v_cmp_ne_u32_e64 s[0:1], 1, v38
	s_andn2_b64 vcc, exec, s[6:7]
	flat_store_short v[36:37], v35
	s_cbranch_vccnz .LBB208_15
; %bb.14:
	v_lshl_add_u64 v[34:35], v[32:33], 1, v[48:49]
	flat_load_ushort v34, v[34:35]
	s_waitcnt vmcnt(0) lgkmcnt(0)
	v_mul_f16_e32 v34, s15, v34
	v_cvt_f32_f16_e32 v34, v34
.LBB208_15:
	v_pk_add_f16 v35, v8, v46
	v_max_f16_e32 v36, v117, v117
	v_pk_add_f16 v38, v9, v47
	v_min_f16_e32 v36, v36, v35
	v_lshrrev_b32_e32 v37, 16, v117
	v_lshrrev_b32_e32 v35, 16, v35
	;; [unrolled: 1-line block ×3, first 2 shown]
	v_min3_f16 v35, v37, v35, v39
	v_min3_f16 v35, v36, v38, v35
	v_cvt_f32_f16_e32 v35, v35
	v_max_f32_e32 v34, v34, v34
	v_lshl_add_u64 v[36:37], v[32:33], 1, v[50:51]
	s_and_b64 vcc, exec, s[0:1]
	v_min_f32_e32 v34, v34, v35
	v_cvt_f16_f32_e32 v38, v34
	v_add_u32_e32 v34, 64, v28
	v_ashrrev_i32_e32 v35, 31, v34
	flat_store_short v[36:37], v38
	v_mov_b32_e32 v38, 0
	v_mov_b32_e32 v37, 0
	s_cbranch_vccnz .LBB208_17
; %bb.16:
	v_lshl_add_u64 v[36:37], v[34:35], 1, v[48:49]
	flat_load_ushort v36, v[36:37]
	s_waitcnt vmcnt(0) lgkmcnt(0)
	v_mul_f16_e32 v36, s15, v36
	v_cvt_f32_f16_e32 v37, v36
.LBB208_17:
	v_pk_add_f16 v36, v10, v46
	v_max_f16_e32 v39, v116, v116
	v_pk_add_f16 v41, v11, v47
	v_min_f16_e32 v39, v39, v36
	v_lshrrev_b32_e32 v40, 16, v116
	v_lshrrev_b32_e32 v36, 16, v36
	;; [unrolled: 1-line block ×3, first 2 shown]
	v_min3_f16 v36, v40, v36, v42
	v_min3_f16 v36, v39, v41, v36
	v_cvt_f32_f16_e32 v39, v36
	v_max_f32_e32 v37, v37, v37
	v_add_u32_e32 v36, 0x60, v28
	v_lshl_add_u64 v[40:41], v[34:35], 1, v[50:51]
	v_min_f32_e32 v37, v37, v39
	v_cvt_f16_f32_e32 v39, v37
	v_ashrrev_i32_e32 v37, 31, v36
	s_and_b64 vcc, exec, s[0:1]
	flat_store_short v[40:41], v39
	s_cbranch_vccnz .LBB208_19
; %bb.18:
	v_lshl_add_u64 v[38:39], v[36:37], 1, v[48:49]
	flat_load_ushort v38, v[38:39]
	s_waitcnt vmcnt(0) lgkmcnt(0)
	v_mul_f16_e32 v38, s15, v38
	v_cvt_f32_f16_e32 v38, v38
.LBB208_19:
	v_pk_add_f16 v39, v4, v46
	v_max_f16_e32 v40, v115, v115
	v_pk_add_f16 v42, v5, v47
	v_min_f16_e32 v40, v40, v39
	v_lshrrev_b32_e32 v41, 16, v115
	v_lshrrev_b32_e32 v39, 16, v39
	;; [unrolled: 1-line block ×3, first 2 shown]
	v_min3_f16 v39, v41, v39, v43
	v_min3_f16 v39, v40, v42, v39
	v_cvt_f32_f16_e32 v39, v39
	v_max_f32_e32 v38, v38, v38
	v_add_u32_e32 v40, 0x80, v28
	v_ashrrev_i32_e32 v41, 31, v40
	v_min_f32_e32 v38, v38, v39
	v_cvt_f16_f32_e32 v42, v38
	v_lshl_add_u64 v[38:39], v[36:37], 1, v[50:51]
	s_and_b64 vcc, exec, s[0:1]
	flat_store_short v[38:39], v42
	v_mov_b32_e32 v42, 0
	v_mov_b32_e32 v39, 0
	s_cbranch_vccnz .LBB208_21
; %bb.20:
	v_lshl_add_u64 v[38:39], v[40:41], 1, v[48:49]
	flat_load_ushort v38, v[38:39]
	s_waitcnt vmcnt(0) lgkmcnt(0)
	v_mul_f16_e32 v38, s15, v38
	v_cvt_f32_f16_e32 v39, v38
.LBB208_21:
	v_pk_add_f16 v38, v6, v46
	v_max_f16_e32 v43, v114, v114
	v_pk_add_f16 v45, v7, v47
	v_min_f16_e32 v43, v43, v38
	v_lshrrev_b32_e32 v44, 16, v114
	v_lshrrev_b32_e32 v38, 16, v38
	;; [unrolled: 1-line block ×3, first 2 shown]
	v_min3_f16 v38, v44, v38, v96
	v_min3_f16 v38, v43, v45, v38
	v_cvt_f32_f16_e32 v43, v38
	v_max_f32_e32 v39, v39, v39
	v_add_u32_e32 v38, 0xa0, v28
	v_lshl_add_u64 v[44:45], v[40:41], 1, v[50:51]
	v_min_f32_e32 v39, v39, v43
	v_cvt_f16_f32_e32 v43, v39
	v_ashrrev_i32_e32 v39, 31, v38
	s_and_b64 vcc, exec, s[0:1]
	flat_store_short v[44:45], v43
	s_cbranch_vccnz .LBB208_23
; %bb.22:
	v_lshl_add_u64 v[42:43], v[38:39], 1, v[48:49]
	flat_load_ushort v42, v[42:43]
	s_waitcnt vmcnt(0) lgkmcnt(0)
	v_mul_f16_e32 v42, s15, v42
	v_cvt_f32_f16_e32 v42, v42
.LBB208_23:
	v_pk_add_f16 v43, v0, v46
	v_max_f16_e32 v44, v113, v113
	v_pk_add_f16 v96, v1, v47
	v_min_f16_e32 v44, v44, v43
	v_lshrrev_b32_e32 v45, 16, v113
	v_lshrrev_b32_e32 v43, 16, v43
	v_lshrrev_b32_e32 v97, 16, v96
	v_min3_f16 v43, v45, v43, v97
	v_min3_f16 v43, v44, v96, v43
	v_cvt_f32_f16_e32 v43, v43
	v_max_f32_e32 v42, v42, v42
	v_lshl_add_u64 v[44:45], v[38:39], 1, v[50:51]
	s_and_b64 vcc, exec, s[0:1]
	v_min_f32_e32 v42, v42, v43
	v_cvt_f16_f32_e32 v96, v42
	v_add_u32_e32 v42, 0xc0, v28
	v_ashrrev_i32_e32 v43, 31, v42
	flat_store_short v[44:45], v96
	v_mov_b32_e32 v96, 0
	v_mov_b32_e32 v45, 0
	s_cbranch_vccnz .LBB208_25
; %bb.24:
	v_lshl_add_u64 v[44:45], v[42:43], 1, v[48:49]
	flat_load_ushort v44, v[44:45]
	s_waitcnt vmcnt(0) lgkmcnt(0)
	v_mul_f16_e32 v44, s15, v44
	v_cvt_f32_f16_e32 v45, v44
.LBB208_25:
	v_pk_add_f16 v44, v2, v46
	v_max_f16_e32 v97, v112, v112
	v_pk_add_f16 v113, v3, v47
	v_min_f16_e32 v97, v97, v44
	v_lshrrev_b32_e32 v112, 16, v112
	v_lshrrev_b32_e32 v44, 16, v44
	v_lshrrev_b32_e32 v114, 16, v113
	v_min3_f16 v44, v112, v44, v114
	v_min3_f16 v44, v97, v113, v44
	v_cvt_f32_f16_e32 v97, v44
	v_max_f32_e32 v45, v45, v45
	v_add_u32_e32 v44, 0xe0, v28
	v_lshl_add_u64 v[112:113], v[42:43], 1, v[50:51]
	v_min_f32_e32 v45, v45, v97
	v_cvt_f16_f32_e32 v97, v45
	v_ashrrev_i32_e32 v45, 31, v44
	s_and_b64 vcc, exec, s[0:1]
	flat_store_short v[112:113], v97
	s_cbranch_vccnz .LBB208_27
; %bb.26:
	v_lshl_add_u64 v[48:49], v[44:45], 1, v[48:49]
	flat_load_ushort v48, v[48:49]
	s_waitcnt vmcnt(0) lgkmcnt(0)
	v_mul_f16_e32 v48, s15, v48
	v_cvt_f32_f16_e32 v96, v48
.LBB208_27:
	v_pk_add_f16 v46, v24, v46
	v_max_f16_e32 v48, v111, v111
	v_pk_add_f16 v47, v25, v47
	v_min_f16_e32 v48, v48, v46
	v_lshrrev_b32_e32 v49, 16, v111
	v_lshrrev_b32_e32 v46, 16, v46
	;; [unrolled: 1-line block ×3, first 2 shown]
	v_min3_f16 v46, v49, v46, v97
	v_min3_f16 v46, v48, v47, v46
	v_cvt_f32_f16_e32 v46, v46
	v_max_f32_e32 v47, v96, v96
	s_and_b64 vcc, exec, s[0:1]
	v_mov_b32_e32 v49, 0
	v_min_f32_e32 v46, v47, v46
	v_cvt_f16_f32_e32 v48, v46
	v_lshl_add_u64 v[46:47], v[44:45], 1, v[50:51]
	v_mov_b32_e32 v50, 0
	flat_store_short v[46:47], v48
	v_add_u32_e32 v48, 8, v95
	v_mad_i64_i32 v[46:47], s[6:7], v48, s8, 0
	v_lshl_add_u64 v[46:47], v[46:47], 1, s[12:13]
	s_cbranch_vccnz .LBB208_29
; %bb.28:
	v_lshl_add_u64 v[96:97], v[28:29], 1, v[46:47]
	flat_load_ushort v49, v[96:97]
	s_waitcnt vmcnt(0) lgkmcnt(0)
	v_mul_f16_e32 v49, s15, v49
	v_cvt_f32_f16_e32 v49, v49
.LBB208_29:
	v_pk_add_f16 v51, v30, v20
	v_max_f16_e32 v96, v110, v110
	v_lshrrev_b32_e32 v97, 16, v110
	v_pk_add_f16 v110, v31, v21
	v_min_f16_e32 v96, v96, v51
	v_lshrrev_b32_e32 v51, 16, v51
	v_lshrrev_b32_e32 v111, 16, v110
	v_min3_f16 v51, v97, v51, v111
	v_min3_f16 v51, v96, v110, v51
	v_cvt_f32_f16_e32 v51, v51
	v_mad_i64_i32 v[96:97], s[6:7], v48, s9, 0
	v_max_f32_e32 v48, v49, v49
	v_min_f32_e32 v48, v48, v51
	v_cvt_f16_f32_e32 v51, v48
	v_lshl_add_u64 v[48:49], v[96:97], 1, s[2:3]
	v_lshl_add_u64 v[96:97], v[28:29], 1, v[48:49]
	s_and_b64 vcc, exec, s[0:1]
	flat_store_short v[96:97], v51
	s_cbranch_vccnz .LBB208_31
; %bb.30:
	v_lshl_add_u64 v[50:51], v[32:33], 1, v[46:47]
	flat_load_ushort v50, v[50:51]
	s_waitcnt vmcnt(0) lgkmcnt(0)
	v_mul_f16_e32 v50, s15, v50
	v_cvt_f32_f16_e32 v50, v50
.LBB208_31:
	v_pk_add_f16 v51, v8, v20
	v_max_f16_e32 v96, v109, v109
	v_lshrrev_b32_e32 v97, 16, v109
	v_pk_add_f16 v109, v9, v21
	v_min_f16_e32 v96, v96, v51
	v_lshrrev_b32_e32 v51, 16, v51
	v_lshrrev_b32_e32 v110, 16, v109
	v_min3_f16 v51, v97, v51, v110
	v_min3_f16 v51, v96, v109, v51
	v_cvt_f32_f16_e32 v51, v51
	v_max_f32_e32 v50, v50, v50
	s_and_b64 vcc, exec, s[0:1]
	v_min_f32_e32 v50, v50, v51
	v_cvt_f16_f32_e32 v96, v50
	v_lshl_add_u64 v[50:51], v[32:33], 1, v[48:49]
	flat_store_short v[50:51], v96
	v_mov_b32_e32 v50, 0
	v_mov_b32_e32 v51, 0
	s_cbranch_vccnz .LBB208_33
; %bb.32:
	v_lshl_add_u64 v[96:97], v[34:35], 1, v[46:47]
	flat_load_ushort v51, v[96:97]
	s_waitcnt vmcnt(0) lgkmcnt(0)
	v_mul_f16_e32 v51, s15, v51
	v_cvt_f32_f16_e32 v51, v51
.LBB208_33:
	v_pk_add_f16 v96, v10, v20
	v_max_f16_e32 v97, v108, v108
	v_pk_add_f16 v109, v11, v21
	v_min_f16_e32 v97, v97, v96
	v_lshrrev_b32_e32 v108, 16, v108
	v_lshrrev_b32_e32 v96, 16, v96
	v_lshrrev_b32_e32 v110, 16, v109
	v_min3_f16 v96, v108, v96, v110
	v_min3_f16 v96, v97, v109, v96
	v_cvt_f32_f16_e32 v96, v96
	v_max_f32_e32 v51, v51, v51
	s_and_b64 vcc, exec, s[0:1]
	v_min_f32_e32 v51, v51, v96
	v_cvt_f16_f32_e32 v51, v51
	v_lshl_add_u64 v[96:97], v[34:35], 1, v[48:49]
	flat_store_short v[96:97], v51
	s_cbranch_vccnz .LBB208_35
; %bb.34:
	v_lshl_add_u64 v[50:51], v[36:37], 1, v[46:47]
	flat_load_ushort v50, v[50:51]
	s_waitcnt vmcnt(0) lgkmcnt(0)
	v_mul_f16_e32 v50, s15, v50
	v_cvt_f32_f16_e32 v50, v50
.LBB208_35:
	v_pk_add_f16 v51, v4, v20
	v_max_f16_e32 v96, v107, v107
	v_lshrrev_b32_e32 v97, 16, v107
	v_pk_add_f16 v107, v5, v21
	v_min_f16_e32 v96, v96, v51
	v_lshrrev_b32_e32 v51, 16, v51
	v_lshrrev_b32_e32 v108, 16, v107
	v_min3_f16 v51, v97, v51, v108
	v_min3_f16 v51, v96, v107, v51
	v_cvt_f32_f16_e32 v51, v51
	v_max_f32_e32 v50, v50, v50
	s_and_b64 vcc, exec, s[0:1]
	v_min_f32_e32 v50, v50, v51
	v_cvt_f16_f32_e32 v96, v50
	v_lshl_add_u64 v[50:51], v[36:37], 1, v[48:49]
	flat_store_short v[50:51], v96
	v_mov_b32_e32 v50, 0
	v_mov_b32_e32 v51, 0
	s_cbranch_vccnz .LBB208_37
; %bb.36:
	v_lshl_add_u64 v[96:97], v[40:41], 1, v[46:47]
	flat_load_ushort v51, v[96:97]
	s_waitcnt vmcnt(0) lgkmcnt(0)
	v_mul_f16_e32 v51, s15, v51
	v_cvt_f32_f16_e32 v51, v51
.LBB208_37:
	v_pk_add_f16 v96, v6, v20
	v_max_f16_e32 v97, v106, v106
	v_pk_add_f16 v107, v7, v21
	v_min_f16_e32 v97, v97, v96
	v_lshrrev_b32_e32 v106, 16, v106
	v_lshrrev_b32_e32 v96, 16, v96
	v_lshrrev_b32_e32 v108, 16, v107
	v_min3_f16 v96, v106, v96, v108
	v_min3_f16 v96, v97, v107, v96
	v_cvt_f32_f16_e32 v96, v96
	v_max_f32_e32 v51, v51, v51
	s_and_b64 vcc, exec, s[0:1]
	v_min_f32_e32 v51, v51, v96
	v_cvt_f16_f32_e32 v51, v51
	v_lshl_add_u64 v[96:97], v[40:41], 1, v[48:49]
	;; [unrolled: 50-line block ×3, first 2 shown]
	flat_store_short v[96:97], v51
	s_cbranch_vccnz .LBB208_43
; %bb.42:
	v_lshl_add_u64 v[46:47], v[44:45], 1, v[46:47]
	flat_load_ushort v46, v[46:47]
	s_waitcnt vmcnt(0) lgkmcnt(0)
	v_mul_f16_e32 v46, s15, v46
	v_cvt_f32_f16_e32 v50, v46
.LBB208_43:
	v_pk_add_f16 v20, v24, v20
	v_max_f16_e32 v46, v103, v103
	v_pk_add_f16 v21, v25, v21
	v_min_f16_e32 v46, v46, v20
	v_lshrrev_b32_e32 v47, 16, v103
	v_lshrrev_b32_e32 v20, 16, v20
	;; [unrolled: 1-line block ×3, first 2 shown]
	v_min3_f16 v20, v47, v20, v51
	v_min3_f16 v20, v46, v21, v20
	v_cvt_f32_f16_e32 v20, v20
	v_max_f32_e32 v21, v50, v50
	s_and_b64 vcc, exec, s[0:1]
	v_mov_b32_e32 v47, 0
	v_min_f32_e32 v20, v21, v20
	v_cvt_f16_f32_e32 v46, v20
	v_lshl_add_u64 v[20:21], v[44:45], 1, v[48:49]
	v_mov_b32_e32 v48, 0
	flat_store_short v[20:21], v46
	v_add_u32_e32 v46, 16, v95
	v_mad_i64_i32 v[20:21], s[6:7], v46, s8, 0
	v_lshl_add_u64 v[20:21], v[20:21], 1, s[12:13]
	s_cbranch_vccnz .LBB208_45
; %bb.44:
	v_lshl_add_u64 v[50:51], v[28:29], 1, v[20:21]
	flat_load_ushort v47, v[50:51]
	s_waitcnt vmcnt(0) lgkmcnt(0)
	v_mul_f16_e32 v47, s15, v47
	v_cvt_f32_f16_e32 v47, v47
.LBB208_45:
	v_pk_add_f16 v49, v30, v22
	v_max_f16_e32 v50, v102, v102
	v_pk_add_f16 v96, v31, v23
	v_min_f16_e32 v50, v50, v49
	v_lshrrev_b32_e32 v51, 16, v102
	v_lshrrev_b32_e32 v49, 16, v49
	;; [unrolled: 1-line block ×3, first 2 shown]
	v_min3_f16 v49, v51, v49, v97
	v_min3_f16 v49, v50, v96, v49
	v_cvt_f32_f16_e32 v49, v49
	v_mad_i64_i32 v[50:51], s[6:7], v46, s9, 0
	v_max_f32_e32 v46, v47, v47
	v_min_f32_e32 v46, v46, v49
	v_cvt_f16_f32_e32 v49, v46
	v_lshl_add_u64 v[46:47], v[50:51], 1, s[2:3]
	v_lshl_add_u64 v[50:51], v[28:29], 1, v[46:47]
	s_and_b64 vcc, exec, s[0:1]
	flat_store_short v[50:51], v49
	s_cbranch_vccnz .LBB208_47
; %bb.46:
	v_lshl_add_u64 v[48:49], v[32:33], 1, v[20:21]
	flat_load_ushort v48, v[48:49]
	s_waitcnt vmcnt(0) lgkmcnt(0)
	v_mul_f16_e32 v48, s15, v48
	v_cvt_f32_f16_e32 v48, v48
.LBB208_47:
	v_pk_add_f16 v49, v8, v22
	v_max_f16_e32 v50, v101, v101
	v_pk_add_f16 v96, v9, v23
	v_min_f16_e32 v50, v50, v49
	v_lshrrev_b32_e32 v51, 16, v101
	v_lshrrev_b32_e32 v49, 16, v49
	;; [unrolled: 1-line block ×3, first 2 shown]
	v_min3_f16 v49, v51, v49, v97
	v_min3_f16 v49, v50, v96, v49
	v_cvt_f32_f16_e32 v49, v49
	v_max_f32_e32 v48, v48, v48
	s_and_b64 vcc, exec, s[0:1]
	v_min_f32_e32 v48, v48, v49
	v_cvt_f16_f32_e32 v50, v48
	v_lshl_add_u64 v[48:49], v[32:33], 1, v[46:47]
	flat_store_short v[48:49], v50
	v_mov_b32_e32 v48, 0
	v_mov_b32_e32 v49, 0
	s_cbranch_vccnz .LBB208_49
; %bb.48:
	v_lshl_add_u64 v[50:51], v[34:35], 1, v[20:21]
	flat_load_ushort v49, v[50:51]
	s_waitcnt vmcnt(0) lgkmcnt(0)
	v_mul_f16_e32 v49, s15, v49
	v_cvt_f32_f16_e32 v49, v49
.LBB208_49:
	v_pk_add_f16 v50, v10, v22
	v_max_f16_e32 v51, v100, v100
	v_pk_add_f16 v97, v11, v23
	v_min_f16_e32 v51, v51, v50
	v_lshrrev_b32_e32 v96, 16, v100
	v_lshrrev_b32_e32 v50, 16, v50
	;; [unrolled: 1-line block ×3, first 2 shown]
	v_min3_f16 v50, v96, v50, v100
	v_min3_f16 v50, v51, v97, v50
	v_cvt_f32_f16_e32 v50, v50
	v_max_f32_e32 v49, v49, v49
	s_and_b64 vcc, exec, s[0:1]
	v_min_f32_e32 v49, v49, v50
	v_cvt_f16_f32_e32 v49, v49
	v_lshl_add_u64 v[50:51], v[34:35], 1, v[46:47]
	flat_store_short v[50:51], v49
	s_cbranch_vccnz .LBB208_51
; %bb.50:
	v_lshl_add_u64 v[48:49], v[36:37], 1, v[20:21]
	flat_load_ushort v48, v[48:49]
	s_waitcnt vmcnt(0) lgkmcnt(0)
	v_mul_f16_e32 v48, s15, v48
	v_cvt_f32_f16_e32 v48, v48
.LBB208_51:
	v_pk_add_f16 v49, v4, v22
	v_max_f16_e32 v50, v99, v99
	v_pk_add_f16 v96, v5, v23
	v_min_f16_e32 v50, v50, v49
	v_lshrrev_b32_e32 v51, 16, v99
	v_lshrrev_b32_e32 v49, 16, v49
	;; [unrolled: 1-line block ×3, first 2 shown]
	v_min3_f16 v49, v51, v49, v97
	v_min3_f16 v49, v50, v96, v49
	v_cvt_f32_f16_e32 v49, v49
	v_max_f32_e32 v48, v48, v48
	s_and_b64 vcc, exec, s[0:1]
	v_min_f32_e32 v48, v48, v49
	v_cvt_f16_f32_e32 v50, v48
	v_lshl_add_u64 v[48:49], v[36:37], 1, v[46:47]
	flat_store_short v[48:49], v50
	v_mov_b32_e32 v48, 0
	v_mov_b32_e32 v49, 0
	s_cbranch_vccnz .LBB208_53
; %bb.52:
	v_lshl_add_u64 v[50:51], v[40:41], 1, v[20:21]
	flat_load_ushort v49, v[50:51]
	s_waitcnt vmcnt(0) lgkmcnt(0)
	v_mul_f16_e32 v49, s15, v49
	v_cvt_f32_f16_e32 v49, v49
.LBB208_53:
	v_pk_add_f16 v50, v6, v22
	v_max_f16_e32 v51, v98, v98
	v_pk_add_f16 v97, v7, v23
	v_min_f16_e32 v51, v51, v50
	v_lshrrev_b32_e32 v96, 16, v98
	v_lshrrev_b32_e32 v50, 16, v50
	;; [unrolled: 1-line block ×3, first 2 shown]
	v_min3_f16 v50, v96, v50, v98
	v_min3_f16 v50, v51, v97, v50
	v_cvt_f32_f16_e32 v50, v50
	v_max_f32_e32 v49, v49, v49
	s_and_b64 vcc, exec, s[0:1]
	v_min_f32_e32 v49, v49, v50
	v_cvt_f16_f32_e32 v49, v49
	v_lshl_add_u64 v[50:51], v[40:41], 1, v[46:47]
	flat_store_short v[50:51], v49
	s_cbranch_vccnz .LBB208_55
; %bb.54:
	v_lshl_add_u64 v[48:49], v[38:39], 1, v[20:21]
	flat_load_ushort v48, v[48:49]
	s_waitcnt vmcnt(0) lgkmcnt(0)
	v_mul_f16_e32 v48, s15, v48
	v_cvt_f32_f16_e32 v48, v48
.LBB208_55:
	v_pk_add_f16 v49, v0, v22
	v_max_f16_e32 v50, v94, v94
	v_lshrrev_b32_e32 v51, 16, v94
	v_pk_add_f16 v94, v1, v23
	v_min_f16_e32 v50, v50, v49
	v_lshrrev_b32_e32 v49, 16, v49
	v_lshrrev_b32_e32 v96, 16, v94
	v_min3_f16 v49, v51, v49, v96
	v_min3_f16 v49, v50, v94, v49
	v_cvt_f32_f16_e32 v49, v49
	v_max_f32_e32 v48, v48, v48
	s_and_b64 vcc, exec, s[0:1]
	v_min_f32_e32 v48, v48, v49
	v_cvt_f16_f32_e32 v50, v48
	v_lshl_add_u64 v[48:49], v[38:39], 1, v[46:47]
	flat_store_short v[48:49], v50
	v_mov_b32_e32 v48, 0
	v_mov_b32_e32 v49, 0
	s_cbranch_vccnz .LBB208_57
; %bb.56:
	v_lshl_add_u64 v[50:51], v[42:43], 1, v[20:21]
	flat_load_ushort v49, v[50:51]
	s_waitcnt vmcnt(0) lgkmcnt(0)
	v_mul_f16_e32 v49, s15, v49
	v_cvt_f32_f16_e32 v49, v49
.LBB208_57:
	v_pk_add_f16 v50, v2, v22
	v_max_f16_e32 v51, v93, v93
	v_pk_add_f16 v94, v3, v23
	v_min_f16_e32 v51, v51, v50
	v_lshrrev_b32_e32 v93, 16, v93
	v_lshrrev_b32_e32 v50, 16, v50
	;; [unrolled: 1-line block ×3, first 2 shown]
	v_min3_f16 v50, v93, v50, v96
	v_min3_f16 v50, v51, v94, v50
	v_cvt_f32_f16_e32 v50, v50
	v_max_f32_e32 v49, v49, v49
	s_and_b64 vcc, exec, s[0:1]
	v_min_f32_e32 v49, v49, v50
	v_cvt_f16_f32_e32 v49, v49
	v_lshl_add_u64 v[50:51], v[42:43], 1, v[46:47]
	flat_store_short v[50:51], v49
	s_cbranch_vccnz .LBB208_59
; %bb.58:
	v_lshl_add_u64 v[20:21], v[44:45], 1, v[20:21]
	flat_load_ushort v20, v[20:21]
	s_waitcnt vmcnt(0) lgkmcnt(0)
	v_mul_f16_e32 v20, s15, v20
	v_cvt_f32_f16_e32 v48, v20
.LBB208_59:
	v_pk_add_f16 v20, v24, v22
	v_max_f16_e32 v21, v92, v92
	v_pk_add_f16 v23, v25, v23
	v_min_f16_e32 v21, v21, v20
	v_lshrrev_b32_e32 v22, 16, v92
	v_lshrrev_b32_e32 v20, 16, v20
	;; [unrolled: 1-line block ×3, first 2 shown]
	v_min3_f16 v20, v22, v20, v49
	v_min3_f16 v20, v21, v23, v20
	v_cvt_f32_f16_e32 v20, v20
	v_max_f32_e32 v21, v48, v48
	s_and_b64 vcc, exec, s[0:1]
	v_mov_b32_e32 v23, 0
	v_min_f32_e32 v20, v21, v20
	v_cvt_f16_f32_e32 v22, v20
	v_lshl_add_u64 v[20:21], v[44:45], 1, v[46:47]
	v_mov_b32_e32 v46, 0
	flat_store_short v[20:21], v22
	v_add_u32_e32 v22, 24, v95
	v_mad_i64_i32 v[20:21], s[6:7], v22, s8, 0
	v_lshl_add_u64 v[20:21], v[20:21], 1, s[12:13]
	s_cbranch_vccnz .LBB208_61
; %bb.60:
	v_lshl_add_u64 v[48:49], v[28:29], 1, v[20:21]
	flat_load_ushort v23, v[48:49]
	s_waitcnt vmcnt(0) lgkmcnt(0)
	v_mul_f16_e32 v23, s15, v23
	v_cvt_f32_f16_e32 v23, v23
.LBB208_61:
	v_pk_add_f16 v47, v30, v16
	v_max_f16_e32 v48, v91, v91
	v_pk_add_f16 v50, v31, v17
	v_min_f16_e32 v48, v48, v47
	v_lshrrev_b32_e32 v49, 16, v91
	v_lshrrev_b32_e32 v47, 16, v47
	v_lshrrev_b32_e32 v51, 16, v50
	v_min3_f16 v47, v49, v47, v51
	v_min3_f16 v47, v48, v50, v47
	v_cvt_f32_f16_e32 v47, v47
	v_mad_i64_i32 v[48:49], s[6:7], v22, s9, 0
	v_max_f32_e32 v22, v23, v23
	v_min_f32_e32 v22, v22, v47
	v_cvt_f16_f32_e32 v47, v22
	v_lshl_add_u64 v[22:23], v[48:49], 1, s[2:3]
	v_lshl_add_u64 v[48:49], v[28:29], 1, v[22:23]
	s_and_b64 vcc, exec, s[0:1]
	flat_store_short v[48:49], v47
	s_cbranch_vccnz .LBB208_63
; %bb.62:
	v_lshl_add_u64 v[46:47], v[32:33], 1, v[20:21]
	flat_load_ushort v46, v[46:47]
	s_waitcnt vmcnt(0) lgkmcnt(0)
	v_mul_f16_e32 v46, s15, v46
	v_cvt_f32_f16_e32 v46, v46
.LBB208_63:
	v_pk_add_f16 v47, v8, v16
	v_max_f16_e32 v48, v90, v90
	v_pk_add_f16 v50, v9, v17
	v_min_f16_e32 v48, v48, v47
	v_lshrrev_b32_e32 v49, 16, v90
	v_lshrrev_b32_e32 v47, 16, v47
	v_lshrrev_b32_e32 v51, 16, v50
	v_min3_f16 v47, v49, v47, v51
	v_min3_f16 v47, v48, v50, v47
	v_cvt_f32_f16_e32 v47, v47
	v_max_f32_e32 v46, v46, v46
	s_and_b64 vcc, exec, s[0:1]
	v_min_f32_e32 v46, v46, v47
	v_cvt_f16_f32_e32 v48, v46
	v_lshl_add_u64 v[46:47], v[32:33], 1, v[22:23]
	flat_store_short v[46:47], v48
	v_mov_b32_e32 v46, 0
	v_mov_b32_e32 v47, 0
	s_cbranch_vccnz .LBB208_65
; %bb.64:
	v_lshl_add_u64 v[48:49], v[34:35], 1, v[20:21]
	flat_load_ushort v47, v[48:49]
	s_waitcnt vmcnt(0) lgkmcnt(0)
	v_mul_f16_e32 v47, s15, v47
	v_cvt_f32_f16_e32 v47, v47
.LBB208_65:
	v_pk_add_f16 v48, v10, v16
	v_max_f16_e32 v49, v89, v89
	v_pk_add_f16 v51, v11, v17
	v_min_f16_e32 v49, v49, v48
	v_lshrrev_b32_e32 v50, 16, v89
	v_lshrrev_b32_e32 v48, 16, v48
	v_lshrrev_b32_e32 v89, 16, v51
	v_min3_f16 v48, v50, v48, v89
	v_min3_f16 v48, v49, v51, v48
	v_cvt_f32_f16_e32 v48, v48
	v_max_f32_e32 v47, v47, v47
	s_and_b64 vcc, exec, s[0:1]
	v_min_f32_e32 v47, v47, v48
	v_cvt_f16_f32_e32 v47, v47
	v_lshl_add_u64 v[48:49], v[34:35], 1, v[22:23]
	flat_store_short v[48:49], v47
	s_cbranch_vccnz .LBB208_67
; %bb.66:
	v_lshl_add_u64 v[46:47], v[36:37], 1, v[20:21]
	flat_load_ushort v46, v[46:47]
	s_waitcnt vmcnt(0) lgkmcnt(0)
	v_mul_f16_e32 v46, s15, v46
	v_cvt_f32_f16_e32 v46, v46
.LBB208_67:
	v_pk_add_f16 v47, v4, v16
	v_max_f16_e32 v48, v88, v88
	v_pk_add_f16 v50, v5, v17
	v_min_f16_e32 v48, v48, v47
	v_lshrrev_b32_e32 v49, 16, v88
	v_lshrrev_b32_e32 v47, 16, v47
	v_lshrrev_b32_e32 v51, 16, v50
	v_min3_f16 v47, v49, v47, v51
	v_min3_f16 v47, v48, v50, v47
	v_cvt_f32_f16_e32 v47, v47
	v_max_f32_e32 v46, v46, v46
	s_and_b64 vcc, exec, s[0:1]
	v_min_f32_e32 v46, v46, v47
	v_cvt_f16_f32_e32 v48, v46
	v_lshl_add_u64 v[46:47], v[36:37], 1, v[22:23]
	flat_store_short v[46:47], v48
	v_mov_b32_e32 v46, 0
	v_mov_b32_e32 v47, 0
	s_cbranch_vccnz .LBB208_69
; %bb.68:
	v_lshl_add_u64 v[48:49], v[40:41], 1, v[20:21]
	flat_load_ushort v47, v[48:49]
	s_waitcnt vmcnt(0) lgkmcnt(0)
	v_mul_f16_e32 v47, s15, v47
	v_cvt_f32_f16_e32 v47, v47
.LBB208_69:
	v_pk_add_f16 v48, v6, v16
	v_max_f16_e32 v49, v87, v87
	v_pk_add_f16 v51, v7, v17
	v_min_f16_e32 v49, v49, v48
	v_lshrrev_b32_e32 v50, 16, v87
	v_lshrrev_b32_e32 v48, 16, v48
	v_lshrrev_b32_e32 v87, 16, v51
	v_min3_f16 v48, v50, v48, v87
	v_min3_f16 v48, v49, v51, v48
	v_cvt_f32_f16_e32 v48, v48
	v_max_f32_e32 v47, v47, v47
	s_and_b64 vcc, exec, s[0:1]
	v_min_f32_e32 v47, v47, v48
	v_cvt_f16_f32_e32 v47, v47
	v_lshl_add_u64 v[48:49], v[40:41], 1, v[22:23]
	;; [unrolled: 50-line block ×3, first 2 shown]
	flat_store_short v[48:49], v47
	s_cbranch_vccnz .LBB208_75
; %bb.74:
	v_lshl_add_u64 v[20:21], v[44:45], 1, v[20:21]
	flat_load_ushort v20, v[20:21]
	s_waitcnt vmcnt(0) lgkmcnt(0)
	v_mul_f16_e32 v20, s15, v20
	v_cvt_f32_f16_e32 v46, v20
.LBB208_75:
	v_pk_add_f16 v16, v24, v16
	v_max_f16_e32 v20, v84, v84
	v_pk_add_f16 v17, v25, v17
	v_min_f16_e32 v20, v20, v16
	v_lshrrev_b32_e32 v21, 16, v84
	v_lshrrev_b32_e32 v16, 16, v16
	;; [unrolled: 1-line block ×3, first 2 shown]
	v_min3_f16 v16, v21, v16, v47
	v_min3_f16 v16, v20, v17, v16
	v_cvt_f32_f16_e32 v16, v16
	v_max_f32_e32 v17, v46, v46
	s_and_b64 vcc, exec, s[0:1]
	v_mov_b32_e32 v21, 0
	v_min_f32_e32 v16, v17, v16
	v_cvt_f16_f32_e32 v20, v16
	v_lshl_add_u64 v[16:17], v[44:45], 1, v[22:23]
	v_mov_b32_e32 v22, 0
	flat_store_short v[16:17], v20
	v_add_u32_e32 v20, 32, v95
	v_mad_i64_i32 v[16:17], s[6:7], v20, s8, 0
	v_lshl_add_u64 v[16:17], v[16:17], 1, s[12:13]
	s_cbranch_vccnz .LBB208_77
; %bb.76:
	v_lshl_add_u64 v[46:47], v[28:29], 1, v[16:17]
	flat_load_ushort v21, v[46:47]
	s_waitcnt vmcnt(0) lgkmcnt(0)
	v_mul_f16_e32 v21, s15, v21
	v_cvt_f32_f16_e32 v21, v21
.LBB208_77:
	v_pk_add_f16 v23, v30, v18
	v_max_f16_e32 v46, v83, v83
	v_pk_add_f16 v48, v31, v19
	v_min_f16_e32 v46, v46, v23
	v_lshrrev_b32_e32 v47, 16, v83
	v_lshrrev_b32_e32 v23, 16, v23
	;; [unrolled: 1-line block ×3, first 2 shown]
	v_min3_f16 v23, v47, v23, v49
	v_min3_f16 v23, v46, v48, v23
	v_cvt_f32_f16_e32 v23, v23
	v_mad_i64_i32 v[46:47], s[6:7], v20, s9, 0
	v_max_f32_e32 v20, v21, v21
	v_min_f32_e32 v20, v20, v23
	v_cvt_f16_f32_e32 v23, v20
	v_lshl_add_u64 v[20:21], v[46:47], 1, s[2:3]
	v_lshl_add_u64 v[46:47], v[28:29], 1, v[20:21]
	s_and_b64 vcc, exec, s[0:1]
	flat_store_short v[46:47], v23
	s_cbranch_vccnz .LBB208_79
; %bb.78:
	v_lshl_add_u64 v[22:23], v[32:33], 1, v[16:17]
	flat_load_ushort v22, v[22:23]
	s_waitcnt vmcnt(0) lgkmcnt(0)
	v_mul_f16_e32 v22, s15, v22
	v_cvt_f32_f16_e32 v22, v22
.LBB208_79:
	v_pk_add_f16 v23, v8, v18
	v_max_f16_e32 v46, v82, v82
	v_pk_add_f16 v48, v9, v19
	v_min_f16_e32 v46, v46, v23
	v_lshrrev_b32_e32 v47, 16, v82
	v_lshrrev_b32_e32 v23, 16, v23
	v_lshrrev_b32_e32 v49, 16, v48
	v_min3_f16 v23, v47, v23, v49
	v_min3_f16 v23, v46, v48, v23
	v_cvt_f32_f16_e32 v23, v23
	v_max_f32_e32 v22, v22, v22
	s_and_b64 vcc, exec, s[0:1]
	v_min_f32_e32 v22, v22, v23
	v_cvt_f16_f32_e32 v46, v22
	v_lshl_add_u64 v[22:23], v[32:33], 1, v[20:21]
	flat_store_short v[22:23], v46
	v_mov_b32_e32 v22, 0
	v_mov_b32_e32 v23, 0
	s_cbranch_vccnz .LBB208_81
; %bb.80:
	v_lshl_add_u64 v[46:47], v[34:35], 1, v[16:17]
	flat_load_ushort v23, v[46:47]
	s_waitcnt vmcnt(0) lgkmcnt(0)
	v_mul_f16_e32 v23, s15, v23
	v_cvt_f32_f16_e32 v23, v23
.LBB208_81:
	v_pk_add_f16 v46, v10, v18
	v_max_f16_e32 v47, v81, v81
	v_pk_add_f16 v49, v11, v19
	v_min_f16_e32 v47, v47, v46
	v_lshrrev_b32_e32 v48, 16, v81
	v_lshrrev_b32_e32 v46, 16, v46
	v_lshrrev_b32_e32 v50, 16, v49
	v_min3_f16 v46, v48, v46, v50
	v_min3_f16 v46, v47, v49, v46
	v_cvt_f32_f16_e32 v46, v46
	v_max_f32_e32 v23, v23, v23
	s_and_b64 vcc, exec, s[0:1]
	v_min_f32_e32 v23, v23, v46
	v_cvt_f16_f32_e32 v23, v23
	v_lshl_add_u64 v[46:47], v[34:35], 1, v[20:21]
	flat_store_short v[46:47], v23
	s_cbranch_vccnz .LBB208_83
; %bb.82:
	v_lshl_add_u64 v[22:23], v[36:37], 1, v[16:17]
	flat_load_ushort v22, v[22:23]
	s_waitcnt vmcnt(0) lgkmcnt(0)
	v_mul_f16_e32 v22, s15, v22
	v_cvt_f32_f16_e32 v22, v22
.LBB208_83:
	v_pk_add_f16 v23, v4, v18
	v_max_f16_e32 v46, v80, v80
	v_pk_add_f16 v48, v5, v19
	v_min_f16_e32 v46, v46, v23
	v_lshrrev_b32_e32 v47, 16, v80
	v_lshrrev_b32_e32 v23, 16, v23
	v_lshrrev_b32_e32 v49, 16, v48
	v_min3_f16 v23, v47, v23, v49
	v_min3_f16 v23, v46, v48, v23
	v_cvt_f32_f16_e32 v23, v23
	v_max_f32_e32 v22, v22, v22
	s_and_b64 vcc, exec, s[0:1]
	v_min_f32_e32 v22, v22, v23
	v_cvt_f16_f32_e32 v46, v22
	v_lshl_add_u64 v[22:23], v[36:37], 1, v[20:21]
	flat_store_short v[22:23], v46
	v_mov_b32_e32 v22, 0
	v_mov_b32_e32 v23, 0
	s_cbranch_vccnz .LBB208_85
; %bb.84:
	v_lshl_add_u64 v[46:47], v[40:41], 1, v[16:17]
	flat_load_ushort v23, v[46:47]
	s_waitcnt vmcnt(0) lgkmcnt(0)
	v_mul_f16_e32 v23, s15, v23
	v_cvt_f32_f16_e32 v23, v23
.LBB208_85:
	v_pk_add_f16 v46, v6, v18
	v_max_f16_e32 v47, v79, v79
	v_pk_add_f16 v49, v7, v19
	v_min_f16_e32 v47, v47, v46
	v_lshrrev_b32_e32 v48, 16, v79
	v_lshrrev_b32_e32 v46, 16, v46
	v_lshrrev_b32_e32 v50, 16, v49
	v_min3_f16 v46, v48, v46, v50
	v_min3_f16 v46, v47, v49, v46
	v_cvt_f32_f16_e32 v46, v46
	v_max_f32_e32 v23, v23, v23
	s_and_b64 vcc, exec, s[0:1]
	v_min_f32_e32 v23, v23, v46
	v_cvt_f16_f32_e32 v23, v23
	v_lshl_add_u64 v[46:47], v[40:41], 1, v[20:21]
	;; [unrolled: 50-line block ×3, first 2 shown]
	flat_store_short v[46:47], v23
	s_cbranch_vccnz .LBB208_91
; %bb.90:
	v_lshl_add_u64 v[16:17], v[44:45], 1, v[16:17]
	flat_load_ushort v16, v[16:17]
	s_waitcnt vmcnt(0) lgkmcnt(0)
	v_mul_f16_e32 v16, s15, v16
	v_cvt_f32_f16_e32 v22, v16
.LBB208_91:
	v_pk_add_f16 v16, v24, v18
	v_max_f16_e32 v17, v76, v76
	v_pk_add_f16 v19, v25, v19
	v_min_f16_e32 v17, v17, v16
	v_lshrrev_b32_e32 v18, 16, v76
	v_lshrrev_b32_e32 v16, 16, v16
	;; [unrolled: 1-line block ×3, first 2 shown]
	v_min3_f16 v16, v18, v16, v23
	v_min3_f16 v16, v17, v19, v16
	v_cvt_f32_f16_e32 v16, v16
	v_max_f32_e32 v17, v22, v22
	s_and_b64 vcc, exec, s[0:1]
	v_mov_b32_e32 v19, 0
	v_min_f32_e32 v16, v17, v16
	v_cvt_f16_f32_e32 v18, v16
	v_lshl_add_u64 v[16:17], v[44:45], 1, v[20:21]
	v_mov_b32_e32 v20, 0
	flat_store_short v[16:17], v18
	v_add_u32_e32 v18, 40, v95
	v_mad_i64_i32 v[16:17], s[6:7], v18, s8, 0
	v_lshl_add_u64 v[16:17], v[16:17], 1, s[12:13]
	s_cbranch_vccnz .LBB208_93
; %bb.92:
	v_lshl_add_u64 v[22:23], v[28:29], 1, v[16:17]
	flat_load_ushort v19, v[22:23]
	s_waitcnt vmcnt(0) lgkmcnt(0)
	v_mul_f16_e32 v19, s15, v19
	v_cvt_f32_f16_e32 v19, v19
.LBB208_93:
	v_pk_add_f16 v21, v30, v12
	v_max_f16_e32 v22, v75, v75
	v_pk_add_f16 v46, v31, v13
	v_min_f16_e32 v22, v22, v21
	v_lshrrev_b32_e32 v23, 16, v75
	v_lshrrev_b32_e32 v21, 16, v21
	;; [unrolled: 1-line block ×3, first 2 shown]
	v_min3_f16 v21, v23, v21, v47
	v_min3_f16 v21, v22, v46, v21
	v_cvt_f32_f16_e32 v21, v21
	v_mad_i64_i32 v[22:23], s[6:7], v18, s9, 0
	v_max_f32_e32 v18, v19, v19
	v_min_f32_e32 v18, v18, v21
	v_cvt_f16_f32_e32 v21, v18
	v_lshl_add_u64 v[18:19], v[22:23], 1, s[2:3]
	v_lshl_add_u64 v[22:23], v[28:29], 1, v[18:19]
	s_and_b64 vcc, exec, s[0:1]
	flat_store_short v[22:23], v21
	s_cbranch_vccnz .LBB208_95
; %bb.94:
	v_lshl_add_u64 v[20:21], v[32:33], 1, v[16:17]
	flat_load_ushort v20, v[20:21]
	s_waitcnt vmcnt(0) lgkmcnt(0)
	v_mul_f16_e32 v20, s15, v20
	v_cvt_f32_f16_e32 v20, v20
.LBB208_95:
	v_pk_add_f16 v21, v8, v12
	v_max_f16_e32 v22, v74, v74
	v_pk_add_f16 v46, v9, v13
	v_min_f16_e32 v22, v22, v21
	v_lshrrev_b32_e32 v23, 16, v74
	v_lshrrev_b32_e32 v21, 16, v21
	v_lshrrev_b32_e32 v47, 16, v46
	v_min3_f16 v21, v23, v21, v47
	v_min3_f16 v21, v22, v46, v21
	v_cvt_f32_f16_e32 v21, v21
	v_max_f32_e32 v20, v20, v20
	s_and_b64 vcc, exec, s[0:1]
	v_min_f32_e32 v20, v20, v21
	v_cvt_f16_f32_e32 v22, v20
	v_lshl_add_u64 v[20:21], v[32:33], 1, v[18:19]
	flat_store_short v[20:21], v22
	v_mov_b32_e32 v20, 0
	v_mov_b32_e32 v21, 0
	s_cbranch_vccnz .LBB208_97
; %bb.96:
	v_lshl_add_u64 v[22:23], v[34:35], 1, v[16:17]
	flat_load_ushort v21, v[22:23]
	s_waitcnt vmcnt(0) lgkmcnt(0)
	v_mul_f16_e32 v21, s15, v21
	v_cvt_f32_f16_e32 v21, v21
.LBB208_97:
	v_pk_add_f16 v22, v10, v12
	v_max_f16_e32 v23, v73, v73
	v_pk_add_f16 v47, v11, v13
	v_min_f16_e32 v23, v23, v22
	v_lshrrev_b32_e32 v46, 16, v73
	v_lshrrev_b32_e32 v22, 16, v22
	v_lshrrev_b32_e32 v48, 16, v47
	v_min3_f16 v22, v46, v22, v48
	v_min3_f16 v22, v23, v47, v22
	v_cvt_f32_f16_e32 v22, v22
	v_max_f32_e32 v21, v21, v21
	s_and_b64 vcc, exec, s[0:1]
	v_min_f32_e32 v21, v21, v22
	v_cvt_f16_f32_e32 v21, v21
	v_lshl_add_u64 v[22:23], v[34:35], 1, v[18:19]
	flat_store_short v[22:23], v21
	s_cbranch_vccnz .LBB208_99
; %bb.98:
	v_lshl_add_u64 v[20:21], v[36:37], 1, v[16:17]
	flat_load_ushort v20, v[20:21]
	s_waitcnt vmcnt(0) lgkmcnt(0)
	v_mul_f16_e32 v20, s15, v20
	v_cvt_f32_f16_e32 v20, v20
.LBB208_99:
	v_pk_add_f16 v21, v4, v12
	v_max_f16_e32 v22, v72, v72
	v_pk_add_f16 v46, v5, v13
	v_min_f16_e32 v22, v22, v21
	v_lshrrev_b32_e32 v23, 16, v72
	v_lshrrev_b32_e32 v21, 16, v21
	v_lshrrev_b32_e32 v47, 16, v46
	v_min3_f16 v21, v23, v21, v47
	v_min3_f16 v21, v22, v46, v21
	v_cvt_f32_f16_e32 v21, v21
	v_max_f32_e32 v20, v20, v20
	s_and_b64 vcc, exec, s[0:1]
	v_min_f32_e32 v20, v20, v21
	v_cvt_f16_f32_e32 v22, v20
	v_lshl_add_u64 v[20:21], v[36:37], 1, v[18:19]
	flat_store_short v[20:21], v22
	v_mov_b32_e32 v20, 0
	v_mov_b32_e32 v21, 0
	s_cbranch_vccnz .LBB208_101
; %bb.100:
	v_lshl_add_u64 v[22:23], v[40:41], 1, v[16:17]
	flat_load_ushort v21, v[22:23]
	s_waitcnt vmcnt(0) lgkmcnt(0)
	v_mul_f16_e32 v21, s15, v21
	v_cvt_f32_f16_e32 v21, v21
.LBB208_101:
	v_pk_add_f16 v22, v6, v12
	v_max_f16_e32 v23, v71, v71
	v_pk_add_f16 v47, v7, v13
	v_min_f16_e32 v23, v23, v22
	v_lshrrev_b32_e32 v46, 16, v71
	v_lshrrev_b32_e32 v22, 16, v22
	v_lshrrev_b32_e32 v48, 16, v47
	v_min3_f16 v22, v46, v22, v48
	v_min3_f16 v22, v23, v47, v22
	v_cvt_f32_f16_e32 v22, v22
	v_max_f32_e32 v21, v21, v21
	s_and_b64 vcc, exec, s[0:1]
	v_min_f32_e32 v21, v21, v22
	v_cvt_f16_f32_e32 v21, v21
	v_lshl_add_u64 v[22:23], v[40:41], 1, v[18:19]
	;; [unrolled: 50-line block ×3, first 2 shown]
	flat_store_short v[22:23], v21
	s_cbranch_vccnz .LBB208_107
; %bb.106:
	v_lshl_add_u64 v[16:17], v[44:45], 1, v[16:17]
	flat_load_ushort v16, v[16:17]
	s_waitcnt vmcnt(0) lgkmcnt(0)
	v_mul_f16_e32 v16, s15, v16
	v_cvt_f32_f16_e32 v20, v16
.LBB208_107:
	v_pk_add_f16 v12, v24, v12
	v_max_f16_e32 v16, v68, v68
	v_pk_add_f16 v13, v25, v13
	v_min_f16_e32 v16, v16, v12
	v_lshrrev_b32_e32 v17, 16, v68
	v_lshrrev_b32_e32 v12, 16, v12
	;; [unrolled: 1-line block ×3, first 2 shown]
	v_min3_f16 v12, v17, v12, v21
	v_min3_f16 v12, v16, v13, v12
	v_cvt_f32_f16_e32 v12, v12
	v_max_f32_e32 v13, v20, v20
	s_and_b64 vcc, exec, s[0:1]
	v_mov_b32_e32 v17, 0
	v_min_f32_e32 v12, v13, v12
	v_cvt_f16_f32_e32 v16, v12
	v_lshl_add_u64 v[12:13], v[44:45], 1, v[18:19]
	v_mov_b32_e32 v18, 0
	flat_store_short v[12:13], v16
	v_add_u32_e32 v16, 48, v95
	v_mad_i64_i32 v[12:13], s[6:7], v16, s8, 0
	v_lshl_add_u64 v[12:13], v[12:13], 1, s[12:13]
	s_cbranch_vccnz .LBB208_109
; %bb.108:
	v_lshl_add_u64 v[20:21], v[28:29], 1, v[12:13]
	flat_load_ushort v17, v[20:21]
	s_waitcnt vmcnt(0) lgkmcnt(0)
	v_mul_f16_e32 v17, s15, v17
	v_cvt_f32_f16_e32 v17, v17
.LBB208_109:
	v_pk_add_f16 v19, v30, v14
	v_max_f16_e32 v20, v67, v67
	v_pk_add_f16 v22, v31, v15
	v_min_f16_e32 v20, v20, v19
	v_lshrrev_b32_e32 v21, 16, v67
	v_lshrrev_b32_e32 v19, 16, v19
	;; [unrolled: 1-line block ×3, first 2 shown]
	v_min3_f16 v19, v21, v19, v23
	v_min3_f16 v19, v20, v22, v19
	v_cvt_f32_f16_e32 v19, v19
	v_mad_i64_i32 v[20:21], s[6:7], v16, s9, 0
	v_max_f32_e32 v16, v17, v17
	v_min_f32_e32 v16, v16, v19
	v_cvt_f16_f32_e32 v19, v16
	v_lshl_add_u64 v[16:17], v[20:21], 1, s[2:3]
	v_lshl_add_u64 v[20:21], v[28:29], 1, v[16:17]
	s_and_b64 vcc, exec, s[0:1]
	flat_store_short v[20:21], v19
	s_cbranch_vccnz .LBB208_111
; %bb.110:
	v_lshl_add_u64 v[18:19], v[32:33], 1, v[12:13]
	flat_load_ushort v18, v[18:19]
	s_waitcnt vmcnt(0) lgkmcnt(0)
	v_mul_f16_e32 v18, s15, v18
	v_cvt_f32_f16_e32 v18, v18
.LBB208_111:
	v_pk_add_f16 v19, v8, v14
	v_max_f16_e32 v20, v66, v66
	v_pk_add_f16 v22, v9, v15
	v_min_f16_e32 v20, v20, v19
	v_lshrrev_b32_e32 v21, 16, v66
	v_lshrrev_b32_e32 v19, 16, v19
	v_lshrrev_b32_e32 v23, 16, v22
	v_min3_f16 v19, v21, v19, v23
	v_min3_f16 v19, v20, v22, v19
	v_cvt_f32_f16_e32 v19, v19
	v_max_f32_e32 v18, v18, v18
	s_and_b64 vcc, exec, s[0:1]
	v_min_f32_e32 v18, v18, v19
	v_cvt_f16_f32_e32 v20, v18
	v_lshl_add_u64 v[18:19], v[32:33], 1, v[16:17]
	flat_store_short v[18:19], v20
	v_mov_b32_e32 v18, 0
	v_mov_b32_e32 v19, 0
	s_cbranch_vccnz .LBB208_113
; %bb.112:
	v_lshl_add_u64 v[20:21], v[34:35], 1, v[12:13]
	flat_load_ushort v19, v[20:21]
	s_waitcnt vmcnt(0) lgkmcnt(0)
	v_mul_f16_e32 v19, s15, v19
	v_cvt_f32_f16_e32 v19, v19
.LBB208_113:
	v_pk_add_f16 v20, v10, v14
	v_max_f16_e32 v21, v65, v65
	v_pk_add_f16 v23, v11, v15
	v_min_f16_e32 v21, v21, v20
	v_lshrrev_b32_e32 v22, 16, v65
	v_lshrrev_b32_e32 v20, 16, v20
	v_lshrrev_b32_e32 v46, 16, v23
	v_min3_f16 v20, v22, v20, v46
	v_min3_f16 v20, v21, v23, v20
	v_cvt_f32_f16_e32 v20, v20
	v_max_f32_e32 v19, v19, v19
	s_and_b64 vcc, exec, s[0:1]
	v_min_f32_e32 v19, v19, v20
	v_cvt_f16_f32_e32 v19, v19
	v_lshl_add_u64 v[20:21], v[34:35], 1, v[16:17]
	flat_store_short v[20:21], v19
	s_cbranch_vccnz .LBB208_115
; %bb.114:
	v_lshl_add_u64 v[18:19], v[36:37], 1, v[12:13]
	flat_load_ushort v18, v[18:19]
	s_waitcnt vmcnt(0) lgkmcnt(0)
	v_mul_f16_e32 v18, s15, v18
	v_cvt_f32_f16_e32 v18, v18
.LBB208_115:
	v_pk_add_f16 v19, v4, v14
	v_max_f16_e32 v20, v64, v64
	v_pk_add_f16 v22, v5, v15
	v_min_f16_e32 v20, v20, v19
	v_lshrrev_b32_e32 v21, 16, v64
	v_lshrrev_b32_e32 v19, 16, v19
	v_lshrrev_b32_e32 v23, 16, v22
	v_min3_f16 v19, v21, v19, v23
	v_min3_f16 v19, v20, v22, v19
	v_cvt_f32_f16_e32 v19, v19
	v_max_f32_e32 v18, v18, v18
	s_and_b64 vcc, exec, s[0:1]
	v_min_f32_e32 v18, v18, v19
	v_cvt_f16_f32_e32 v20, v18
	v_lshl_add_u64 v[18:19], v[36:37], 1, v[16:17]
	flat_store_short v[18:19], v20
	v_mov_b32_e32 v18, 0
	v_mov_b32_e32 v19, 0
	s_cbranch_vccnz .LBB208_117
; %bb.116:
	v_lshl_add_u64 v[20:21], v[40:41], 1, v[12:13]
	flat_load_ushort v19, v[20:21]
	s_waitcnt vmcnt(0) lgkmcnt(0)
	v_mul_f16_e32 v19, s15, v19
	v_cvt_f32_f16_e32 v19, v19
.LBB208_117:
	v_pk_add_f16 v20, v6, v14
	v_max_f16_e32 v21, v63, v63
	v_pk_add_f16 v23, v7, v15
	v_min_f16_e32 v21, v21, v20
	v_lshrrev_b32_e32 v22, 16, v63
	v_lshrrev_b32_e32 v20, 16, v20
	v_lshrrev_b32_e32 v46, 16, v23
	v_min3_f16 v20, v22, v20, v46
	v_min3_f16 v20, v21, v23, v20
	v_cvt_f32_f16_e32 v20, v20
	v_max_f32_e32 v19, v19, v19
	s_and_b64 vcc, exec, s[0:1]
	v_min_f32_e32 v19, v19, v20
	v_cvt_f16_f32_e32 v19, v19
	v_lshl_add_u64 v[20:21], v[40:41], 1, v[16:17]
	flat_store_short v[20:21], v19
	s_cbranch_vccnz .LBB208_119
; %bb.118:
	v_lshl_add_u64 v[18:19], v[38:39], 1, v[12:13]
	flat_load_ushort v18, v[18:19]
	s_waitcnt vmcnt(0) lgkmcnt(0)
	v_mul_f16_e32 v18, s15, v18
	v_cvt_f32_f16_e32 v18, v18
.LBB208_119:
	v_pk_add_f16 v19, v0, v14
	v_max_f16_e32 v20, v62, v62
	v_pk_add_f16 v22, v1, v15
	v_min_f16_e32 v20, v20, v19
	v_lshrrev_b32_e32 v21, 16, v62
	v_lshrrev_b32_e32 v19, 16, v19
	v_lshrrev_b32_e32 v23, 16, v22
	v_min3_f16 v19, v21, v19, v23
	v_min3_f16 v19, v20, v22, v19
	v_cvt_f32_f16_e32 v19, v19
	v_max_f32_e32 v18, v18, v18
	s_and_b64 vcc, exec, s[0:1]
	v_min_f32_e32 v18, v18, v19
	v_cvt_f16_f32_e32 v20, v18
	v_lshl_add_u64 v[18:19], v[38:39], 1, v[16:17]
	flat_store_short v[18:19], v20
	v_mov_b32_e32 v18, 0
	v_mov_b32_e32 v19, 0
	s_cbranch_vccnz .LBB208_121
; %bb.120:
	v_lshl_add_u64 v[20:21], v[42:43], 1, v[12:13]
	flat_load_ushort v19, v[20:21]
	s_waitcnt vmcnt(0) lgkmcnt(0)
	v_mul_f16_e32 v19, s15, v19
	v_cvt_f32_f16_e32 v19, v19
.LBB208_121:
	v_pk_add_f16 v20, v2, v14
	v_max_f16_e32 v21, v61, v61
	v_pk_add_f16 v23, v3, v15
	v_min_f16_e32 v21, v21, v20
	v_lshrrev_b32_e32 v22, 16, v61
	v_lshrrev_b32_e32 v20, 16, v20
	v_lshrrev_b32_e32 v46, 16, v23
	v_min3_f16 v20, v22, v20, v46
	v_min3_f16 v20, v21, v23, v20
	v_cvt_f32_f16_e32 v20, v20
	v_max_f32_e32 v19, v19, v19
	s_and_b64 vcc, exec, s[0:1]
	v_min_f32_e32 v19, v19, v20
	v_cvt_f16_f32_e32 v19, v19
	v_lshl_add_u64 v[20:21], v[42:43], 1, v[16:17]
	flat_store_short v[20:21], v19
	s_cbranch_vccnz .LBB208_123
; %bb.122:
	v_lshl_add_u64 v[12:13], v[44:45], 1, v[12:13]
	flat_load_ushort v12, v[12:13]
	s_waitcnt vmcnt(0) lgkmcnt(0)
	v_mul_f16_e32 v12, s15, v12
	v_cvt_f32_f16_e32 v18, v12
.LBB208_123:
	v_pk_add_f16 v12, v24, v14
	v_max_f16_e32 v13, v60, v60
	v_pk_add_f16 v15, v25, v15
	v_min_f16_e32 v13, v13, v12
	v_lshrrev_b32_e32 v14, 16, v60
	v_lshrrev_b32_e32 v12, 16, v12
	;; [unrolled: 1-line block ×3, first 2 shown]
	v_min3_f16 v12, v14, v12, v19
	v_min3_f16 v12, v13, v15, v12
	v_cvt_f32_f16_e32 v12, v12
	v_max_f32_e32 v13, v18, v18
	s_and_b64 vcc, exec, s[0:1]
	v_mov_b32_e32 v15, 0
	v_min_f32_e32 v12, v13, v12
	v_cvt_f16_f32_e32 v14, v12
	v_lshl_add_u64 v[12:13], v[44:45], 1, v[16:17]
	v_mov_b32_e32 v16, 0
	flat_store_short v[12:13], v14
	v_add_u32_e32 v14, 56, v95
	v_mad_i64_i32 v[12:13], s[6:7], v14, s8, 0
	v_lshl_add_u64 v[12:13], v[12:13], 1, s[12:13]
	s_cbranch_vccnz .LBB208_125
; %bb.124:
	v_lshl_add_u64 v[18:19], v[28:29], 1, v[12:13]
	flat_load_ushort v15, v[18:19]
	s_waitcnt vmcnt(0) lgkmcnt(0)
	v_mul_f16_e32 v15, s15, v15
	v_cvt_f32_f16_e32 v15, v15
.LBB208_125:
	v_pk_add_f16 v17, v30, v26
	v_max_f16_e32 v18, v59, v59
	v_pk_add_f16 v20, v31, v27
	v_min_f16_e32 v18, v18, v17
	v_lshrrev_b32_e32 v19, 16, v59
	v_lshrrev_b32_e32 v17, 16, v17
	;; [unrolled: 1-line block ×3, first 2 shown]
	v_min3_f16 v17, v19, v17, v21
	v_min3_f16 v17, v18, v20, v17
	v_cvt_f32_f16_e32 v17, v17
	v_mad_i64_i32 v[18:19], s[6:7], v14, s9, 0
	v_max_f32_e32 v14, v15, v15
	v_min_f32_e32 v14, v14, v17
	v_cvt_f16_f32_e32 v17, v14
	v_lshl_add_u64 v[14:15], v[18:19], 1, s[2:3]
	v_lshl_add_u64 v[18:19], v[28:29], 1, v[14:15]
	s_and_b64 vcc, exec, s[0:1]
	flat_store_short v[18:19], v17
	s_cbranch_vccnz .LBB208_127
; %bb.126:
	v_lshl_add_u64 v[16:17], v[32:33], 1, v[12:13]
	flat_load_ushort v16, v[16:17]
	s_waitcnt vmcnt(0) lgkmcnt(0)
	v_mul_f16_e32 v16, s15, v16
	v_cvt_f32_f16_e32 v16, v16
.LBB208_127:
	v_pk_add_f16 v8, v8, v26
	v_max_f16_e32 v17, v58, v58
	v_pk_add_f16 v9, v9, v27
	v_min_f16_e32 v17, v17, v8
	v_lshrrev_b32_e32 v18, 16, v58
	v_lshrrev_b32_e32 v8, 16, v8
	;; [unrolled: 1-line block ×3, first 2 shown]
	v_min3_f16 v8, v18, v8, v19
	v_min3_f16 v8, v17, v9, v8
	v_cvt_f32_f16_e32 v8, v8
	v_max_f32_e32 v9, v16, v16
	s_and_b64 vcc, exec, s[0:1]
	v_min_f32_e32 v8, v9, v8
	v_cvt_f16_f32_e32 v16, v8
	v_lshl_add_u64 v[8:9], v[32:33], 1, v[14:15]
	flat_store_short v[8:9], v16
	v_mov_b32_e32 v8, 0
	v_mov_b32_e32 v9, 0
	s_cbranch_vccnz .LBB208_129
; %bb.128:
	v_lshl_add_u64 v[16:17], v[34:35], 1, v[12:13]
	flat_load_ushort v9, v[16:17]
	s_waitcnt vmcnt(0) lgkmcnt(0)
	v_mul_f16_e32 v9, s15, v9
	v_cvt_f32_f16_e32 v9, v9
.LBB208_129:
	v_pk_add_f16 v10, v10, v26
	v_max_f16_e32 v16, v57, v57
	v_pk_add_f16 v11, v11, v27
	v_min_f16_e32 v16, v16, v10
	v_lshrrev_b32_e32 v17, 16, v57
	v_lshrrev_b32_e32 v10, 16, v10
	;; [unrolled: 1-line block ×3, first 2 shown]
	v_min3_f16 v10, v17, v10, v18
	v_min3_f16 v10, v16, v11, v10
	v_cvt_f32_f16_e32 v10, v10
	v_max_f32_e32 v9, v9, v9
	s_and_b64 vcc, exec, s[0:1]
	v_min_f32_e32 v9, v9, v10
	v_cvt_f16_f32_e32 v9, v9
	v_lshl_add_u64 v[10:11], v[34:35], 1, v[14:15]
	flat_store_short v[10:11], v9
	s_cbranch_vccnz .LBB208_131
; %bb.130:
	v_lshl_add_u64 v[8:9], v[36:37], 1, v[12:13]
	flat_load_ushort v8, v[8:9]
	s_waitcnt vmcnt(0) lgkmcnt(0)
	v_mul_f16_e32 v8, s15, v8
	v_cvt_f32_f16_e32 v8, v8
.LBB208_131:
	v_pk_add_f16 v4, v4, v26
	v_max_f16_e32 v9, v56, v56
	v_pk_add_f16 v5, v5, v27
	v_min_f16_e32 v9, v9, v4
	v_lshrrev_b32_e32 v10, 16, v56
	v_lshrrev_b32_e32 v4, 16, v4
	v_lshrrev_b32_e32 v11, 16, v5
	v_min3_f16 v4, v10, v4, v11
	v_min3_f16 v4, v9, v5, v4
	v_cvt_f32_f16_e32 v4, v4
	v_max_f32_e32 v5, v8, v8
	s_and_b64 vcc, exec, s[0:1]
	v_min_f32_e32 v4, v5, v4
	v_cvt_f16_f32_e32 v8, v4
	v_lshl_add_u64 v[4:5], v[36:37], 1, v[14:15]
	flat_store_short v[4:5], v8
	v_mov_b32_e32 v4, 0
	v_mov_b32_e32 v5, 0
	s_cbranch_vccnz .LBB208_133
; %bb.132:
	v_lshl_add_u64 v[8:9], v[40:41], 1, v[12:13]
	flat_load_ushort v5, v[8:9]
	s_waitcnt vmcnt(0) lgkmcnt(0)
	v_mul_f16_e32 v5, s15, v5
	v_cvt_f32_f16_e32 v5, v5
.LBB208_133:
	v_pk_add_f16 v6, v6, v26
	v_max_f16_e32 v8, v55, v55
	v_pk_add_f16 v7, v7, v27
	v_min_f16_e32 v8, v8, v6
	v_lshrrev_b32_e32 v9, 16, v55
	v_lshrrev_b32_e32 v6, 16, v6
	;; [unrolled: 1-line block ×3, first 2 shown]
	v_min3_f16 v6, v9, v6, v10
	v_min3_f16 v6, v8, v7, v6
	v_cvt_f32_f16_e32 v6, v6
	v_max_f32_e32 v5, v5, v5
	s_and_b64 vcc, exec, s[0:1]
	v_min_f32_e32 v5, v5, v6
	v_cvt_f16_f32_e32 v5, v5
	v_lshl_add_u64 v[6:7], v[40:41], 1, v[14:15]
	flat_store_short v[6:7], v5
	s_cbranch_vccnz .LBB208_135
; %bb.134:
	v_lshl_add_u64 v[4:5], v[38:39], 1, v[12:13]
	flat_load_ushort v4, v[4:5]
	s_waitcnt vmcnt(0) lgkmcnt(0)
	v_mul_f16_e32 v4, s15, v4
	v_cvt_f32_f16_e32 v4, v4
.LBB208_135:
	v_pk_add_f16 v0, v0, v26
	v_max_f16_e32 v5, v54, v54
	v_pk_add_f16 v1, v1, v27
	v_min_f16_e32 v5, v5, v0
	v_lshrrev_b32_e32 v6, 16, v54
	v_lshrrev_b32_e32 v0, 16, v0
	;; [unrolled: 1-line block ×3, first 2 shown]
	v_min3_f16 v0, v6, v0, v7
	v_min3_f16 v0, v5, v1, v0
	v_cvt_f32_f16_e32 v0, v0
	v_max_f32_e32 v4, v4, v4
	v_pk_add_f16 v1, v2, v26
	v_max_f16_e32 v2, v52, v52
	v_min_f32_e32 v0, v4, v0
	v_cvt_f16_f32_e32 v4, v0
	v_pk_add_f16 v3, v3, v27
	v_min_f16_e32 v2, v2, v1
	v_lshrrev_b32_e32 v5, 16, v52
	v_lshrrev_b32_e32 v1, 16, v1
	v_lshrrev_b32_e32 v0, 16, v3
	v_min3_f16 v5, v5, v1, v0
	v_lshl_add_u64 v[0:1], v[38:39], 1, v[14:15]
	flat_store_short v[0:1], v4
	v_min3_f16 v0, v2, v3, v5
	s_mov_b64 s[0:1], -1
	s_mov_b64 vcc, s[4:5]
	s_cbranch_vccz .LBB208_137
; %bb.136:
	v_cvt_f32_f16_e32 v1, v0
	v_lshl_add_u64 v[2:3], v[42:43], 1, v[14:15]
	s_mov_b64 s[0:1], 0
	v_min_f32_e32 v1, 0, v1
	v_cvt_f16_f32_e32 v1, v1
	flat_store_short v[2:3], v1
.LBB208_137:
	s_andn2_b64 vcc, exec, s[0:1]
	v_mov_b32_e32 v1, 0
	s_cbranch_vccnz .LBB208_139
; %bb.138:
	v_lshlrev_b64 v[2:3], 1, v[42:43]
	v_lshl_add_u64 v[4:5], v[12:13], 0, v[2:3]
	flat_load_ushort v4, v[4:5]
	v_max_f16_e32 v5, v0, v0
	v_lshl_add_u64 v[0:1], v[14:15], 0, v[2:3]
	s_waitcnt vmcnt(0) lgkmcnt(0)
	v_mul_f16_e32 v2, s15, v4
	v_min_f16_e32 v2, v2, v5
	flat_store_short v[0:1], v2
	v_lshl_add_u64 v[0:1], v[44:45], 1, v[12:13]
	flat_load_ushort v0, v[0:1]
	s_waitcnt vmcnt(0) lgkmcnt(0)
	v_mul_f16_e32 v0, s15, v0
	v_cvt_f32_f16_e32 v1, v0
.LBB208_139:
	v_pk_add_f16 v0, v24, v26
	v_max_f16_e32 v2, v53, v53
	v_pk_add_f16 v3, v25, v27
	v_min_f16_e32 v2, v2, v0
	v_lshrrev_b32_e32 v4, 16, v53
	v_lshrrev_b32_e32 v0, 16, v0
	;; [unrolled: 1-line block ×3, first 2 shown]
	v_min3_f16 v0, v4, v0, v5
	v_min3_f16 v0, v2, v3, v0
	v_cvt_f32_f16_e32 v0, v0
	v_max_f32_e32 v1, v1, v1
	v_min_f32_e32 v0, v1, v0
	v_cvt_f16_f32_e32 v2, v0
	v_lshl_add_u64 v[0:1], v[44:45], 1, v[14:15]
	flat_store_short v[0:1], v2
	s_endpgm
	.section	.rodata,"a",@progbits
	.p2align	6, 0x0
	.amdhsa_kernel _ZN12_GLOBAL__N_120geam_min_plus_kernelIDF16_Dv2_DF16_S1_Li32ELi8ELi256ELi64ELi4ELi64ELi4ELi4ELi64ELc78ELc78ELb1ELb0ELb1EDF16_KPKDF16_KPDF16_EEviiiT16_PT17_ilS9_ilS7_S9_ilPT18_ili26rocblas_geam_ex_operation_
		.amdhsa_group_segment_fixed_size 5120
		.amdhsa_private_segment_fixed_size 0
		.amdhsa_kernarg_size 128
		.amdhsa_user_sgpr_count 2
		.amdhsa_user_sgpr_dispatch_ptr 0
		.amdhsa_user_sgpr_queue_ptr 0
		.amdhsa_user_sgpr_kernarg_segment_ptr 1
		.amdhsa_user_sgpr_dispatch_id 0
		.amdhsa_user_sgpr_kernarg_preload_length 0
		.amdhsa_user_sgpr_kernarg_preload_offset 0
		.amdhsa_user_sgpr_private_segment_size 0
		.amdhsa_uses_dynamic_stack 0
		.amdhsa_enable_private_segment 0
		.amdhsa_system_sgpr_workgroup_id_x 1
		.amdhsa_system_sgpr_workgroup_id_y 0
		.amdhsa_system_sgpr_workgroup_id_z 1
		.amdhsa_system_sgpr_workgroup_info 0
		.amdhsa_system_vgpr_workitem_id 1
		.amdhsa_next_free_vgpr 219
		.amdhsa_next_free_sgpr 22
		.amdhsa_accum_offset 220
		.amdhsa_reserve_vcc 1
		.amdhsa_float_round_mode_32 0
		.amdhsa_float_round_mode_16_64 0
		.amdhsa_float_denorm_mode_32 3
		.amdhsa_float_denorm_mode_16_64 3
		.amdhsa_dx10_clamp 1
		.amdhsa_ieee_mode 1
		.amdhsa_fp16_overflow 0
		.amdhsa_tg_split 0
		.amdhsa_exception_fp_ieee_invalid_op 0
		.amdhsa_exception_fp_denorm_src 0
		.amdhsa_exception_fp_ieee_div_zero 0
		.amdhsa_exception_fp_ieee_overflow 0
		.amdhsa_exception_fp_ieee_underflow 0
		.amdhsa_exception_fp_ieee_inexact 0
		.amdhsa_exception_int_div_zero 0
	.end_amdhsa_kernel
	.section	.text._ZN12_GLOBAL__N_120geam_min_plus_kernelIDF16_Dv2_DF16_S1_Li32ELi8ELi256ELi64ELi4ELi64ELi4ELi4ELi64ELc78ELc78ELb1ELb0ELb1EDF16_KPKDF16_KPDF16_EEviiiT16_PT17_ilS9_ilS7_S9_ilPT18_ili26rocblas_geam_ex_operation_,"axG",@progbits,_ZN12_GLOBAL__N_120geam_min_plus_kernelIDF16_Dv2_DF16_S1_Li32ELi8ELi256ELi64ELi4ELi64ELi4ELi4ELi64ELc78ELc78ELb1ELb0ELb1EDF16_KPKDF16_KPDF16_EEviiiT16_PT17_ilS9_ilS7_S9_ilPT18_ili26rocblas_geam_ex_operation_,comdat
.Lfunc_end208:
	.size	_ZN12_GLOBAL__N_120geam_min_plus_kernelIDF16_Dv2_DF16_S1_Li32ELi8ELi256ELi64ELi4ELi64ELi4ELi4ELi64ELc78ELc78ELb1ELb0ELb1EDF16_KPKDF16_KPDF16_EEviiiT16_PT17_ilS9_ilS7_S9_ilPT18_ili26rocblas_geam_ex_operation_, .Lfunc_end208-_ZN12_GLOBAL__N_120geam_min_plus_kernelIDF16_Dv2_DF16_S1_Li32ELi8ELi256ELi64ELi4ELi64ELi4ELi4ELi64ELc78ELc78ELb1ELb0ELb1EDF16_KPKDF16_KPDF16_EEviiiT16_PT17_ilS9_ilS7_S9_ilPT18_ili26rocblas_geam_ex_operation_
                                        ; -- End function
	.set _ZN12_GLOBAL__N_120geam_min_plus_kernelIDF16_Dv2_DF16_S1_Li32ELi8ELi256ELi64ELi4ELi64ELi4ELi4ELi64ELc78ELc78ELb1ELb0ELb1EDF16_KPKDF16_KPDF16_EEviiiT16_PT17_ilS9_ilS7_S9_ilPT18_ili26rocblas_geam_ex_operation_.num_vgpr, 219
	.set _ZN12_GLOBAL__N_120geam_min_plus_kernelIDF16_Dv2_DF16_S1_Li32ELi8ELi256ELi64ELi4ELi64ELi4ELi4ELi64ELc78ELc78ELb1ELb0ELb1EDF16_KPKDF16_KPDF16_EEviiiT16_PT17_ilS9_ilS7_S9_ilPT18_ili26rocblas_geam_ex_operation_.num_agpr, 0
	.set _ZN12_GLOBAL__N_120geam_min_plus_kernelIDF16_Dv2_DF16_S1_Li32ELi8ELi256ELi64ELi4ELi64ELi4ELi4ELi64ELc78ELc78ELb1ELb0ELb1EDF16_KPKDF16_KPDF16_EEviiiT16_PT17_ilS9_ilS7_S9_ilPT18_ili26rocblas_geam_ex_operation_.numbered_sgpr, 22
	.set _ZN12_GLOBAL__N_120geam_min_plus_kernelIDF16_Dv2_DF16_S1_Li32ELi8ELi256ELi64ELi4ELi64ELi4ELi4ELi64ELc78ELc78ELb1ELb0ELb1EDF16_KPKDF16_KPDF16_EEviiiT16_PT17_ilS9_ilS7_S9_ilPT18_ili26rocblas_geam_ex_operation_.num_named_barrier, 0
	.set _ZN12_GLOBAL__N_120geam_min_plus_kernelIDF16_Dv2_DF16_S1_Li32ELi8ELi256ELi64ELi4ELi64ELi4ELi4ELi64ELc78ELc78ELb1ELb0ELb1EDF16_KPKDF16_KPDF16_EEviiiT16_PT17_ilS9_ilS7_S9_ilPT18_ili26rocblas_geam_ex_operation_.private_seg_size, 0
	.set _ZN12_GLOBAL__N_120geam_min_plus_kernelIDF16_Dv2_DF16_S1_Li32ELi8ELi256ELi64ELi4ELi64ELi4ELi4ELi64ELc78ELc78ELb1ELb0ELb1EDF16_KPKDF16_KPDF16_EEviiiT16_PT17_ilS9_ilS7_S9_ilPT18_ili26rocblas_geam_ex_operation_.uses_vcc, 1
	.set _ZN12_GLOBAL__N_120geam_min_plus_kernelIDF16_Dv2_DF16_S1_Li32ELi8ELi256ELi64ELi4ELi64ELi4ELi4ELi64ELc78ELc78ELb1ELb0ELb1EDF16_KPKDF16_KPDF16_EEviiiT16_PT17_ilS9_ilS7_S9_ilPT18_ili26rocblas_geam_ex_operation_.uses_flat_scratch, 0
	.set _ZN12_GLOBAL__N_120geam_min_plus_kernelIDF16_Dv2_DF16_S1_Li32ELi8ELi256ELi64ELi4ELi64ELi4ELi4ELi64ELc78ELc78ELb1ELb0ELb1EDF16_KPKDF16_KPDF16_EEviiiT16_PT17_ilS9_ilS7_S9_ilPT18_ili26rocblas_geam_ex_operation_.has_dyn_sized_stack, 0
	.set _ZN12_GLOBAL__N_120geam_min_plus_kernelIDF16_Dv2_DF16_S1_Li32ELi8ELi256ELi64ELi4ELi64ELi4ELi4ELi64ELc78ELc78ELb1ELb0ELb1EDF16_KPKDF16_KPDF16_EEviiiT16_PT17_ilS9_ilS7_S9_ilPT18_ili26rocblas_geam_ex_operation_.has_recursion, 0
	.set _ZN12_GLOBAL__N_120geam_min_plus_kernelIDF16_Dv2_DF16_S1_Li32ELi8ELi256ELi64ELi4ELi64ELi4ELi4ELi64ELc78ELc78ELb1ELb0ELb1EDF16_KPKDF16_KPDF16_EEviiiT16_PT17_ilS9_ilS7_S9_ilPT18_ili26rocblas_geam_ex_operation_.has_indirect_call, 0
	.section	.AMDGPU.csdata,"",@progbits
; Kernel info:
; codeLenInByte = 16824
; TotalNumSgprs: 28
; NumVgprs: 219
; NumAgprs: 0
; TotalNumVgprs: 219
; ScratchSize: 0
; MemoryBound: 0
; FloatMode: 240
; IeeeMode: 1
; LDSByteSize: 5120 bytes/workgroup (compile time only)
; SGPRBlocks: 3
; VGPRBlocks: 27
; NumSGPRsForWavesPerEU: 28
; NumVGPRsForWavesPerEU: 219
; AccumOffset: 220
; Occupancy: 2
; WaveLimiterHint : 1
; COMPUTE_PGM_RSRC2:SCRATCH_EN: 0
; COMPUTE_PGM_RSRC2:USER_SGPR: 2
; COMPUTE_PGM_RSRC2:TRAP_HANDLER: 0
; COMPUTE_PGM_RSRC2:TGID_X_EN: 1
; COMPUTE_PGM_RSRC2:TGID_Y_EN: 0
; COMPUTE_PGM_RSRC2:TGID_Z_EN: 1
; COMPUTE_PGM_RSRC2:TIDIG_COMP_CNT: 1
; COMPUTE_PGM_RSRC3_GFX90A:ACCUM_OFFSET: 54
; COMPUTE_PGM_RSRC3_GFX90A:TG_SPLIT: 0
	.section	.text._ZN12_GLOBAL__N_120geam_min_plus_kernelIDF16_Dv2_DF16_S1_Li32ELi8ELi256ELi64ELi4ELi64ELi4ELi4ELi64ELc78ELc78ELb0ELb0ELb1EDF16_KPKDF16_KPDF16_EEviiiT16_PT17_ilS9_ilS7_S9_ilPT18_ili26rocblas_geam_ex_operation_,"axG",@progbits,_ZN12_GLOBAL__N_120geam_min_plus_kernelIDF16_Dv2_DF16_S1_Li32ELi8ELi256ELi64ELi4ELi64ELi4ELi4ELi64ELc78ELc78ELb0ELb0ELb1EDF16_KPKDF16_KPDF16_EEviiiT16_PT17_ilS9_ilS7_S9_ilPT18_ili26rocblas_geam_ex_operation_,comdat
	.globl	_ZN12_GLOBAL__N_120geam_min_plus_kernelIDF16_Dv2_DF16_S1_Li32ELi8ELi256ELi64ELi4ELi64ELi4ELi4ELi64ELc78ELc78ELb0ELb0ELb1EDF16_KPKDF16_KPDF16_EEviiiT16_PT17_ilS9_ilS7_S9_ilPT18_ili26rocblas_geam_ex_operation_ ; -- Begin function _ZN12_GLOBAL__N_120geam_min_plus_kernelIDF16_Dv2_DF16_S1_Li32ELi8ELi256ELi64ELi4ELi64ELi4ELi4ELi64ELc78ELc78ELb0ELb0ELb1EDF16_KPKDF16_KPDF16_EEviiiT16_PT17_ilS9_ilS7_S9_ilPT18_ili26rocblas_geam_ex_operation_
	.p2align	8
	.type	_ZN12_GLOBAL__N_120geam_min_plus_kernelIDF16_Dv2_DF16_S1_Li32ELi8ELi256ELi64ELi4ELi64ELi4ELi4ELi64ELc78ELc78ELb0ELb0ELb1EDF16_KPKDF16_KPDF16_EEviiiT16_PT17_ilS9_ilS7_S9_ilPT18_ili26rocblas_geam_ex_operation_,@function
_ZN12_GLOBAL__N_120geam_min_plus_kernelIDF16_Dv2_DF16_S1_Li32ELi8ELi256ELi64ELi4ELi64ELi4ELi4ELi64ELc78ELc78ELb0ELb0ELb1EDF16_KPKDF16_KPDF16_EEviiiT16_PT17_ilS9_ilS7_S9_ilPT18_ili26rocblas_geam_ex_operation_: ; @_ZN12_GLOBAL__N_120geam_min_plus_kernelIDF16_Dv2_DF16_S1_Li32ELi8ELi256ELi64ELi4ELi64ELi4ELi4ELi64ELc78ELc78ELb0ELb0ELb1EDF16_KPKDF16_KPDF16_EEviiiT16_PT17_ilS9_ilS7_S9_ilPT18_ili26rocblas_geam_ex_operation_
; %bb.0:
	s_load_dwordx2 s[18:19], s[0:1], 0x8
	s_load_dwordx4 s[8:11], s[0:1], 0x20
	s_mov_b32 s6, s3
	s_mov_b32 s7, 0
	s_waitcnt lgkmcnt(0)
	v_cmp_eq_f16_e64 s[12:13], s19, 0
	s_and_b64 s[4:5], exec, s[12:13]
	s_mov_b64 vcc, s[4:5]
	s_cbranch_vccnz .LBB209_3
; %bb.1:
	s_load_dwordx2 s[14:15], s[0:1], 0x10
	s_lshl_b64 s[16:17], s[6:7], 3
	s_waitcnt lgkmcnt(0)
	s_add_u32 s14, s14, s16
	s_addc_u32 s15, s15, s17
	s_load_dwordx2 s[14:15], s[14:15], 0x0
	s_lshl_b64 s[8:9], s[8:9], 1
	s_waitcnt lgkmcnt(0)
	s_add_u32 s20, s14, s8
	s_addc_u32 s21, s15, s9
	s_andn2_b64 vcc, exec, s[12:13]
	s_cbranch_vccnz .LBB209_4
.LBB209_2:
	s_mov_b32 s27, 0
	s_mov_b32 s26, s6
	s_mov_b64 s[16:17], 0
	s_mov_b64 s[22:23], 0
	s_cbranch_execz .LBB209_5
	s_branch .LBB209_6
.LBB209_3:
	s_mov_b64 s[20:21], 0
	s_andn2_b64 vcc, exec, s[12:13]
	s_cbranch_vccz .LBB209_2
.LBB209_4:
	s_mov_b64 s[26:27], s[6:7]
	s_mov_b64 s[16:17], 0
	;; [unrolled: 1-line block ×3, first 2 shown]
.LBB209_5:
	s_lshl_b64 s[6:7], s[6:7], 3
	s_add_u32 s6, s10, s6
	s_load_dwordx2 s[8:9], s[0:1], 0x38
	s_addc_u32 s7, s11, s7
	s_load_dwordx2 s[6:7], s[6:7], 0x0
	s_waitcnt lgkmcnt(0)
	s_lshl_b64 s[8:9], s[8:9], 1
	s_add_u32 s22, s6, s8
	s_addc_u32 s23, s7, s9
.LBB209_6:
	s_load_dword s28, s[0:1], 0x40
	s_load_dwordx4 s[12:15], s[0:1], 0x58
	v_cmp_neq_f16_e64 s[24:25], s19, 0
	s_waitcnt lgkmcnt(0)
	v_cmp_eq_f16_e64 s[6:7], s28, 0
	s_and_b64 s[8:9], exec, s[6:7]
	s_mov_b64 vcc, s[8:9]
	s_cbranch_vccnz .LBB209_8
; %bb.7:
	s_load_dwordx2 s[6:7], s[0:1], 0x48
	s_lshl_b64 s[10:11], s[26:27], 3
	s_waitcnt lgkmcnt(0)
	s_add_u32 s6, s6, s10
	s_addc_u32 s7, s7, s11
	s_load_dwordx2 s[6:7], s[6:7], 0x0
	s_lshl_b64 s[10:11], s[12:13], 1
	s_waitcnt lgkmcnt(0)
	s_add_u32 s16, s6, s10
	s_addc_u32 s17, s7, s11
.LBB209_8:
	s_load_dword s3, s[0:1], 0x0
	s_load_dword s12, s[0:1], 0x18
	s_lshl_b64 s[6:7], s[26:27], 3
	s_add_u32 s10, s14, s6
	s_addc_u32 s11, s15, s7
	s_waitcnt lgkmcnt(0)
	s_add_i32 s3, s3, -1
	s_ashr_i32 s6, s3, 31
	s_lshr_b32 s6, s6, 24
	s_add_i32 s3, s3, s6
	s_ashr_i32 s3, s3, 8
	s_add_i32 s6, s3, 1
	v_cvt_f32_u32_e32 v1, s6
	v_and_b32_e32 v50, 0x3ff, v0
	v_bfe_u32 v51, v0, 10, 10
	s_not_b32 s3, s3
	v_rcp_iflag_f32_e32 v1, v1
	v_lshl_add_u32 v5, v51, 5, v50
	v_and_b32_e32 v31, 63, v5
	v_lshrrev_b32_e32 v30, 6, v5
	v_mul_f32_e32 v0, 0x4f7ffffe, v1
	v_cvt_u32_f32_e32 v0, v0
	v_cndmask_b32_e64 v1, 0, 1, s[24:25]
	v_readfirstlane_b32 s7, v0
	s_mul_i32 s3, s3, s7
	s_mul_hi_u32 s3, s7, s3
	s_add_i32 s7, s7, s3
	s_mul_hi_u32 s3, s2, s7
	s_mul_i32 s7, s3, s6
	s_sub_i32 s7, s2, s7
	s_add_i32 s13, s3, 1
	s_sub_i32 s14, s7, s6
	s_cmp_ge_u32 s7, s6
	s_cselect_b32 s3, s13, s3
	s_cselect_b32 s7, s14, s7
	s_add_i32 s13, s3, 1
	s_cmp_ge_u32 s7, s6
	s_cselect_b32 s27, s13, s3
	s_mul_i32 s3, s27, s6
	s_sub_i32 s6, s2, s3
	s_lshl_b32 s26, s6, 8
	v_or_b32_e32 v0, s26, v31
	v_mad_i64_i32 v[2:3], s[6:7], s12, v30, 0
	v_lshl_add_u64 v[2:3], v[2:3], 1, s[20:21]
	v_cmp_ne_u32_e64 s[6:7], 1, v1
	s_andn2_b64 vcc, exec, s[24:25]
	v_ashrrev_i32_e32 v1, 31, v0
	s_cbranch_vccnz .LBB209_10
; %bb.9:
	v_lshl_add_u64 v[6:7], v[0:1], 1, v[2:3]
	flat_load_ushort v4, v[6:7]
	flat_load_ushort v8, v[6:7] offset:128
	s_waitcnt vmcnt(0) lgkmcnt(0)
	v_mul_f16_e32 v6, s19, v4
	v_mul_f16_e32 v4, s19, v8
	v_pack_b32_f16 v7, v6, 0
	s_branch .LBB209_11
.LBB209_10:
	v_mov_b32_e32 v7, 0
	v_mov_b32_e32 v4, 0
.LBB209_11:
	s_mov_b32 s14, 0x5040100
	v_mov_b32_e32 v6, 0
	s_ashr_i32 s13, s12, 31
	v_perm_b32 v32, v4, v7, s14
	s_mov_b64 vcc, s[4:5]
	s_cbranch_vccz .LBB209_13
; %bb.12:
	v_and_b32_e32 v33, 0xffff0000, v6
	v_mov_b32_e32 v4, 0
	v_mov_b32_e32 v34, 0
	s_cbranch_execz .LBB209_14
	s_branch .LBB209_15
.LBB209_13:
	v_mov_b32_e32 v4, 0
	v_mov_b32_e32 v34, 0
.LBB209_14:
	v_lshl_add_u64 v[2:3], v[0:1], 1, v[2:3]
	flat_load_ushort v7, v[2:3] offset:256
	flat_load_ushort v8, v[2:3] offset:384
	s_mov_b32 s14, 0xffff
	s_waitcnt vmcnt(0) lgkmcnt(0)
	v_mul_f16_e32 v2, s19, v7
	v_bfi_b32 v33, s14, v2, v6
	v_mul_f16_e32 v34, s19, v8
.LBB209_15:
	s_load_dword s25, s[0:1], 0x30
	v_and_b32_e32 v2, 3, v50
	v_lshrrev_b32_e32 v5, 2, v5
	s_lshl_b32 s24, s27, 6
	s_and_b64 vcc, exec, s[6:7]
	v_add_u32_e32 v35, s24, v5
	v_lshlrev_b32_e32 v28, 1, v2
	s_cbranch_vccnz .LBB209_17
; %bb.16:
	s_waitcnt lgkmcnt(0)
	v_mad_i64_i32 v[2:3], s[14:15], v35, s25, 0
	v_lshl_add_u64 v[2:3], v[2:3], 1, s[22:23]
	v_mov_b32_e32 v29, 0
	v_lshl_add_u64 v[2:3], v[2:3], 0, v[28:29]
	flat_load_ushort v2, v[2:3]
	s_waitcnt vmcnt(0) lgkmcnt(0)
	v_mul_f16_e32 v4, s19, v2
.LBB209_17:
	v_add_u32_e32 v2, 4, v30
	v_mad_i64_i32 v[2:3], s[14:15], s12, v2, 0
	s_and_b64 vcc, exec, s[6:7]
	v_lshl_add_u64 v[2:3], v[2:3], 1, s[20:21]
	s_cbranch_vccnz .LBB209_19
; %bb.18:
	v_lshl_add_u64 v[6:7], v[0:1], 1, v[2:3]
	flat_load_ushort v8, v[6:7]
	flat_load_ushort v9, v[6:7] offset:128
	s_waitcnt vmcnt(0) lgkmcnt(0)
	v_mul_f16_e32 v6, s19, v8
	v_mul_f16_e32 v7, s19, v9
	v_pack_b32_f16 v8, v6, 0
	s_branch .LBB209_20
.LBB209_19:
	v_mov_b32_e32 v8, 0
	v_mov_b32_e32 v7, 0
.LBB209_20:
	s_mov_b32 s14, 0x5040100
	v_mov_b32_e32 v6, 0
	v_perm_b32 v42, v7, v8, s14
	s_mov_b64 vcc, s[4:5]
	s_cbranch_vccz .LBB209_22
; %bb.21:
	v_and_b32_e32 v43, 0xffff0000, v6
	v_mov_b32_e32 v29, 0
	v_mov_b32_e32 v36, 0
	s_cbranch_execz .LBB209_23
	s_branch .LBB209_24
.LBB209_22:
	v_mov_b32_e32 v29, 0
	v_mov_b32_e32 v36, 0
.LBB209_23:
	v_lshl_add_u64 v[0:1], v[0:1], 1, v[2:3]
	flat_load_ushort v2, v[0:1] offset:256
	flat_load_ushort v3, v[0:1] offset:384
	s_mov_b32 s14, 0xffff
	s_waitcnt vmcnt(0) lgkmcnt(0)
	v_mul_f16_e32 v0, s19, v2
	v_bfi_b32 v43, s14, v0, v6
	v_mul_f16_e32 v36, s19, v3
.LBB209_24:
	s_and_b64 vcc, exec, s[6:7]
	s_cbranch_vccnz .LBB209_26
; %bb.25:
	s_waitcnt lgkmcnt(0)
	v_mad_i64_i32 v[0:1], s[14:15], v35, s25, 0
	v_lshl_add_u64 v[0:1], v[0:1], 1, s[22:23]
	v_mov_b32_e32 v29, 0
	v_lshl_add_u64 v[0:1], v[0:1], 0, v[28:29]
	flat_load_ushort v0, v[0:1] offset:8
	s_waitcnt vmcnt(0) lgkmcnt(0)
	v_mul_f16_e32 v29, s19, v0
.LBB209_26:
	v_lshlrev_b32_e32 v0, 3, v31
	v_lshlrev_b32_e32 v88, 3, v51
	v_lshl_add_u32 v103, v30, 1, v0
	v_lshl_or_b32 v37, v5, 3, v28
	v_lshlrev_b32_e32 v90, 3, v50
	v_add_u32_e32 v105, 0x1000, v88
	s_load_dwordx2 s[10:11], s[10:11], 0x0
	ds_write_b16 v103, v32
	ds_write_b16_d16_hi v103, v32 offset:512
	ds_write_b16 v103, v33 offset:1024
	ds_write_b16 v103, v34 offset:1536
	;; [unrolled: 1-line block ×3, first 2 shown]
	s_waitcnt lgkmcnt(0)
	s_barrier
	ds_read2_b64 v[16:19], v90 offset1:32
	ds_read2_b64 v[12:15], v90 offset0:64 offset1:96
	ds_read2_b64 v[4:7], v90 offset0:128 offset1:160
	ds_read2_b64 v[38:41], v105 offset1:8
	ds_read2_b64 v[0:3], v90 offset0:192 offset1:224
	ds_read2_b64 v[24:27], v105 offset0:16 offset1:24
	;; [unrolled: 1-line block ×4, first 2 shown]
	s_movk_i32 s14, 0x7c00
	s_waitcnt lgkmcnt(4)
	v_pk_add_f16 v44, v16, v38
	v_pk_add_f16 v45, v18, v38
	;; [unrolled: 1-line block ×6, first 2 shown]
	s_waitcnt lgkmcnt(3)
	v_pk_add_f16 v52, v0, v38
	v_pk_add_f16 v38, v2, v38
	v_pk_add_f16 v53, v16, v40
	v_pk_add_f16 v54, v18, v40
	v_pk_add_f16 v55, v12, v40
	v_pk_add_f16 v56, v14, v40
	v_pk_add_f16 v57, v4, v40
	v_pk_add_f16 v58, v6, v40
	v_pk_add_f16 v59, v0, v40
	v_pk_add_f16 v40, v2, v40
	s_waitcnt lgkmcnt(2)
	v_pk_add_f16 v60, v16, v24
	v_pk_add_f16 v61, v18, v24
	v_pk_add_f16 v62, v12, v24
	v_pk_add_f16 v63, v14, v24
	v_pk_add_f16 v64, v4, v24
	v_pk_add_f16 v65, v6, v24
	v_pk_add_f16 v66, v0, v24
	v_pk_add_f16 v24, v2, v24
	v_pk_add_f16 v67, v16, v26
	v_pk_add_f16 v68, v18, v26
	v_pk_add_f16 v69, v12, v26
	v_pk_add_f16 v70, v14, v26
	v_pk_add_f16 v71, v4, v26
	v_pk_add_f16 v72, v6, v26
	v_pk_add_f16 v73, v0, v26
	v_pk_add_f16 v26, v2, v26
	s_waitcnt lgkmcnt(1)
	v_pk_add_f16 v74, v16, v20
	v_pk_add_f16 v75, v18, v20
	v_pk_add_f16 v76, v12, v20
	v_pk_add_f16 v77, v14, v20
	v_pk_add_f16 v78, v4, v20
	v_pk_add_f16 v120, v6, v20
	v_pk_add_f16 v121, v0, v20
	v_pk_add_f16 v20, v2, v20
	v_pk_add_f16 v122, v16, v22
	v_pk_add_f16 v123, v18, v22
	v_pk_add_f16 v124, v12, v22
	v_pk_add_f16 v125, v14, v22
	v_pk_add_f16 v126, v4, v22
	v_pk_add_f16 v127, v6, v22
	v_pk_add_f16 v128, v0, v22
	v_pk_add_f16 v22, v2, v22
	s_waitcnt lgkmcnt(0)
	v_pk_add_f16 v129, v16, v8
	v_pk_add_f16 v130, v18, v8
	v_pk_add_f16 v131, v12, v8
	v_pk_add_f16 v132, v14, v8
	v_pk_add_f16 v133, v4, v8
	v_pk_add_f16 v134, v6, v8
	v_pk_add_f16 v135, v0, v8
	v_pk_add_f16 v8, v2, v8
	;; [unrolled: 1-line block ×11, first 2 shown]
	v_pk_min_f16 v10, v44, s14 op_sel_hi:[1,0]
	v_pk_min_f16 v8, v8, s14 op_sel_hi:[1,0]
	v_pk_min_f16 v119, v10, v2
	v_pk_add_f16 v2, v19, v39
	v_pk_min_f16 v10, v45, s14 op_sel_hi:[1,0]
	v_pk_min_f16 v4, v4, s14 op_sel_hi:[1,0]
	v_pk_min_f16 v118, v10, v2
	v_pk_add_f16 v2, v13, v39
	;; [unrolled: 4-line block ×3, first 2 shown]
	v_pk_min_f16 v10, v47, s14 op_sel_hi:[1,0]
	s_cmp_lt_i32 s18, 9
	v_pk_min_f16 v116, v10, v2
	v_pk_add_f16 v2, v5, v39
	v_pk_min_f16 v10, v48, s14 op_sel_hi:[1,0]
	ds_write_b16 v103, v42 offset:2048
	ds_write_b16_d16_hi v103, v42 offset:2560
	ds_write_b16 v103, v43 offset:3072
	ds_write_b16 v103, v36 offset:3584
	;; [unrolled: 1-line block ×3, first 2 shown]
	v_pk_min_f16 v115, v10, v2
	v_pk_add_f16 v2, v7, v39
	v_pk_min_f16 v10, v49, s14 op_sel_hi:[1,0]
	s_waitcnt lgkmcnt(0)
	v_pk_min_f16 v114, v10, v2
	v_pk_add_f16 v2, v1, v39
	v_pk_min_f16 v10, v52, s14 op_sel_hi:[1,0]
	s_barrier
	v_pk_min_f16 v112, v10, v2
	v_pk_add_f16 v2, v3, v39
	v_pk_min_f16 v10, v38, s14 op_sel_hi:[1,0]
	s_nop 0
	v_pk_min_f16 v113, v10, v2
	v_pk_add_f16 v2, v17, v41
	v_pk_min_f16 v10, v53, s14 op_sel_hi:[1,0]
	s_nop 0
	;; [unrolled: 4-line block ×47, first 2 shown]
	v_pk_min_f16 v62, v10, v2
	v_pk_add_f16 v2, v1, v9
	v_pk_min_f16 v10, v135, s14 op_sel_hi:[1,0]
	v_pk_add_f16 v1, v1, v11
	v_pk_min_f16 v61, v10, v2
	v_pk_add_f16 v2, v3, v9
	s_nop 0
	v_pk_min_f16 v60, v8, v2
	v_pk_add_f16 v2, v17, v11
	v_pk_min_f16 v8, v16, s14 op_sel_hi:[1,0]
	s_nop 0
	v_pk_min_f16 v59, v8, v2
	v_pk_add_f16 v2, v19, v11
	v_pk_min_f16 v8, v18, s14 op_sel_hi:[1,0]
	;; [unrolled: 4-line block ×4, first 2 shown]
	s_nop 0
	v_pk_min_f16 v55, v8, v2
	v_pk_add_f16 v2, v5, v11
	s_nop 0
	v_pk_min_f16 v54, v4, v2
	v_pk_add_f16 v2, v7, v11
	v_pk_min_f16 v4, v6, s14 op_sel_hi:[1,0]
	s_nop 0
	v_pk_min_f16 v52, v4, v2
	v_pk_min_f16 v2, v136, s14 op_sel_hi:[1,0]
	s_nop 0
	v_pk_min_f16 v53, v2, v1
	v_pk_add_f16 v1, v3, v11
	s_nop 0
	v_pk_min_f16 v57, v0, v1
	s_cbranch_scc1 .LBB209_49
; %bb.27:
	v_mov_b32_e32 v0, 0x800
	v_lshl_add_u32 v123, v50, 3, v0
	v_mov_b32_e32 v0, 0x1200
	v_lshl_add_u32 v124, v51, 3, v0
	v_mad_i64_i32 v[0:1], s[30:31], s25, v35, 0
	v_mov_b32_e32 v29, 0
	v_lshl_add_u64 v[0:1], v[0:1], 1, v[28:29]
	s_mov_b32 s15, 0x5040100
	v_lshl_add_u64 v[0:1], s[22:23], 0, v[0:1]
	v_perm_b32 v33, v34, v33, s15
	v_lshl_add_u64 v[34:35], v[0:1], 0, 16
	v_add_u32_e32 v0, 12, v30
	v_mad_i64_i32 v[0:1], s[22:23], v0, s12, 0
	v_add_u32_e32 v120, 0x1000, v37
	v_add_u32_e32 v122, 0x1200, v37
	v_perm_b32 v43, v36, v43, s15
	v_lshlrev_b64 v[36:37], 1, v[0:1]
	v_lshl_or_b32 v0, s2, 8, v31
	s_lshl_b32 s2, s3, 8
	v_subrev_u32_e32 v0, s2, v0
	v_ashrrev_i32_e32 v1, 31, v0
	v_lshl_add_u64 v[38:39], v[0:1], 1, s[20:21]
	v_add_u32_e32 v0, 8, v30
	s_lshl_b64 s[2:3], s[12:13], 4
	v_mad_i64_i32 v[0:1], s[12:13], v0, s12, 0
	v_add_u32_e32 v121, 0x800, v103
	s_add_i32 s14, s18, -8
	v_lshlrev_b64 v[40:41], 1, v[0:1]
	s_mov_b32 s18, 0
	s_mov_b32 s20, 0xffff
	s_mov_b64 s[12:13], -1
	s_mov_b64 vcc, s[4:5]
                                        ; implicit-def: $vgpr0_vgpr1
	s_cbranch_vccz .LBB209_43
.LBB209_28:
	v_and_b32_e32 v0, 0xffff0000, v32
	v_mov_b32_e32 v1, v33
	v_mov_b32_e32 v4, 0
	v_lshl_add_u64 v[2:3], v[38:39], 0, v[40:41]
	s_cbranch_execz .LBB209_44
.LBB209_29:
	v_perm_b32 v32, v4, v0, s15
	s_mov_b64 s[12:13], -1
	s_mov_b64 vcc, s[4:5]
	s_cbranch_vccz .LBB209_45
.LBB209_30:
	v_and_b32_e32 v33, 0xffff0000, v1
	v_mov_b32_e32 v44, 0
	v_mov_b32_e32 v126, 0
	s_cbranch_execz .LBB209_46
.LBB209_31:
	s_and_b64 vcc, exec, s[6:7]
	s_cbranch_vccnz .LBB209_33
.LBB209_32:
	flat_load_ushort v0, v[34:35]
	s_waitcnt vmcnt(0) lgkmcnt(0)
	v_mul_f16_e32 v44, s19, v0
.LBB209_33:
	ds_read2_b64 v[12:15], v123 offset1:32
	ds_read2_b64 v[8:11], v123 offset0:64 offset1:96
	ds_read2_b64 v[4:7], v123 offset0:128 offset1:160
	;; [unrolled: 1-line block ×3, first 2 shown]
	ds_read2_b64 v[28:31], v124 offset1:8
	ds_read2_b64 v[24:27], v124 offset0:16 offset1:24
	ds_read2_b64 v[20:23], v124 offset0:32 offset1:40
	;; [unrolled: 1-line block ×3, first 2 shown]
	s_mov_b64 s[12:13], -1
	s_mov_b64 vcc, s[4:5]
	ds_write_b16 v103, v32
	ds_write_b16_d16_hi v103, v32 offset:512
	ds_write_b16 v103, v33 offset:1024
	ds_write_b16 v103, v126 offset:1536
	ds_write_b16 v120, v44
	s_waitcnt lgkmcnt(0)
	s_barrier
                                        ; implicit-def: $vgpr46_vgpr47
	s_cbranch_vccz .LBB209_35
; %bb.34:
	v_and_b32_e32 v46, 0xffff0000, v42
	v_mov_b32_e32 v47, v43
	v_mov_b32_e32 v44, 0
	v_lshl_add_u64 v[48:49], v[38:39], 0, v[36:37]
	s_cbranch_execnz .LBB209_37
	s_branch .LBB209_36
.LBB209_35:
	v_mov_b32_e32 v44, 0
	s_andn2_b64 vcc, exec, s[12:13]
	v_lshl_add_u64 v[48:49], v[38:39], 0, v[36:37]
	s_cbranch_vccnz .LBB209_37
.LBB209_36:
	flat_load_ushort v44, v[48:49]
	flat_load_ushort v45, v[48:49] offset:128
	s_waitcnt vmcnt(0) lgkmcnt(0)
	v_mul_f16_e32 v44, s19, v44
	v_bfi_b32 v42, s20, v44, v42
	v_mul_f16_e32 v44, s19, v45
	v_mov_b64_e32 v[46:47], v[42:43]
.LBB209_37:
	v_perm_b32 v44, v44, v46, s15
	s_mov_b64 s[12:13], -1
	s_mov_b64 vcc, s[4:5]
                                        ; implicit-def: $vgpr45
	s_cbranch_vccz .LBB209_47
; %bb.38:
	v_and_b32_e32 v45, 0xffff0000, v47
	v_mov_b32_e32 v46, 0
	v_mov_b32_e32 v125, 0
	s_cbranch_execz .LBB209_48
.LBB209_39:
	s_and_b64 vcc, exec, s[6:7]
	s_cbranch_vccnz .LBB209_41
.LBB209_40:
	flat_load_ushort v42, v[34:35] offset:8
	s_waitcnt vmcnt(0) lgkmcnt(0)
	v_mul_f16_e32 v46, s19, v42
.LBB209_41:
	v_pk_add_f16 v42, v12, v28
	v_pk_max_f16 v43, v119, v119
	v_pk_max_f16 v47, v118, v118
	v_pk_min_f16 v42, v43, v42
	v_pk_add_f16 v43, v14, v28
	v_pk_max_f16 v48, v117, v117
	v_pk_min_f16 v43, v47, v43
	v_pk_add_f16 v47, v8, v28
	v_pk_max_f16 v49, v116, v116
	v_pk_min_f16 v47, v48, v47
	v_pk_add_f16 v48, v10, v28
	v_pk_max_f16 v115, v115, v115
	v_pk_min_f16 v48, v49, v48
	v_pk_add_f16 v49, v4, v28
	v_pk_max_f16 v114, v114, v114
	v_pk_min_f16 v49, v115, v49
	v_pk_add_f16 v115, v6, v28
	v_pk_max_f16 v113, v113, v113
	v_pk_min_f16 v114, v114, v115
	v_pk_add_f16 v115, v0, v28
	v_pk_add_f16 v28, v2, v28
	v_pk_max_f16 v111, v111, v111
	v_pk_min_f16 v28, v113, v28
	v_pk_add_f16 v113, v12, v30
	v_pk_max_f16 v110, v110, v110
	v_pk_min_f16 v111, v111, v113
	v_pk_add_f16 v113, v14, v30
	v_pk_max_f16 v109, v109, v109
	v_pk_min_f16 v110, v110, v113
	v_pk_add_f16 v113, v8, v30
	v_pk_max_f16 v108, v108, v108
	v_pk_min_f16 v109, v109, v113
	v_pk_add_f16 v113, v10, v30
	v_pk_max_f16 v107, v107, v107
	v_pk_min_f16 v108, v108, v113
	v_pk_add_f16 v113, v4, v30
	v_pk_max_f16 v106, v106, v106
	v_pk_min_f16 v107, v107, v113
	v_pk_add_f16 v113, v6, v30
	v_pk_max_f16 v102, v102, v102
	v_pk_min_f16 v106, v106, v113
	v_pk_add_f16 v113, v0, v30
	v_pk_add_f16 v30, v2, v30
	v_pk_max_f16 v101, v101, v101
	v_pk_min_f16 v30, v102, v30
	v_pk_add_f16 v102, v12, v24
	;; [unrolled: 22-line block ×6, first 2 shown]
	v_pk_max_f16 v66, v66, v66
	v_pk_min_f16 v67, v67, v68
	v_pk_add_f16 v68, v14, v16
	v_pk_max_f16 v65, v65, v65
	v_pk_min_f16 v66, v66, v68
	v_pk_add_f16 v68, v8, v16
	;; [unrolled: 3-line block ×5, first 2 shown]
	v_pk_add_f16 v12, v12, v18
	v_pk_min_f16 v62, v62, v68
	v_pk_add_f16 v68, v0, v16
	v_pk_add_f16 v16, v2, v16
	;; [unrolled: 1-line block ×9, first 2 shown]
	v_pk_max_f16 v18, v57, v57
	v_pk_max_f16 v56, v56, v56
	v_pk_min_f16 v2, v18, v2
	v_pk_add_f16 v18, v13, v29
	v_pk_min_f16 v8, v56, v8
	v_pk_min_f16 v42, v42, v18
	v_pk_add_f16 v18, v15, v29
	v_pk_max_f16 v112, v112, v112
	v_pk_min_f16 v43, v43, v18
	v_pk_add_f16 v18, v9, v29
	v_pk_min_f16 v112, v112, v115
	v_pk_min_f16 v56, v47, v18
	v_pk_add_f16 v18, v11, v29
	v_pk_max_f16 v58, v58, v58
	v_pk_min_f16 v48, v48, v18
	v_pk_add_f16 v18, v5, v29
	v_pk_max_f16 v60, v60, v60
	v_pk_min_f16 v49, v49, v18
	v_pk_add_f16 v18, v7, v29
	v_pk_min_f16 v14, v58, v14
	v_pk_min_f16 v57, v114, v18
	v_pk_add_f16 v18, v1, v29
	v_pk_max_f16 v61, v61, v61
	v_pk_min_f16 v58, v112, v18
	v_pk_add_f16 v18, v3, v29
	v_pk_min_f16 v16, v60, v16
	v_pk_min_f16 v60, v28, v18
	v_pk_add_f16 v18, v13, v31
	v_pk_max_f16 v69, v69, v69
	v_pk_min_f16 v61, v61, v68
	v_pk_min_f16 v68, v111, v18
	v_pk_add_f16 v18, v15, v31
	v_pk_max_f16 v76, v76, v76
	;; [unrolled: 4-line block ×5, first 2 shown]
	v_pk_min_f16 v94, v94, v102
	v_pk_min_f16 v102, v107, v18
	v_pk_add_f16 v18, v7, v31
	v_pk_min_f16 v104, v104, v113
	v_pk_min_f16 v106, v106, v18
	v_pk_add_f16 v18, v1, v31
	v_pk_max_f16 v55, v55, v55
	v_pk_min_f16 v104, v104, v18
	v_pk_add_f16 v18, v3, v31
	v_pk_max_f16 v52, v52, v52
	v_pk_min_f16 v127, v30, v18
	v_pk_add_f16 v18, v13, v25
	v_pk_min_f16 v10, v55, v10
	v_pk_min_f16 v101, v101, v18
	v_pk_add_f16 v18, v15, v25
	v_pk_max_f16 v54, v54, v54
	v_pk_min_f16 v100, v100, v18
	v_pk_add_f16 v18, v9, v25
	v_pk_min_f16 v6, v52, v6
	;; [unrolled: 6-line block ×3, first 2 shown]
	v_pk_min_f16 v97, v97, v18
	v_pk_add_f16 v18, v7, v25
	v_pk_min_f16 v0, v52, v0
	v_pk_min_f16 v96, v96, v18
	v_pk_add_f16 v18, v1, v25
	v_pk_max_f16 v59, v59, v59
	v_pk_min_f16 v94, v94, v18
	v_pk_add_f16 v18, v3, v25
	v_pk_min_f16 v12, v59, v12
	v_pk_min_f16 v128, v24, v18
	v_pk_add_f16 v18, v13, v27
	v_pk_max_f16 v42, v42, v42
	v_pk_min_f16 v93, v93, v18
	v_pk_add_f16 v18, v15, v27
	v_pk_max_f16 v60, v60, v60
	v_pk_min_f16 v92, v92, v18
	v_pk_add_f16 v18, v9, v27
	v_perm_b32 v33, v126, v33, s15
	v_pk_min_f16 v91, v91, v18
	v_pk_add_f16 v18, v11, v27
	s_add_i32 s18, s18, 8
	v_pk_min_f16 v89, v89, v18
	v_pk_add_f16 v18, v5, v27
	v_lshl_add_u64 v[34:35], v[34:35], 0, 16
	v_pk_min_f16 v87, v87, v18
	v_pk_add_f16 v18, v7, v27
	s_cmp_ge_i32 s18, s14
	v_pk_min_f16 v86, v86, v18
	v_pk_add_f16 v18, v1, v27
	v_lshl_add_u64 v[38:39], v[38:39], 0, s[2:3]
	v_pk_min_f16 v85, v85, v18
	v_pk_add_f16 v18, v3, v27
	s_nop 0
	v_pk_min_f16 v129, v26, v18
	v_pk_add_f16 v18, v13, v21
	s_nop 0
	;; [unrolled: 3-line block ×17, first 2 shown]
	v_pk_min_f16 v131, v22, v18
	v_pk_add_f16 v18, v13, v17
	v_pk_add_f16 v13, v13, v19
	v_pk_min_f16 v47, v67, v18
	v_pk_add_f16 v18, v15, v17
	v_pk_min_f16 v24, v12, v13
	v_pk_min_f16 v31, v66, v18
	v_pk_add_f16 v18, v9, v17
	v_pk_add_f16 v9, v9, v19
	v_pk_min_f16 v30, v65, v18
	v_pk_min_f16 v22, v8, v9
	v_pk_add_f16 v8, v11, v19
	v_pk_add_f16 v18, v11, v17
	v_pk_min_f16 v21, v10, v8
	ds_read2_b64 v[8:11], v90 offset1:32
	ds_read2_b64 v[52:55], v105 offset1:8
	v_pk_min_f16 v29, v64, v18
	v_pk_add_f16 v18, v5, v17
	v_pk_add_f16 v5, v5, v19
	v_pk_min_f16 v28, v63, v18
	v_pk_add_f16 v18, v7, v17
	v_pk_add_f16 v12, v15, v19
	;; [unrolled: 3-line block ×3, first 2 shown]
	v_pk_add_f16 v1, v1, v19
	v_pk_min_f16 v25, v16, v17
	v_pk_min_f16 v20, v4, v5
	v_pk_add_f16 v4, v7, v19
	v_pk_min_f16 v17, v0, v1
	v_pk_add_f16 v0, v3, v19
	v_pk_min_f16 v26, v61, v18
	v_pk_min_f16 v23, v14, v12
	;; [unrolled: 1-line block ×4, first 2 shown]
	ds_read2_b64 v[12:15], v90 offset0:64 offset1:96
	ds_read2_b64 v[4:7], v90 offset0:128 offset1:160
	;; [unrolled: 1-line block ×3, first 2 shown]
	s_waitcnt lgkmcnt(3)
	v_pk_add_f16 v19, v8, v52
	v_pk_add_f16 v59, v10, v52
	;; [unrolled: 1-line block ×3, first 2 shown]
	v_pk_min_f16 v19, v42, v19
	v_pk_max_f16 v42, v43, v43
	v_pk_min_f16 v119, v19, v109
	v_pk_add_f16 v19, v11, v53
	v_pk_min_f16 v42, v42, v59
	s_waitcnt lgkmcnt(2)
	v_pk_add_f16 v61, v12, v52
	v_pk_min_f16 v118, v42, v19
	v_pk_max_f16 v42, v56, v56
	v_pk_add_f16 v19, v13, v53
	v_pk_min_f16 v42, v42, v61
	v_pk_add_f16 v62, v14, v52
	v_pk_min_f16 v117, v42, v19
	v_pk_max_f16 v42, v48, v48
	v_pk_add_f16 v19, v15, v53
	v_pk_min_f16 v42, v42, v62
	s_waitcnt lgkmcnt(1)
	v_pk_add_f16 v63, v4, v52
	v_pk_min_f16 v116, v42, v19
	v_pk_max_f16 v42, v49, v49
	v_pk_add_f16 v19, v5, v53
	v_pk_min_f16 v42, v42, v63
	v_pk_add_f16 v64, v6, v52
	v_pk_min_f16 v115, v42, v19
	v_pk_max_f16 v42, v57, v57
	v_pk_add_f16 v19, v7, v53
	v_pk_min_f16 v42, v42, v64
	s_waitcnt lgkmcnt(0)
	v_pk_add_f16 v65, v0, v52
	v_pk_min_f16 v114, v42, v19
	v_pk_max_f16 v42, v58, v58
	v_pk_add_f16 v52, v2, v52
	v_pk_add_f16 v19, v1, v53
	v_pk_min_f16 v42, v42, v65
	v_pk_min_f16 v52, v60, v52
	;; [unrolled: 1-line block ×3, first 2 shown]
	v_pk_add_f16 v19, v3, v53
	v_pk_add_f16 v66, v8, v54
	v_pk_min_f16 v113, v52, v19
	v_pk_max_f16 v52, v68, v68
	v_pk_add_f16 v42, v9, v55
	v_pk_min_f16 v52, v52, v66
	v_pk_add_f16 v67, v10, v54
	v_pk_min_f16 v111, v52, v42
	v_pk_max_f16 v52, v78, v78
	v_pk_add_f16 v43, v11, v55
	v_pk_min_f16 v52, v52, v67
	;; [unrolled: 5-line block ×5, first 2 shown]
	v_pk_add_f16 v132, v6, v54
	ds_read2_b64 v[56:59], v105 offset0:16 offset1:24
	v_pk_min_f16 v107, v52, v53
	v_pk_max_f16 v52, v106, v106
	v_pk_add_f16 v61, v7, v55
	v_pk_min_f16 v52, v52, v132
	v_pk_add_f16 v133, v0, v54
	v_pk_min_f16 v106, v52, v61
	v_pk_max_f16 v52, v104, v104
	v_pk_add_f16 v62, v1, v55
	v_pk_min_f16 v52, v52, v133
	v_pk_add_f16 v54, v2, v54
	v_pk_min_f16 v104, v52, v62
	v_pk_max_f16 v52, v127, v127
	v_pk_add_f16 v55, v3, v55
	s_waitcnt lgkmcnt(0)
	v_pk_add_f16 v19, v8, v56
	v_pk_min_f16 v52, v52, v54
	v_pk_max_f16 v53, v101, v101
	v_pk_min_f16 v102, v52, v55
	v_pk_add_f16 v52, v9, v57
	v_pk_min_f16 v19, v53, v19
	v_pk_add_f16 v60, v10, v56
	v_pk_min_f16 v101, v19, v52
	v_pk_max_f16 v52, v100, v100
	v_pk_add_f16 v19, v11, v57
	v_pk_min_f16 v52, v52, v60
	v_pk_add_f16 v42, v12, v56
	v_pk_min_f16 v100, v52, v19
	v_pk_max_f16 v52, v99, v99
	;; [unrolled: 5-line block ×6, first 2 shown]
	v_pk_add_f16 v56, v2, v56
	v_pk_add_f16 v19, v1, v57
	v_pk_min_f16 v42, v42, v48
	v_pk_max_f16 v78, v128, v128
	v_pk_min_f16 v94, v42, v19
	v_pk_add_f16 v19, v3, v57
	v_pk_min_f16 v56, v78, v56
	v_pk_add_f16 v49, v8, v58
	v_pk_min_f16 v95, v56, v19
	v_pk_max_f16 v56, v93, v93
	v_pk_add_f16 v42, v9, v59
	v_pk_min_f16 v49, v56, v49
	v_pk_add_f16 v65, v10, v58
	v_pk_min_f16 v93, v49, v42
	v_pk_max_f16 v49, v92, v92
	;; [unrolled: 5-line block ×5, first 2 shown]
	v_pk_add_f16 v60, v5, v59
	v_pk_min_f16 v57, v57, v61
	v_pk_add_f16 v68, v6, v58
	ds_read2_b64 v[52:55], v105 offset0:32 offset1:40
	v_pk_min_f16 v87, v57, v60
	v_pk_max_f16 v57, v86, v86
	v_pk_add_f16 v63, v7, v59
	v_pk_min_f16 v57, v57, v68
	v_pk_add_f16 v62, v0, v58
	v_pk_min_f16 v86, v57, v63
	v_pk_max_f16 v57, v85, v85
	v_pk_add_f16 v64, v1, v59
	v_pk_min_f16 v57, v57, v62
	v_pk_add_f16 v58, v2, v58
	v_pk_min_f16 v85, v57, v64
	v_pk_max_f16 v57, v129, v129
	s_waitcnt lgkmcnt(0)
	v_pk_add_f16 v19, v8, v52
	v_pk_add_f16 v49, v8, v54
	;; [unrolled: 1-line block ×8, first 2 shown]
	v_pk_min_f16 v57, v57, v58
	v_pk_add_f16 v58, v2, v54
	v_pk_max_f16 v54, v83, v83
	v_pk_add_f16 v56, v10, v52
	v_pk_min_f16 v19, v54, v19
	v_pk_add_f16 v54, v9, v53
	v_pk_add_f16 v42, v12, v52
	v_pk_min_f16 v83, v19, v54
	v_pk_max_f16 v19, v82, v82
	v_pk_add_f16 v54, v11, v53
	v_pk_min_f16 v19, v19, v56
	v_pk_add_f16 v65, v14, v52
	v_pk_min_f16 v82, v19, v54
	v_pk_max_f16 v19, v81, v81
	v_pk_add_f16 v43, v4, v52
	v_pk_min_f16 v19, v19, v42
	v_pk_add_f16 v42, v13, v53
	v_pk_add_f16 v66, v6, v52
	v_pk_min_f16 v81, v19, v42
	v_pk_max_f16 v19, v80, v80
	v_pk_add_f16 v42, v15, v53
	v_pk_min_f16 v19, v19, v65
	v_pk_add_f16 v48, v0, v52
	v_pk_min_f16 v80, v19, v42
	v_pk_max_f16 v19, v79, v79
	v_pk_add_f16 v42, v5, v53
	v_pk_min_f16 v19, v19, v43
	;; [unrolled: 5-line block ×5, first 2 shown]
	v_pk_min_f16 v84, v57, v59
	v_pk_min_f16 v78, v19, v42
	v_pk_max_f16 v19, v75, v75
	v_pk_add_f16 v52, v11, v55
	v_pk_min_f16 v19, v19, v49
	v_pk_add_f16 v53, v13, v55
	v_pk_min_f16 v75, v19, v48
	v_pk_max_f16 v48, v74, v74
	v_pk_add_f16 v59, v15, v55
	v_pk_add_f16 v65, v5, v55
	;; [unrolled: 1-line block ×5, first 2 shown]
	ds_read2_b64 v[54:57], v105 offset0:48 offset1:56
	v_pk_min_f16 v48, v48, v61
	v_pk_max_f16 v47, v47, v47
	v_pk_min_f16 v74, v48, v52
	v_pk_max_f16 v52, v73, v73
	s_waitcnt lgkmcnt(0)
	v_pk_add_f16 v19, v8, v54
	v_pk_min_f16 v52, v52, v60
	v_pk_min_f16 v19, v47, v19
	v_pk_min_f16 v73, v52, v53
	v_pk_max_f16 v53, v72, v72
	v_pk_add_f16 v47, v9, v55
	v_pk_min_f16 v53, v53, v67
	v_pk_add_f16 v49, v10, v54
	v_pk_min_f16 v72, v53, v59
	v_pk_max_f16 v59, v71, v71
	v_pk_min_f16 v67, v19, v47
	v_pk_min_f16 v59, v59, v63
	v_pk_max_f16 v19, v31, v31
	v_pk_min_f16 v71, v59, v65
	v_pk_max_f16 v59, v70, v70
	v_pk_add_f16 v48, v12, v54
	v_pk_min_f16 v59, v59, v62
	v_pk_min_f16 v19, v19, v49
	v_pk_add_f16 v31, v11, v55
	v_pk_max_f16 v30, v30, v30
	v_pk_add_f16 v60, v14, v54
	v_pk_min_f16 v70, v59, v66
	v_pk_min_f16 v66, v19, v31
	v_pk_add_f16 v19, v13, v55
	v_pk_min_f16 v30, v30, v48
	v_pk_max_f16 v29, v29, v29
	v_pk_add_f16 v52, v4, v54
	v_pk_max_f16 v59, v69, v69
	v_pk_min_f16 v65, v30, v19
	v_pk_add_f16 v19, v15, v55
	v_pk_min_f16 v29, v29, v60
	v_pk_max_f16 v28, v28, v28
	v_pk_add_f16 v61, v6, v54
	v_pk_min_f16 v59, v59, v64
	v_pk_min_f16 v64, v29, v19
	v_pk_add_f16 v19, v5, v55
	v_pk_min_f16 v28, v28, v52
	v_pk_max_f16 v27, v27, v27
	v_pk_add_f16 v53, v0, v54
	v_pk_min_f16 v63, v28, v19
	v_pk_add_f16 v19, v7, v55
	v_pk_min_f16 v27, v27, v61
	v_pk_max_f16 v26, v26, v26
	v_pk_add_f16 v54, v2, v54
	v_pk_min_f16 v62, v27, v19
	v_pk_add_f16 v19, v1, v55
	v_pk_min_f16 v26, v26, v53
	v_pk_max_f16 v25, v25, v25
	v_pk_min_f16 v61, v26, v19
	v_pk_add_f16 v19, v3, v55
	v_pk_min_f16 v25, v25, v54
	v_pk_add_f16 v8, v8, v56
	v_pk_min_f16 v60, v25, v19
	v_pk_max_f16 v19, v24, v24
	v_pk_min_f16 v69, v59, v68
	v_pk_max_f16 v59, v131, v131
	v_pk_add_f16 v9, v9, v57
	v_pk_min_f16 v8, v19, v8
	v_pk_add_f16 v10, v10, v56
	v_pk_min_f16 v58, v59, v58
	v_pk_min_f16 v59, v8, v9
	v_pk_max_f16 v9, v23, v23
	v_pk_add_f16 v8, v11, v57
	v_pk_min_f16 v9, v9, v10
	v_pk_add_f16 v12, v12, v56
	v_pk_min_f16 v68, v58, v126
	v_pk_min_f16 v58, v9, v8
	v_pk_max_f16 v9, v22, v22
	v_pk_add_f16 v8, v13, v57
	v_pk_min_f16 v9, v9, v12
	v_pk_add_f16 v14, v14, v56
	v_pk_add_f16 v4, v4, v56
	;; [unrolled: 1-line block ×5, first 2 shown]
	v_pk_min_f16 v56, v9, v8
	v_pk_max_f16 v9, v21, v21
	v_pk_add_f16 v8, v15, v57
	v_pk_min_f16 v9, v9, v14
	v_pk_add_f16 v5, v5, v57
	v_pk_min_f16 v55, v9, v8
	v_pk_max_f16 v8, v20, v20
	v_pk_add_f16 v1, v1, v57
	v_pk_min_f16 v4, v8, v4
	v_perm_b32 v43, v125, v45, s15
	v_pk_min_f16 v54, v4, v5
	v_pk_max_f16 v5, v18, v18
	v_pk_add_f16 v4, v7, v57
	v_pk_min_f16 v5, v5, v6
	ds_write_b16 v121, v44
	ds_write_b16_d16_hi v121, v44 offset:512
	ds_write_b16 v121, v45 offset:1024
	ds_write_b16 v121, v125 offset:1536
	ds_write_b16 v122, v46
	v_pk_min_f16 v52, v5, v4
	v_pk_max_f16 v4, v17, v17
	s_waitcnt lgkmcnt(0)
	v_pk_min_f16 v0, v4, v0
	s_barrier
	v_pk_min_f16 v53, v0, v1
	v_pk_max_f16 v1, v16, v16
	v_pk_add_f16 v0, v3, v57
	v_pk_min_f16 v1, v1, v2
	s_nop 0
	v_pk_min_f16 v57, v1, v0
	s_cbranch_scc1 .LBB209_49
; %bb.42:
	v_mov_b32_e32 v42, v44
	s_mov_b64 s[12:13], -1
	s_mov_b64 vcc, s[4:5]
                                        ; implicit-def: $vgpr0_vgpr1
	s_cbranch_vccnz .LBB209_28
.LBB209_43:
	v_mov_b32_e32 v4, 0
	s_andn2_b64 vcc, exec, s[12:13]
	v_lshl_add_u64 v[2:3], v[38:39], 0, v[40:41]
	s_cbranch_vccnz .LBB209_29
.LBB209_44:
	flat_load_ushort v0, v[2:3]
	flat_load_ushort v1, v[2:3] offset:128
	s_waitcnt vmcnt(0) lgkmcnt(0)
	v_mul_f16_e32 v0, s19, v0
	v_bfi_b32 v32, s20, v0, v32
	v_mul_f16_e32 v4, s19, v1
	v_mov_b64_e32 v[0:1], v[32:33]
	v_perm_b32 v32, v4, v0, s15
	s_mov_b64 s[12:13], -1
	s_mov_b64 vcc, s[4:5]
	s_cbranch_vccnz .LBB209_30
.LBB209_45:
	v_mov_b32_e32 v44, 0
	s_andn2_b64 vcc, exec, s[12:13]
	v_mov_b32_e32 v126, 0
	s_cbranch_vccnz .LBB209_31
.LBB209_46:
	flat_load_ushort v0, v[2:3] offset:256
	flat_load_ushort v4, v[2:3] offset:384
	s_waitcnt vmcnt(0) lgkmcnt(0)
	v_mul_f16_e32 v0, s19, v0
	v_bfi_b32 v33, s20, v0, v1
	v_mul_f16_e32 v126, s19, v4
	s_and_b64 vcc, exec, s[6:7]
	s_cbranch_vccz .LBB209_32
	s_branch .LBB209_33
.LBB209_47:
	v_mov_b32_e32 v46, 0
	s_andn2_b64 vcc, exec, s[12:13]
	v_mov_b32_e32 v125, 0
	s_cbranch_vccnz .LBB209_39
.LBB209_48:
	flat_load_ushort v42, v[48:49] offset:256
	flat_load_ushort v43, v[48:49] offset:384
	s_waitcnt vmcnt(0) lgkmcnt(0)
	v_mul_f16_e32 v42, s19, v42
	v_bfi_b32 v45, s20, v42, v47
	v_mul_f16_e32 v125, s19, v43
	s_and_b64 vcc, exec, s[6:7]
	s_cbranch_vccz .LBB209_40
	s_branch .LBB209_41
.LBB209_49:
	s_load_dword s6, s[0:1], 0x50
	ds_read_b64 v[30:31], v90 offset:2048
	ds_read_b64 v[46:47], v88 offset:4608
	v_add_u32_e32 v103, s24, v51
	v_cmp_neq_f16_e64 s[4:5], s28, 0
	v_add_u32_e32 v28, s26, v50
	s_waitcnt lgkmcnt(0)
	v_mad_i64_i32 v[0:1], s[2:3], v103, s6, 0
	v_ashrrev_i32_e32 v29, 31, v28
	v_lshl_add_u64 v[48:49], v[0:1], 1, s[16:17]
	v_mov_b32_e32 v34, 0
	s_and_b64 vcc, exec, s[4:5]
	v_mov_b32_e32 v35, 0
	s_cbranch_vccz .LBB209_51
; %bb.50:
	v_lshl_add_u64 v[0:1], v[28:29], 1, v[48:49]
	flat_load_ushort v0, v[0:1]
	s_waitcnt vmcnt(0) lgkmcnt(0)
	v_mul_f16_e32 v0, s28, v0
	v_cvt_f32_f16_e32 v35, v0
.LBB209_51:
	v_pk_add_f16 v32, v30, v46
	v_max_f16_e32 v33, v119, v119
	v_pk_add_f16 v37, v31, v47
	v_min_f16_e32 v36, v33, v32
	v_lshrrev_b32_e32 v33, 16, v119
	v_lshrrev_b32_e32 v32, 16, v32
	;; [unrolled: 1-line block ×3, first 2 shown]
	v_add_u32_e32 v0, 0x800, v90
	v_min3_f16 v38, v33, v32, v38
	ds_read2_b64 v[8:11], v0 offset0:32 offset1:64
	ds_read2_b64 v[4:7], v0 offset0:96 offset1:128
	;; [unrolled: 1-line block ×3, first 2 shown]
	ds_read_b64 v[24:25], v90 offset:3840
	s_load_dword s7, s[0:1], 0x68
	s_load_dwordx2 s[2:3], s[0:1], 0x70
	v_min3_f16 v36, v36, v37, v38
	v_cvt_f32_f16_e32 v38, v36
	v_add_u32_e32 v12, 0x1000, v88
	ds_read2_b64 v[20:23], v12 offset0:72 offset1:80
	ds_read2_b64 v[16:19], v12 offset0:88 offset1:96
	;; [unrolled: 1-line block ×3, first 2 shown]
	ds_read_b64 v[26:27], v88 offset:5056
	v_max_f32_e32 v35, v35, v35
	s_waitcnt lgkmcnt(0)
	s_lshl_b64 s[0:1], s[2:3], 1
	v_min_f32_e32 v35, v35, v38
	s_add_u32 s2, s10, s0
	v_cvt_f16_f32_e32 v35, v35
	s_addc_u32 s3, s11, s1
	v_mad_i64_i32 v[36:37], s[0:1], v103, s7, 0
	v_add_u32_e32 v32, 32, v28
	v_lshl_add_u64 v[50:51], v[36:37], 1, s[2:3]
	v_cndmask_b32_e64 v38, 0, 1, s[4:5]
	v_ashrrev_i32_e32 v33, 31, v32
	v_lshl_add_u64 v[36:37], v[28:29], 1, v[50:51]
	v_cmp_ne_u32_e64 s[0:1], 1, v38
	s_andn2_b64 vcc, exec, s[4:5]
	flat_store_short v[36:37], v35
	s_cbranch_vccnz .LBB209_53
; %bb.52:
	v_lshl_add_u64 v[34:35], v[32:33], 1, v[48:49]
	flat_load_ushort v34, v[34:35]
	s_waitcnt vmcnt(0) lgkmcnt(0)
	v_mul_f16_e32 v34, s28, v34
	v_cvt_f32_f16_e32 v34, v34
.LBB209_53:
	v_pk_add_f16 v35, v8, v46
	v_max_f16_e32 v36, v118, v118
	v_pk_add_f16 v38, v9, v47
	v_min_f16_e32 v36, v36, v35
	v_lshrrev_b32_e32 v37, 16, v118
	v_lshrrev_b32_e32 v35, 16, v35
	;; [unrolled: 1-line block ×3, first 2 shown]
	v_min3_f16 v35, v37, v35, v39
	v_min3_f16 v35, v36, v38, v35
	v_cvt_f32_f16_e32 v35, v35
	v_max_f32_e32 v34, v34, v34
	v_lshl_add_u64 v[36:37], v[32:33], 1, v[50:51]
	s_and_b64 vcc, exec, s[0:1]
	v_min_f32_e32 v34, v34, v35
	v_cvt_f16_f32_e32 v38, v34
	v_add_u32_e32 v34, 64, v28
	v_ashrrev_i32_e32 v35, 31, v34
	flat_store_short v[36:37], v38
	v_mov_b32_e32 v38, 0
	v_mov_b32_e32 v37, 0
	s_cbranch_vccnz .LBB209_55
; %bb.54:
	v_lshl_add_u64 v[36:37], v[34:35], 1, v[48:49]
	flat_load_ushort v36, v[36:37]
	s_waitcnt vmcnt(0) lgkmcnt(0)
	v_mul_f16_e32 v36, s28, v36
	v_cvt_f32_f16_e32 v37, v36
.LBB209_55:
	v_pk_add_f16 v36, v10, v46
	v_max_f16_e32 v39, v117, v117
	v_pk_add_f16 v41, v11, v47
	v_min_f16_e32 v39, v39, v36
	v_lshrrev_b32_e32 v40, 16, v117
	v_lshrrev_b32_e32 v36, 16, v36
	;; [unrolled: 1-line block ×3, first 2 shown]
	v_min3_f16 v36, v40, v36, v42
	v_min3_f16 v36, v39, v41, v36
	v_cvt_f32_f16_e32 v39, v36
	v_max_f32_e32 v37, v37, v37
	v_add_u32_e32 v36, 0x60, v28
	v_lshl_add_u64 v[40:41], v[34:35], 1, v[50:51]
	v_min_f32_e32 v37, v37, v39
	v_cvt_f16_f32_e32 v39, v37
	v_ashrrev_i32_e32 v37, 31, v36
	s_and_b64 vcc, exec, s[0:1]
	flat_store_short v[40:41], v39
	s_cbranch_vccnz .LBB209_57
; %bb.56:
	v_lshl_add_u64 v[38:39], v[36:37], 1, v[48:49]
	flat_load_ushort v38, v[38:39]
	s_waitcnt vmcnt(0) lgkmcnt(0)
	v_mul_f16_e32 v38, s28, v38
	v_cvt_f32_f16_e32 v38, v38
.LBB209_57:
	v_pk_add_f16 v39, v4, v46
	v_max_f16_e32 v40, v116, v116
	v_pk_add_f16 v42, v5, v47
	v_min_f16_e32 v40, v40, v39
	v_lshrrev_b32_e32 v41, 16, v116
	v_lshrrev_b32_e32 v39, 16, v39
	;; [unrolled: 1-line block ×3, first 2 shown]
	v_min3_f16 v39, v41, v39, v43
	v_min3_f16 v39, v40, v42, v39
	v_cvt_f32_f16_e32 v39, v39
	v_max_f32_e32 v38, v38, v38
	v_add_u32_e32 v40, 0x80, v28
	v_ashrrev_i32_e32 v41, 31, v40
	v_min_f32_e32 v38, v38, v39
	v_cvt_f16_f32_e32 v42, v38
	v_lshl_add_u64 v[38:39], v[36:37], 1, v[50:51]
	s_and_b64 vcc, exec, s[0:1]
	flat_store_short v[38:39], v42
	v_mov_b32_e32 v42, 0
	v_mov_b32_e32 v39, 0
	s_cbranch_vccnz .LBB209_59
; %bb.58:
	v_lshl_add_u64 v[38:39], v[40:41], 1, v[48:49]
	flat_load_ushort v38, v[38:39]
	s_waitcnt vmcnt(0) lgkmcnt(0)
	v_mul_f16_e32 v38, s28, v38
	v_cvt_f32_f16_e32 v39, v38
.LBB209_59:
	v_pk_add_f16 v38, v6, v46
	v_max_f16_e32 v43, v115, v115
	v_pk_add_f16 v45, v7, v47
	v_min_f16_e32 v43, v43, v38
	v_lshrrev_b32_e32 v44, 16, v115
	v_lshrrev_b32_e32 v38, 16, v38
	;; [unrolled: 1-line block ×3, first 2 shown]
	v_min3_f16 v38, v44, v38, v88
	v_min3_f16 v38, v43, v45, v38
	v_cvt_f32_f16_e32 v43, v38
	v_max_f32_e32 v39, v39, v39
	v_add_u32_e32 v38, 0xa0, v28
	v_lshl_add_u64 v[44:45], v[40:41], 1, v[50:51]
	v_min_f32_e32 v39, v39, v43
	v_cvt_f16_f32_e32 v43, v39
	v_ashrrev_i32_e32 v39, 31, v38
	s_and_b64 vcc, exec, s[0:1]
	flat_store_short v[44:45], v43
	s_cbranch_vccnz .LBB209_61
; %bb.60:
	v_lshl_add_u64 v[42:43], v[38:39], 1, v[48:49]
	flat_load_ushort v42, v[42:43]
	s_waitcnt vmcnt(0) lgkmcnt(0)
	v_mul_f16_e32 v42, s28, v42
	v_cvt_f32_f16_e32 v42, v42
.LBB209_61:
	v_pk_add_f16 v43, v0, v46
	v_max_f16_e32 v44, v114, v114
	v_pk_add_f16 v88, v1, v47
	v_min_f16_e32 v44, v44, v43
	v_lshrrev_b32_e32 v45, 16, v114
	v_lshrrev_b32_e32 v43, 16, v43
	;; [unrolled: 1-line block ×3, first 2 shown]
	v_min3_f16 v43, v45, v43, v90
	v_min3_f16 v43, v44, v88, v43
	v_cvt_f32_f16_e32 v43, v43
	v_max_f32_e32 v42, v42, v42
	v_lshl_add_u64 v[44:45], v[38:39], 1, v[50:51]
	s_and_b64 vcc, exec, s[0:1]
	v_min_f32_e32 v42, v42, v43
	v_cvt_f16_f32_e32 v88, v42
	v_add_u32_e32 v42, 0xc0, v28
	v_ashrrev_i32_e32 v43, 31, v42
	flat_store_short v[44:45], v88
	v_mov_b32_e32 v88, 0
	v_mov_b32_e32 v45, 0
	s_cbranch_vccnz .LBB209_63
; %bb.62:
	v_lshl_add_u64 v[44:45], v[42:43], 1, v[48:49]
	flat_load_ushort v44, v[44:45]
	s_waitcnt vmcnt(0) lgkmcnt(0)
	v_mul_f16_e32 v44, s28, v44
	v_cvt_f32_f16_e32 v45, v44
.LBB209_63:
	v_pk_add_f16 v44, v2, v46
	v_max_f16_e32 v90, v112, v112
	v_lshrrev_b32_e32 v105, 16, v112
	v_pk_add_f16 v112, v3, v47
	v_min_f16_e32 v90, v90, v44
	v_lshrrev_b32_e32 v44, 16, v44
	v_lshrrev_b32_e32 v114, 16, v112
	v_min3_f16 v44, v105, v44, v114
	v_min3_f16 v44, v90, v112, v44
	v_cvt_f32_f16_e32 v90, v44
	v_max_f32_e32 v45, v45, v45
	v_add_u32_e32 v44, 0xe0, v28
	v_lshl_add_u64 v[114:115], v[42:43], 1, v[50:51]
	v_min_f32_e32 v45, v45, v90
	v_cvt_f16_f32_e32 v90, v45
	v_ashrrev_i32_e32 v45, 31, v44
	s_and_b64 vcc, exec, s[0:1]
	flat_store_short v[114:115], v90
	s_cbranch_vccnz .LBB209_65
; %bb.64:
	v_lshl_add_u64 v[48:49], v[44:45], 1, v[48:49]
	flat_load_ushort v48, v[48:49]
	s_waitcnt vmcnt(0) lgkmcnt(0)
	v_mul_f16_e32 v48, s28, v48
	v_cvt_f32_f16_e32 v88, v48
.LBB209_65:
	v_pk_add_f16 v46, v24, v46
	v_max_f16_e32 v48, v113, v113
	v_pk_add_f16 v47, v25, v47
	v_min_f16_e32 v48, v48, v46
	v_lshrrev_b32_e32 v49, 16, v113
	v_lshrrev_b32_e32 v46, 16, v46
	;; [unrolled: 1-line block ×3, first 2 shown]
	v_min3_f16 v46, v49, v46, v90
	v_min3_f16 v46, v48, v47, v46
	v_cvt_f32_f16_e32 v46, v46
	v_max_f32_e32 v47, v88, v88
	s_and_b64 vcc, exec, s[0:1]
	v_mov_b32_e32 v49, 0
	v_min_f32_e32 v46, v47, v46
	v_cvt_f16_f32_e32 v48, v46
	v_lshl_add_u64 v[46:47], v[44:45], 1, v[50:51]
	v_mov_b32_e32 v50, 0
	flat_store_short v[46:47], v48
	v_add_u32_e32 v48, 8, v103
	v_mad_i64_i32 v[46:47], s[4:5], v48, s6, 0
	v_lshl_add_u64 v[46:47], v[46:47], 1, s[16:17]
	s_cbranch_vccnz .LBB209_67
; %bb.66:
	v_lshl_add_u64 v[112:113], v[28:29], 1, v[46:47]
	flat_load_ushort v49, v[112:113]
	s_waitcnt vmcnt(0) lgkmcnt(0)
	v_mul_f16_e32 v49, s28, v49
	v_cvt_f32_f16_e32 v49, v49
.LBB209_67:
	v_pk_add_f16 v51, v30, v20
	v_max_f16_e32 v88, v111, v111
	v_pk_add_f16 v105, v31, v21
	v_min_f16_e32 v88, v88, v51
	v_lshrrev_b32_e32 v90, 16, v111
	v_lshrrev_b32_e32 v51, 16, v51
	;; [unrolled: 1-line block ×3, first 2 shown]
	v_min3_f16 v51, v90, v51, v111
	v_min3_f16 v51, v88, v105, v51
	v_cvt_f32_f16_e32 v51, v51
	v_mad_i64_i32 v[112:113], s[4:5], v48, s7, 0
	v_max_f32_e32 v48, v49, v49
	v_min_f32_e32 v48, v48, v51
	v_cvt_f16_f32_e32 v51, v48
	v_lshl_add_u64 v[48:49], v[112:113], 1, s[2:3]
	v_lshl_add_u64 v[112:113], v[28:29], 1, v[48:49]
	s_and_b64 vcc, exec, s[0:1]
	flat_store_short v[112:113], v51
	s_cbranch_vccnz .LBB209_69
; %bb.68:
	v_lshl_add_u64 v[50:51], v[32:33], 1, v[46:47]
	flat_load_ushort v50, v[50:51]
	s_waitcnt vmcnt(0) lgkmcnt(0)
	v_mul_f16_e32 v50, s28, v50
	v_cvt_f32_f16_e32 v50, v50
.LBB209_69:
	v_pk_add_f16 v51, v8, v20
	v_max_f16_e32 v88, v110, v110
	v_pk_add_f16 v105, v9, v21
	v_min_f16_e32 v88, v88, v51
	v_lshrrev_b32_e32 v90, 16, v110
	v_lshrrev_b32_e32 v51, 16, v51
	;; [unrolled: 1-line block ×3, first 2 shown]
	v_min3_f16 v51, v90, v51, v110
	v_min3_f16 v51, v88, v105, v51
	v_cvt_f32_f16_e32 v51, v51
	v_max_f32_e32 v50, v50, v50
	s_and_b64 vcc, exec, s[0:1]
	v_min_f32_e32 v50, v50, v51
	v_cvt_f16_f32_e32 v88, v50
	v_lshl_add_u64 v[50:51], v[32:33], 1, v[48:49]
	flat_store_short v[50:51], v88
	v_mov_b32_e32 v50, 0
	v_mov_b32_e32 v51, 0
	s_cbranch_vccnz .LBB209_71
; %bb.70:
	v_lshl_add_u64 v[110:111], v[34:35], 1, v[46:47]
	flat_load_ushort v51, v[110:111]
	s_waitcnt vmcnt(0) lgkmcnt(0)
	v_mul_f16_e32 v51, s28, v51
	v_cvt_f32_f16_e32 v51, v51
.LBB209_71:
	v_pk_add_f16 v88, v10, v20
	v_max_f16_e32 v90, v109, v109
	v_lshrrev_b32_e32 v105, 16, v109
	v_pk_add_f16 v109, v11, v21
	v_min_f16_e32 v90, v90, v88
	v_lshrrev_b32_e32 v88, 16, v88
	v_lshrrev_b32_e32 v110, 16, v109
	v_min3_f16 v88, v105, v88, v110
	v_min3_f16 v88, v90, v109, v88
	v_cvt_f32_f16_e32 v88, v88
	v_max_f32_e32 v51, v51, v51
	v_lshl_add_u64 v[110:111], v[34:35], 1, v[48:49]
	s_and_b64 vcc, exec, s[0:1]
	v_min_f32_e32 v51, v51, v88
	v_cvt_f16_f32_e32 v51, v51
	flat_store_short v[110:111], v51
	s_cbranch_vccnz .LBB209_73
; %bb.72:
	v_lshl_add_u64 v[50:51], v[36:37], 1, v[46:47]
	flat_load_ushort v50, v[50:51]
	s_waitcnt vmcnt(0) lgkmcnt(0)
	v_mul_f16_e32 v50, s28, v50
	v_cvt_f32_f16_e32 v50, v50
.LBB209_73:
	v_pk_add_f16 v51, v4, v20
	v_max_f16_e32 v88, v108, v108
	v_pk_add_f16 v105, v5, v21
	v_min_f16_e32 v88, v88, v51
	v_lshrrev_b32_e32 v90, 16, v108
	v_lshrrev_b32_e32 v51, 16, v51
	;; [unrolled: 1-line block ×3, first 2 shown]
	v_min3_f16 v51, v90, v51, v108
	v_min3_f16 v51, v88, v105, v51
	v_cvt_f32_f16_e32 v51, v51
	v_max_f32_e32 v50, v50, v50
	s_and_b64 vcc, exec, s[0:1]
	v_min_f32_e32 v50, v50, v51
	v_cvt_f16_f32_e32 v88, v50
	v_lshl_add_u64 v[50:51], v[36:37], 1, v[48:49]
	flat_store_short v[50:51], v88
	v_mov_b32_e32 v50, 0
	v_mov_b32_e32 v51, 0
	s_cbranch_vccnz .LBB209_75
; %bb.74:
	v_lshl_add_u64 v[108:109], v[40:41], 1, v[46:47]
	flat_load_ushort v51, v[108:109]
	s_waitcnt vmcnt(0) lgkmcnt(0)
	v_mul_f16_e32 v51, s28, v51
	v_cvt_f32_f16_e32 v51, v51
.LBB209_75:
	v_pk_add_f16 v88, v6, v20
	v_max_f16_e32 v90, v107, v107
	v_lshrrev_b32_e32 v105, 16, v107
	v_pk_add_f16 v107, v7, v21
	v_min_f16_e32 v90, v90, v88
	v_lshrrev_b32_e32 v88, 16, v88
	v_lshrrev_b32_e32 v108, 16, v107
	v_min3_f16 v88, v105, v88, v108
	v_min3_f16 v88, v90, v107, v88
	v_cvt_f32_f16_e32 v88, v88
	v_max_f32_e32 v51, v51, v51
	v_lshl_add_u64 v[108:109], v[40:41], 1, v[48:49]
	s_and_b64 vcc, exec, s[0:1]
	v_min_f32_e32 v51, v51, v88
	v_cvt_f16_f32_e32 v51, v51
	flat_store_short v[108:109], v51
	s_cbranch_vccnz .LBB209_77
; %bb.76:
	v_lshl_add_u64 v[50:51], v[38:39], 1, v[46:47]
	flat_load_ushort v50, v[50:51]
	s_waitcnt vmcnt(0) lgkmcnt(0)
	v_mul_f16_e32 v50, s28, v50
	v_cvt_f32_f16_e32 v50, v50
.LBB209_77:
	v_pk_add_f16 v51, v0, v20
	v_max_f16_e32 v88, v106, v106
	v_pk_add_f16 v105, v1, v21
	v_min_f16_e32 v88, v88, v51
	v_lshrrev_b32_e32 v90, 16, v106
	v_lshrrev_b32_e32 v51, 16, v51
	;; [unrolled: 1-line block ×3, first 2 shown]
	v_min3_f16 v51, v90, v51, v106
	v_min3_f16 v51, v88, v105, v51
	v_cvt_f32_f16_e32 v51, v51
	v_max_f32_e32 v50, v50, v50
	s_and_b64 vcc, exec, s[0:1]
	v_min_f32_e32 v50, v50, v51
	v_cvt_f16_f32_e32 v88, v50
	v_lshl_add_u64 v[50:51], v[38:39], 1, v[48:49]
	flat_store_short v[50:51], v88
	v_mov_b32_e32 v50, 0
	v_mov_b32_e32 v51, 0
	s_cbranch_vccnz .LBB209_79
; %bb.78:
	v_lshl_add_u64 v[106:107], v[42:43], 1, v[46:47]
	flat_load_ushort v51, v[106:107]
	s_waitcnt vmcnt(0) lgkmcnt(0)
	v_mul_f16_e32 v51, s28, v51
	v_cvt_f32_f16_e32 v51, v51
.LBB209_79:
	v_pk_add_f16 v88, v2, v20
	v_max_f16_e32 v90, v104, v104
	v_pk_add_f16 v105, v3, v21
	v_min_f16_e32 v90, v90, v88
	v_lshrrev_b32_e32 v104, 16, v104
	v_lshrrev_b32_e32 v88, 16, v88
	;; [unrolled: 1-line block ×3, first 2 shown]
	v_min3_f16 v88, v104, v88, v106
	v_min3_f16 v88, v90, v105, v88
	v_cvt_f32_f16_e32 v88, v88
	v_max_f32_e32 v51, v51, v51
	v_lshl_add_u64 v[104:105], v[42:43], 1, v[48:49]
	s_and_b64 vcc, exec, s[0:1]
	v_min_f32_e32 v51, v51, v88
	v_cvt_f16_f32_e32 v51, v51
	flat_store_short v[104:105], v51
	s_cbranch_vccnz .LBB209_81
; %bb.80:
	v_lshl_add_u64 v[46:47], v[44:45], 1, v[46:47]
	flat_load_ushort v46, v[46:47]
	s_waitcnt vmcnt(0) lgkmcnt(0)
	v_mul_f16_e32 v46, s28, v46
	v_cvt_f32_f16_e32 v50, v46
.LBB209_81:
	v_pk_add_f16 v20, v24, v20
	v_max_f16_e32 v46, v102, v102
	v_pk_add_f16 v21, v25, v21
	v_min_f16_e32 v46, v46, v20
	v_lshrrev_b32_e32 v47, 16, v102
	v_lshrrev_b32_e32 v20, 16, v20
	;; [unrolled: 1-line block ×3, first 2 shown]
	v_min3_f16 v20, v47, v20, v51
	v_min3_f16 v20, v46, v21, v20
	v_cvt_f32_f16_e32 v20, v20
	v_max_f32_e32 v21, v50, v50
	s_and_b64 vcc, exec, s[0:1]
	v_mov_b32_e32 v47, 0
	v_min_f32_e32 v20, v21, v20
	v_cvt_f16_f32_e32 v46, v20
	v_lshl_add_u64 v[20:21], v[44:45], 1, v[48:49]
	v_mov_b32_e32 v48, 0
	flat_store_short v[20:21], v46
	v_add_u32_e32 v46, 16, v103
	v_mad_i64_i32 v[20:21], s[4:5], v46, s6, 0
	v_lshl_add_u64 v[20:21], v[20:21], 1, s[16:17]
	s_cbranch_vccnz .LBB209_83
; %bb.82:
	v_lshl_add_u64 v[50:51], v[28:29], 1, v[20:21]
	flat_load_ushort v47, v[50:51]
	s_waitcnt vmcnt(0) lgkmcnt(0)
	v_mul_f16_e32 v47, s28, v47
	v_cvt_f32_f16_e32 v47, v47
.LBB209_83:
	v_pk_add_f16 v49, v30, v22
	v_max_f16_e32 v50, v101, v101
	v_pk_add_f16 v88, v31, v23
	v_min_f16_e32 v50, v50, v49
	v_lshrrev_b32_e32 v51, 16, v101
	v_lshrrev_b32_e32 v49, 16, v49
	;; [unrolled: 1-line block ×3, first 2 shown]
	v_min3_f16 v49, v51, v49, v90
	v_min3_f16 v49, v50, v88, v49
	v_cvt_f32_f16_e32 v49, v49
	v_mad_i64_i32 v[50:51], s[4:5], v46, s7, 0
	v_max_f32_e32 v46, v47, v47
	v_min_f32_e32 v46, v46, v49
	v_cvt_f16_f32_e32 v49, v46
	v_lshl_add_u64 v[46:47], v[50:51], 1, s[2:3]
	v_lshl_add_u64 v[50:51], v[28:29], 1, v[46:47]
	s_and_b64 vcc, exec, s[0:1]
	flat_store_short v[50:51], v49
	s_cbranch_vccnz .LBB209_85
; %bb.84:
	v_lshl_add_u64 v[48:49], v[32:33], 1, v[20:21]
	flat_load_ushort v48, v[48:49]
	s_waitcnt vmcnt(0) lgkmcnt(0)
	v_mul_f16_e32 v48, s28, v48
	v_cvt_f32_f16_e32 v48, v48
.LBB209_85:
	v_pk_add_f16 v49, v8, v22
	v_max_f16_e32 v50, v100, v100
	v_pk_add_f16 v88, v9, v23
	v_min_f16_e32 v50, v50, v49
	v_lshrrev_b32_e32 v51, 16, v100
	v_lshrrev_b32_e32 v49, 16, v49
	v_lshrrev_b32_e32 v90, 16, v88
	v_min3_f16 v49, v51, v49, v90
	v_min3_f16 v49, v50, v88, v49
	v_cvt_f32_f16_e32 v49, v49
	v_max_f32_e32 v48, v48, v48
	s_and_b64 vcc, exec, s[0:1]
	v_min_f32_e32 v48, v48, v49
	v_cvt_f16_f32_e32 v50, v48
	v_lshl_add_u64 v[48:49], v[32:33], 1, v[46:47]
	flat_store_short v[48:49], v50
	v_mov_b32_e32 v48, 0
	v_mov_b32_e32 v49, 0
	s_cbranch_vccnz .LBB209_87
; %bb.86:
	v_lshl_add_u64 v[50:51], v[34:35], 1, v[20:21]
	flat_load_ushort v49, v[50:51]
	s_waitcnt vmcnt(0) lgkmcnt(0)
	v_mul_f16_e32 v49, s28, v49
	v_cvt_f32_f16_e32 v49, v49
.LBB209_87:
	v_pk_add_f16 v50, v10, v22
	v_max_f16_e32 v51, v99, v99
	v_pk_add_f16 v90, v11, v23
	v_min_f16_e32 v51, v51, v50
	v_lshrrev_b32_e32 v88, 16, v99
	v_lshrrev_b32_e32 v50, 16, v50
	v_lshrrev_b32_e32 v99, 16, v90
	v_min3_f16 v50, v88, v50, v99
	v_min3_f16 v50, v51, v90, v50
	v_cvt_f32_f16_e32 v50, v50
	v_max_f32_e32 v49, v49, v49
	s_and_b64 vcc, exec, s[0:1]
	v_min_f32_e32 v49, v49, v50
	v_cvt_f16_f32_e32 v49, v49
	v_lshl_add_u64 v[50:51], v[34:35], 1, v[46:47]
	flat_store_short v[50:51], v49
	s_cbranch_vccnz .LBB209_89
; %bb.88:
	v_lshl_add_u64 v[48:49], v[36:37], 1, v[20:21]
	flat_load_ushort v48, v[48:49]
	s_waitcnt vmcnt(0) lgkmcnt(0)
	v_mul_f16_e32 v48, s28, v48
	v_cvt_f32_f16_e32 v48, v48
.LBB209_89:
	v_pk_add_f16 v49, v4, v22
	v_max_f16_e32 v50, v98, v98
	v_pk_add_f16 v88, v5, v23
	v_min_f16_e32 v50, v50, v49
	v_lshrrev_b32_e32 v51, 16, v98
	v_lshrrev_b32_e32 v49, 16, v49
	v_lshrrev_b32_e32 v90, 16, v88
	v_min3_f16 v49, v51, v49, v90
	v_min3_f16 v49, v50, v88, v49
	v_cvt_f32_f16_e32 v49, v49
	v_max_f32_e32 v48, v48, v48
	s_and_b64 vcc, exec, s[0:1]
	v_min_f32_e32 v48, v48, v49
	v_cvt_f16_f32_e32 v50, v48
	v_lshl_add_u64 v[48:49], v[36:37], 1, v[46:47]
	flat_store_short v[48:49], v50
	v_mov_b32_e32 v48, 0
	v_mov_b32_e32 v49, 0
	s_cbranch_vccnz .LBB209_91
; %bb.90:
	v_lshl_add_u64 v[50:51], v[40:41], 1, v[20:21]
	flat_load_ushort v49, v[50:51]
	s_waitcnt vmcnt(0) lgkmcnt(0)
	v_mul_f16_e32 v49, s28, v49
	v_cvt_f32_f16_e32 v49, v49
.LBB209_91:
	v_pk_add_f16 v50, v6, v22
	v_max_f16_e32 v51, v97, v97
	v_pk_add_f16 v90, v7, v23
	v_min_f16_e32 v51, v51, v50
	v_lshrrev_b32_e32 v88, 16, v97
	v_lshrrev_b32_e32 v50, 16, v50
	v_lshrrev_b32_e32 v97, 16, v90
	v_min3_f16 v50, v88, v50, v97
	v_min3_f16 v50, v51, v90, v50
	v_cvt_f32_f16_e32 v50, v50
	v_max_f32_e32 v49, v49, v49
	s_and_b64 vcc, exec, s[0:1]
	v_min_f32_e32 v49, v49, v50
	v_cvt_f16_f32_e32 v49, v49
	v_lshl_add_u64 v[50:51], v[40:41], 1, v[46:47]
	;; [unrolled: 50-line block ×3, first 2 shown]
	flat_store_short v[50:51], v49
	s_cbranch_vccnz .LBB209_97
; %bb.96:
	v_lshl_add_u64 v[20:21], v[44:45], 1, v[20:21]
	flat_load_ushort v20, v[20:21]
	s_waitcnt vmcnt(0) lgkmcnt(0)
	v_mul_f16_e32 v20, s28, v20
	v_cvt_f32_f16_e32 v48, v20
.LBB209_97:
	v_pk_add_f16 v20, v24, v22
	v_max_f16_e32 v21, v95, v95
	v_pk_add_f16 v23, v25, v23
	v_min_f16_e32 v21, v21, v20
	v_lshrrev_b32_e32 v22, 16, v95
	v_lshrrev_b32_e32 v20, 16, v20
	;; [unrolled: 1-line block ×3, first 2 shown]
	v_min3_f16 v20, v22, v20, v49
	v_min3_f16 v20, v21, v23, v20
	v_cvt_f32_f16_e32 v20, v20
	v_max_f32_e32 v21, v48, v48
	s_and_b64 vcc, exec, s[0:1]
	v_mov_b32_e32 v23, 0
	v_min_f32_e32 v20, v21, v20
	v_cvt_f16_f32_e32 v22, v20
	v_lshl_add_u64 v[20:21], v[44:45], 1, v[46:47]
	v_mov_b32_e32 v46, 0
	flat_store_short v[20:21], v22
	v_add_u32_e32 v22, 24, v103
	v_mad_i64_i32 v[20:21], s[4:5], v22, s6, 0
	v_lshl_add_u64 v[20:21], v[20:21], 1, s[16:17]
	s_cbranch_vccnz .LBB209_99
; %bb.98:
	v_lshl_add_u64 v[48:49], v[28:29], 1, v[20:21]
	flat_load_ushort v23, v[48:49]
	s_waitcnt vmcnt(0) lgkmcnt(0)
	v_mul_f16_e32 v23, s28, v23
	v_cvt_f32_f16_e32 v23, v23
.LBB209_99:
	v_pk_add_f16 v47, v30, v16
	v_max_f16_e32 v48, v93, v93
	v_pk_add_f16 v50, v31, v17
	v_min_f16_e32 v48, v48, v47
	v_lshrrev_b32_e32 v49, 16, v93
	v_lshrrev_b32_e32 v47, 16, v47
	v_lshrrev_b32_e32 v51, 16, v50
	v_min3_f16 v47, v49, v47, v51
	v_min3_f16 v47, v48, v50, v47
	v_cvt_f32_f16_e32 v47, v47
	v_mad_i64_i32 v[48:49], s[4:5], v22, s7, 0
	v_max_f32_e32 v22, v23, v23
	v_min_f32_e32 v22, v22, v47
	v_cvt_f16_f32_e32 v47, v22
	v_lshl_add_u64 v[22:23], v[48:49], 1, s[2:3]
	v_lshl_add_u64 v[48:49], v[28:29], 1, v[22:23]
	s_and_b64 vcc, exec, s[0:1]
	flat_store_short v[48:49], v47
	s_cbranch_vccnz .LBB209_101
; %bb.100:
	v_lshl_add_u64 v[46:47], v[32:33], 1, v[20:21]
	flat_load_ushort v46, v[46:47]
	s_waitcnt vmcnt(0) lgkmcnt(0)
	v_mul_f16_e32 v46, s28, v46
	v_cvt_f32_f16_e32 v46, v46
.LBB209_101:
	v_pk_add_f16 v47, v8, v16
	v_max_f16_e32 v48, v92, v92
	v_pk_add_f16 v50, v9, v17
	v_min_f16_e32 v48, v48, v47
	v_lshrrev_b32_e32 v49, 16, v92
	v_lshrrev_b32_e32 v47, 16, v47
	v_lshrrev_b32_e32 v51, 16, v50
	v_min3_f16 v47, v49, v47, v51
	v_min3_f16 v47, v48, v50, v47
	v_cvt_f32_f16_e32 v47, v47
	v_max_f32_e32 v46, v46, v46
	s_and_b64 vcc, exec, s[0:1]
	v_min_f32_e32 v46, v46, v47
	v_cvt_f16_f32_e32 v48, v46
	v_lshl_add_u64 v[46:47], v[32:33], 1, v[22:23]
	flat_store_short v[46:47], v48
	v_mov_b32_e32 v46, 0
	v_mov_b32_e32 v47, 0
	s_cbranch_vccnz .LBB209_103
; %bb.102:
	v_lshl_add_u64 v[48:49], v[34:35], 1, v[20:21]
	flat_load_ushort v47, v[48:49]
	s_waitcnt vmcnt(0) lgkmcnt(0)
	v_mul_f16_e32 v47, s28, v47
	v_cvt_f32_f16_e32 v47, v47
.LBB209_103:
	v_pk_add_f16 v48, v10, v16
	v_max_f16_e32 v49, v91, v91
	v_pk_add_f16 v51, v11, v17
	v_min_f16_e32 v49, v49, v48
	v_lshrrev_b32_e32 v50, 16, v91
	v_lshrrev_b32_e32 v48, 16, v48
	v_lshrrev_b32_e32 v88, 16, v51
	v_min3_f16 v48, v50, v48, v88
	v_min3_f16 v48, v49, v51, v48
	v_cvt_f32_f16_e32 v48, v48
	v_max_f32_e32 v47, v47, v47
	s_and_b64 vcc, exec, s[0:1]
	v_min_f32_e32 v47, v47, v48
	v_cvt_f16_f32_e32 v47, v47
	v_lshl_add_u64 v[48:49], v[34:35], 1, v[22:23]
	flat_store_short v[48:49], v47
	s_cbranch_vccnz .LBB209_105
; %bb.104:
	v_lshl_add_u64 v[46:47], v[36:37], 1, v[20:21]
	flat_load_ushort v46, v[46:47]
	s_waitcnt vmcnt(0) lgkmcnt(0)
	v_mul_f16_e32 v46, s28, v46
	v_cvt_f32_f16_e32 v46, v46
.LBB209_105:
	v_pk_add_f16 v47, v4, v16
	v_max_f16_e32 v48, v89, v89
	v_pk_add_f16 v50, v5, v17
	v_min_f16_e32 v48, v48, v47
	v_lshrrev_b32_e32 v49, 16, v89
	v_lshrrev_b32_e32 v47, 16, v47
	v_lshrrev_b32_e32 v51, 16, v50
	v_min3_f16 v47, v49, v47, v51
	v_min3_f16 v47, v48, v50, v47
	v_cvt_f32_f16_e32 v47, v47
	v_max_f32_e32 v46, v46, v46
	s_and_b64 vcc, exec, s[0:1]
	v_min_f32_e32 v46, v46, v47
	v_cvt_f16_f32_e32 v48, v46
	v_lshl_add_u64 v[46:47], v[36:37], 1, v[22:23]
	flat_store_short v[46:47], v48
	v_mov_b32_e32 v46, 0
	v_mov_b32_e32 v47, 0
	s_cbranch_vccnz .LBB209_107
; %bb.106:
	v_lshl_add_u64 v[48:49], v[40:41], 1, v[20:21]
	flat_load_ushort v47, v[48:49]
	s_waitcnt vmcnt(0) lgkmcnt(0)
	v_mul_f16_e32 v47, s28, v47
	v_cvt_f32_f16_e32 v47, v47
.LBB209_107:
	v_pk_add_f16 v48, v6, v16
	v_max_f16_e32 v49, v87, v87
	v_pk_add_f16 v51, v7, v17
	v_min_f16_e32 v49, v49, v48
	v_lshrrev_b32_e32 v50, 16, v87
	v_lshrrev_b32_e32 v48, 16, v48
	v_lshrrev_b32_e32 v87, 16, v51
	v_min3_f16 v48, v50, v48, v87
	v_min3_f16 v48, v49, v51, v48
	v_cvt_f32_f16_e32 v48, v48
	v_max_f32_e32 v47, v47, v47
	s_and_b64 vcc, exec, s[0:1]
	v_min_f32_e32 v47, v47, v48
	v_cvt_f16_f32_e32 v47, v47
	v_lshl_add_u64 v[48:49], v[40:41], 1, v[22:23]
	;; [unrolled: 50-line block ×3, first 2 shown]
	flat_store_short v[48:49], v47
	s_cbranch_vccnz .LBB209_113
; %bb.112:
	v_lshl_add_u64 v[20:21], v[44:45], 1, v[20:21]
	flat_load_ushort v20, v[20:21]
	s_waitcnt vmcnt(0) lgkmcnt(0)
	v_mul_f16_e32 v20, s28, v20
	v_cvt_f32_f16_e32 v46, v20
.LBB209_113:
	v_pk_add_f16 v16, v24, v16
	v_max_f16_e32 v20, v84, v84
	v_pk_add_f16 v17, v25, v17
	v_min_f16_e32 v20, v20, v16
	v_lshrrev_b32_e32 v21, 16, v84
	v_lshrrev_b32_e32 v16, 16, v16
	;; [unrolled: 1-line block ×3, first 2 shown]
	v_min3_f16 v16, v21, v16, v47
	v_min3_f16 v16, v20, v17, v16
	v_cvt_f32_f16_e32 v16, v16
	v_max_f32_e32 v17, v46, v46
	s_and_b64 vcc, exec, s[0:1]
	v_mov_b32_e32 v21, 0
	v_min_f32_e32 v16, v17, v16
	v_cvt_f16_f32_e32 v20, v16
	v_lshl_add_u64 v[16:17], v[44:45], 1, v[22:23]
	v_mov_b32_e32 v22, 0
	flat_store_short v[16:17], v20
	v_add_u32_e32 v20, 32, v103
	v_mad_i64_i32 v[16:17], s[4:5], v20, s6, 0
	v_lshl_add_u64 v[16:17], v[16:17], 1, s[16:17]
	s_cbranch_vccnz .LBB209_115
; %bb.114:
	v_lshl_add_u64 v[46:47], v[28:29], 1, v[16:17]
	flat_load_ushort v21, v[46:47]
	s_waitcnt vmcnt(0) lgkmcnt(0)
	v_mul_f16_e32 v21, s28, v21
	v_cvt_f32_f16_e32 v21, v21
.LBB209_115:
	v_pk_add_f16 v23, v30, v18
	v_max_f16_e32 v46, v83, v83
	v_pk_add_f16 v48, v31, v19
	v_min_f16_e32 v46, v46, v23
	v_lshrrev_b32_e32 v47, 16, v83
	v_lshrrev_b32_e32 v23, 16, v23
	;; [unrolled: 1-line block ×3, first 2 shown]
	v_min3_f16 v23, v47, v23, v49
	v_min3_f16 v23, v46, v48, v23
	v_cvt_f32_f16_e32 v23, v23
	v_mad_i64_i32 v[46:47], s[4:5], v20, s7, 0
	v_max_f32_e32 v20, v21, v21
	v_min_f32_e32 v20, v20, v23
	v_cvt_f16_f32_e32 v23, v20
	v_lshl_add_u64 v[20:21], v[46:47], 1, s[2:3]
	v_lshl_add_u64 v[46:47], v[28:29], 1, v[20:21]
	s_and_b64 vcc, exec, s[0:1]
	flat_store_short v[46:47], v23
	s_cbranch_vccnz .LBB209_117
; %bb.116:
	v_lshl_add_u64 v[22:23], v[32:33], 1, v[16:17]
	flat_load_ushort v22, v[22:23]
	s_waitcnt vmcnt(0) lgkmcnt(0)
	v_mul_f16_e32 v22, s28, v22
	v_cvt_f32_f16_e32 v22, v22
.LBB209_117:
	v_pk_add_f16 v23, v8, v18
	v_max_f16_e32 v46, v82, v82
	v_pk_add_f16 v48, v9, v19
	v_min_f16_e32 v46, v46, v23
	v_lshrrev_b32_e32 v47, 16, v82
	v_lshrrev_b32_e32 v23, 16, v23
	v_lshrrev_b32_e32 v49, 16, v48
	v_min3_f16 v23, v47, v23, v49
	v_min3_f16 v23, v46, v48, v23
	v_cvt_f32_f16_e32 v23, v23
	v_max_f32_e32 v22, v22, v22
	s_and_b64 vcc, exec, s[0:1]
	v_min_f32_e32 v22, v22, v23
	v_cvt_f16_f32_e32 v46, v22
	v_lshl_add_u64 v[22:23], v[32:33], 1, v[20:21]
	flat_store_short v[22:23], v46
	v_mov_b32_e32 v22, 0
	v_mov_b32_e32 v23, 0
	s_cbranch_vccnz .LBB209_119
; %bb.118:
	v_lshl_add_u64 v[46:47], v[34:35], 1, v[16:17]
	flat_load_ushort v23, v[46:47]
	s_waitcnt vmcnt(0) lgkmcnt(0)
	v_mul_f16_e32 v23, s28, v23
	v_cvt_f32_f16_e32 v23, v23
.LBB209_119:
	v_pk_add_f16 v46, v10, v18
	v_max_f16_e32 v47, v81, v81
	v_pk_add_f16 v49, v11, v19
	v_min_f16_e32 v47, v47, v46
	v_lshrrev_b32_e32 v48, 16, v81
	v_lshrrev_b32_e32 v46, 16, v46
	v_lshrrev_b32_e32 v50, 16, v49
	v_min3_f16 v46, v48, v46, v50
	v_min3_f16 v46, v47, v49, v46
	v_cvt_f32_f16_e32 v46, v46
	v_max_f32_e32 v23, v23, v23
	s_and_b64 vcc, exec, s[0:1]
	v_min_f32_e32 v23, v23, v46
	v_cvt_f16_f32_e32 v23, v23
	v_lshl_add_u64 v[46:47], v[34:35], 1, v[20:21]
	flat_store_short v[46:47], v23
	s_cbranch_vccnz .LBB209_121
; %bb.120:
	v_lshl_add_u64 v[22:23], v[36:37], 1, v[16:17]
	flat_load_ushort v22, v[22:23]
	s_waitcnt vmcnt(0) lgkmcnt(0)
	v_mul_f16_e32 v22, s28, v22
	v_cvt_f32_f16_e32 v22, v22
.LBB209_121:
	v_pk_add_f16 v23, v4, v18
	v_max_f16_e32 v46, v80, v80
	v_pk_add_f16 v48, v5, v19
	v_min_f16_e32 v46, v46, v23
	v_lshrrev_b32_e32 v47, 16, v80
	v_lshrrev_b32_e32 v23, 16, v23
	v_lshrrev_b32_e32 v49, 16, v48
	v_min3_f16 v23, v47, v23, v49
	v_min3_f16 v23, v46, v48, v23
	v_cvt_f32_f16_e32 v23, v23
	v_max_f32_e32 v22, v22, v22
	s_and_b64 vcc, exec, s[0:1]
	v_min_f32_e32 v22, v22, v23
	v_cvt_f16_f32_e32 v46, v22
	v_lshl_add_u64 v[22:23], v[36:37], 1, v[20:21]
	flat_store_short v[22:23], v46
	v_mov_b32_e32 v22, 0
	v_mov_b32_e32 v23, 0
	s_cbranch_vccnz .LBB209_123
; %bb.122:
	v_lshl_add_u64 v[46:47], v[40:41], 1, v[16:17]
	flat_load_ushort v23, v[46:47]
	s_waitcnt vmcnt(0) lgkmcnt(0)
	v_mul_f16_e32 v23, s28, v23
	v_cvt_f32_f16_e32 v23, v23
.LBB209_123:
	v_pk_add_f16 v46, v6, v18
	v_max_f16_e32 v47, v79, v79
	v_pk_add_f16 v49, v7, v19
	v_min_f16_e32 v47, v47, v46
	v_lshrrev_b32_e32 v48, 16, v79
	v_lshrrev_b32_e32 v46, 16, v46
	v_lshrrev_b32_e32 v50, 16, v49
	v_min3_f16 v46, v48, v46, v50
	v_min3_f16 v46, v47, v49, v46
	v_cvt_f32_f16_e32 v46, v46
	v_max_f32_e32 v23, v23, v23
	s_and_b64 vcc, exec, s[0:1]
	v_min_f32_e32 v23, v23, v46
	v_cvt_f16_f32_e32 v23, v23
	v_lshl_add_u64 v[46:47], v[40:41], 1, v[20:21]
	;; [unrolled: 50-line block ×3, first 2 shown]
	flat_store_short v[46:47], v23
	s_cbranch_vccnz .LBB209_129
; %bb.128:
	v_lshl_add_u64 v[16:17], v[44:45], 1, v[16:17]
	flat_load_ushort v16, v[16:17]
	s_waitcnt vmcnt(0) lgkmcnt(0)
	v_mul_f16_e32 v16, s28, v16
	v_cvt_f32_f16_e32 v22, v16
.LBB209_129:
	v_pk_add_f16 v16, v24, v18
	v_max_f16_e32 v17, v78, v78
	v_pk_add_f16 v19, v25, v19
	v_min_f16_e32 v17, v17, v16
	v_lshrrev_b32_e32 v18, 16, v78
	v_lshrrev_b32_e32 v16, 16, v16
	;; [unrolled: 1-line block ×3, first 2 shown]
	v_min3_f16 v16, v18, v16, v23
	v_min3_f16 v16, v17, v19, v16
	v_cvt_f32_f16_e32 v16, v16
	v_max_f32_e32 v17, v22, v22
	s_and_b64 vcc, exec, s[0:1]
	v_mov_b32_e32 v19, 0
	v_min_f32_e32 v16, v17, v16
	v_cvt_f16_f32_e32 v18, v16
	v_lshl_add_u64 v[16:17], v[44:45], 1, v[20:21]
	v_mov_b32_e32 v20, 0
	flat_store_short v[16:17], v18
	v_add_u32_e32 v18, 40, v103
	v_mad_i64_i32 v[16:17], s[4:5], v18, s6, 0
	v_lshl_add_u64 v[16:17], v[16:17], 1, s[16:17]
	s_cbranch_vccnz .LBB209_131
; %bb.130:
	v_lshl_add_u64 v[22:23], v[28:29], 1, v[16:17]
	flat_load_ushort v19, v[22:23]
	s_waitcnt vmcnt(0) lgkmcnt(0)
	v_mul_f16_e32 v19, s28, v19
	v_cvt_f32_f16_e32 v19, v19
.LBB209_131:
	v_pk_add_f16 v21, v30, v12
	v_max_f16_e32 v22, v75, v75
	v_pk_add_f16 v46, v31, v13
	v_min_f16_e32 v22, v22, v21
	v_lshrrev_b32_e32 v23, 16, v75
	v_lshrrev_b32_e32 v21, 16, v21
	;; [unrolled: 1-line block ×3, first 2 shown]
	v_min3_f16 v21, v23, v21, v47
	v_min3_f16 v21, v22, v46, v21
	v_cvt_f32_f16_e32 v21, v21
	v_mad_i64_i32 v[22:23], s[4:5], v18, s7, 0
	v_max_f32_e32 v18, v19, v19
	v_min_f32_e32 v18, v18, v21
	v_cvt_f16_f32_e32 v21, v18
	v_lshl_add_u64 v[18:19], v[22:23], 1, s[2:3]
	v_lshl_add_u64 v[22:23], v[28:29], 1, v[18:19]
	s_and_b64 vcc, exec, s[0:1]
	flat_store_short v[22:23], v21
	s_cbranch_vccnz .LBB209_133
; %bb.132:
	v_lshl_add_u64 v[20:21], v[32:33], 1, v[16:17]
	flat_load_ushort v20, v[20:21]
	s_waitcnt vmcnt(0) lgkmcnt(0)
	v_mul_f16_e32 v20, s28, v20
	v_cvt_f32_f16_e32 v20, v20
.LBB209_133:
	v_pk_add_f16 v21, v8, v12
	v_max_f16_e32 v22, v74, v74
	v_pk_add_f16 v46, v9, v13
	v_min_f16_e32 v22, v22, v21
	v_lshrrev_b32_e32 v23, 16, v74
	v_lshrrev_b32_e32 v21, 16, v21
	v_lshrrev_b32_e32 v47, 16, v46
	v_min3_f16 v21, v23, v21, v47
	v_min3_f16 v21, v22, v46, v21
	v_cvt_f32_f16_e32 v21, v21
	v_max_f32_e32 v20, v20, v20
	s_and_b64 vcc, exec, s[0:1]
	v_min_f32_e32 v20, v20, v21
	v_cvt_f16_f32_e32 v22, v20
	v_lshl_add_u64 v[20:21], v[32:33], 1, v[18:19]
	flat_store_short v[20:21], v22
	v_mov_b32_e32 v20, 0
	v_mov_b32_e32 v21, 0
	s_cbranch_vccnz .LBB209_135
; %bb.134:
	v_lshl_add_u64 v[22:23], v[34:35], 1, v[16:17]
	flat_load_ushort v21, v[22:23]
	s_waitcnt vmcnt(0) lgkmcnt(0)
	v_mul_f16_e32 v21, s28, v21
	v_cvt_f32_f16_e32 v21, v21
.LBB209_135:
	v_pk_add_f16 v22, v10, v12
	v_max_f16_e32 v23, v73, v73
	v_pk_add_f16 v47, v11, v13
	v_min_f16_e32 v23, v23, v22
	v_lshrrev_b32_e32 v46, 16, v73
	v_lshrrev_b32_e32 v22, 16, v22
	v_lshrrev_b32_e32 v48, 16, v47
	v_min3_f16 v22, v46, v22, v48
	v_min3_f16 v22, v23, v47, v22
	v_cvt_f32_f16_e32 v22, v22
	v_max_f32_e32 v21, v21, v21
	s_and_b64 vcc, exec, s[0:1]
	v_min_f32_e32 v21, v21, v22
	v_cvt_f16_f32_e32 v21, v21
	v_lshl_add_u64 v[22:23], v[34:35], 1, v[18:19]
	flat_store_short v[22:23], v21
	s_cbranch_vccnz .LBB209_137
; %bb.136:
	v_lshl_add_u64 v[20:21], v[36:37], 1, v[16:17]
	flat_load_ushort v20, v[20:21]
	s_waitcnt vmcnt(0) lgkmcnt(0)
	v_mul_f16_e32 v20, s28, v20
	v_cvt_f32_f16_e32 v20, v20
.LBB209_137:
	v_pk_add_f16 v21, v4, v12
	v_max_f16_e32 v22, v72, v72
	v_pk_add_f16 v46, v5, v13
	v_min_f16_e32 v22, v22, v21
	v_lshrrev_b32_e32 v23, 16, v72
	v_lshrrev_b32_e32 v21, 16, v21
	v_lshrrev_b32_e32 v47, 16, v46
	v_min3_f16 v21, v23, v21, v47
	v_min3_f16 v21, v22, v46, v21
	v_cvt_f32_f16_e32 v21, v21
	v_max_f32_e32 v20, v20, v20
	s_and_b64 vcc, exec, s[0:1]
	v_min_f32_e32 v20, v20, v21
	v_cvt_f16_f32_e32 v22, v20
	v_lshl_add_u64 v[20:21], v[36:37], 1, v[18:19]
	flat_store_short v[20:21], v22
	v_mov_b32_e32 v20, 0
	v_mov_b32_e32 v21, 0
	s_cbranch_vccnz .LBB209_139
; %bb.138:
	v_lshl_add_u64 v[22:23], v[40:41], 1, v[16:17]
	flat_load_ushort v21, v[22:23]
	s_waitcnt vmcnt(0) lgkmcnt(0)
	v_mul_f16_e32 v21, s28, v21
	v_cvt_f32_f16_e32 v21, v21
.LBB209_139:
	v_pk_add_f16 v22, v6, v12
	v_max_f16_e32 v23, v71, v71
	v_pk_add_f16 v47, v7, v13
	v_min_f16_e32 v23, v23, v22
	v_lshrrev_b32_e32 v46, 16, v71
	v_lshrrev_b32_e32 v22, 16, v22
	v_lshrrev_b32_e32 v48, 16, v47
	v_min3_f16 v22, v46, v22, v48
	v_min3_f16 v22, v23, v47, v22
	v_cvt_f32_f16_e32 v22, v22
	v_max_f32_e32 v21, v21, v21
	s_and_b64 vcc, exec, s[0:1]
	v_min_f32_e32 v21, v21, v22
	v_cvt_f16_f32_e32 v21, v21
	v_lshl_add_u64 v[22:23], v[40:41], 1, v[18:19]
	flat_store_short v[22:23], v21
	s_cbranch_vccnz .LBB209_141
; %bb.140:
	v_lshl_add_u64 v[20:21], v[38:39], 1, v[16:17]
	flat_load_ushort v20, v[20:21]
	s_waitcnt vmcnt(0) lgkmcnt(0)
	v_mul_f16_e32 v20, s28, v20
	v_cvt_f32_f16_e32 v20, v20
.LBB209_141:
	v_pk_add_f16 v21, v0, v12
	v_max_f16_e32 v22, v70, v70
	v_pk_add_f16 v46, v1, v13
	v_min_f16_e32 v22, v22, v21
	v_lshrrev_b32_e32 v23, 16, v70
	v_lshrrev_b32_e32 v21, 16, v21
	v_lshrrev_b32_e32 v47, 16, v46
	v_min3_f16 v21, v23, v21, v47
	v_min3_f16 v21, v22, v46, v21
	v_cvt_f32_f16_e32 v21, v21
	v_max_f32_e32 v20, v20, v20
	s_and_b64 vcc, exec, s[0:1]
	v_min_f32_e32 v20, v20, v21
	v_cvt_f16_f32_e32 v22, v20
	v_lshl_add_u64 v[20:21], v[38:39], 1, v[18:19]
	flat_store_short v[20:21], v22
	v_mov_b32_e32 v20, 0
	v_mov_b32_e32 v21, 0
	s_cbranch_vccnz .LBB209_143
; %bb.142:
	v_lshl_add_u64 v[22:23], v[42:43], 1, v[16:17]
	flat_load_ushort v21, v[22:23]
	s_waitcnt vmcnt(0) lgkmcnt(0)
	v_mul_f16_e32 v21, s28, v21
	v_cvt_f32_f16_e32 v21, v21
.LBB209_143:
	v_pk_add_f16 v22, v2, v12
	v_max_f16_e32 v23, v69, v69
	v_pk_add_f16 v47, v3, v13
	v_min_f16_e32 v23, v23, v22
	v_lshrrev_b32_e32 v46, 16, v69
	v_lshrrev_b32_e32 v22, 16, v22
	v_lshrrev_b32_e32 v48, 16, v47
	v_min3_f16 v22, v46, v22, v48
	v_min3_f16 v22, v23, v47, v22
	v_cvt_f32_f16_e32 v22, v22
	v_max_f32_e32 v21, v21, v21
	s_and_b64 vcc, exec, s[0:1]
	v_min_f32_e32 v21, v21, v22
	v_cvt_f16_f32_e32 v21, v21
	v_lshl_add_u64 v[22:23], v[42:43], 1, v[18:19]
	flat_store_short v[22:23], v21
	s_cbranch_vccnz .LBB209_145
; %bb.144:
	v_lshl_add_u64 v[16:17], v[44:45], 1, v[16:17]
	flat_load_ushort v16, v[16:17]
	s_waitcnt vmcnt(0) lgkmcnt(0)
	v_mul_f16_e32 v16, s28, v16
	v_cvt_f32_f16_e32 v20, v16
.LBB209_145:
	v_pk_add_f16 v12, v24, v12
	v_max_f16_e32 v16, v68, v68
	v_pk_add_f16 v13, v25, v13
	v_min_f16_e32 v16, v16, v12
	v_lshrrev_b32_e32 v17, 16, v68
	v_lshrrev_b32_e32 v12, 16, v12
	;; [unrolled: 1-line block ×3, first 2 shown]
	v_min3_f16 v12, v17, v12, v21
	v_min3_f16 v12, v16, v13, v12
	v_cvt_f32_f16_e32 v12, v12
	v_max_f32_e32 v13, v20, v20
	s_and_b64 vcc, exec, s[0:1]
	v_mov_b32_e32 v17, 0
	v_min_f32_e32 v12, v13, v12
	v_cvt_f16_f32_e32 v16, v12
	v_lshl_add_u64 v[12:13], v[44:45], 1, v[18:19]
	v_mov_b32_e32 v18, 0
	flat_store_short v[12:13], v16
	v_add_u32_e32 v16, 48, v103
	v_mad_i64_i32 v[12:13], s[4:5], v16, s6, 0
	v_lshl_add_u64 v[12:13], v[12:13], 1, s[16:17]
	s_cbranch_vccnz .LBB209_147
; %bb.146:
	v_lshl_add_u64 v[20:21], v[28:29], 1, v[12:13]
	flat_load_ushort v17, v[20:21]
	s_waitcnt vmcnt(0) lgkmcnt(0)
	v_mul_f16_e32 v17, s28, v17
	v_cvt_f32_f16_e32 v17, v17
.LBB209_147:
	v_pk_add_f16 v19, v30, v14
	v_max_f16_e32 v20, v67, v67
	v_pk_add_f16 v22, v31, v15
	v_min_f16_e32 v20, v20, v19
	v_lshrrev_b32_e32 v21, 16, v67
	v_lshrrev_b32_e32 v19, 16, v19
	v_lshrrev_b32_e32 v23, 16, v22
	v_min3_f16 v19, v21, v19, v23
	v_min3_f16 v19, v20, v22, v19
	v_cvt_f32_f16_e32 v19, v19
	v_mad_i64_i32 v[20:21], s[4:5], v16, s7, 0
	v_max_f32_e32 v16, v17, v17
	v_min_f32_e32 v16, v16, v19
	v_cvt_f16_f32_e32 v19, v16
	v_lshl_add_u64 v[16:17], v[20:21], 1, s[2:3]
	v_lshl_add_u64 v[20:21], v[28:29], 1, v[16:17]
	s_and_b64 vcc, exec, s[0:1]
	flat_store_short v[20:21], v19
	s_cbranch_vccnz .LBB209_149
; %bb.148:
	v_lshl_add_u64 v[18:19], v[32:33], 1, v[12:13]
	flat_load_ushort v18, v[18:19]
	s_waitcnt vmcnt(0) lgkmcnt(0)
	v_mul_f16_e32 v18, s28, v18
	v_cvt_f32_f16_e32 v18, v18
.LBB209_149:
	v_pk_add_f16 v19, v8, v14
	v_max_f16_e32 v20, v66, v66
	v_pk_add_f16 v22, v9, v15
	v_min_f16_e32 v20, v20, v19
	v_lshrrev_b32_e32 v21, 16, v66
	v_lshrrev_b32_e32 v19, 16, v19
	v_lshrrev_b32_e32 v23, 16, v22
	v_min3_f16 v19, v21, v19, v23
	v_min3_f16 v19, v20, v22, v19
	v_cvt_f32_f16_e32 v19, v19
	v_max_f32_e32 v18, v18, v18
	s_and_b64 vcc, exec, s[0:1]
	v_min_f32_e32 v18, v18, v19
	v_cvt_f16_f32_e32 v20, v18
	v_lshl_add_u64 v[18:19], v[32:33], 1, v[16:17]
	flat_store_short v[18:19], v20
	v_mov_b32_e32 v18, 0
	v_mov_b32_e32 v19, 0
	s_cbranch_vccnz .LBB209_151
; %bb.150:
	v_lshl_add_u64 v[20:21], v[34:35], 1, v[12:13]
	flat_load_ushort v19, v[20:21]
	s_waitcnt vmcnt(0) lgkmcnt(0)
	v_mul_f16_e32 v19, s28, v19
	v_cvt_f32_f16_e32 v19, v19
.LBB209_151:
	v_pk_add_f16 v20, v10, v14
	v_max_f16_e32 v21, v65, v65
	v_pk_add_f16 v23, v11, v15
	v_min_f16_e32 v21, v21, v20
	v_lshrrev_b32_e32 v22, 16, v65
	v_lshrrev_b32_e32 v20, 16, v20
	v_lshrrev_b32_e32 v46, 16, v23
	v_min3_f16 v20, v22, v20, v46
	v_min3_f16 v20, v21, v23, v20
	v_cvt_f32_f16_e32 v20, v20
	v_max_f32_e32 v19, v19, v19
	s_and_b64 vcc, exec, s[0:1]
	v_min_f32_e32 v19, v19, v20
	v_cvt_f16_f32_e32 v19, v19
	v_lshl_add_u64 v[20:21], v[34:35], 1, v[16:17]
	flat_store_short v[20:21], v19
	s_cbranch_vccnz .LBB209_153
; %bb.152:
	v_lshl_add_u64 v[18:19], v[36:37], 1, v[12:13]
	flat_load_ushort v18, v[18:19]
	s_waitcnt vmcnt(0) lgkmcnt(0)
	v_mul_f16_e32 v18, s28, v18
	v_cvt_f32_f16_e32 v18, v18
.LBB209_153:
	v_pk_add_f16 v19, v4, v14
	v_max_f16_e32 v20, v64, v64
	v_pk_add_f16 v22, v5, v15
	v_min_f16_e32 v20, v20, v19
	v_lshrrev_b32_e32 v21, 16, v64
	v_lshrrev_b32_e32 v19, 16, v19
	v_lshrrev_b32_e32 v23, 16, v22
	v_min3_f16 v19, v21, v19, v23
	v_min3_f16 v19, v20, v22, v19
	v_cvt_f32_f16_e32 v19, v19
	v_max_f32_e32 v18, v18, v18
	s_and_b64 vcc, exec, s[0:1]
	v_min_f32_e32 v18, v18, v19
	v_cvt_f16_f32_e32 v20, v18
	v_lshl_add_u64 v[18:19], v[36:37], 1, v[16:17]
	flat_store_short v[18:19], v20
	v_mov_b32_e32 v18, 0
	v_mov_b32_e32 v19, 0
	s_cbranch_vccnz .LBB209_155
; %bb.154:
	v_lshl_add_u64 v[20:21], v[40:41], 1, v[12:13]
	flat_load_ushort v19, v[20:21]
	s_waitcnt vmcnt(0) lgkmcnt(0)
	v_mul_f16_e32 v19, s28, v19
	v_cvt_f32_f16_e32 v19, v19
.LBB209_155:
	v_pk_add_f16 v20, v6, v14
	v_max_f16_e32 v21, v63, v63
	v_pk_add_f16 v23, v7, v15
	v_min_f16_e32 v21, v21, v20
	v_lshrrev_b32_e32 v22, 16, v63
	v_lshrrev_b32_e32 v20, 16, v20
	v_lshrrev_b32_e32 v46, 16, v23
	v_min3_f16 v20, v22, v20, v46
	v_min3_f16 v20, v21, v23, v20
	v_cvt_f32_f16_e32 v20, v20
	v_max_f32_e32 v19, v19, v19
	s_and_b64 vcc, exec, s[0:1]
	v_min_f32_e32 v19, v19, v20
	v_cvt_f16_f32_e32 v19, v19
	v_lshl_add_u64 v[20:21], v[40:41], 1, v[16:17]
	;; [unrolled: 50-line block ×3, first 2 shown]
	flat_store_short v[20:21], v19
	s_cbranch_vccnz .LBB209_161
; %bb.160:
	v_lshl_add_u64 v[12:13], v[44:45], 1, v[12:13]
	flat_load_ushort v12, v[12:13]
	s_waitcnt vmcnt(0) lgkmcnt(0)
	v_mul_f16_e32 v12, s28, v12
	v_cvt_f32_f16_e32 v18, v12
.LBB209_161:
	v_pk_add_f16 v12, v24, v14
	v_max_f16_e32 v13, v60, v60
	v_pk_add_f16 v15, v25, v15
	v_min_f16_e32 v13, v13, v12
	v_lshrrev_b32_e32 v14, 16, v60
	v_lshrrev_b32_e32 v12, 16, v12
	v_lshrrev_b32_e32 v19, 16, v15
	v_min3_f16 v12, v14, v12, v19
	v_min3_f16 v12, v13, v15, v12
	v_cvt_f32_f16_e32 v12, v12
	v_max_f32_e32 v13, v18, v18
	s_and_b64 vcc, exec, s[0:1]
	v_mov_b32_e32 v15, 0
	v_min_f32_e32 v12, v13, v12
	v_cvt_f16_f32_e32 v14, v12
	v_lshl_add_u64 v[12:13], v[44:45], 1, v[16:17]
	v_mov_b32_e32 v16, 0
	flat_store_short v[12:13], v14
	v_add_u32_e32 v14, 56, v103
	v_mad_i64_i32 v[12:13], s[4:5], v14, s6, 0
	v_lshl_add_u64 v[12:13], v[12:13], 1, s[16:17]
	s_cbranch_vccnz .LBB209_163
; %bb.162:
	v_lshl_add_u64 v[18:19], v[28:29], 1, v[12:13]
	flat_load_ushort v15, v[18:19]
	s_waitcnt vmcnt(0) lgkmcnt(0)
	v_mul_f16_e32 v15, s28, v15
	v_cvt_f32_f16_e32 v15, v15
.LBB209_163:
	v_pk_add_f16 v17, v30, v26
	v_max_f16_e32 v18, v59, v59
	v_pk_add_f16 v20, v31, v27
	v_min_f16_e32 v18, v18, v17
	v_lshrrev_b32_e32 v19, 16, v59
	v_lshrrev_b32_e32 v17, 16, v17
	;; [unrolled: 1-line block ×3, first 2 shown]
	v_min3_f16 v17, v19, v17, v21
	v_min3_f16 v17, v18, v20, v17
	v_cvt_f32_f16_e32 v17, v17
	v_mad_i64_i32 v[18:19], s[4:5], v14, s7, 0
	v_max_f32_e32 v14, v15, v15
	v_min_f32_e32 v14, v14, v17
	v_cvt_f16_f32_e32 v17, v14
	v_lshl_add_u64 v[14:15], v[18:19], 1, s[2:3]
	v_lshl_add_u64 v[18:19], v[28:29], 1, v[14:15]
	s_and_b64 vcc, exec, s[0:1]
	flat_store_short v[18:19], v17
	s_cbranch_vccnz .LBB209_165
; %bb.164:
	v_lshl_add_u64 v[16:17], v[32:33], 1, v[12:13]
	flat_load_ushort v16, v[16:17]
	s_waitcnt vmcnt(0) lgkmcnt(0)
	v_mul_f16_e32 v16, s28, v16
	v_cvt_f32_f16_e32 v16, v16
.LBB209_165:
	v_pk_add_f16 v8, v8, v26
	v_max_f16_e32 v17, v58, v58
	v_pk_add_f16 v9, v9, v27
	v_min_f16_e32 v17, v17, v8
	v_lshrrev_b32_e32 v18, 16, v58
	v_lshrrev_b32_e32 v8, 16, v8
	;; [unrolled: 1-line block ×3, first 2 shown]
	v_min3_f16 v8, v18, v8, v19
	v_min3_f16 v8, v17, v9, v8
	v_cvt_f32_f16_e32 v8, v8
	v_max_f32_e32 v9, v16, v16
	s_and_b64 vcc, exec, s[0:1]
	v_min_f32_e32 v8, v9, v8
	v_cvt_f16_f32_e32 v16, v8
	v_lshl_add_u64 v[8:9], v[32:33], 1, v[14:15]
	flat_store_short v[8:9], v16
	v_mov_b32_e32 v8, 0
	v_mov_b32_e32 v9, 0
	s_cbranch_vccnz .LBB209_167
; %bb.166:
	v_lshl_add_u64 v[16:17], v[34:35], 1, v[12:13]
	flat_load_ushort v9, v[16:17]
	s_waitcnt vmcnt(0) lgkmcnt(0)
	v_mul_f16_e32 v9, s28, v9
	v_cvt_f32_f16_e32 v9, v9
.LBB209_167:
	v_pk_add_f16 v10, v10, v26
	v_max_f16_e32 v16, v56, v56
	v_pk_add_f16 v11, v11, v27
	v_min_f16_e32 v16, v16, v10
	v_lshrrev_b32_e32 v17, 16, v56
	v_lshrrev_b32_e32 v10, 16, v10
	;; [unrolled: 1-line block ×3, first 2 shown]
	v_min3_f16 v10, v17, v10, v18
	v_min3_f16 v10, v16, v11, v10
	v_cvt_f32_f16_e32 v10, v10
	v_max_f32_e32 v9, v9, v9
	s_and_b64 vcc, exec, s[0:1]
	v_min_f32_e32 v9, v9, v10
	v_cvt_f16_f32_e32 v9, v9
	v_lshl_add_u64 v[10:11], v[34:35], 1, v[14:15]
	flat_store_short v[10:11], v9
	s_cbranch_vccnz .LBB209_169
; %bb.168:
	v_lshl_add_u64 v[8:9], v[36:37], 1, v[12:13]
	flat_load_ushort v8, v[8:9]
	s_waitcnt vmcnt(0) lgkmcnt(0)
	v_mul_f16_e32 v8, s28, v8
	v_cvt_f32_f16_e32 v8, v8
.LBB209_169:
	v_pk_add_f16 v4, v4, v26
	v_max_f16_e32 v9, v55, v55
	v_pk_add_f16 v5, v5, v27
	v_min_f16_e32 v9, v9, v4
	v_lshrrev_b32_e32 v10, 16, v55
	v_lshrrev_b32_e32 v4, 16, v4
	;; [unrolled: 1-line block ×3, first 2 shown]
	v_min3_f16 v4, v10, v4, v11
	v_min3_f16 v4, v9, v5, v4
	v_cvt_f32_f16_e32 v4, v4
	v_max_f32_e32 v5, v8, v8
	s_and_b64 vcc, exec, s[0:1]
	v_min_f32_e32 v4, v5, v4
	v_cvt_f16_f32_e32 v8, v4
	v_lshl_add_u64 v[4:5], v[36:37], 1, v[14:15]
	flat_store_short v[4:5], v8
	v_mov_b32_e32 v4, 0
	v_mov_b32_e32 v5, 0
	s_cbranch_vccnz .LBB209_171
; %bb.170:
	v_lshl_add_u64 v[8:9], v[40:41], 1, v[12:13]
	flat_load_ushort v5, v[8:9]
	s_waitcnt vmcnt(0) lgkmcnt(0)
	v_mul_f16_e32 v5, s28, v5
	v_cvt_f32_f16_e32 v5, v5
.LBB209_171:
	v_pk_add_f16 v6, v6, v26
	v_max_f16_e32 v8, v54, v54
	v_pk_add_f16 v7, v7, v27
	v_min_f16_e32 v8, v8, v6
	v_lshrrev_b32_e32 v9, 16, v54
	v_lshrrev_b32_e32 v6, 16, v6
	;; [unrolled: 1-line block ×3, first 2 shown]
	v_min3_f16 v6, v9, v6, v10
	v_min3_f16 v6, v8, v7, v6
	v_cvt_f32_f16_e32 v6, v6
	v_max_f32_e32 v5, v5, v5
	s_and_b64 vcc, exec, s[0:1]
	v_min_f32_e32 v5, v5, v6
	v_cvt_f16_f32_e32 v5, v5
	v_lshl_add_u64 v[6:7], v[40:41], 1, v[14:15]
	flat_store_short v[6:7], v5
	s_cbranch_vccnz .LBB209_173
; %bb.172:
	v_lshl_add_u64 v[4:5], v[38:39], 1, v[12:13]
	flat_load_ushort v4, v[4:5]
	s_waitcnt vmcnt(0) lgkmcnt(0)
	v_mul_f16_e32 v4, s28, v4
	v_cvt_f32_f16_e32 v4, v4
.LBB209_173:
	v_pk_add_f16 v0, v0, v26
	v_max_f16_e32 v5, v52, v52
	v_pk_add_f16 v1, v1, v27
	v_min_f16_e32 v5, v5, v0
	v_lshrrev_b32_e32 v6, 16, v52
	v_lshrrev_b32_e32 v0, 16, v0
	;; [unrolled: 1-line block ×3, first 2 shown]
	v_min3_f16 v0, v6, v0, v7
	v_min3_f16 v0, v5, v1, v0
	v_cvt_f32_f16_e32 v0, v0
	v_max_f32_e32 v4, v4, v4
	v_pk_add_f16 v1, v2, v26
	v_max_f16_e32 v2, v53, v53
	v_min_f32_e32 v0, v4, v0
	v_cvt_f16_f32_e32 v4, v0
	v_pk_add_f16 v3, v3, v27
	v_min_f16_e32 v2, v2, v1
	v_lshrrev_b32_e32 v5, 16, v53
	v_lshrrev_b32_e32 v1, 16, v1
	;; [unrolled: 1-line block ×3, first 2 shown]
	v_min3_f16 v5, v5, v1, v0
	v_lshl_add_u64 v[0:1], v[38:39], 1, v[14:15]
	flat_store_short v[0:1], v4
	v_min3_f16 v0, v2, v3, v5
	s_mov_b64 s[0:1], -1
	s_mov_b64 vcc, s[8:9]
	s_cbranch_vccz .LBB209_175
; %bb.174:
	v_cvt_f32_f16_e32 v1, v0
	v_lshl_add_u64 v[2:3], v[42:43], 1, v[14:15]
	s_mov_b64 s[0:1], 0
	v_min_f32_e32 v1, 0, v1
	v_cvt_f16_f32_e32 v1, v1
	flat_store_short v[2:3], v1
.LBB209_175:
	s_andn2_b64 vcc, exec, s[0:1]
	v_mov_b32_e32 v1, 0
	s_cbranch_vccnz .LBB209_177
; %bb.176:
	v_lshlrev_b64 v[2:3], 1, v[42:43]
	v_lshl_add_u64 v[4:5], v[12:13], 0, v[2:3]
	flat_load_ushort v4, v[4:5]
	v_max_f16_e32 v5, v0, v0
	v_lshl_add_u64 v[0:1], v[14:15], 0, v[2:3]
	s_waitcnt vmcnt(0) lgkmcnt(0)
	v_mul_f16_e32 v2, s28, v4
	v_min_f16_e32 v2, v2, v5
	flat_store_short v[0:1], v2
	v_lshl_add_u64 v[0:1], v[44:45], 1, v[12:13]
	flat_load_ushort v0, v[0:1]
	s_waitcnt vmcnt(0) lgkmcnt(0)
	v_mul_f16_e32 v0, s28, v0
	v_cvt_f32_f16_e32 v1, v0
.LBB209_177:
	v_pk_add_f16 v0, v24, v26
	v_max_f16_e32 v2, v57, v57
	v_pk_add_f16 v3, v25, v27
	v_min_f16_e32 v2, v2, v0
	v_lshrrev_b32_e32 v4, 16, v57
	v_lshrrev_b32_e32 v0, 16, v0
	;; [unrolled: 1-line block ×3, first 2 shown]
	v_min3_f16 v0, v4, v0, v5
	v_min3_f16 v0, v2, v3, v0
	v_cvt_f32_f16_e32 v0, v0
	v_max_f32_e32 v1, v1, v1
	v_min_f32_e32 v0, v1, v0
	v_cvt_f16_f32_e32 v2, v0
	v_lshl_add_u64 v[0:1], v[44:45], 1, v[14:15]
	flat_store_short v[0:1], v2
	s_endpgm
	.section	.rodata,"a",@progbits
	.p2align	6, 0x0
	.amdhsa_kernel _ZN12_GLOBAL__N_120geam_min_plus_kernelIDF16_Dv2_DF16_S1_Li32ELi8ELi256ELi64ELi4ELi64ELi4ELi4ELi64ELc78ELc78ELb0ELb0ELb1EDF16_KPKDF16_KPDF16_EEviiiT16_PT17_ilS9_ilS7_S9_ilPT18_ili26rocblas_geam_ex_operation_
		.amdhsa_group_segment_fixed_size 5120
		.amdhsa_private_segment_fixed_size 0
		.amdhsa_kernarg_size 128
		.amdhsa_user_sgpr_count 2
		.amdhsa_user_sgpr_dispatch_ptr 0
		.amdhsa_user_sgpr_queue_ptr 0
		.amdhsa_user_sgpr_kernarg_segment_ptr 1
		.amdhsa_user_sgpr_dispatch_id 0
		.amdhsa_user_sgpr_kernarg_preload_length 0
		.amdhsa_user_sgpr_kernarg_preload_offset 0
		.amdhsa_user_sgpr_private_segment_size 0
		.amdhsa_uses_dynamic_stack 0
		.amdhsa_enable_private_segment 0
		.amdhsa_system_sgpr_workgroup_id_x 1
		.amdhsa_system_sgpr_workgroup_id_y 0
		.amdhsa_system_sgpr_workgroup_id_z 1
		.amdhsa_system_sgpr_workgroup_info 0
		.amdhsa_system_vgpr_workitem_id 1
		.amdhsa_next_free_vgpr 137
		.amdhsa_next_free_sgpr 32
		.amdhsa_accum_offset 140
		.amdhsa_reserve_vcc 1
		.amdhsa_float_round_mode_32 0
		.amdhsa_float_round_mode_16_64 0
		.amdhsa_float_denorm_mode_32 3
		.amdhsa_float_denorm_mode_16_64 3
		.amdhsa_dx10_clamp 1
		.amdhsa_ieee_mode 1
		.amdhsa_fp16_overflow 0
		.amdhsa_tg_split 0
		.amdhsa_exception_fp_ieee_invalid_op 0
		.amdhsa_exception_fp_denorm_src 0
		.amdhsa_exception_fp_ieee_div_zero 0
		.amdhsa_exception_fp_ieee_overflow 0
		.amdhsa_exception_fp_ieee_underflow 0
		.amdhsa_exception_fp_ieee_inexact 0
		.amdhsa_exception_int_div_zero 0
	.end_amdhsa_kernel
	.section	.text._ZN12_GLOBAL__N_120geam_min_plus_kernelIDF16_Dv2_DF16_S1_Li32ELi8ELi256ELi64ELi4ELi64ELi4ELi4ELi64ELc78ELc78ELb0ELb0ELb1EDF16_KPKDF16_KPDF16_EEviiiT16_PT17_ilS9_ilS7_S9_ilPT18_ili26rocblas_geam_ex_operation_,"axG",@progbits,_ZN12_GLOBAL__N_120geam_min_plus_kernelIDF16_Dv2_DF16_S1_Li32ELi8ELi256ELi64ELi4ELi64ELi4ELi4ELi64ELc78ELc78ELb0ELb0ELb1EDF16_KPKDF16_KPDF16_EEviiiT16_PT17_ilS9_ilS7_S9_ilPT18_ili26rocblas_geam_ex_operation_,comdat
.Lfunc_end209:
	.size	_ZN12_GLOBAL__N_120geam_min_plus_kernelIDF16_Dv2_DF16_S1_Li32ELi8ELi256ELi64ELi4ELi64ELi4ELi4ELi64ELc78ELc78ELb0ELb0ELb1EDF16_KPKDF16_KPDF16_EEviiiT16_PT17_ilS9_ilS7_S9_ilPT18_ili26rocblas_geam_ex_operation_, .Lfunc_end209-_ZN12_GLOBAL__N_120geam_min_plus_kernelIDF16_Dv2_DF16_S1_Li32ELi8ELi256ELi64ELi4ELi64ELi4ELi4ELi64ELc78ELc78ELb0ELb0ELb1EDF16_KPKDF16_KPDF16_EEviiiT16_PT17_ilS9_ilS7_S9_ilPT18_ili26rocblas_geam_ex_operation_
                                        ; -- End function
	.set _ZN12_GLOBAL__N_120geam_min_plus_kernelIDF16_Dv2_DF16_S1_Li32ELi8ELi256ELi64ELi4ELi64ELi4ELi4ELi64ELc78ELc78ELb0ELb0ELb1EDF16_KPKDF16_KPDF16_EEviiiT16_PT17_ilS9_ilS7_S9_ilPT18_ili26rocblas_geam_ex_operation_.num_vgpr, 137
	.set _ZN12_GLOBAL__N_120geam_min_plus_kernelIDF16_Dv2_DF16_S1_Li32ELi8ELi256ELi64ELi4ELi64ELi4ELi4ELi64ELc78ELc78ELb0ELb0ELb1EDF16_KPKDF16_KPDF16_EEviiiT16_PT17_ilS9_ilS7_S9_ilPT18_ili26rocblas_geam_ex_operation_.num_agpr, 0
	.set _ZN12_GLOBAL__N_120geam_min_plus_kernelIDF16_Dv2_DF16_S1_Li32ELi8ELi256ELi64ELi4ELi64ELi4ELi4ELi64ELc78ELc78ELb0ELb0ELb1EDF16_KPKDF16_KPDF16_EEviiiT16_PT17_ilS9_ilS7_S9_ilPT18_ili26rocblas_geam_ex_operation_.numbered_sgpr, 32
	.set _ZN12_GLOBAL__N_120geam_min_plus_kernelIDF16_Dv2_DF16_S1_Li32ELi8ELi256ELi64ELi4ELi64ELi4ELi4ELi64ELc78ELc78ELb0ELb0ELb1EDF16_KPKDF16_KPDF16_EEviiiT16_PT17_ilS9_ilS7_S9_ilPT18_ili26rocblas_geam_ex_operation_.num_named_barrier, 0
	.set _ZN12_GLOBAL__N_120geam_min_plus_kernelIDF16_Dv2_DF16_S1_Li32ELi8ELi256ELi64ELi4ELi64ELi4ELi4ELi64ELc78ELc78ELb0ELb0ELb1EDF16_KPKDF16_KPDF16_EEviiiT16_PT17_ilS9_ilS7_S9_ilPT18_ili26rocblas_geam_ex_operation_.private_seg_size, 0
	.set _ZN12_GLOBAL__N_120geam_min_plus_kernelIDF16_Dv2_DF16_S1_Li32ELi8ELi256ELi64ELi4ELi64ELi4ELi4ELi64ELc78ELc78ELb0ELb0ELb1EDF16_KPKDF16_KPDF16_EEviiiT16_PT17_ilS9_ilS7_S9_ilPT18_ili26rocblas_geam_ex_operation_.uses_vcc, 1
	.set _ZN12_GLOBAL__N_120geam_min_plus_kernelIDF16_Dv2_DF16_S1_Li32ELi8ELi256ELi64ELi4ELi64ELi4ELi4ELi64ELc78ELc78ELb0ELb0ELb1EDF16_KPKDF16_KPDF16_EEviiiT16_PT17_ilS9_ilS7_S9_ilPT18_ili26rocblas_geam_ex_operation_.uses_flat_scratch, 0
	.set _ZN12_GLOBAL__N_120geam_min_plus_kernelIDF16_Dv2_DF16_S1_Li32ELi8ELi256ELi64ELi4ELi64ELi4ELi4ELi64ELc78ELc78ELb0ELb0ELb1EDF16_KPKDF16_KPDF16_EEviiiT16_PT17_ilS9_ilS7_S9_ilPT18_ili26rocblas_geam_ex_operation_.has_dyn_sized_stack, 0
	.set _ZN12_GLOBAL__N_120geam_min_plus_kernelIDF16_Dv2_DF16_S1_Li32ELi8ELi256ELi64ELi4ELi64ELi4ELi4ELi64ELc78ELc78ELb0ELb0ELb1EDF16_KPKDF16_KPDF16_EEviiiT16_PT17_ilS9_ilS7_S9_ilPT18_ili26rocblas_geam_ex_operation_.has_recursion, 0
	.set _ZN12_GLOBAL__N_120geam_min_plus_kernelIDF16_Dv2_DF16_S1_Li32ELi8ELi256ELi64ELi4ELi64ELi4ELi4ELi64ELc78ELc78ELb0ELb0ELb1EDF16_KPKDF16_KPDF16_EEviiiT16_PT17_ilS9_ilS7_S9_ilPT18_ili26rocblas_geam_ex_operation_.has_indirect_call, 0
	.section	.AMDGPU.csdata,"",@progbits
; Kernel info:
; codeLenInByte = 18232
; TotalNumSgprs: 38
; NumVgprs: 137
; NumAgprs: 0
; TotalNumVgprs: 137
; ScratchSize: 0
; MemoryBound: 0
; FloatMode: 240
; IeeeMode: 1
; LDSByteSize: 5120 bytes/workgroup (compile time only)
; SGPRBlocks: 4
; VGPRBlocks: 17
; NumSGPRsForWavesPerEU: 38
; NumVGPRsForWavesPerEU: 137
; AccumOffset: 140
; Occupancy: 3
; WaveLimiterHint : 1
; COMPUTE_PGM_RSRC2:SCRATCH_EN: 0
; COMPUTE_PGM_RSRC2:USER_SGPR: 2
; COMPUTE_PGM_RSRC2:TRAP_HANDLER: 0
; COMPUTE_PGM_RSRC2:TGID_X_EN: 1
; COMPUTE_PGM_RSRC2:TGID_Y_EN: 0
; COMPUTE_PGM_RSRC2:TGID_Z_EN: 1
; COMPUTE_PGM_RSRC2:TIDIG_COMP_CNT: 1
; COMPUTE_PGM_RSRC3_GFX90A:ACCUM_OFFSET: 34
; COMPUTE_PGM_RSRC3_GFX90A:TG_SPLIT: 0
	.section	.text._ZN12_GLOBAL__N_120geam_min_plus_kernelIDF16_Dv2_DF16_S1_Li32ELi8ELi256ELi64ELi4ELi64ELi4ELi4ELi64ELc78ELc78ELb0ELb1ELb1EPKDF16_KS3_KPDF16_EEviiiT16_PT17_ilS9_ilS7_S9_ilPT18_ili26rocblas_geam_ex_operation_,"axG",@progbits,_ZN12_GLOBAL__N_120geam_min_plus_kernelIDF16_Dv2_DF16_S1_Li32ELi8ELi256ELi64ELi4ELi64ELi4ELi4ELi64ELc78ELc78ELb0ELb1ELb1EPKDF16_KS3_KPDF16_EEviiiT16_PT17_ilS9_ilS7_S9_ilPT18_ili26rocblas_geam_ex_operation_,comdat
	.globl	_ZN12_GLOBAL__N_120geam_min_plus_kernelIDF16_Dv2_DF16_S1_Li32ELi8ELi256ELi64ELi4ELi64ELi4ELi4ELi64ELc78ELc78ELb0ELb1ELb1EPKDF16_KS3_KPDF16_EEviiiT16_PT17_ilS9_ilS7_S9_ilPT18_ili26rocblas_geam_ex_operation_ ; -- Begin function _ZN12_GLOBAL__N_120geam_min_plus_kernelIDF16_Dv2_DF16_S1_Li32ELi8ELi256ELi64ELi4ELi64ELi4ELi4ELi64ELc78ELc78ELb0ELb1ELb1EPKDF16_KS3_KPDF16_EEviiiT16_PT17_ilS9_ilS7_S9_ilPT18_ili26rocblas_geam_ex_operation_
	.p2align	8
	.type	_ZN12_GLOBAL__N_120geam_min_plus_kernelIDF16_Dv2_DF16_S1_Li32ELi8ELi256ELi64ELi4ELi64ELi4ELi4ELi64ELc78ELc78ELb0ELb1ELb1EPKDF16_KS3_KPDF16_EEviiiT16_PT17_ilS9_ilS7_S9_ilPT18_ili26rocblas_geam_ex_operation_,@function
_ZN12_GLOBAL__N_120geam_min_plus_kernelIDF16_Dv2_DF16_S1_Li32ELi8ELi256ELi64ELi4ELi64ELi4ELi4ELi64ELc78ELc78ELb0ELb1ELb1EPKDF16_KS3_KPDF16_EEviiiT16_PT17_ilS9_ilS7_S9_ilPT18_ili26rocblas_geam_ex_operation_: ; @_ZN12_GLOBAL__N_120geam_min_plus_kernelIDF16_Dv2_DF16_S1_Li32ELi8ELi256ELi64ELi4ELi64ELi4ELi4ELi64ELc78ELc78ELb0ELb1ELb1EPKDF16_KS3_KPDF16_EEviiiT16_PT17_ilS9_ilS7_S9_ilPT18_ili26rocblas_geam_ex_operation_
; %bb.0:
	s_load_dwordx4 s[4:7], s[0:1], 0x10
	s_load_dwordx4 s[12:15], s[0:1], 0x28
	;; [unrolled: 1-line block ×3, first 2 shown]
	s_mov_b32 s26, s3
	s_mov_b32 s27, 0
	s_lshl_b64 s[16:17], s[26:27], 1
	s_waitcnt lgkmcnt(0)
	s_add_u32 s4, s4, s16
	s_addc_u32 s5, s5, s17
	v_mov_b32_e32 v1, 0
	global_load_ushort v46, v1, s[4:5]
	s_add_u32 s4, s10, s16
	s_addc_u32 s5, s11, s17
	global_load_ushort v52, v1, s[4:5]
	s_load_dwordx2 s[20:21], s[0:1], 0x50
	s_mov_b64 s[28:29], 0
	s_mov_b64 s[18:19], 0
	s_waitcnt vmcnt(1)
	v_cmp_eq_f16_e32 vcc, 0, v46
	v_cmp_neq_f16_e64 s[4:5], 0, v46
	s_cbranch_vccnz .LBB210_2
; %bb.1:
	s_lshl_b64 s[10:11], s[26:27], 3
	s_add_u32 s6, s6, s10
	s_addc_u32 s7, s7, s11
	s_load_dwordx2 s[6:7], s[6:7], 0x0
	s_lshl_b64 s[10:11], s[12:13], 1
	s_waitcnt lgkmcnt(0)
	s_add_u32 s18, s6, s10
	s_addc_u32 s19, s7, s11
.LBB210_2:
	s_andn2_b64 vcc, exec, s[4:5]
	s_cbranch_vccnz .LBB210_4
; %bb.3:
	s_lshl_b64 s[4:5], s[26:27], 3
	s_add_u32 s4, s14, s4
	s_addc_u32 s5, s15, s5
	s_load_dwordx2 s[4:5], s[4:5], 0x0
	s_lshl_b64 s[6:7], s[8:9], 1
	s_waitcnt lgkmcnt(0)
	s_add_u32 s28, s4, s6
	s_addc_u32 s29, s5, s7
.LBB210_4:
	s_load_dwordx4 s[4:7], s[0:1], 0x60
	s_waitcnt vmcnt(0)
	v_cmp_eq_f16_e32 vcc, 0, v52
	v_cmp_neq_f16_e64 s[16:17], 0, v52
	s_cbranch_vccnz .LBB210_6
; %bb.5:
	s_lshl_b64 s[8:9], s[26:27], 3
	s_waitcnt lgkmcnt(0)
	s_add_u32 s8, s20, s8
	s_addc_u32 s9, s21, s9
	s_load_dwordx2 s[8:9], s[8:9], 0x0
	s_lshl_b64 s[4:5], s[4:5], 1
	s_waitcnt lgkmcnt(0)
	s_add_u32 s24, s8, s4
	s_addc_u32 s25, s9, s5
	s_branch .LBB210_7
.LBB210_6:
	s_mov_b64 s[24:25], 0
.LBB210_7:
	s_waitcnt lgkmcnt(0)
	s_load_dwordx4 s[20:23], s[0:1], 0x0
	s_lshl_b64 s[4:5], s[26:27], 3
	s_add_u32 s26, s6, s4
	s_addc_u32 s27, s7, s5
	v_and_b32_e32 v44, 0x3ff, v0
	s_waitcnt lgkmcnt(0)
	s_add_i32 s14, s20, -1
	s_ashr_i32 s3, s14, 31
	s_lshr_b32 s3, s3, 24
	s_add_i32 s3, s14, s3
	s_ashr_i32 s3, s3, 8
	s_add_i32 s4, s3, 1
	v_cvt_f32_u32_e32 v1, s4
	v_bfe_u32 v45, v0, 10, 10
	s_not_b32 s3, s3
	s_load_dword s23, s[0:1], 0x20
	v_rcp_iflag_f32_e32 v1, v1
	v_lshl_add_u32 v7, v45, 5, v44
	v_and_b32_e32 v2, 63, v7
	v_lshrrev_b32_e32 v47, 6, v7
	v_mul_f32_e32 v0, 0x4f7ffffe, v1
	v_cvt_u32_f32_e32 v0, v0
	v_cmp_le_i32_e64 s[12:13], s22, v47
	v_cmp_eq_f16_e32 vcc, 0, v46
	v_mov_b32_e32 v4, 0x7c00
	v_readfirstlane_b32 s5, v0
	s_mul_i32 s3, s3, s5
	s_mul_hi_u32 s3, s5, s3
	s_add_i32 s5, s5, s3
	s_mul_hi_u32 s3, s2, s5
	s_mul_i32 s5, s3, s4
	s_sub_i32 s5, s2, s5
	s_add_i32 s6, s3, 1
	s_sub_i32 s7, s5, s4
	s_cmp_ge_u32 s5, s4
	s_cselect_b32 s3, s6, s3
	s_cselect_b32 s5, s7, s5
	s_add_i32 s6, s3, 1
	s_cmp_ge_u32 s5, s4
	s_cselect_b32 s15, s6, s3
	s_mul_i32 s3, s15, s4
	s_sub_i32 s2, s2, s3
	s_lshl_b32 s30, s2, 8
	s_add_i32 s33, s22, -1
	v_or_b32_e32 v32, s30, v2
	v_min_i32_e32 v0, s33, v47
	s_waitcnt lgkmcnt(0)
	v_mad_i64_i32 v[0:1], s[2:3], s23, v0, 0
	v_cmp_le_i32_e64 s[4:5], s20, v32
	s_or_b64 s[2:3], s[4:5], s[12:13]
	v_lshl_add_u64 v[0:1], v[0:1], 1, s[18:19]
	v_cndmask_b32_e64 v3, 0, v4, s[2:3]
	s_nor_b64 s[6:7], vcc, s[2:3]
	v_ashrrev_i32_e32 v33, 31, v32
	s_and_saveexec_b64 s[2:3], s[6:7]
	s_cbranch_execz .LBB210_9
; %bb.8:
	v_lshl_add_u64 v[8:9], v[32:33], 1, v[0:1]
	flat_load_ushort v3, v[8:9]
	s_waitcnt vmcnt(0) lgkmcnt(0)
	v_mul_f16_e32 v3, v46, v3
.LBB210_9:
	s_or_b64 exec, exec, s[2:3]
	v_or_b32_e32 v5, 64, v32
	v_cmp_le_i32_e64 s[6:7], s20, v5
	v_min_i32_e32 v34, s14, v5
	s_or_b64 s[2:3], s[6:7], s[12:13]
	v_cndmask_b32_e64 v4, 0, v4, s[2:3]
	s_nor_b64 s[8:9], s[2:3], vcc
	v_ashrrev_i32_e32 v35, 31, v34
	s_and_saveexec_b64 s[2:3], s[8:9]
	s_cbranch_execz .LBB210_11
; %bb.10:
	v_lshl_add_u64 v[4:5], v[34:35], 1, v[0:1]
	flat_load_ushort v4, v[4:5]
	s_waitcnt vmcnt(0) lgkmcnt(0)
	v_mul_f16_e32 v4, v46, v4
.LBB210_11:
	s_or_b64 exec, exec, s[2:3]
	v_or_b32_e32 v5, 0x80, v32
	v_cmp_le_i32_e64 s[8:9], s20, v5
	v_min_i32_e32 v36, s14, v5
	v_mov_b32_e32 v6, 0x7c00
	s_or_b64 s[2:3], s[8:9], s[12:13]
	v_cndmask_b32_e64 v5, 0, v6, s[2:3]
	s_nor_b64 s[10:11], s[2:3], vcc
	v_ashrrev_i32_e32 v37, 31, v36
	s_and_saveexec_b64 s[2:3], s[10:11]
	s_cbranch_execz .LBB210_13
; %bb.12:
	v_lshl_add_u64 v[8:9], v[36:37], 1, v[0:1]
	flat_load_ushort v5, v[8:9]
	s_waitcnt vmcnt(0) lgkmcnt(0)
	v_mul_f16_e32 v5, v46, v5
.LBB210_13:
	s_or_b64 exec, exec, s[2:3]
	v_or_b32_e32 v8, 0xc0, v32
	v_cmp_le_i32_e64 s[10:11], s20, v8
	v_min_i32_e32 v38, s14, v8
	s_or_b64 s[2:3], s[10:11], s[12:13]
	v_cndmask_b32_e64 v6, 0, v6, s[2:3]
	s_nor_b64 s[12:13], s[2:3], vcc
	v_ashrrev_i32_e32 v39, 31, v38
	s_and_saveexec_b64 s[2:3], s[12:13]
	s_cbranch_execz .LBB210_15
; %bb.14:
	v_lshl_add_u64 v[0:1], v[38:39], 1, v[0:1]
	flat_load_ushort v0, v[0:1]
	s_waitcnt vmcnt(0) lgkmcnt(0)
	v_mul_f16_e32 v6, v46, v0
.LBB210_15:
	s_or_b64 exec, exec, s[2:3]
	s_load_dword s35, s[0:1], 0x38
	v_lshrrev_b32_e32 v7, 2, v7
	s_lshl_b32 s31, s15, 6
	v_and_b32_e32 v50, 3, v44
	v_add_u32_e32 v29, s31, v7
	v_cmp_le_i32_e64 s[2:3], s22, v50
	v_cmp_le_i32_e64 s[12:13], s21, v29
	v_mov_b32_e32 v9, 0x7c00
	s_or_b64 s[2:3], s[2:3], s[12:13]
	v_cndmask_b32_e64 v8, 0, v9, s[2:3]
	s_nor_b64 s[14:15], vcc, s[2:3]
	s_and_saveexec_b64 s[2:3], s[14:15]
	s_cbranch_execz .LBB210_17
; %bb.16:
	s_waitcnt lgkmcnt(0)
	v_mad_i64_i32 v[0:1], s[14:15], v29, s35, 0
	v_min_u32_e32 v8, s33, v50
	v_lshl_add_u64 v[0:1], v[0:1], 1, s[28:29]
	v_lshlrev_b32_e32 v10, 1, v8
	v_mov_b32_e32 v11, 0
	v_lshl_add_u64 v[0:1], v[0:1], 0, v[10:11]
	flat_load_ushort v0, v[0:1]
	s_waitcnt vmcnt(0) lgkmcnt(0)
	v_mul_f16_e32 v8, v46, v0
.LBB210_17:
	s_or_b64 exec, exec, s[2:3]
	v_add_u32_e32 v0, 4, v47
	v_cmp_le_i32_e64 s[14:15], s22, v0
	v_min_i32_e32 v0, s33, v0
	v_mad_i64_i32 v[0:1], s[2:3], s23, v0, 0
	s_or_b64 s[2:3], s[4:5], s[14:15]
	v_lshl_add_u64 v[0:1], v[0:1], 1, s[18:19]
	v_cndmask_b32_e64 v30, 0, v9, s[2:3]
	s_nor_b64 s[36:37], vcc, s[2:3]
	s_and_saveexec_b64 s[2:3], s[36:37]
	s_cbranch_execz .LBB210_19
; %bb.18:
	v_lshl_add_u64 v[10:11], v[32:33], 1, v[0:1]
	flat_load_ushort v9, v[10:11]
	s_waitcnt vmcnt(0) lgkmcnt(0)
	v_mul_f16_e32 v30, v46, v9
.LBB210_19:
	s_or_b64 exec, exec, s[2:3]
	v_mov_b32_e32 v9, 0x7c00
	s_or_b64 s[2:3], s[6:7], s[14:15]
	v_cndmask_b32_e64 v31, 0, v9, s[2:3]
	s_nor_b64 s[36:37], s[2:3], vcc
	s_and_saveexec_b64 s[2:3], s[36:37]
	s_cbranch_execz .LBB210_21
; %bb.20:
	v_lshl_add_u64 v[10:11], v[34:35], 1, v[0:1]
	flat_load_ushort v10, v[10:11]
	s_waitcnt vmcnt(0) lgkmcnt(0)
	v_mul_f16_e32 v31, v46, v10
.LBB210_21:
	s_or_b64 exec, exec, s[2:3]
	s_or_b64 s[2:3], s[8:9], s[14:15]
	v_cndmask_b32_e64 v40, 0, v9, s[2:3]
	s_nor_b64 s[36:37], s[2:3], vcc
	s_and_saveexec_b64 s[2:3], s[36:37]
	s_cbranch_execz .LBB210_23
; %bb.22:
	v_lshl_add_u64 v[10:11], v[36:37], 1, v[0:1]
	flat_load_ushort v9, v[10:11]
	s_waitcnt vmcnt(0) lgkmcnt(0)
	v_mul_f16_e32 v40, v46, v9
.LBB210_23:
	s_or_b64 exec, exec, s[2:3]
	v_mov_b32_e32 v9, 0x7c00
	s_or_b64 s[2:3], s[10:11], s[14:15]
	v_cndmask_b32_e64 v41, 0, v9, s[2:3]
	s_nor_b64 s[14:15], s[2:3], vcc
	s_and_saveexec_b64 s[2:3], s[14:15]
	s_cbranch_execz .LBB210_25
; %bb.24:
	v_lshl_add_u64 v[0:1], v[38:39], 1, v[0:1]
	flat_load_ushort v0, v[0:1]
	s_waitcnt vmcnt(0) lgkmcnt(0)
	v_mul_f16_e32 v41, v46, v0
.LBB210_25:
	s_or_b64 exec, exec, s[2:3]
	v_or_b32_e32 v0, 4, v50
	v_cmp_le_i32_e64 s[2:3], s22, v0
	s_or_b64 s[2:3], s[2:3], s[12:13]
	s_nor_b64 s[36:37], vcc, s[2:3]
	v_cndmask_b32_e64 v42, 0, v9, s[2:3]
	s_movk_i32 s14, 0x7c00
	s_and_saveexec_b64 s[2:3], s[36:37]
	s_cbranch_execz .LBB210_27
; %bb.26:
	s_waitcnt lgkmcnt(0)
	v_mad_i64_i32 v[10:11], s[36:37], v29, s35, 0
	v_min_u32_e32 v0, s33, v0
	v_lshl_add_u64 v[10:11], v[10:11], 1, s[28:29]
	v_lshlrev_b32_e32 v0, 1, v0
	v_mov_b32_e32 v1, 0
	v_lshl_add_u64 v[0:1], v[10:11], 0, v[0:1]
	flat_load_ushort v0, v[0:1]
	s_waitcnt vmcnt(0) lgkmcnt(0)
	v_mul_f16_e32 v42, v46, v0
.LBB210_27:
	s_or_b64 exec, exec, s[2:3]
	v_lshlrev_b32_e32 v0, 3, v2
	v_lshlrev_b32_e32 v28, 1, v50
	;; [unrolled: 1-line block ×3, first 2 shown]
	v_lshl_add_u32 v51, v47, 1, v0
	v_lshl_or_b32 v43, v7, 3, v28
	v_lshlrev_b32_e32 v49, 3, v44
	v_add_u32_e32 v92, 0x1000, v48
	s_load_dwordx2 s[26:27], s[26:27], 0x0
	ds_write_b16 v51, v3
	ds_write_b16 v51, v4 offset:512
	ds_write_b16 v51, v5 offset:1024
	;; [unrolled: 1-line block ×4, first 2 shown]
	s_waitcnt lgkmcnt(0)
	s_barrier
	ds_read2_b64 v[16:19], v49 offset1:32
	ds_read2_b64 v[12:15], v49 offset0:64 offset1:96
	ds_read2_b64 v[4:7], v49 offset0:128 offset1:160
	ds_read2_b64 v[54:57], v92 offset1:8
	ds_read2_b64 v[0:3], v49 offset0:192 offset1:224
	ds_read2_b64 v[24:27], v92 offset0:16 offset1:24
	ds_read2_b64 v[20:23], v92 offset0:32 offset1:40
	ds_read2_b64 v[8:11], v92 offset0:48 offset1:56
	s_cmp_lt_i32 s22, 9
	s_waitcnt lgkmcnt(4)
	v_pk_add_f16 v53, v16, v54
	v_pk_add_f16 v58, v18, v54
	;; [unrolled: 1-line block ×6, first 2 shown]
	s_waitcnt lgkmcnt(3)
	v_pk_add_f16 v63, v0, v54
	v_pk_add_f16 v54, v2, v54
	v_pk_add_f16 v64, v16, v56
	v_pk_add_f16 v65, v18, v56
	v_pk_add_f16 v66, v12, v56
	v_pk_add_f16 v67, v14, v56
	v_pk_add_f16 v68, v4, v56
	v_pk_add_f16 v69, v6, v56
	v_pk_add_f16 v70, v0, v56
	v_pk_add_f16 v56, v2, v56
	s_waitcnt lgkmcnt(2)
	v_pk_add_f16 v71, v16, v24
	v_pk_add_f16 v72, v18, v24
	v_pk_add_f16 v73, v12, v24
	v_pk_add_f16 v74, v14, v24
	v_pk_add_f16 v75, v4, v24
	v_pk_add_f16 v76, v6, v24
	v_pk_add_f16 v77, v0, v24
	v_pk_add_f16 v24, v2, v24
	v_pk_add_f16 v78, v16, v26
	v_pk_add_f16 v79, v18, v26
	v_pk_add_f16 v80, v12, v26
	v_pk_add_f16 v81, v14, v26
	v_pk_add_f16 v82, v4, v26
	v_pk_add_f16 v83, v6, v26
	v_pk_add_f16 v84, v0, v26
	v_pk_add_f16 v26, v2, v26
	s_waitcnt lgkmcnt(1)
	v_pk_add_f16 v118, v16, v20
	v_pk_add_f16 v119, v18, v20
	v_pk_add_f16 v120, v12, v20
	v_pk_add_f16 v121, v14, v20
	v_pk_add_f16 v122, v4, v20
	v_pk_add_f16 v123, v6, v20
	;; [unrolled: 17-line block ×3, first 2 shown]
	v_pk_add_f16 v138, v0, v8
	v_pk_add_f16 v8, v2, v8
	;; [unrolled: 1-line block ×11, first 2 shown]
	v_pk_min_f16 v10, v53, s14 op_sel_hi:[1,0]
	v_pk_min_f16 v8, v8, s14 op_sel_hi:[1,0]
	v_pk_min_f16 v117, v10, v2
	v_pk_add_f16 v2, v19, v55
	v_pk_min_f16 v10, v58, s14 op_sel_hi:[1,0]
	v_pk_min_f16 v4, v4, s14 op_sel_hi:[1,0]
	v_pk_min_f16 v116, v10, v2
	v_pk_add_f16 v2, v13, v55
	;; [unrolled: 4-line block ×3, first 2 shown]
	v_pk_min_f16 v10, v60, s14 op_sel_hi:[1,0]
	ds_write_b16 v51, v30 offset:2048
	ds_write_b16 v51, v31 offset:2560
	;; [unrolled: 1-line block ×5, first 2 shown]
	v_pk_min_f16 v114, v10, v2
	v_pk_add_f16 v2, v5, v55
	v_pk_min_f16 v10, v61, s14 op_sel_hi:[1,0]
	s_waitcnt lgkmcnt(0)
	v_pk_min_f16 v113, v10, v2
	v_pk_add_f16 v2, v7, v55
	v_pk_min_f16 v10, v62, s14 op_sel_hi:[1,0]
	s_barrier
	v_pk_min_f16 v112, v10, v2
	v_pk_add_f16 v2, v1, v55
	v_pk_min_f16 v10, v63, s14 op_sel_hi:[1,0]
	s_nop 0
	v_pk_min_f16 v111, v10, v2
	v_pk_add_f16 v2, v3, v55
	v_pk_min_f16 v10, v54, s14 op_sel_hi:[1,0]
	s_nop 0
	;; [unrolled: 4-line block ×48, first 2 shown]
	v_pk_min_f16 v63, v10, v2
	v_pk_add_f16 v2, v1, v9
	v_pk_min_f16 v10, v138, s14 op_sel_hi:[1,0]
	v_pk_add_f16 v1, v1, v11
	v_pk_min_f16 v62, v10, v2
	v_pk_add_f16 v2, v3, v9
	s_nop 0
	v_pk_min_f16 v61, v8, v2
	v_pk_add_f16 v2, v17, v11
	v_pk_min_f16 v8, v16, s14 op_sel_hi:[1,0]
	s_nop 0
	v_pk_min_f16 v60, v8, v2
	v_pk_add_f16 v2, v19, v11
	v_pk_min_f16 v8, v18, s14 op_sel_hi:[1,0]
	;; [unrolled: 4-line block ×4, first 2 shown]
	s_nop 0
	v_pk_min_f16 v57, v8, v2
	v_pk_add_f16 v2, v5, v11
	s_nop 0
	v_pk_min_f16 v55, v4, v2
	v_pk_add_f16 v2, v7, v11
	v_pk_min_f16 v4, v6, s14 op_sel_hi:[1,0]
	s_nop 0
	v_pk_min_f16 v54, v4, v2
	v_pk_min_f16 v2, v139, s14 op_sel_hi:[1,0]
	s_nop 0
	v_pk_min_f16 v53, v2, v1
	v_pk_add_f16 v1, v3, v11
	s_nop 0
	v_pk_min_f16 v56, v0, v1
	s_cbranch_scc1 .LBB210_50
; %bb.28:
	v_mov_b32_e32 v0, 0x800
	v_lshl_add_u32 v121, v44, 3, v0
	v_mov_b32_e32 v0, 0x1200
	v_lshl_add_u32 v122, v45, 3, v0
	v_mad_i64_i32 v[0:1], s[2:3], s35, v29, 0
	v_mov_b32_e32 v29, 0
	v_lshl_add_u64 v[0:1], v[0:1], 1, v[28:29]
	v_lshl_add_u64 v[0:1], s[28:29], 0, v[0:1]
	v_add_u32_e32 v118, 0x1000, v43
	v_add_u32_e32 v119, 0x800, v51
	;; [unrolled: 1-line block ×3, first 2 shown]
	s_add_i32 s34, s22, -8
	v_lshl_add_u64 v[40:41], v[0:1], 0, 24
	s_mov_b32 s28, 0
	v_mov_b32_e32 v123, 0x7c00
	s_branch .LBB210_30
.LBB210_29:                             ;   in Loop: Header=BB210_30 Depth=1
	s_or_b64 exec, exec, s[2:3]
	v_pk_add_f16 v43, v12, v28
	v_pk_max_f16 v117, v117, v117
	v_pk_max_f16 v116, v116, v116
	v_pk_min_f16 v43, v117, v43
	v_pk_add_f16 v117, v14, v28
	v_pk_max_f16 v115, v115, v115
	v_pk_min_f16 v116, v116, v117
	v_pk_add_f16 v117, v8, v28
	v_pk_max_f16 v114, v114, v114
	v_pk_min_f16 v115, v115, v117
	v_pk_add_f16 v117, v10, v28
	v_pk_max_f16 v113, v113, v113
	v_pk_min_f16 v114, v114, v117
	v_pk_add_f16 v117, v4, v28
	v_pk_max_f16 v112, v112, v112
	v_pk_min_f16 v113, v113, v117
	v_pk_add_f16 v117, v6, v28
	v_pk_max_f16 v110, v110, v110
	v_pk_min_f16 v112, v112, v117
	v_pk_add_f16 v117, v0, v28
	v_pk_add_f16 v28, v2, v28
	v_pk_max_f16 v109, v109, v109
	v_pk_min_f16 v28, v110, v28
	v_pk_add_f16 v110, v12, v30
	v_pk_max_f16 v108, v108, v108
	v_pk_min_f16 v109, v109, v110
	v_pk_add_f16 v110, v14, v30
	v_pk_max_f16 v107, v107, v107
	v_pk_min_f16 v108, v108, v110
	v_pk_add_f16 v110, v8, v30
	v_pk_max_f16 v106, v106, v106
	v_pk_min_f16 v107, v107, v110
	v_pk_add_f16 v110, v10, v30
	v_pk_max_f16 v105, v105, v105
	v_pk_min_f16 v106, v106, v110
	v_pk_add_f16 v110, v4, v30
	v_pk_max_f16 v104, v104, v104
	v_pk_min_f16 v105, v105, v110
	v_pk_add_f16 v110, v6, v30
	v_pk_max_f16 v102, v102, v102
	v_pk_min_f16 v104, v104, v110
	v_pk_add_f16 v110, v0, v30
	v_pk_add_f16 v30, v2, v30
	v_pk_max_f16 v101, v101, v101
	v_pk_min_f16 v30, v102, v30
	v_pk_add_f16 v102, v12, v24
	;; [unrolled: 22-line block ×6, first 2 shown]
	v_pk_max_f16 v67, v67, v67
	v_pk_min_f16 v68, v68, v69
	v_pk_add_f16 v69, v14, v16
	v_pk_max_f16 v66, v66, v66
	v_pk_min_f16 v67, v67, v69
	v_pk_add_f16 v69, v8, v16
	;; [unrolled: 3-line block ×5, first 2 shown]
	v_pk_add_f16 v12, v12, v18
	v_pk_min_f16 v63, v63, v69
	v_pk_add_f16 v69, v0, v16
	v_pk_add_f16 v16, v2, v16
	;; [unrolled: 1-line block ×9, first 2 shown]
	v_pk_max_f16 v18, v56, v56
	v_pk_max_f16 v53, v53, v53
	v_pk_min_f16 v2, v18, v2
	v_pk_add_f16 v18, v13, v29
	v_pk_max_f16 v54, v54, v54
	v_pk_min_f16 v43, v43, v18
	v_pk_add_f16 v18, v15, v29
	v_pk_min_f16 v0, v53, v0
	v_pk_min_f16 v53, v116, v18
	v_pk_add_f16 v18, v9, v29
	v_pk_max_f16 v55, v55, v55
	v_pk_min_f16 v6, v54, v6
	v_pk_min_f16 v54, v115, v18
	v_pk_add_f16 v18, v11, v29
	v_pk_min_f16 v4, v55, v4
	v_pk_min_f16 v55, v114, v18
	v_pk_add_f16 v18, v5, v29
	v_pk_max_f16 v111, v111, v111
	v_pk_max_f16 v57, v57, v57
	v_pk_min_f16 v56, v113, v18
	v_pk_add_f16 v18, v7, v29
	v_pk_min_f16 v111, v111, v117
	v_pk_max_f16 v58, v58, v58
	v_pk_min_f16 v10, v57, v10
	v_pk_min_f16 v57, v112, v18
	v_pk_add_f16 v18, v1, v29
	v_pk_max_f16 v59, v59, v59
	v_pk_min_f16 v8, v58, v8
	v_pk_min_f16 v58, v111, v18
	v_pk_add_f16 v18, v3, v29
	;; [unrolled: 4-line block ×7, first 2 shown]
	v_pk_max_f16 v103, v103, v103
	v_pk_max_f16 v86, v86, v86
	v_pk_min_f16 v78, v78, v85
	v_pk_min_f16 v85, v105, v18
	v_pk_add_f16 v18, v7, v31
	v_pk_min_f16 v103, v103, v110
	v_pk_max_f16 v95, v95, v95
	v_pk_min_f16 v86, v86, v94
	v_pk_min_f16 v94, v104, v18
	v_pk_add_f16 v18, v1, v31
	v_pk_min_f16 v95, v95, v102
	v_pk_min_f16 v102, v103, v18
	v_pk_add_f16 v18, v3, v31
	v_pk_max_f16 v43, v43, v43
	v_pk_min_f16 v128, v30, v18
	v_pk_add_f16 v18, v13, v25
	v_pk_max_f16 v53, v53, v53
	;; [unrolled: 3-line block ×6, first 2 shown]
	v_pk_min_f16 v97, v97, v18
	v_pk_add_f16 v18, v7, v25
	s_add_i32 s28, s28, 8
	v_pk_min_f16 v96, v96, v18
	v_pk_add_f16 v18, v1, v25
	s_cmp_ge_i32 s28, s34
	v_pk_min_f16 v95, v95, v18
	v_pk_add_f16 v18, v3, v25
	v_lshl_add_u64 v[40:41], v[40:41], 0, 16
	v_pk_min_f16 v129, v24, v18
	v_pk_add_f16 v18, v13, v27
	s_nop 0
	v_pk_min_f16 v93, v93, v18
	v_pk_add_f16 v18, v15, v27
	s_nop 0
	;; [unrolled: 3-line block ×24, first 2 shown]
	v_pk_min_f16 v132, v22, v18
	v_pk_add_f16 v18, v13, v17
	v_pk_add_f16 v13, v13, v19
	v_pk_min_f16 v68, v68, v18
	v_pk_add_f16 v18, v15, v17
	v_pk_min_f16 v134, v12, v13
	v_pk_min_f16 v67, v67, v18
	v_pk_add_f16 v18, v9, v17
	v_pk_add_f16 v9, v9, v19
	v_pk_min_f16 v66, v66, v18
	v_pk_add_f16 v18, v11, v17
	v_pk_add_f16 v12, v15, v19
	;; [unrolled: 3-line block ×3, first 2 shown]
	v_pk_min_f16 v64, v64, v18
	v_pk_add_f16 v18, v7, v17
	v_pk_min_f16 v136, v8, v9
	v_pk_min_f16 v63, v63, v18
	v_pk_add_f16 v18, v1, v17
	v_pk_add_f16 v1, v1, v19
	;; [unrolled: 1-line block ×4, first 2 shown]
	v_pk_min_f16 v138, v4, v5
	v_pk_add_f16 v4, v7, v19
	v_pk_min_f16 v140, v0, v1
	v_pk_add_f16 v0, v3, v19
	v_pk_min_f16 v62, v62, v18
	v_pk_min_f16 v133, v16, v17
	;; [unrolled: 1-line block ×6, first 2 shown]
	ds_read2_b64 v[16:19], v49 offset1:32
	ds_read2_b64 v[8:11], v49 offset0:64 offset1:96
	ds_read2_b64 v[4:7], v49 offset0:128 offset1:160
	ds_read2_b64 v[24:27], v92 offset1:8
	ds_read2_b64 v[0:3], v49 offset0:192 offset1:224
	ds_read2_b64 v[28:31], v92 offset0:16 offset1:24
	;; [unrolled: 1-line block ×4, first 2 shown]
	s_waitcnt lgkmcnt(4)
	v_pk_add_f16 v103, v16, v24
	v_pk_add_f16 v104, v18, v24
	v_pk_min_f16 v43, v43, v103
	v_pk_add_f16 v103, v17, v25
	v_pk_add_f16 v105, v8, v24
	v_pk_min_f16 v117, v43, v103
	v_pk_min_f16 v53, v53, v104
	v_pk_add_f16 v103, v19, v25
	v_pk_add_f16 v106, v10, v24
	v_pk_min_f16 v116, v53, v103
	;; [unrolled: 4-line block ×4, first 2 shown]
	v_pk_min_f16 v56, v56, v107
	v_pk_add_f16 v103, v5, v25
	v_pk_min_f16 v57, v57, v108
	v_pk_min_f16 v113, v56, v103
	v_pk_add_f16 v103, v7, v25
	s_waitcnt lgkmcnt(3)
	v_pk_add_f16 v109, v0, v24
	v_pk_min_f16 v112, v57, v103
	v_pk_max_f16 v57, v58, v58
	v_pk_add_f16 v58, v1, v25
	v_pk_min_f16 v57, v57, v109
	v_pk_add_f16 v24, v2, v24
	v_pk_min_f16 v111, v57, v58
	v_pk_max_f16 v57, v59, v59
	v_pk_add_f16 v25, v3, v25
	v_pk_min_f16 v24, v57, v24
	v_pk_add_f16 v142, v16, v26
	v_pk_min_f16 v110, v24, v25
	v_pk_max_f16 v24, v60, v60
	v_pk_add_f16 v25, v17, v27
	v_pk_min_f16 v24, v24, v142
	v_pk_add_f16 v143, v18, v26
	v_pk_min_f16 v109, v24, v25
	v_pk_max_f16 v24, v61, v61
	v_pk_add_f16 v25, v19, v27
	v_pk_min_f16 v24, v24, v143
	v_pk_add_f16 v144, v8, v26
	v_pk_min_f16 v108, v24, v25
	v_pk_max_f16 v24, v69, v69
	v_pk_add_f16 v25, v9, v27
	v_pk_min_f16 v24, v24, v144
	v_pk_add_f16 v145, v10, v26
	v_pk_min_f16 v107, v24, v25
	v_pk_max_f16 v24, v77, v77
	v_pk_add_f16 v25, v11, v27
	v_pk_min_f16 v24, v24, v145
	v_pk_add_f16 v146, v4, v26
	v_pk_min_f16 v106, v24, v25
	v_pk_max_f16 v24, v85, v85
	v_pk_add_f16 v25, v5, v27
	v_pk_min_f16 v24, v24, v146
	v_pk_add_f16 v147, v6, v26
	v_pk_min_f16 v105, v24, v25
	v_pk_max_f16 v24, v94, v94
	v_pk_add_f16 v148, v0, v26
	v_pk_add_f16 v26, v2, v26
	s_waitcnt lgkmcnt(2)
	v_pk_add_f16 v149, v16, v28
	v_pk_add_f16 v150, v18, v28
	v_pk_add_f16 v151, v8, v28
	v_pk_add_f16 v152, v10, v28
	v_pk_add_f16 v153, v4, v28
	v_pk_add_f16 v154, v6, v28
	v_pk_add_f16 v155, v0, v28
	v_pk_add_f16 v28, v2, v28
	v_pk_add_f16 v156, v16, v30
	v_pk_add_f16 v157, v18, v30
	v_pk_add_f16 v158, v8, v30
	v_pk_add_f16 v159, v10, v30
	v_pk_add_f16 v160, v4, v30
	v_pk_add_f16 v161, v6, v30
	v_pk_add_f16 v162, v0, v30
	v_pk_add_f16 v30, v2, v30
	s_waitcnt lgkmcnt(1)
	v_pk_add_f16 v163, v16, v20
	v_pk_add_f16 v164, v18, v20
	v_pk_add_f16 v165, v8, v20
	v_pk_add_f16 v166, v10, v20
	v_pk_add_f16 v167, v4, v20
	v_pk_add_f16 v168, v6, v20
	v_pk_add_f16 v169, v0, v20
	v_pk_add_f16 v20, v2, v20
	v_pk_add_f16 v170, v16, v22
	v_pk_add_f16 v171, v18, v22
	v_pk_add_f16 v172, v8, v22
	v_pk_add_f16 v173, v10, v22
	v_pk_add_f16 v174, v4, v22
	v_pk_add_f16 v175, v6, v22
	;; [unrolled: 17-line block ×3, first 2 shown]
	v_pk_add_f16 v0, v0, v14
	v_pk_min_f16 v24, v24, v147
	v_pk_add_f16 v25, v7, v27
	v_pk_add_f16 v2, v2, v14
	v_pk_max_f16 v14, v102, v102
	v_pk_min_f16 v104, v24, v25
	v_pk_min_f16 v14, v14, v148
	v_pk_add_f16 v24, v1, v27
	ds_write_b16 v119, v124
	ds_write_b16 v119, v125 offset:512
	ds_write_b16 v119, v126 offset:1024
	;; [unrolled: 1-line block ×3, first 2 shown]
	ds_write_b16 v120, v42
	v_pk_min_f16 v103, v14, v24
	v_pk_max_f16 v24, v128, v128
	v_pk_add_f16 v14, v3, v27
	v_pk_min_f16 v24, v24, v26
	s_waitcnt lgkmcnt(0)
	v_pk_min_f16 v102, v24, v14
	v_pk_max_f16 v24, v101, v101
	v_pk_add_f16 v14, v17, v29
	v_pk_min_f16 v24, v24, v149
	s_barrier
	v_pk_min_f16 v101, v24, v14
	v_pk_max_f16 v24, v100, v100
	v_pk_add_f16 v14, v19, v29
	v_pk_min_f16 v24, v24, v150
	s_nop 0
	v_pk_min_f16 v100, v24, v14
	v_pk_max_f16 v24, v99, v99
	v_pk_add_f16 v14, v9, v29
	v_pk_min_f16 v24, v24, v151
	s_nop 0
	;; [unrolled: 5-line block ×22, first 2 shown]
	v_pk_min_f16 v78, v24, v14
	v_pk_add_f16 v14, v3, v21
	v_pk_max_f16 v21, v131, v131
	s_nop 0
	v_pk_min_f16 v20, v21, v20
	s_nop 0
	v_pk_min_f16 v77, v20, v14
	v_pk_max_f16 v20, v76, v76
	v_pk_add_f16 v14, v17, v23
	v_pk_min_f16 v20, v20, v170
	s_nop 0
	v_pk_min_f16 v76, v20, v14
	v_pk_max_f16 v20, v75, v75
	v_pk_add_f16 v14, v19, v23
	;; [unrolled: 5-line block ×11, first 2 shown]
	v_pk_min_f16 v20, v20, v43
	v_pk_add_f16 v9, v9, v15
	v_pk_min_f16 v66, v20, v14
	v_pk_max_f16 v20, v65, v65
	v_pk_add_f16 v14, v11, v13
	v_pk_min_f16 v20, v20, v53
	s_nop 0
	v_pk_min_f16 v65, v20, v14
	v_pk_max_f16 v20, v64, v64
	v_pk_add_f16 v14, v5, v13
	v_pk_min_f16 v20, v20, v54
	v_pk_add_f16 v5, v5, v15
	v_pk_min_f16 v64, v20, v14
	v_pk_max_f16 v20, v63, v63
	v_pk_add_f16 v14, v7, v13
	v_pk_min_f16 v20, v20, v55
	s_nop 0
	v_pk_min_f16 v63, v20, v14
	v_pk_max_f16 v20, v62, v62
	v_pk_add_f16 v14, v1, v13
	;; [unrolled: 10-line block ×3, first 2 shown]
	v_pk_min_f16 v13, v13, v16
	s_nop 0
	v_pk_min_f16 v60, v13, v12
	v_pk_max_f16 v13, v135, v135
	v_pk_add_f16 v12, v19, v15
	v_pk_min_f16 v13, v13, v18
	s_nop 0
	v_pk_min_f16 v59, v13, v12
	v_pk_max_f16 v12, v136, v136
	s_nop 0
	v_pk_min_f16 v8, v12, v8
	s_nop 0
	v_pk_min_f16 v58, v8, v9
	v_pk_max_f16 v9, v137, v137
	v_pk_add_f16 v8, v11, v15
	v_pk_min_f16 v9, v9, v10
	s_nop 0
	v_pk_min_f16 v57, v9, v8
	v_pk_max_f16 v8, v138, v138
	s_nop 0
	;; [unrolled: 10-line block ×3, first 2 shown]
	v_pk_min_f16 v0, v4, v0
	s_nop 0
	v_pk_min_f16 v53, v0, v1
	v_pk_max_f16 v1, v141, v141
	v_pk_add_f16 v0, v3, v15
	v_pk_min_f16 v1, v1, v2
	s_nop 0
	v_pk_min_f16 v56, v1, v0
	s_cbranch_scc1 .LBB210_50
.LBB210_30:                             ; =>This Inner Loop Header: Depth=1
	v_add_u32_e32 v42, s28, v47
	v_add_u32_e32 v0, 8, v42
	v_cmp_le_i32_e64 s[14:15], s22, v0
	v_min_i32_e32 v0, s33, v0
	v_mad_i64_i32 v[0:1], s[2:3], v0, s23, 0
	s_or_b64 s[2:3], s[4:5], s[14:15]
	v_lshl_add_u64 v[0:1], v[0:1], 1, s[18:19]
	v_cndmask_b32_e64 v43, 0, v123, s[2:3]
	s_nor_b64 s[36:37], vcc, s[2:3]
	s_and_saveexec_b64 s[2:3], s[36:37]
	s_cbranch_execz .LBB210_32
; %bb.31:                               ;   in Loop: Header=BB210_30 Depth=1
	v_lshl_add_u64 v[2:3], v[32:33], 1, v[0:1]
	flat_load_ushort v2, v[2:3]
	s_waitcnt vmcnt(0) lgkmcnt(0)
	v_mul_f16_e32 v43, v46, v2
.LBB210_32:                             ;   in Loop: Header=BB210_30 Depth=1
	s_or_b64 exec, exec, s[2:3]
	s_or_b64 s[2:3], s[6:7], s[14:15]
	v_cndmask_b32_e64 v124, 0, v123, s[2:3]
	s_nor_b64 s[36:37], s[2:3], vcc
	s_and_saveexec_b64 s[2:3], s[36:37]
	s_cbranch_execz .LBB210_34
; %bb.33:                               ;   in Loop: Header=BB210_30 Depth=1
	v_lshl_add_u64 v[2:3], v[34:35], 1, v[0:1]
	flat_load_ushort v2, v[2:3]
	s_waitcnt vmcnt(0) lgkmcnt(0)
	v_mul_f16_e32 v124, v46, v2
.LBB210_34:                             ;   in Loop: Header=BB210_30 Depth=1
	s_or_b64 exec, exec, s[2:3]
	s_or_b64 s[2:3], s[8:9], s[14:15]
	v_cndmask_b32_e64 v125, 0, v123, s[2:3]
	s_nor_b64 s[36:37], s[2:3], vcc
	;; [unrolled: 12-line block ×3, first 2 shown]
	s_and_saveexec_b64 s[2:3], s[14:15]
	s_cbranch_execz .LBB210_38
; %bb.37:                               ;   in Loop: Header=BB210_30 Depth=1
	v_lshl_add_u64 v[0:1], v[38:39], 1, v[0:1]
	flat_load_ushort v0, v[0:1]
	s_waitcnt vmcnt(0) lgkmcnt(0)
	v_mul_f16_e32 v126, v46, v0
.LBB210_38:                             ;   in Loop: Header=BB210_30 Depth=1
	s_or_b64 exec, exec, s[2:3]
	v_add_u32_e32 v128, s28, v50
	v_add_u32_e32 v0, 8, v128
	v_cmp_le_i32_e64 s[2:3], s22, v0
	s_or_b64 s[2:3], s[2:3], s[12:13]
	s_nop 0
	v_cndmask_b32_e64 v127, 0, v123, s[2:3]
	s_nor_b64 s[2:3], vcc, s[2:3]
	s_and_saveexec_b64 s[14:15], s[2:3]
	s_cbranch_execz .LBB210_40
; %bb.39:                               ;   in Loop: Header=BB210_30 Depth=1
	v_add_co_u32_e64 v0, s[2:3], -8, v40
	s_nop 1
	v_addc_co_u32_e64 v1, s[2:3], -1, v41, s[2:3]
	flat_load_ushort v0, v[0:1]
	s_waitcnt vmcnt(0) lgkmcnt(0)
	v_mul_f16_e32 v127, v46, v0
.LBB210_40:                             ;   in Loop: Header=BB210_30 Depth=1
	s_or_b64 exec, exec, s[14:15]
	ds_read2_b64 v[12:15], v121 offset1:32
	ds_read2_b64 v[8:11], v121 offset0:64 offset1:96
	ds_read2_b64 v[4:7], v121 offset0:128 offset1:160
	;; [unrolled: 1-line block ×3, first 2 shown]
	ds_read2_b64 v[28:31], v122 offset1:8
	ds_read2_b64 v[24:27], v122 offset0:16 offset1:24
	ds_read2_b64 v[20:23], v122 offset0:32 offset1:40
	;; [unrolled: 1-line block ×3, first 2 shown]
	v_add_u32_e32 v42, 12, v42
	v_cmp_le_i32_e64 s[14:15], s22, v42
	v_min_i32_e32 v42, s33, v42
	ds_write_b16 v51, v43
	ds_write_b16 v51, v124 offset:512
	ds_write_b16 v51, v125 offset:1024
	;; [unrolled: 1-line block ×3, first 2 shown]
	ds_write_b16 v118, v127
	v_mad_i64_i32 v[42:43], s[2:3], v42, s23, 0
	s_or_b64 s[2:3], s[4:5], s[14:15]
	v_lshl_add_u64 v[42:43], v[42:43], 1, s[18:19]
	v_cndmask_b32_e64 v124, 0, v123, s[2:3]
	s_nor_b64 s[36:37], vcc, s[2:3]
	s_waitcnt lgkmcnt(0)
	s_barrier
	s_and_saveexec_b64 s[2:3], s[36:37]
	s_cbranch_execz .LBB210_42
; %bb.41:                               ;   in Loop: Header=BB210_30 Depth=1
	v_lshl_add_u64 v[124:125], v[32:33], 1, v[42:43]
	flat_load_ushort v124, v[124:125]
	s_waitcnt vmcnt(0) lgkmcnt(0)
	v_mul_f16_e32 v124, v46, v124
.LBB210_42:                             ;   in Loop: Header=BB210_30 Depth=1
	s_or_b64 exec, exec, s[2:3]
	s_or_b64 s[2:3], s[6:7], s[14:15]
	v_cndmask_b32_e64 v125, 0, v123, s[2:3]
	s_nor_b64 s[36:37], s[2:3], vcc
	s_and_saveexec_b64 s[2:3], s[36:37]
	s_cbranch_execz .LBB210_44
; %bb.43:                               ;   in Loop: Header=BB210_30 Depth=1
	v_lshl_add_u64 v[126:127], v[34:35], 1, v[42:43]
	flat_load_ushort v125, v[126:127]
	s_waitcnt vmcnt(0) lgkmcnt(0)
	v_mul_f16_e32 v125, v46, v125
.LBB210_44:                             ;   in Loop: Header=BB210_30 Depth=1
	s_or_b64 exec, exec, s[2:3]
	s_or_b64 s[2:3], s[8:9], s[14:15]
	v_cndmask_b32_e64 v126, 0, v123, s[2:3]
	s_nor_b64 s[36:37], s[2:3], vcc
	;; [unrolled: 12-line block ×3, first 2 shown]
	s_and_saveexec_b64 s[2:3], s[14:15]
	s_cbranch_execz .LBB210_48
; %bb.47:                               ;   in Loop: Header=BB210_30 Depth=1
	v_lshl_add_u64 v[42:43], v[38:39], 1, v[42:43]
	flat_load_ushort v42, v[42:43]
	s_waitcnt vmcnt(0) lgkmcnt(0)
	v_mul_f16_e32 v127, v46, v42
.LBB210_48:                             ;   in Loop: Header=BB210_30 Depth=1
	s_or_b64 exec, exec, s[2:3]
	v_add_u32_e32 v42, 12, v128
	v_cmp_le_i32_e64 s[2:3], s22, v42
	s_or_b64 s[2:3], s[2:3], s[12:13]
	s_nor_b64 s[14:15], vcc, s[2:3]
	v_cndmask_b32_e64 v42, 0, v123, s[2:3]
	s_and_saveexec_b64 s[2:3], s[14:15]
	s_cbranch_execz .LBB210_29
; %bb.49:                               ;   in Loop: Header=BB210_30 Depth=1
	flat_load_ushort v42, v[40:41]
	s_waitcnt vmcnt(0) lgkmcnt(0)
	v_mul_f16_e32 v42, v46, v42
	s_branch .LBB210_29
.LBB210_50:
	s_load_dwordx2 s[2:3], s[0:1], 0x78
	s_load_dword s29, s[0:1], 0x58
	s_load_dword s28, s[0:1], 0x70
	v_add_u32_e32 v0, 0x800, v49
	v_add_u32_e32 v4, 0x1000, v48
	ds_read2_b64 v[16:19], v0 offset1:32
	ds_read2_b64 v[12:15], v0 offset0:64 offset1:96
	ds_read2_b64 v[8:11], v0 offset0:128 offset1:160
	;; [unrolled: 1-line block ×7, first 2 shown]
	s_waitcnt lgkmcnt(0)
	s_lshl_b64 s[0:1], s[2:3], 1
	s_add_u32 s22, s26, s0
	v_add_u32_e32 v92, s31, v45
	s_addc_u32 s23, s27, s1
	v_mad_i64_i32 v[34:35], s[0:1], v92, s29, 0
	v_add_u32_e32 v32, s30, v44
	v_lshl_add_u64 v[50:51], v[34:35], 1, s[24:25]
	v_mad_i64_i32 v[34:35], s[0:1], v92, s28, 0
	v_cmp_gt_i32_e64 s[4:5], s20, v32
	v_cmp_gt_i32_e64 s[18:19], s21, v92
	v_lshl_add_u64 v[48:49], v[34:35], 1, s[22:23]
	v_cndmask_b32_e64 v34, 0, 1, s[16:17]
	v_ashrrev_i32_e32 v33, 31, v32
	s_and_b64 s[6:7], s[4:5], s[18:19]
	v_cmp_ne_u32_e64 s[0:1], 1, v34
	s_and_saveexec_b64 s[2:3], s[6:7]
	s_cbranch_execz .LBB210_55
; %bb.51:
	s_and_b64 vcc, exec, s[0:1]
	s_cbranch_vccnz .LBB210_53
; %bb.52:
	v_lshl_add_u64 v[34:35], v[32:33], 1, v[50:51]
	flat_load_ushort v34, v[34:35]
	s_waitcnt vmcnt(0) lgkmcnt(0)
	v_mul_f16_e32 v34, v52, v34
	v_cvt_f32_f16_e32 v34, v34
	s_branch .LBB210_54
.LBB210_53:
	v_mov_b32_e32 v34, 0
.LBB210_54:
	v_pk_add_f16 v35, v16, v28
	v_max_f16_e32 v36, v117, v117
	v_pk_add_f16 v38, v17, v29
	v_min_f16_e32 v36, v36, v35
	v_lshrrev_b32_e32 v37, 16, v117
	v_lshrrev_b32_e32 v35, 16, v35
	v_lshrrev_b32_e32 v39, 16, v38
	v_min3_f16 v35, v37, v35, v39
	v_min3_f16 v35, v36, v38, v35
	v_cvt_f32_f16_e32 v35, v35
	v_max_f32_e32 v34, v34, v34
	v_min_f32_e32 v34, v34, v35
	v_cvt_f16_f32_e32 v36, v34
	v_lshl_add_u64 v[34:35], v[32:33], 1, v[48:49]
	flat_store_short v[34:35], v36
.LBB210_55:
	s_or_b64 exec, exec, s[2:3]
	v_add_u32_e32 v34, 32, v32
	v_cmp_gt_i32_e64 s[2:3], s20, v34
	v_ashrrev_i32_e32 v35, 31, v34
	s_and_b64 s[8:9], s[2:3], s[18:19]
	s_and_saveexec_b64 s[6:7], s[8:9]
	s_cbranch_execz .LBB210_60
; %bb.56:
	s_and_b64 vcc, exec, s[0:1]
	s_cbranch_vccnz .LBB210_58
; %bb.57:
	v_lshl_add_u64 v[36:37], v[34:35], 1, v[50:51]
	flat_load_ushort v36, v[36:37]
	s_waitcnt vmcnt(0) lgkmcnt(0)
	v_mul_f16_e32 v36, v52, v36
	v_cvt_f32_f16_e32 v36, v36
	s_branch .LBB210_59
.LBB210_58:
	v_mov_b32_e32 v36, 0
.LBB210_59:
	v_pk_add_f16 v37, v18, v28
	v_max_f16_e32 v38, v116, v116
	v_pk_add_f16 v40, v19, v29
	v_min_f16_e32 v38, v38, v37
	v_lshrrev_b32_e32 v39, 16, v116
	v_lshrrev_b32_e32 v37, 16, v37
	v_lshrrev_b32_e32 v41, 16, v40
	v_min3_f16 v37, v39, v37, v41
	v_min3_f16 v37, v38, v40, v37
	v_cvt_f32_f16_e32 v37, v37
	v_max_f32_e32 v36, v36, v36
	v_min_f32_e32 v36, v36, v37
	v_cvt_f16_f32_e32 v38, v36
	v_lshl_add_u64 v[36:37], v[34:35], 1, v[48:49]
	flat_store_short v[36:37], v38
.LBB210_60:
	s_or_b64 exec, exec, s[6:7]
	v_add_u32_e32 v36, 64, v32
	v_cmp_gt_i32_e64 s[6:7], s20, v36
	v_ashrrev_i32_e32 v37, 31, v36
	s_and_b64 s[10:11], s[6:7], s[18:19]
	;; [unrolled: 36-line block ×5, first 2 shown]
	s_and_saveexec_b64 s[14:15], s[16:17]
	s_cbranch_execz .LBB210_80
; %bb.76:
	s_and_b64 vcc, exec, s[0:1]
	s_cbranch_vccnz .LBB210_78
; %bb.77:
	v_lshl_add_u64 v[44:45], v[42:43], 1, v[50:51]
	flat_load_ushort v44, v[44:45]
	s_waitcnt vmcnt(0) lgkmcnt(0)
	v_mul_f16_e32 v44, v52, v44
	v_cvt_f32_f16_e32 v44, v44
	s_branch .LBB210_79
.LBB210_78:
	v_mov_b32_e32 v44, 0
.LBB210_79:
	v_pk_add_f16 v45, v10, v28
	v_max_f16_e32 v46, v112, v112
	v_lshrrev_b32_e32 v47, 16, v112
	v_pk_add_f16 v112, v11, v29
	v_min_f16_e32 v46, v46, v45
	v_lshrrev_b32_e32 v45, 16, v45
	v_lshrrev_b32_e32 v113, 16, v112
	v_min3_f16 v45, v47, v45, v113
	v_min3_f16 v45, v46, v112, v45
	v_cvt_f32_f16_e32 v45, v45
	v_max_f32_e32 v44, v44, v44
	v_min_f32_e32 v44, v44, v45
	v_cvt_f16_f32_e32 v46, v44
	v_lshl_add_u64 v[44:45], v[42:43], 1, v[48:49]
	flat_store_short v[44:45], v46
.LBB210_80:
	s_or_b64 exec, exec, s[14:15]
	v_add_u32_e32 v44, 0xc0, v32
	v_cmp_gt_i32_e64 s[14:15], s20, v44
	v_ashrrev_i32_e32 v45, 31, v44
	s_and_b64 s[26:27], s[14:15], s[18:19]
	s_and_saveexec_b64 s[16:17], s[26:27]
	s_cbranch_execz .LBB210_85
; %bb.81:
	s_and_b64 vcc, exec, s[0:1]
	s_cbranch_vccnz .LBB210_83
; %bb.82:
	v_lshl_add_u64 v[46:47], v[44:45], 1, v[50:51]
	flat_load_ushort v46, v[46:47]
	s_waitcnt vmcnt(0) lgkmcnt(0)
	v_mul_f16_e32 v46, v52, v46
	v_cvt_f32_f16_e32 v46, v46
	s_branch .LBB210_84
.LBB210_83:
	v_mov_b32_e32 v46, 0
.LBB210_84:
	v_pk_add_f16 v47, v0, v28
	v_max_f16_e32 v112, v111, v111
	v_pk_add_f16 v113, v1, v29
	v_min_f16_e32 v112, v112, v47
	v_lshrrev_b32_e32 v111, 16, v111
	v_lshrrev_b32_e32 v47, 16, v47
	;; [unrolled: 1-line block ×3, first 2 shown]
	v_min3_f16 v47, v111, v47, v114
	v_min3_f16 v47, v112, v113, v47
	v_cvt_f32_f16_e32 v47, v47
	v_max_f32_e32 v46, v46, v46
	v_min_f32_e32 v46, v46, v47
	v_cvt_f16_f32_e32 v111, v46
	v_lshl_add_u64 v[46:47], v[44:45], 1, v[48:49]
	flat_store_short v[46:47], v111
.LBB210_85:
	s_or_b64 exec, exec, s[16:17]
	v_add_u32_e32 v46, 0xe0, v32
	v_cmp_gt_i32_e64 s[16:17], s20, v46
	v_ashrrev_i32_e32 v47, 31, v46
	s_and_b64 s[26:27], s[16:17], s[18:19]
	s_and_saveexec_b64 s[18:19], s[26:27]
	s_cbranch_execz .LBB210_90
; %bb.86:
	s_and_b64 vcc, exec, s[0:1]
	s_cbranch_vccnz .LBB210_88
; %bb.87:
	v_lshl_add_u64 v[50:51], v[46:47], 1, v[50:51]
	flat_load_ushort v50, v[50:51]
	s_waitcnt vmcnt(0) lgkmcnt(0)
	v_mul_f16_e32 v50, v52, v50
	v_cvt_f32_f16_e32 v50, v50
	s_branch .LBB210_89
.LBB210_88:
	v_mov_b32_e32 v50, 0
.LBB210_89:
	v_pk_add_f16 v28, v2, v28
	v_max_f16_e32 v51, v110, v110
	v_pk_add_f16 v29, v3, v29
	v_min_f16_e32 v51, v51, v28
	v_lshrrev_b32_e32 v110, 16, v110
	v_lshrrev_b32_e32 v28, 16, v28
	;; [unrolled: 1-line block ×3, first 2 shown]
	v_min3_f16 v28, v110, v28, v111
	v_min3_f16 v28, v51, v29, v28
	v_cvt_f32_f16_e32 v28, v28
	v_max_f32_e32 v29, v50, v50
	v_min_f32_e32 v28, v29, v28
	v_cvt_f16_f32_e32 v50, v28
	v_lshl_add_u64 v[28:29], v[46:47], 1, v[48:49]
	flat_store_short v[28:29], v50
.LBB210_90:
	s_or_b64 exec, exec, s[18:19]
	v_add_u32_e32 v50, 8, v92
	v_mad_i64_i32 v[28:29], s[26:27], v50, s29, 0
	v_cmp_gt_i32_e64 s[18:19], s21, v50
	v_lshl_add_u64 v[48:49], v[28:29], 1, s[24:25]
	v_mad_i64_i32 v[28:29], s[26:27], v50, s28, 0
	v_lshl_add_u64 v[28:29], v[28:29], 1, s[22:23]
	s_and_b64 s[30:31], s[4:5], s[18:19]
	s_and_saveexec_b64 s[26:27], s[30:31]
	s_cbranch_execnz .LBB210_98
; %bb.91:
	s_or_b64 exec, exec, s[26:27]
	s_and_b64 s[30:31], s[2:3], s[18:19]
	s_and_saveexec_b64 s[26:27], s[30:31]
	s_cbranch_execnz .LBB210_102
.LBB210_92:
	s_or_b64 exec, exec, s[26:27]
	s_and_b64 s[30:31], s[6:7], s[18:19]
	s_and_saveexec_b64 s[26:27], s[30:31]
	s_cbranch_execnz .LBB210_106
.LBB210_93:
	s_or_b64 exec, exec, s[26:27]
	s_and_b64 s[30:31], s[8:9], s[18:19]
	s_and_saveexec_b64 s[26:27], s[30:31]
	s_cbranch_execnz .LBB210_110
.LBB210_94:
	s_or_b64 exec, exec, s[26:27]
	s_and_b64 s[30:31], s[10:11], s[18:19]
	s_and_saveexec_b64 s[26:27], s[30:31]
	s_cbranch_execnz .LBB210_114
.LBB210_95:
	s_or_b64 exec, exec, s[26:27]
	s_and_b64 s[30:31], s[12:13], s[18:19]
	s_and_saveexec_b64 s[26:27], s[30:31]
	s_cbranch_execnz .LBB210_118
.LBB210_96:
	s_or_b64 exec, exec, s[26:27]
	s_and_b64 s[30:31], s[14:15], s[18:19]
	s_and_saveexec_b64 s[26:27], s[30:31]
	s_cbranch_execnz .LBB210_122
.LBB210_97:
	s_or_b64 exec, exec, s[26:27]
	s_and_b64 s[26:27], s[16:17], s[18:19]
	s_and_saveexec_b64 s[18:19], s[26:27]
	s_cbranch_execnz .LBB210_126
	s_branch .LBB210_130
.LBB210_98:
	s_and_b64 vcc, exec, s[0:1]
	s_cbranch_vccnz .LBB210_100
; %bb.99:
	v_lshl_add_u64 v[50:51], v[32:33], 1, v[48:49]
	flat_load_ushort v50, v[50:51]
	s_waitcnt vmcnt(0) lgkmcnt(0)
	v_mul_f16_e32 v50, v52, v50
	v_cvt_f32_f16_e32 v50, v50
	s_branch .LBB210_101
.LBB210_100:
	v_mov_b32_e32 v50, 0
.LBB210_101:
	v_pk_add_f16 v51, v16, v30
	v_max_f16_e32 v110, v109, v109
	v_pk_add_f16 v111, v17, v31
	v_min_f16_e32 v110, v110, v51
	v_lshrrev_b32_e32 v109, 16, v109
	v_lshrrev_b32_e32 v51, 16, v51
	;; [unrolled: 1-line block ×3, first 2 shown]
	v_min3_f16 v51, v109, v51, v112
	v_min3_f16 v51, v110, v111, v51
	v_cvt_f32_f16_e32 v51, v51
	v_max_f32_e32 v50, v50, v50
	v_min_f32_e32 v50, v50, v51
	v_cvt_f16_f32_e32 v109, v50
	v_lshl_add_u64 v[50:51], v[32:33], 1, v[28:29]
	flat_store_short v[50:51], v109
	s_or_b64 exec, exec, s[26:27]
	s_and_b64 s[30:31], s[2:3], s[18:19]
	s_and_saveexec_b64 s[26:27], s[30:31]
	s_cbranch_execz .LBB210_92
.LBB210_102:
	s_and_b64 vcc, exec, s[0:1]
	s_cbranch_vccnz .LBB210_104
; %bb.103:
	v_lshl_add_u64 v[50:51], v[34:35], 1, v[48:49]
	flat_load_ushort v50, v[50:51]
	s_waitcnt vmcnt(0) lgkmcnt(0)
	v_mul_f16_e32 v50, v52, v50
	v_cvt_f32_f16_e32 v50, v50
	s_branch .LBB210_105
.LBB210_104:
	v_mov_b32_e32 v50, 0
.LBB210_105:
	v_pk_add_f16 v51, v18, v30
	v_max_f16_e32 v109, v108, v108
	v_pk_add_f16 v110, v19, v31
	v_min_f16_e32 v109, v109, v51
	v_lshrrev_b32_e32 v108, 16, v108
	v_lshrrev_b32_e32 v51, 16, v51
	;; [unrolled: 1-line block ×3, first 2 shown]
	v_min3_f16 v51, v108, v51, v111
	v_min3_f16 v51, v109, v110, v51
	v_cvt_f32_f16_e32 v51, v51
	v_max_f32_e32 v50, v50, v50
	v_min_f32_e32 v50, v50, v51
	v_cvt_f16_f32_e32 v108, v50
	v_lshl_add_u64 v[50:51], v[34:35], 1, v[28:29]
	flat_store_short v[50:51], v108
	s_or_b64 exec, exec, s[26:27]
	s_and_b64 s[30:31], s[6:7], s[18:19]
	s_and_saveexec_b64 s[26:27], s[30:31]
	s_cbranch_execz .LBB210_93
.LBB210_106:
	s_and_b64 vcc, exec, s[0:1]
	s_cbranch_vccnz .LBB210_108
; %bb.107:
	v_lshl_add_u64 v[50:51], v[36:37], 1, v[48:49]
	flat_load_ushort v50, v[50:51]
	s_waitcnt vmcnt(0) lgkmcnt(0)
	v_mul_f16_e32 v50, v52, v50
	v_cvt_f32_f16_e32 v50, v50
	s_branch .LBB210_109
.LBB210_108:
	v_mov_b32_e32 v50, 0
.LBB210_109:
	v_pk_add_f16 v51, v12, v30
	v_max_f16_e32 v108, v107, v107
	v_pk_add_f16 v109, v13, v31
	v_min_f16_e32 v108, v108, v51
	v_lshrrev_b32_e32 v107, 16, v107
	v_lshrrev_b32_e32 v51, 16, v51
	;; [unrolled: 1-line block ×3, first 2 shown]
	v_min3_f16 v51, v107, v51, v110
	v_min3_f16 v51, v108, v109, v51
	v_cvt_f32_f16_e32 v51, v51
	v_max_f32_e32 v50, v50, v50
	v_min_f32_e32 v50, v50, v51
	v_cvt_f16_f32_e32 v107, v50
	v_lshl_add_u64 v[50:51], v[36:37], 1, v[28:29]
	flat_store_short v[50:51], v107
	s_or_b64 exec, exec, s[26:27]
	s_and_b64 s[30:31], s[8:9], s[18:19]
	s_and_saveexec_b64 s[26:27], s[30:31]
	s_cbranch_execz .LBB210_94
.LBB210_110:
	s_and_b64 vcc, exec, s[0:1]
	s_cbranch_vccnz .LBB210_112
; %bb.111:
	v_lshl_add_u64 v[50:51], v[38:39], 1, v[48:49]
	flat_load_ushort v50, v[50:51]
	s_waitcnt vmcnt(0) lgkmcnt(0)
	v_mul_f16_e32 v50, v52, v50
	v_cvt_f32_f16_e32 v50, v50
	s_branch .LBB210_113
.LBB210_112:
	v_mov_b32_e32 v50, 0
.LBB210_113:
	v_pk_add_f16 v51, v14, v30
	v_max_f16_e32 v107, v106, v106
	v_pk_add_f16 v108, v15, v31
	v_min_f16_e32 v107, v107, v51
	v_lshrrev_b32_e32 v106, 16, v106
	v_lshrrev_b32_e32 v51, 16, v51
	;; [unrolled: 1-line block ×3, first 2 shown]
	v_min3_f16 v51, v106, v51, v109
	v_min3_f16 v51, v107, v108, v51
	v_cvt_f32_f16_e32 v51, v51
	v_max_f32_e32 v50, v50, v50
	v_min_f32_e32 v50, v50, v51
	v_cvt_f16_f32_e32 v106, v50
	v_lshl_add_u64 v[50:51], v[38:39], 1, v[28:29]
	flat_store_short v[50:51], v106
	s_or_b64 exec, exec, s[26:27]
	s_and_b64 s[30:31], s[10:11], s[18:19]
	s_and_saveexec_b64 s[26:27], s[30:31]
	s_cbranch_execz .LBB210_95
.LBB210_114:
	s_and_b64 vcc, exec, s[0:1]
	s_cbranch_vccnz .LBB210_116
; %bb.115:
	v_lshl_add_u64 v[50:51], v[40:41], 1, v[48:49]
	flat_load_ushort v50, v[50:51]
	s_waitcnt vmcnt(0) lgkmcnt(0)
	v_mul_f16_e32 v50, v52, v50
	v_cvt_f32_f16_e32 v50, v50
	s_branch .LBB210_117
.LBB210_116:
	v_mov_b32_e32 v50, 0
.LBB210_117:
	v_pk_add_f16 v51, v8, v30
	v_max_f16_e32 v106, v105, v105
	v_pk_add_f16 v107, v9, v31
	v_min_f16_e32 v106, v106, v51
	v_lshrrev_b32_e32 v105, 16, v105
	v_lshrrev_b32_e32 v51, 16, v51
	;; [unrolled: 1-line block ×3, first 2 shown]
	v_min3_f16 v51, v105, v51, v108
	v_min3_f16 v51, v106, v107, v51
	v_cvt_f32_f16_e32 v51, v51
	v_max_f32_e32 v50, v50, v50
	v_min_f32_e32 v50, v50, v51
	v_cvt_f16_f32_e32 v105, v50
	v_lshl_add_u64 v[50:51], v[40:41], 1, v[28:29]
	flat_store_short v[50:51], v105
	s_or_b64 exec, exec, s[26:27]
	s_and_b64 s[30:31], s[12:13], s[18:19]
	s_and_saveexec_b64 s[26:27], s[30:31]
	s_cbranch_execz .LBB210_96
.LBB210_118:
	s_and_b64 vcc, exec, s[0:1]
	s_cbranch_vccnz .LBB210_120
; %bb.119:
	v_lshl_add_u64 v[50:51], v[42:43], 1, v[48:49]
	flat_load_ushort v50, v[50:51]
	s_waitcnt vmcnt(0) lgkmcnt(0)
	v_mul_f16_e32 v50, v52, v50
	v_cvt_f32_f16_e32 v50, v50
	s_branch .LBB210_121
.LBB210_120:
	v_mov_b32_e32 v50, 0
.LBB210_121:
	v_pk_add_f16 v51, v10, v30
	v_max_f16_e32 v105, v104, v104
	v_pk_add_f16 v106, v11, v31
	v_min_f16_e32 v105, v105, v51
	v_lshrrev_b32_e32 v104, 16, v104
	v_lshrrev_b32_e32 v51, 16, v51
	;; [unrolled: 1-line block ×3, first 2 shown]
	v_min3_f16 v51, v104, v51, v107
	v_min3_f16 v51, v105, v106, v51
	v_cvt_f32_f16_e32 v51, v51
	v_max_f32_e32 v50, v50, v50
	v_min_f32_e32 v50, v50, v51
	v_cvt_f16_f32_e32 v104, v50
	v_lshl_add_u64 v[50:51], v[42:43], 1, v[28:29]
	flat_store_short v[50:51], v104
	s_or_b64 exec, exec, s[26:27]
	s_and_b64 s[30:31], s[14:15], s[18:19]
	s_and_saveexec_b64 s[26:27], s[30:31]
	s_cbranch_execz .LBB210_97
.LBB210_122:
	s_and_b64 vcc, exec, s[0:1]
	s_cbranch_vccnz .LBB210_124
; %bb.123:
	v_lshl_add_u64 v[50:51], v[44:45], 1, v[48:49]
	flat_load_ushort v50, v[50:51]
	s_waitcnt vmcnt(0) lgkmcnt(0)
	v_mul_f16_e32 v50, v52, v50
	v_cvt_f32_f16_e32 v50, v50
	s_branch .LBB210_125
.LBB210_124:
	v_mov_b32_e32 v50, 0
.LBB210_125:
	v_pk_add_f16 v51, v0, v30
	v_max_f16_e32 v104, v103, v103
	v_pk_add_f16 v105, v1, v31
	v_min_f16_e32 v104, v104, v51
	v_lshrrev_b32_e32 v103, 16, v103
	v_lshrrev_b32_e32 v51, 16, v51
	;; [unrolled: 1-line block ×3, first 2 shown]
	v_min3_f16 v51, v103, v51, v106
	v_min3_f16 v51, v104, v105, v51
	v_cvt_f32_f16_e32 v51, v51
	v_max_f32_e32 v50, v50, v50
	v_min_f32_e32 v50, v50, v51
	v_cvt_f16_f32_e32 v103, v50
	v_lshl_add_u64 v[50:51], v[44:45], 1, v[28:29]
	flat_store_short v[50:51], v103
	s_or_b64 exec, exec, s[26:27]
	s_and_b64 s[26:27], s[16:17], s[18:19]
	s_and_saveexec_b64 s[18:19], s[26:27]
	s_cbranch_execz .LBB210_130
.LBB210_126:
	s_and_b64 vcc, exec, s[0:1]
	s_cbranch_vccnz .LBB210_128
; %bb.127:
	v_lshl_add_u64 v[48:49], v[46:47], 1, v[48:49]
	flat_load_ushort v48, v[48:49]
	s_waitcnt vmcnt(0) lgkmcnt(0)
	v_mul_f16_e32 v48, v52, v48
	v_cvt_f32_f16_e32 v48, v48
	s_branch .LBB210_129
.LBB210_128:
	v_mov_b32_e32 v48, 0
.LBB210_129:
	v_pk_add_f16 v30, v2, v30
	v_max_f16_e32 v49, v102, v102
	v_pk_add_f16 v31, v3, v31
	v_min_f16_e32 v49, v49, v30
	v_lshrrev_b32_e32 v50, 16, v102
	v_lshrrev_b32_e32 v30, 16, v30
	;; [unrolled: 1-line block ×3, first 2 shown]
	v_min3_f16 v30, v50, v30, v51
	v_min3_f16 v30, v49, v31, v30
	v_cvt_f32_f16_e32 v30, v30
	v_max_f32_e32 v31, v48, v48
	v_lshl_add_u64 v[28:29], v[46:47], 1, v[28:29]
	v_min_f32_e32 v30, v31, v30
	v_cvt_f16_f32_e32 v30, v30
	flat_store_short v[28:29], v30
.LBB210_130:
	s_or_b64 exec, exec, s[18:19]
	v_add_u32_e32 v48, 16, v92
	v_mad_i64_i32 v[28:29], s[26:27], v48, s29, 0
	v_cmp_gt_i32_e64 s[18:19], s21, v48
	v_lshl_add_u64 v[30:31], v[28:29], 1, s[24:25]
	v_mad_i64_i32 v[28:29], s[26:27], v48, s28, 0
	v_lshl_add_u64 v[28:29], v[28:29], 1, s[22:23]
	s_and_b64 s[30:31], s[4:5], s[18:19]
	s_and_saveexec_b64 s[26:27], s[30:31]
	s_cbranch_execnz .LBB210_138
; %bb.131:
	s_or_b64 exec, exec, s[26:27]
	s_and_b64 s[30:31], s[2:3], s[18:19]
	s_and_saveexec_b64 s[26:27], s[30:31]
	s_cbranch_execnz .LBB210_142
.LBB210_132:
	s_or_b64 exec, exec, s[26:27]
	s_and_b64 s[30:31], s[6:7], s[18:19]
	s_and_saveexec_b64 s[26:27], s[30:31]
	s_cbranch_execnz .LBB210_146
.LBB210_133:
	s_or_b64 exec, exec, s[26:27]
	s_and_b64 s[30:31], s[8:9], s[18:19]
	s_and_saveexec_b64 s[26:27], s[30:31]
	s_cbranch_execnz .LBB210_150
.LBB210_134:
	s_or_b64 exec, exec, s[26:27]
	s_and_b64 s[30:31], s[10:11], s[18:19]
	s_and_saveexec_b64 s[26:27], s[30:31]
	s_cbranch_execnz .LBB210_154
.LBB210_135:
	s_or_b64 exec, exec, s[26:27]
	s_and_b64 s[30:31], s[12:13], s[18:19]
	s_and_saveexec_b64 s[26:27], s[30:31]
	s_cbranch_execnz .LBB210_158
.LBB210_136:
	s_or_b64 exec, exec, s[26:27]
	s_and_b64 s[30:31], s[14:15], s[18:19]
	s_and_saveexec_b64 s[26:27], s[30:31]
	s_cbranch_execnz .LBB210_162
.LBB210_137:
	s_or_b64 exec, exec, s[26:27]
	s_and_b64 s[26:27], s[16:17], s[18:19]
	s_and_saveexec_b64 s[18:19], s[26:27]
	s_cbranch_execnz .LBB210_166
	s_branch .LBB210_170
.LBB210_138:
	s_and_b64 vcc, exec, s[0:1]
	s_cbranch_vccnz .LBB210_140
; %bb.139:
	v_lshl_add_u64 v[48:49], v[32:33], 1, v[30:31]
	flat_load_ushort v48, v[48:49]
	s_waitcnt vmcnt(0) lgkmcnt(0)
	v_mul_f16_e32 v48, v52, v48
	v_cvt_f32_f16_e32 v48, v48
	s_branch .LBB210_141
.LBB210_140:
	v_mov_b32_e32 v48, 0
.LBB210_141:
	v_pk_add_f16 v49, v16, v24
	v_max_f16_e32 v50, v101, v101
	v_lshrrev_b32_e32 v51, 16, v101
	v_pk_add_f16 v101, v17, v25
	v_min_f16_e32 v50, v50, v49
	v_lshrrev_b32_e32 v49, 16, v49
	v_lshrrev_b32_e32 v102, 16, v101
	v_min3_f16 v49, v51, v49, v102
	v_min3_f16 v49, v50, v101, v49
	v_cvt_f32_f16_e32 v49, v49
	v_max_f32_e32 v48, v48, v48
	v_min_f32_e32 v48, v48, v49
	v_cvt_f16_f32_e32 v50, v48
	v_lshl_add_u64 v[48:49], v[32:33], 1, v[28:29]
	flat_store_short v[48:49], v50
	s_or_b64 exec, exec, s[26:27]
	s_and_b64 s[30:31], s[2:3], s[18:19]
	s_and_saveexec_b64 s[26:27], s[30:31]
	s_cbranch_execz .LBB210_132
.LBB210_142:
	s_and_b64 vcc, exec, s[0:1]
	s_cbranch_vccnz .LBB210_144
; %bb.143:
	v_lshl_add_u64 v[48:49], v[34:35], 1, v[30:31]
	flat_load_ushort v48, v[48:49]
	s_waitcnt vmcnt(0) lgkmcnt(0)
	v_mul_f16_e32 v48, v52, v48
	v_cvt_f32_f16_e32 v48, v48
	s_branch .LBB210_145
.LBB210_144:
	v_mov_b32_e32 v48, 0
.LBB210_145:
	v_pk_add_f16 v49, v18, v24
	v_max_f16_e32 v50, v100, v100
	v_lshrrev_b32_e32 v51, 16, v100
	v_pk_add_f16 v100, v19, v25
	v_min_f16_e32 v50, v50, v49
	v_lshrrev_b32_e32 v49, 16, v49
	v_lshrrev_b32_e32 v101, 16, v100
	v_min3_f16 v49, v51, v49, v101
	v_min3_f16 v49, v50, v100, v49
	v_cvt_f32_f16_e32 v49, v49
	v_max_f32_e32 v48, v48, v48
	v_min_f32_e32 v48, v48, v49
	v_cvt_f16_f32_e32 v50, v48
	v_lshl_add_u64 v[48:49], v[34:35], 1, v[28:29]
	flat_store_short v[48:49], v50
	s_or_b64 exec, exec, s[26:27]
	s_and_b64 s[30:31], s[6:7], s[18:19]
	s_and_saveexec_b64 s[26:27], s[30:31]
	s_cbranch_execz .LBB210_133
.LBB210_146:
	s_and_b64 vcc, exec, s[0:1]
	s_cbranch_vccnz .LBB210_148
; %bb.147:
	v_lshl_add_u64 v[48:49], v[36:37], 1, v[30:31]
	flat_load_ushort v48, v[48:49]
	s_waitcnt vmcnt(0) lgkmcnt(0)
	v_mul_f16_e32 v48, v52, v48
	v_cvt_f32_f16_e32 v48, v48
	s_branch .LBB210_149
.LBB210_148:
	v_mov_b32_e32 v48, 0
.LBB210_149:
	v_pk_add_f16 v49, v12, v24
	v_max_f16_e32 v50, v99, v99
	v_lshrrev_b32_e32 v51, 16, v99
	v_pk_add_f16 v99, v13, v25
	v_min_f16_e32 v50, v50, v49
	v_lshrrev_b32_e32 v49, 16, v49
	v_lshrrev_b32_e32 v100, 16, v99
	v_min3_f16 v49, v51, v49, v100
	v_min3_f16 v49, v50, v99, v49
	v_cvt_f32_f16_e32 v49, v49
	v_max_f32_e32 v48, v48, v48
	v_min_f32_e32 v48, v48, v49
	v_cvt_f16_f32_e32 v50, v48
	v_lshl_add_u64 v[48:49], v[36:37], 1, v[28:29]
	flat_store_short v[48:49], v50
	s_or_b64 exec, exec, s[26:27]
	s_and_b64 s[30:31], s[8:9], s[18:19]
	s_and_saveexec_b64 s[26:27], s[30:31]
	s_cbranch_execz .LBB210_134
.LBB210_150:
	s_and_b64 vcc, exec, s[0:1]
	s_cbranch_vccnz .LBB210_152
; %bb.151:
	v_lshl_add_u64 v[48:49], v[38:39], 1, v[30:31]
	flat_load_ushort v48, v[48:49]
	s_waitcnt vmcnt(0) lgkmcnt(0)
	v_mul_f16_e32 v48, v52, v48
	v_cvt_f32_f16_e32 v48, v48
	s_branch .LBB210_153
.LBB210_152:
	v_mov_b32_e32 v48, 0
.LBB210_153:
	v_pk_add_f16 v49, v14, v24
	v_max_f16_e32 v50, v98, v98
	v_lshrrev_b32_e32 v51, 16, v98
	v_pk_add_f16 v98, v15, v25
	v_min_f16_e32 v50, v50, v49
	v_lshrrev_b32_e32 v49, 16, v49
	v_lshrrev_b32_e32 v99, 16, v98
	v_min3_f16 v49, v51, v49, v99
	v_min3_f16 v49, v50, v98, v49
	v_cvt_f32_f16_e32 v49, v49
	v_max_f32_e32 v48, v48, v48
	v_min_f32_e32 v48, v48, v49
	v_cvt_f16_f32_e32 v50, v48
	v_lshl_add_u64 v[48:49], v[38:39], 1, v[28:29]
	flat_store_short v[48:49], v50
	s_or_b64 exec, exec, s[26:27]
	s_and_b64 s[30:31], s[10:11], s[18:19]
	s_and_saveexec_b64 s[26:27], s[30:31]
	s_cbranch_execz .LBB210_135
.LBB210_154:
	s_and_b64 vcc, exec, s[0:1]
	s_cbranch_vccnz .LBB210_156
; %bb.155:
	v_lshl_add_u64 v[48:49], v[40:41], 1, v[30:31]
	flat_load_ushort v48, v[48:49]
	s_waitcnt vmcnt(0) lgkmcnt(0)
	v_mul_f16_e32 v48, v52, v48
	v_cvt_f32_f16_e32 v48, v48
	s_branch .LBB210_157
.LBB210_156:
	v_mov_b32_e32 v48, 0
.LBB210_157:
	v_pk_add_f16 v49, v8, v24
	v_max_f16_e32 v50, v97, v97
	v_lshrrev_b32_e32 v51, 16, v97
	v_pk_add_f16 v97, v9, v25
	v_min_f16_e32 v50, v50, v49
	v_lshrrev_b32_e32 v49, 16, v49
	v_lshrrev_b32_e32 v98, 16, v97
	v_min3_f16 v49, v51, v49, v98
	v_min3_f16 v49, v50, v97, v49
	v_cvt_f32_f16_e32 v49, v49
	v_max_f32_e32 v48, v48, v48
	v_min_f32_e32 v48, v48, v49
	v_cvt_f16_f32_e32 v50, v48
	v_lshl_add_u64 v[48:49], v[40:41], 1, v[28:29]
	flat_store_short v[48:49], v50
	s_or_b64 exec, exec, s[26:27]
	s_and_b64 s[30:31], s[12:13], s[18:19]
	s_and_saveexec_b64 s[26:27], s[30:31]
	s_cbranch_execz .LBB210_136
.LBB210_158:
	s_and_b64 vcc, exec, s[0:1]
	s_cbranch_vccnz .LBB210_160
; %bb.159:
	v_lshl_add_u64 v[48:49], v[42:43], 1, v[30:31]
	flat_load_ushort v48, v[48:49]
	s_waitcnt vmcnt(0) lgkmcnt(0)
	v_mul_f16_e32 v48, v52, v48
	v_cvt_f32_f16_e32 v48, v48
	s_branch .LBB210_161
.LBB210_160:
	v_mov_b32_e32 v48, 0
.LBB210_161:
	v_pk_add_f16 v49, v10, v24
	v_max_f16_e32 v50, v96, v96
	v_lshrrev_b32_e32 v51, 16, v96
	v_pk_add_f16 v96, v11, v25
	v_min_f16_e32 v50, v50, v49
	v_lshrrev_b32_e32 v49, 16, v49
	v_lshrrev_b32_e32 v97, 16, v96
	v_min3_f16 v49, v51, v49, v97
	v_min3_f16 v49, v50, v96, v49
	v_cvt_f32_f16_e32 v49, v49
	v_max_f32_e32 v48, v48, v48
	v_min_f32_e32 v48, v48, v49
	v_cvt_f16_f32_e32 v50, v48
	v_lshl_add_u64 v[48:49], v[42:43], 1, v[28:29]
	flat_store_short v[48:49], v50
	s_or_b64 exec, exec, s[26:27]
	s_and_b64 s[30:31], s[14:15], s[18:19]
	s_and_saveexec_b64 s[26:27], s[30:31]
	s_cbranch_execz .LBB210_137
.LBB210_162:
	s_and_b64 vcc, exec, s[0:1]
	s_cbranch_vccnz .LBB210_164
; %bb.163:
	v_lshl_add_u64 v[48:49], v[44:45], 1, v[30:31]
	flat_load_ushort v48, v[48:49]
	s_waitcnt vmcnt(0) lgkmcnt(0)
	v_mul_f16_e32 v48, v52, v48
	v_cvt_f32_f16_e32 v48, v48
	s_branch .LBB210_165
.LBB210_164:
	v_mov_b32_e32 v48, 0
.LBB210_165:
	v_pk_add_f16 v49, v0, v24
	v_max_f16_e32 v50, v95, v95
	v_lshrrev_b32_e32 v51, 16, v95
	v_pk_add_f16 v95, v1, v25
	v_min_f16_e32 v50, v50, v49
	v_lshrrev_b32_e32 v49, 16, v49
	v_lshrrev_b32_e32 v96, 16, v95
	v_min3_f16 v49, v51, v49, v96
	v_min3_f16 v49, v50, v95, v49
	v_cvt_f32_f16_e32 v49, v49
	v_max_f32_e32 v48, v48, v48
	v_min_f32_e32 v48, v48, v49
	v_cvt_f16_f32_e32 v50, v48
	v_lshl_add_u64 v[48:49], v[44:45], 1, v[28:29]
	flat_store_short v[48:49], v50
	s_or_b64 exec, exec, s[26:27]
	s_and_b64 s[26:27], s[16:17], s[18:19]
	s_and_saveexec_b64 s[18:19], s[26:27]
	s_cbranch_execz .LBB210_170
.LBB210_166:
	s_and_b64 vcc, exec, s[0:1]
	s_cbranch_vccnz .LBB210_168
; %bb.167:
	v_lshl_add_u64 v[30:31], v[46:47], 1, v[30:31]
	flat_load_ushort v30, v[30:31]
	s_waitcnt vmcnt(0) lgkmcnt(0)
	v_mul_f16_e32 v30, v52, v30
	v_cvt_f32_f16_e32 v30, v30
	s_branch .LBB210_169
.LBB210_168:
	v_mov_b32_e32 v30, 0
.LBB210_169:
	v_pk_add_f16 v24, v2, v24
	v_max_f16_e32 v31, v94, v94
	v_pk_add_f16 v25, v3, v25
	v_min_f16_e32 v31, v31, v24
	v_lshrrev_b32_e32 v48, 16, v94
	v_lshrrev_b32_e32 v24, 16, v24
	;; [unrolled: 1-line block ×3, first 2 shown]
	v_min3_f16 v24, v48, v24, v49
	v_min3_f16 v24, v31, v25, v24
	v_cvt_f32_f16_e32 v24, v24
	v_max_f32_e32 v25, v30, v30
	v_min_f32_e32 v24, v25, v24
	v_cvt_f16_f32_e32 v30, v24
	v_lshl_add_u64 v[24:25], v[46:47], 1, v[28:29]
	flat_store_short v[24:25], v30
.LBB210_170:
	s_or_b64 exec, exec, s[18:19]
	v_add_u32_e32 v30, 24, v92
	v_mad_i64_i32 v[24:25], s[26:27], v30, s29, 0
	v_cmp_gt_i32_e64 s[18:19], s21, v30
	v_lshl_add_u64 v[28:29], v[24:25], 1, s[24:25]
	v_mad_i64_i32 v[24:25], s[26:27], v30, s28, 0
	v_lshl_add_u64 v[24:25], v[24:25], 1, s[22:23]
	s_and_b64 s[30:31], s[4:5], s[18:19]
	s_and_saveexec_b64 s[26:27], s[30:31]
	s_cbranch_execnz .LBB210_178
; %bb.171:
	s_or_b64 exec, exec, s[26:27]
	s_and_b64 s[30:31], s[2:3], s[18:19]
	s_and_saveexec_b64 s[26:27], s[30:31]
	s_cbranch_execnz .LBB210_182
.LBB210_172:
	s_or_b64 exec, exec, s[26:27]
	s_and_b64 s[30:31], s[6:7], s[18:19]
	s_and_saveexec_b64 s[26:27], s[30:31]
	s_cbranch_execnz .LBB210_186
.LBB210_173:
	s_or_b64 exec, exec, s[26:27]
	s_and_b64 s[30:31], s[8:9], s[18:19]
	s_and_saveexec_b64 s[26:27], s[30:31]
	s_cbranch_execnz .LBB210_190
.LBB210_174:
	s_or_b64 exec, exec, s[26:27]
	s_and_b64 s[30:31], s[10:11], s[18:19]
	s_and_saveexec_b64 s[26:27], s[30:31]
	s_cbranch_execnz .LBB210_194
.LBB210_175:
	s_or_b64 exec, exec, s[26:27]
	s_and_b64 s[30:31], s[12:13], s[18:19]
	s_and_saveexec_b64 s[26:27], s[30:31]
	s_cbranch_execnz .LBB210_198
.LBB210_176:
	s_or_b64 exec, exec, s[26:27]
	s_and_b64 s[30:31], s[14:15], s[18:19]
	s_and_saveexec_b64 s[26:27], s[30:31]
	s_cbranch_execnz .LBB210_202
.LBB210_177:
	s_or_b64 exec, exec, s[26:27]
	s_and_b64 s[26:27], s[16:17], s[18:19]
	s_and_saveexec_b64 s[18:19], s[26:27]
	s_cbranch_execnz .LBB210_206
	s_branch .LBB210_210
.LBB210_178:
	s_and_b64 vcc, exec, s[0:1]
	s_cbranch_vccnz .LBB210_180
; %bb.179:
	v_lshl_add_u64 v[30:31], v[32:33], 1, v[28:29]
	flat_load_ushort v30, v[30:31]
	s_waitcnt vmcnt(0) lgkmcnt(0)
	v_mul_f16_e32 v30, v52, v30
	v_cvt_f32_f16_e32 v30, v30
	s_branch .LBB210_181
.LBB210_180:
	v_mov_b32_e32 v30, 0
.LBB210_181:
	v_pk_add_f16 v31, v16, v26
	v_max_f16_e32 v48, v93, v93
	v_pk_add_f16 v50, v17, v27
	v_min_f16_e32 v48, v48, v31
	v_lshrrev_b32_e32 v49, 16, v93
	v_lshrrev_b32_e32 v31, 16, v31
	;; [unrolled: 1-line block ×3, first 2 shown]
	v_min3_f16 v31, v49, v31, v51
	v_min3_f16 v31, v48, v50, v31
	v_cvt_f32_f16_e32 v31, v31
	v_max_f32_e32 v30, v30, v30
	v_min_f32_e32 v30, v30, v31
	v_cvt_f16_f32_e32 v48, v30
	v_lshl_add_u64 v[30:31], v[32:33], 1, v[24:25]
	flat_store_short v[30:31], v48
	s_or_b64 exec, exec, s[26:27]
	s_and_b64 s[30:31], s[2:3], s[18:19]
	s_and_saveexec_b64 s[26:27], s[30:31]
	s_cbranch_execz .LBB210_172
.LBB210_182:
	s_and_b64 vcc, exec, s[0:1]
	s_cbranch_vccnz .LBB210_184
; %bb.183:
	v_lshl_add_u64 v[30:31], v[34:35], 1, v[28:29]
	flat_load_ushort v30, v[30:31]
	s_waitcnt vmcnt(0) lgkmcnt(0)
	v_mul_f16_e32 v30, v52, v30
	v_cvt_f32_f16_e32 v30, v30
	s_branch .LBB210_185
.LBB210_184:
	v_mov_b32_e32 v30, 0
.LBB210_185:
	v_pk_add_f16 v31, v18, v26
	v_max_f16_e32 v48, v91, v91
	v_pk_add_f16 v50, v19, v27
	v_min_f16_e32 v48, v48, v31
	v_lshrrev_b32_e32 v49, 16, v91
	v_lshrrev_b32_e32 v31, 16, v31
	;; [unrolled: 1-line block ×3, first 2 shown]
	v_min3_f16 v31, v49, v31, v51
	v_min3_f16 v31, v48, v50, v31
	v_cvt_f32_f16_e32 v31, v31
	v_max_f32_e32 v30, v30, v30
	v_min_f32_e32 v30, v30, v31
	v_cvt_f16_f32_e32 v48, v30
	v_lshl_add_u64 v[30:31], v[34:35], 1, v[24:25]
	flat_store_short v[30:31], v48
	s_or_b64 exec, exec, s[26:27]
	s_and_b64 s[30:31], s[6:7], s[18:19]
	s_and_saveexec_b64 s[26:27], s[30:31]
	s_cbranch_execz .LBB210_173
.LBB210_186:
	s_and_b64 vcc, exec, s[0:1]
	s_cbranch_vccnz .LBB210_188
; %bb.187:
	v_lshl_add_u64 v[30:31], v[36:37], 1, v[28:29]
	flat_load_ushort v30, v[30:31]
	s_waitcnt vmcnt(0) lgkmcnt(0)
	v_mul_f16_e32 v30, v52, v30
	v_cvt_f32_f16_e32 v30, v30
	s_branch .LBB210_189
.LBB210_188:
	v_mov_b32_e32 v30, 0
.LBB210_189:
	v_pk_add_f16 v31, v12, v26
	v_max_f16_e32 v48, v90, v90
	v_pk_add_f16 v50, v13, v27
	v_min_f16_e32 v48, v48, v31
	v_lshrrev_b32_e32 v49, 16, v90
	v_lshrrev_b32_e32 v31, 16, v31
	;; [unrolled: 1-line block ×3, first 2 shown]
	v_min3_f16 v31, v49, v31, v51
	v_min3_f16 v31, v48, v50, v31
	v_cvt_f32_f16_e32 v31, v31
	v_max_f32_e32 v30, v30, v30
	v_min_f32_e32 v30, v30, v31
	v_cvt_f16_f32_e32 v48, v30
	v_lshl_add_u64 v[30:31], v[36:37], 1, v[24:25]
	flat_store_short v[30:31], v48
	s_or_b64 exec, exec, s[26:27]
	s_and_b64 s[30:31], s[8:9], s[18:19]
	s_and_saveexec_b64 s[26:27], s[30:31]
	s_cbranch_execz .LBB210_174
.LBB210_190:
	s_and_b64 vcc, exec, s[0:1]
	s_cbranch_vccnz .LBB210_192
; %bb.191:
	v_lshl_add_u64 v[30:31], v[38:39], 1, v[28:29]
	flat_load_ushort v30, v[30:31]
	s_waitcnt vmcnt(0) lgkmcnt(0)
	v_mul_f16_e32 v30, v52, v30
	v_cvt_f32_f16_e32 v30, v30
	s_branch .LBB210_193
.LBB210_192:
	v_mov_b32_e32 v30, 0
.LBB210_193:
	v_pk_add_f16 v31, v14, v26
	v_max_f16_e32 v48, v89, v89
	v_pk_add_f16 v50, v15, v27
	v_min_f16_e32 v48, v48, v31
	v_lshrrev_b32_e32 v49, 16, v89
	v_lshrrev_b32_e32 v31, 16, v31
	;; [unrolled: 1-line block ×3, first 2 shown]
	v_min3_f16 v31, v49, v31, v51
	v_min3_f16 v31, v48, v50, v31
	v_cvt_f32_f16_e32 v31, v31
	v_max_f32_e32 v30, v30, v30
	v_min_f32_e32 v30, v30, v31
	v_cvt_f16_f32_e32 v48, v30
	v_lshl_add_u64 v[30:31], v[38:39], 1, v[24:25]
	flat_store_short v[30:31], v48
	s_or_b64 exec, exec, s[26:27]
	s_and_b64 s[30:31], s[10:11], s[18:19]
	s_and_saveexec_b64 s[26:27], s[30:31]
	s_cbranch_execz .LBB210_175
.LBB210_194:
	s_and_b64 vcc, exec, s[0:1]
	s_cbranch_vccnz .LBB210_196
; %bb.195:
	v_lshl_add_u64 v[30:31], v[40:41], 1, v[28:29]
	flat_load_ushort v30, v[30:31]
	s_waitcnt vmcnt(0) lgkmcnt(0)
	v_mul_f16_e32 v30, v52, v30
	v_cvt_f32_f16_e32 v30, v30
	s_branch .LBB210_197
.LBB210_196:
	v_mov_b32_e32 v30, 0
.LBB210_197:
	v_pk_add_f16 v31, v8, v26
	v_max_f16_e32 v48, v88, v88
	v_pk_add_f16 v50, v9, v27
	v_min_f16_e32 v48, v48, v31
	v_lshrrev_b32_e32 v49, 16, v88
	v_lshrrev_b32_e32 v31, 16, v31
	;; [unrolled: 1-line block ×3, first 2 shown]
	v_min3_f16 v31, v49, v31, v51
	v_min3_f16 v31, v48, v50, v31
	v_cvt_f32_f16_e32 v31, v31
	v_max_f32_e32 v30, v30, v30
	v_min_f32_e32 v30, v30, v31
	v_cvt_f16_f32_e32 v48, v30
	v_lshl_add_u64 v[30:31], v[40:41], 1, v[24:25]
	flat_store_short v[30:31], v48
	s_or_b64 exec, exec, s[26:27]
	s_and_b64 s[30:31], s[12:13], s[18:19]
	s_and_saveexec_b64 s[26:27], s[30:31]
	s_cbranch_execz .LBB210_176
.LBB210_198:
	s_and_b64 vcc, exec, s[0:1]
	s_cbranch_vccnz .LBB210_200
; %bb.199:
	v_lshl_add_u64 v[30:31], v[42:43], 1, v[28:29]
	flat_load_ushort v30, v[30:31]
	s_waitcnt vmcnt(0) lgkmcnt(0)
	v_mul_f16_e32 v30, v52, v30
	v_cvt_f32_f16_e32 v30, v30
	s_branch .LBB210_201
.LBB210_200:
	v_mov_b32_e32 v30, 0
.LBB210_201:
	v_pk_add_f16 v31, v10, v26
	v_max_f16_e32 v48, v87, v87
	v_pk_add_f16 v50, v11, v27
	v_min_f16_e32 v48, v48, v31
	v_lshrrev_b32_e32 v49, 16, v87
	v_lshrrev_b32_e32 v31, 16, v31
	;; [unrolled: 1-line block ×3, first 2 shown]
	v_min3_f16 v31, v49, v31, v51
	v_min3_f16 v31, v48, v50, v31
	v_cvt_f32_f16_e32 v31, v31
	v_max_f32_e32 v30, v30, v30
	v_min_f32_e32 v30, v30, v31
	v_cvt_f16_f32_e32 v48, v30
	v_lshl_add_u64 v[30:31], v[42:43], 1, v[24:25]
	flat_store_short v[30:31], v48
	s_or_b64 exec, exec, s[26:27]
	s_and_b64 s[30:31], s[14:15], s[18:19]
	s_and_saveexec_b64 s[26:27], s[30:31]
	s_cbranch_execz .LBB210_177
.LBB210_202:
	s_and_b64 vcc, exec, s[0:1]
	s_cbranch_vccnz .LBB210_204
; %bb.203:
	v_lshl_add_u64 v[30:31], v[44:45], 1, v[28:29]
	flat_load_ushort v30, v[30:31]
	s_waitcnt vmcnt(0) lgkmcnt(0)
	v_mul_f16_e32 v30, v52, v30
	v_cvt_f32_f16_e32 v30, v30
	s_branch .LBB210_205
.LBB210_204:
	v_mov_b32_e32 v30, 0
.LBB210_205:
	v_pk_add_f16 v31, v0, v26
	v_max_f16_e32 v48, v86, v86
	v_pk_add_f16 v50, v1, v27
	v_min_f16_e32 v48, v48, v31
	v_lshrrev_b32_e32 v49, 16, v86
	v_lshrrev_b32_e32 v31, 16, v31
	;; [unrolled: 1-line block ×3, first 2 shown]
	v_min3_f16 v31, v49, v31, v51
	v_min3_f16 v31, v48, v50, v31
	v_cvt_f32_f16_e32 v31, v31
	v_max_f32_e32 v30, v30, v30
	v_min_f32_e32 v30, v30, v31
	v_cvt_f16_f32_e32 v48, v30
	v_lshl_add_u64 v[30:31], v[44:45], 1, v[24:25]
	flat_store_short v[30:31], v48
	s_or_b64 exec, exec, s[26:27]
	s_and_b64 s[26:27], s[16:17], s[18:19]
	s_and_saveexec_b64 s[18:19], s[26:27]
	s_cbranch_execz .LBB210_210
.LBB210_206:
	s_and_b64 vcc, exec, s[0:1]
	s_cbranch_vccnz .LBB210_208
; %bb.207:
	v_lshl_add_u64 v[28:29], v[46:47], 1, v[28:29]
	flat_load_ushort v28, v[28:29]
	s_waitcnt vmcnt(0) lgkmcnt(0)
	v_mul_f16_e32 v28, v52, v28
	v_cvt_f32_f16_e32 v28, v28
	s_branch .LBB210_209
.LBB210_208:
	v_mov_b32_e32 v28, 0
.LBB210_209:
	v_pk_add_f16 v26, v2, v26
	v_max_f16_e32 v29, v85, v85
	v_pk_add_f16 v27, v3, v27
	v_min_f16_e32 v29, v29, v26
	v_lshrrev_b32_e32 v30, 16, v85
	v_lshrrev_b32_e32 v26, 16, v26
	;; [unrolled: 1-line block ×3, first 2 shown]
	v_min3_f16 v26, v30, v26, v31
	v_min3_f16 v26, v29, v27, v26
	v_cvt_f32_f16_e32 v26, v26
	v_max_f32_e32 v27, v28, v28
	v_lshl_add_u64 v[24:25], v[46:47], 1, v[24:25]
	v_min_f32_e32 v26, v27, v26
	v_cvt_f16_f32_e32 v26, v26
	flat_store_short v[24:25], v26
.LBB210_210:
	s_or_b64 exec, exec, s[18:19]
	v_add_u32_e32 v28, 32, v92
	v_mad_i64_i32 v[24:25], s[26:27], v28, s29, 0
	v_cmp_gt_i32_e64 s[18:19], s21, v28
	v_lshl_add_u64 v[26:27], v[24:25], 1, s[24:25]
	v_mad_i64_i32 v[24:25], s[26:27], v28, s28, 0
	v_lshl_add_u64 v[24:25], v[24:25], 1, s[22:23]
	s_and_b64 s[30:31], s[4:5], s[18:19]
	s_and_saveexec_b64 s[26:27], s[30:31]
	s_cbranch_execnz .LBB210_218
; %bb.211:
	s_or_b64 exec, exec, s[26:27]
	s_and_b64 s[30:31], s[2:3], s[18:19]
	s_and_saveexec_b64 s[26:27], s[30:31]
	s_cbranch_execnz .LBB210_222
.LBB210_212:
	s_or_b64 exec, exec, s[26:27]
	s_and_b64 s[30:31], s[6:7], s[18:19]
	s_and_saveexec_b64 s[26:27], s[30:31]
	s_cbranch_execnz .LBB210_226
.LBB210_213:
	s_or_b64 exec, exec, s[26:27]
	s_and_b64 s[30:31], s[8:9], s[18:19]
	s_and_saveexec_b64 s[26:27], s[30:31]
	s_cbranch_execnz .LBB210_230
.LBB210_214:
	s_or_b64 exec, exec, s[26:27]
	s_and_b64 s[30:31], s[10:11], s[18:19]
	s_and_saveexec_b64 s[26:27], s[30:31]
	s_cbranch_execnz .LBB210_234
.LBB210_215:
	s_or_b64 exec, exec, s[26:27]
	s_and_b64 s[30:31], s[12:13], s[18:19]
	s_and_saveexec_b64 s[26:27], s[30:31]
	s_cbranch_execnz .LBB210_238
.LBB210_216:
	s_or_b64 exec, exec, s[26:27]
	s_and_b64 s[30:31], s[14:15], s[18:19]
	s_and_saveexec_b64 s[26:27], s[30:31]
	s_cbranch_execnz .LBB210_242
.LBB210_217:
	s_or_b64 exec, exec, s[26:27]
	s_and_b64 s[26:27], s[16:17], s[18:19]
	s_and_saveexec_b64 s[18:19], s[26:27]
	s_cbranch_execnz .LBB210_246
	s_branch .LBB210_250
.LBB210_218:
	s_and_b64 vcc, exec, s[0:1]
	s_cbranch_vccnz .LBB210_220
; %bb.219:
	v_lshl_add_u64 v[28:29], v[32:33], 1, v[26:27]
	flat_load_ushort v28, v[28:29]
	s_waitcnt vmcnt(0) lgkmcnt(0)
	v_mul_f16_e32 v28, v52, v28
	v_cvt_f32_f16_e32 v28, v28
	s_branch .LBB210_221
.LBB210_220:
	v_mov_b32_e32 v28, 0
.LBB210_221:
	v_pk_add_f16 v29, v16, v20
	v_max_f16_e32 v30, v84, v84
	v_pk_add_f16 v48, v17, v21
	v_min_f16_e32 v30, v30, v29
	v_lshrrev_b32_e32 v31, 16, v84
	v_lshrrev_b32_e32 v29, 16, v29
	;; [unrolled: 1-line block ×3, first 2 shown]
	v_min3_f16 v29, v31, v29, v49
	v_min3_f16 v29, v30, v48, v29
	v_cvt_f32_f16_e32 v29, v29
	v_max_f32_e32 v28, v28, v28
	v_min_f32_e32 v28, v28, v29
	v_cvt_f16_f32_e32 v30, v28
	v_lshl_add_u64 v[28:29], v[32:33], 1, v[24:25]
	flat_store_short v[28:29], v30
	s_or_b64 exec, exec, s[26:27]
	s_and_b64 s[30:31], s[2:3], s[18:19]
	s_and_saveexec_b64 s[26:27], s[30:31]
	s_cbranch_execz .LBB210_212
.LBB210_222:
	s_and_b64 vcc, exec, s[0:1]
	s_cbranch_vccnz .LBB210_224
; %bb.223:
	v_lshl_add_u64 v[28:29], v[34:35], 1, v[26:27]
	flat_load_ushort v28, v[28:29]
	s_waitcnt vmcnt(0) lgkmcnt(0)
	v_mul_f16_e32 v28, v52, v28
	v_cvt_f32_f16_e32 v28, v28
	s_branch .LBB210_225
.LBB210_224:
	v_mov_b32_e32 v28, 0
.LBB210_225:
	v_pk_add_f16 v29, v18, v20
	v_max_f16_e32 v30, v83, v83
	v_pk_add_f16 v48, v19, v21
	v_min_f16_e32 v30, v30, v29
	v_lshrrev_b32_e32 v31, 16, v83
	v_lshrrev_b32_e32 v29, 16, v29
	;; [unrolled: 1-line block ×3, first 2 shown]
	v_min3_f16 v29, v31, v29, v49
	v_min3_f16 v29, v30, v48, v29
	v_cvt_f32_f16_e32 v29, v29
	v_max_f32_e32 v28, v28, v28
	v_min_f32_e32 v28, v28, v29
	v_cvt_f16_f32_e32 v30, v28
	v_lshl_add_u64 v[28:29], v[34:35], 1, v[24:25]
	flat_store_short v[28:29], v30
	s_or_b64 exec, exec, s[26:27]
	s_and_b64 s[30:31], s[6:7], s[18:19]
	s_and_saveexec_b64 s[26:27], s[30:31]
	s_cbranch_execz .LBB210_213
.LBB210_226:
	s_and_b64 vcc, exec, s[0:1]
	s_cbranch_vccnz .LBB210_228
; %bb.227:
	v_lshl_add_u64 v[28:29], v[36:37], 1, v[26:27]
	flat_load_ushort v28, v[28:29]
	s_waitcnt vmcnt(0) lgkmcnt(0)
	v_mul_f16_e32 v28, v52, v28
	v_cvt_f32_f16_e32 v28, v28
	s_branch .LBB210_229
.LBB210_228:
	v_mov_b32_e32 v28, 0
.LBB210_229:
	v_pk_add_f16 v29, v12, v20
	v_max_f16_e32 v30, v82, v82
	v_pk_add_f16 v48, v13, v21
	v_min_f16_e32 v30, v30, v29
	v_lshrrev_b32_e32 v31, 16, v82
	v_lshrrev_b32_e32 v29, 16, v29
	;; [unrolled: 1-line block ×3, first 2 shown]
	v_min3_f16 v29, v31, v29, v49
	v_min3_f16 v29, v30, v48, v29
	v_cvt_f32_f16_e32 v29, v29
	v_max_f32_e32 v28, v28, v28
	v_min_f32_e32 v28, v28, v29
	v_cvt_f16_f32_e32 v30, v28
	v_lshl_add_u64 v[28:29], v[36:37], 1, v[24:25]
	flat_store_short v[28:29], v30
	s_or_b64 exec, exec, s[26:27]
	s_and_b64 s[30:31], s[8:9], s[18:19]
	s_and_saveexec_b64 s[26:27], s[30:31]
	s_cbranch_execz .LBB210_214
.LBB210_230:
	s_and_b64 vcc, exec, s[0:1]
	s_cbranch_vccnz .LBB210_232
; %bb.231:
	v_lshl_add_u64 v[28:29], v[38:39], 1, v[26:27]
	flat_load_ushort v28, v[28:29]
	s_waitcnt vmcnt(0) lgkmcnt(0)
	v_mul_f16_e32 v28, v52, v28
	v_cvt_f32_f16_e32 v28, v28
	s_branch .LBB210_233
.LBB210_232:
	v_mov_b32_e32 v28, 0
.LBB210_233:
	v_pk_add_f16 v29, v14, v20
	v_max_f16_e32 v30, v81, v81
	v_pk_add_f16 v48, v15, v21
	v_min_f16_e32 v30, v30, v29
	v_lshrrev_b32_e32 v31, 16, v81
	v_lshrrev_b32_e32 v29, 16, v29
	;; [unrolled: 1-line block ×3, first 2 shown]
	v_min3_f16 v29, v31, v29, v49
	v_min3_f16 v29, v30, v48, v29
	v_cvt_f32_f16_e32 v29, v29
	v_max_f32_e32 v28, v28, v28
	v_min_f32_e32 v28, v28, v29
	v_cvt_f16_f32_e32 v30, v28
	v_lshl_add_u64 v[28:29], v[38:39], 1, v[24:25]
	flat_store_short v[28:29], v30
	s_or_b64 exec, exec, s[26:27]
	s_and_b64 s[30:31], s[10:11], s[18:19]
	s_and_saveexec_b64 s[26:27], s[30:31]
	s_cbranch_execz .LBB210_215
.LBB210_234:
	s_and_b64 vcc, exec, s[0:1]
	s_cbranch_vccnz .LBB210_236
; %bb.235:
	v_lshl_add_u64 v[28:29], v[40:41], 1, v[26:27]
	flat_load_ushort v28, v[28:29]
	s_waitcnt vmcnt(0) lgkmcnt(0)
	v_mul_f16_e32 v28, v52, v28
	v_cvt_f32_f16_e32 v28, v28
	s_branch .LBB210_237
.LBB210_236:
	v_mov_b32_e32 v28, 0
.LBB210_237:
	v_pk_add_f16 v29, v8, v20
	v_max_f16_e32 v30, v80, v80
	v_pk_add_f16 v48, v9, v21
	v_min_f16_e32 v30, v30, v29
	v_lshrrev_b32_e32 v31, 16, v80
	v_lshrrev_b32_e32 v29, 16, v29
	;; [unrolled: 1-line block ×3, first 2 shown]
	v_min3_f16 v29, v31, v29, v49
	v_min3_f16 v29, v30, v48, v29
	v_cvt_f32_f16_e32 v29, v29
	v_max_f32_e32 v28, v28, v28
	v_min_f32_e32 v28, v28, v29
	v_cvt_f16_f32_e32 v30, v28
	v_lshl_add_u64 v[28:29], v[40:41], 1, v[24:25]
	flat_store_short v[28:29], v30
	s_or_b64 exec, exec, s[26:27]
	s_and_b64 s[30:31], s[12:13], s[18:19]
	s_and_saveexec_b64 s[26:27], s[30:31]
	s_cbranch_execz .LBB210_216
.LBB210_238:
	s_and_b64 vcc, exec, s[0:1]
	s_cbranch_vccnz .LBB210_240
; %bb.239:
	v_lshl_add_u64 v[28:29], v[42:43], 1, v[26:27]
	flat_load_ushort v28, v[28:29]
	s_waitcnt vmcnt(0) lgkmcnt(0)
	v_mul_f16_e32 v28, v52, v28
	v_cvt_f32_f16_e32 v28, v28
	s_branch .LBB210_241
.LBB210_240:
	v_mov_b32_e32 v28, 0
.LBB210_241:
	v_pk_add_f16 v29, v10, v20
	v_max_f16_e32 v30, v79, v79
	v_pk_add_f16 v48, v11, v21
	v_min_f16_e32 v30, v30, v29
	v_lshrrev_b32_e32 v31, 16, v79
	v_lshrrev_b32_e32 v29, 16, v29
	;; [unrolled: 1-line block ×3, first 2 shown]
	v_min3_f16 v29, v31, v29, v49
	v_min3_f16 v29, v30, v48, v29
	v_cvt_f32_f16_e32 v29, v29
	v_max_f32_e32 v28, v28, v28
	v_min_f32_e32 v28, v28, v29
	v_cvt_f16_f32_e32 v30, v28
	v_lshl_add_u64 v[28:29], v[42:43], 1, v[24:25]
	flat_store_short v[28:29], v30
	s_or_b64 exec, exec, s[26:27]
	s_and_b64 s[30:31], s[14:15], s[18:19]
	s_and_saveexec_b64 s[26:27], s[30:31]
	s_cbranch_execz .LBB210_217
.LBB210_242:
	s_and_b64 vcc, exec, s[0:1]
	s_cbranch_vccnz .LBB210_244
; %bb.243:
	v_lshl_add_u64 v[28:29], v[44:45], 1, v[26:27]
	flat_load_ushort v28, v[28:29]
	s_waitcnt vmcnt(0) lgkmcnt(0)
	v_mul_f16_e32 v28, v52, v28
	v_cvt_f32_f16_e32 v28, v28
	s_branch .LBB210_245
.LBB210_244:
	v_mov_b32_e32 v28, 0
.LBB210_245:
	v_pk_add_f16 v29, v0, v20
	v_max_f16_e32 v30, v78, v78
	v_pk_add_f16 v48, v1, v21
	v_min_f16_e32 v30, v30, v29
	v_lshrrev_b32_e32 v31, 16, v78
	v_lshrrev_b32_e32 v29, 16, v29
	;; [unrolled: 1-line block ×3, first 2 shown]
	v_min3_f16 v29, v31, v29, v49
	v_min3_f16 v29, v30, v48, v29
	v_cvt_f32_f16_e32 v29, v29
	v_max_f32_e32 v28, v28, v28
	v_min_f32_e32 v28, v28, v29
	v_cvt_f16_f32_e32 v30, v28
	v_lshl_add_u64 v[28:29], v[44:45], 1, v[24:25]
	flat_store_short v[28:29], v30
	s_or_b64 exec, exec, s[26:27]
	s_and_b64 s[26:27], s[16:17], s[18:19]
	s_and_saveexec_b64 s[18:19], s[26:27]
	s_cbranch_execz .LBB210_250
.LBB210_246:
	s_and_b64 vcc, exec, s[0:1]
	s_cbranch_vccnz .LBB210_248
; %bb.247:
	v_lshl_add_u64 v[26:27], v[46:47], 1, v[26:27]
	flat_load_ushort v26, v[26:27]
	s_waitcnt vmcnt(0) lgkmcnt(0)
	v_mul_f16_e32 v26, v52, v26
	v_cvt_f32_f16_e32 v26, v26
	s_branch .LBB210_249
.LBB210_248:
	v_mov_b32_e32 v26, 0
.LBB210_249:
	v_pk_add_f16 v20, v2, v20
	v_max_f16_e32 v27, v77, v77
	v_pk_add_f16 v21, v3, v21
	v_min_f16_e32 v27, v27, v20
	v_lshrrev_b32_e32 v28, 16, v77
	v_lshrrev_b32_e32 v20, 16, v20
	;; [unrolled: 1-line block ×3, first 2 shown]
	v_min3_f16 v20, v28, v20, v29
	v_min3_f16 v20, v27, v21, v20
	v_cvt_f32_f16_e32 v20, v20
	v_max_f32_e32 v21, v26, v26
	v_min_f32_e32 v20, v21, v20
	v_cvt_f16_f32_e32 v26, v20
	v_lshl_add_u64 v[20:21], v[46:47], 1, v[24:25]
	flat_store_short v[20:21], v26
.LBB210_250:
	s_or_b64 exec, exec, s[18:19]
	v_add_u32_e32 v26, 40, v92
	v_mad_i64_i32 v[20:21], s[26:27], v26, s29, 0
	v_cmp_gt_i32_e64 s[18:19], s21, v26
	v_lshl_add_u64 v[24:25], v[20:21], 1, s[24:25]
	v_mad_i64_i32 v[20:21], s[26:27], v26, s28, 0
	v_lshl_add_u64 v[20:21], v[20:21], 1, s[22:23]
	s_and_b64 s[30:31], s[4:5], s[18:19]
	s_and_saveexec_b64 s[26:27], s[30:31]
	s_cbranch_execnz .LBB210_258
; %bb.251:
	s_or_b64 exec, exec, s[26:27]
	s_and_b64 s[30:31], s[2:3], s[18:19]
	s_and_saveexec_b64 s[26:27], s[30:31]
	s_cbranch_execnz .LBB210_262
.LBB210_252:
	s_or_b64 exec, exec, s[26:27]
	s_and_b64 s[30:31], s[6:7], s[18:19]
	s_and_saveexec_b64 s[26:27], s[30:31]
	s_cbranch_execnz .LBB210_266
.LBB210_253:
	s_or_b64 exec, exec, s[26:27]
	s_and_b64 s[30:31], s[8:9], s[18:19]
	s_and_saveexec_b64 s[26:27], s[30:31]
	s_cbranch_execnz .LBB210_270
.LBB210_254:
	s_or_b64 exec, exec, s[26:27]
	s_and_b64 s[30:31], s[10:11], s[18:19]
	s_and_saveexec_b64 s[26:27], s[30:31]
	s_cbranch_execnz .LBB210_274
.LBB210_255:
	s_or_b64 exec, exec, s[26:27]
	s_and_b64 s[30:31], s[12:13], s[18:19]
	s_and_saveexec_b64 s[26:27], s[30:31]
	s_cbranch_execnz .LBB210_278
.LBB210_256:
	s_or_b64 exec, exec, s[26:27]
	s_and_b64 s[30:31], s[14:15], s[18:19]
	s_and_saveexec_b64 s[26:27], s[30:31]
	s_cbranch_execnz .LBB210_282
.LBB210_257:
	s_or_b64 exec, exec, s[26:27]
	s_and_b64 s[26:27], s[16:17], s[18:19]
	s_and_saveexec_b64 s[18:19], s[26:27]
	s_cbranch_execnz .LBB210_286
	s_branch .LBB210_290
.LBB210_258:
	s_and_b64 vcc, exec, s[0:1]
	s_cbranch_vccnz .LBB210_260
; %bb.259:
	v_lshl_add_u64 v[26:27], v[32:33], 1, v[24:25]
	flat_load_ushort v26, v[26:27]
	s_waitcnt vmcnt(0) lgkmcnt(0)
	v_mul_f16_e32 v26, v52, v26
	v_cvt_f32_f16_e32 v26, v26
	s_branch .LBB210_261
.LBB210_260:
	v_mov_b32_e32 v26, 0
.LBB210_261:
	v_pk_add_f16 v27, v16, v22
	v_max_f16_e32 v28, v76, v76
	v_pk_add_f16 v30, v17, v23
	v_min_f16_e32 v28, v28, v27
	v_lshrrev_b32_e32 v29, 16, v76
	v_lshrrev_b32_e32 v27, 16, v27
	;; [unrolled: 1-line block ×3, first 2 shown]
	v_min3_f16 v27, v29, v27, v31
	v_min3_f16 v27, v28, v30, v27
	v_cvt_f32_f16_e32 v27, v27
	v_max_f32_e32 v26, v26, v26
	v_min_f32_e32 v26, v26, v27
	v_cvt_f16_f32_e32 v28, v26
	v_lshl_add_u64 v[26:27], v[32:33], 1, v[20:21]
	flat_store_short v[26:27], v28
	s_or_b64 exec, exec, s[26:27]
	s_and_b64 s[30:31], s[2:3], s[18:19]
	s_and_saveexec_b64 s[26:27], s[30:31]
	s_cbranch_execz .LBB210_252
.LBB210_262:
	s_and_b64 vcc, exec, s[0:1]
	s_cbranch_vccnz .LBB210_264
; %bb.263:
	v_lshl_add_u64 v[26:27], v[34:35], 1, v[24:25]
	flat_load_ushort v26, v[26:27]
	s_waitcnt vmcnt(0) lgkmcnt(0)
	v_mul_f16_e32 v26, v52, v26
	v_cvt_f32_f16_e32 v26, v26
	s_branch .LBB210_265
.LBB210_264:
	v_mov_b32_e32 v26, 0
.LBB210_265:
	v_pk_add_f16 v27, v18, v22
	v_max_f16_e32 v28, v75, v75
	v_pk_add_f16 v30, v19, v23
	v_min_f16_e32 v28, v28, v27
	v_lshrrev_b32_e32 v29, 16, v75
	v_lshrrev_b32_e32 v27, 16, v27
	;; [unrolled: 1-line block ×3, first 2 shown]
	v_min3_f16 v27, v29, v27, v31
	v_min3_f16 v27, v28, v30, v27
	v_cvt_f32_f16_e32 v27, v27
	v_max_f32_e32 v26, v26, v26
	v_min_f32_e32 v26, v26, v27
	v_cvt_f16_f32_e32 v28, v26
	v_lshl_add_u64 v[26:27], v[34:35], 1, v[20:21]
	flat_store_short v[26:27], v28
	s_or_b64 exec, exec, s[26:27]
	s_and_b64 s[30:31], s[6:7], s[18:19]
	s_and_saveexec_b64 s[26:27], s[30:31]
	s_cbranch_execz .LBB210_253
.LBB210_266:
	s_and_b64 vcc, exec, s[0:1]
	s_cbranch_vccnz .LBB210_268
; %bb.267:
	v_lshl_add_u64 v[26:27], v[36:37], 1, v[24:25]
	flat_load_ushort v26, v[26:27]
	s_waitcnt vmcnt(0) lgkmcnt(0)
	v_mul_f16_e32 v26, v52, v26
	v_cvt_f32_f16_e32 v26, v26
	s_branch .LBB210_269
.LBB210_268:
	v_mov_b32_e32 v26, 0
.LBB210_269:
	v_pk_add_f16 v27, v12, v22
	v_max_f16_e32 v28, v74, v74
	v_pk_add_f16 v30, v13, v23
	v_min_f16_e32 v28, v28, v27
	v_lshrrev_b32_e32 v29, 16, v74
	v_lshrrev_b32_e32 v27, 16, v27
	;; [unrolled: 1-line block ×3, first 2 shown]
	v_min3_f16 v27, v29, v27, v31
	v_min3_f16 v27, v28, v30, v27
	v_cvt_f32_f16_e32 v27, v27
	v_max_f32_e32 v26, v26, v26
	v_min_f32_e32 v26, v26, v27
	v_cvt_f16_f32_e32 v28, v26
	v_lshl_add_u64 v[26:27], v[36:37], 1, v[20:21]
	flat_store_short v[26:27], v28
	s_or_b64 exec, exec, s[26:27]
	s_and_b64 s[30:31], s[8:9], s[18:19]
	s_and_saveexec_b64 s[26:27], s[30:31]
	s_cbranch_execz .LBB210_254
.LBB210_270:
	s_and_b64 vcc, exec, s[0:1]
	s_cbranch_vccnz .LBB210_272
; %bb.271:
	v_lshl_add_u64 v[26:27], v[38:39], 1, v[24:25]
	flat_load_ushort v26, v[26:27]
	s_waitcnt vmcnt(0) lgkmcnt(0)
	v_mul_f16_e32 v26, v52, v26
	v_cvt_f32_f16_e32 v26, v26
	s_branch .LBB210_273
.LBB210_272:
	v_mov_b32_e32 v26, 0
.LBB210_273:
	v_pk_add_f16 v27, v14, v22
	v_max_f16_e32 v28, v73, v73
	v_pk_add_f16 v30, v15, v23
	v_min_f16_e32 v28, v28, v27
	v_lshrrev_b32_e32 v29, 16, v73
	v_lshrrev_b32_e32 v27, 16, v27
	;; [unrolled: 1-line block ×3, first 2 shown]
	v_min3_f16 v27, v29, v27, v31
	v_min3_f16 v27, v28, v30, v27
	v_cvt_f32_f16_e32 v27, v27
	v_max_f32_e32 v26, v26, v26
	v_min_f32_e32 v26, v26, v27
	v_cvt_f16_f32_e32 v28, v26
	v_lshl_add_u64 v[26:27], v[38:39], 1, v[20:21]
	flat_store_short v[26:27], v28
	s_or_b64 exec, exec, s[26:27]
	s_and_b64 s[30:31], s[10:11], s[18:19]
	s_and_saveexec_b64 s[26:27], s[30:31]
	s_cbranch_execz .LBB210_255
.LBB210_274:
	s_and_b64 vcc, exec, s[0:1]
	s_cbranch_vccnz .LBB210_276
; %bb.275:
	v_lshl_add_u64 v[26:27], v[40:41], 1, v[24:25]
	flat_load_ushort v26, v[26:27]
	s_waitcnt vmcnt(0) lgkmcnt(0)
	v_mul_f16_e32 v26, v52, v26
	v_cvt_f32_f16_e32 v26, v26
	s_branch .LBB210_277
.LBB210_276:
	v_mov_b32_e32 v26, 0
.LBB210_277:
	v_pk_add_f16 v27, v8, v22
	v_max_f16_e32 v28, v72, v72
	v_pk_add_f16 v30, v9, v23
	v_min_f16_e32 v28, v28, v27
	v_lshrrev_b32_e32 v29, 16, v72
	v_lshrrev_b32_e32 v27, 16, v27
	;; [unrolled: 1-line block ×3, first 2 shown]
	v_min3_f16 v27, v29, v27, v31
	v_min3_f16 v27, v28, v30, v27
	v_cvt_f32_f16_e32 v27, v27
	v_max_f32_e32 v26, v26, v26
	v_min_f32_e32 v26, v26, v27
	v_cvt_f16_f32_e32 v28, v26
	v_lshl_add_u64 v[26:27], v[40:41], 1, v[20:21]
	flat_store_short v[26:27], v28
	s_or_b64 exec, exec, s[26:27]
	s_and_b64 s[30:31], s[12:13], s[18:19]
	s_and_saveexec_b64 s[26:27], s[30:31]
	s_cbranch_execz .LBB210_256
.LBB210_278:
	s_and_b64 vcc, exec, s[0:1]
	s_cbranch_vccnz .LBB210_280
; %bb.279:
	v_lshl_add_u64 v[26:27], v[42:43], 1, v[24:25]
	flat_load_ushort v26, v[26:27]
	s_waitcnt vmcnt(0) lgkmcnt(0)
	v_mul_f16_e32 v26, v52, v26
	v_cvt_f32_f16_e32 v26, v26
	s_branch .LBB210_281
.LBB210_280:
	v_mov_b32_e32 v26, 0
.LBB210_281:
	v_pk_add_f16 v27, v10, v22
	v_max_f16_e32 v28, v71, v71
	v_pk_add_f16 v30, v11, v23
	v_min_f16_e32 v28, v28, v27
	v_lshrrev_b32_e32 v29, 16, v71
	v_lshrrev_b32_e32 v27, 16, v27
	;; [unrolled: 1-line block ×3, first 2 shown]
	v_min3_f16 v27, v29, v27, v31
	v_min3_f16 v27, v28, v30, v27
	v_cvt_f32_f16_e32 v27, v27
	v_max_f32_e32 v26, v26, v26
	v_min_f32_e32 v26, v26, v27
	v_cvt_f16_f32_e32 v28, v26
	v_lshl_add_u64 v[26:27], v[42:43], 1, v[20:21]
	flat_store_short v[26:27], v28
	s_or_b64 exec, exec, s[26:27]
	s_and_b64 s[30:31], s[14:15], s[18:19]
	s_and_saveexec_b64 s[26:27], s[30:31]
	s_cbranch_execz .LBB210_257
.LBB210_282:
	s_and_b64 vcc, exec, s[0:1]
	s_cbranch_vccnz .LBB210_284
; %bb.283:
	v_lshl_add_u64 v[26:27], v[44:45], 1, v[24:25]
	flat_load_ushort v26, v[26:27]
	s_waitcnt vmcnt(0) lgkmcnt(0)
	v_mul_f16_e32 v26, v52, v26
	v_cvt_f32_f16_e32 v26, v26
	s_branch .LBB210_285
.LBB210_284:
	v_mov_b32_e32 v26, 0
.LBB210_285:
	v_pk_add_f16 v27, v0, v22
	v_max_f16_e32 v28, v70, v70
	v_pk_add_f16 v30, v1, v23
	v_min_f16_e32 v28, v28, v27
	v_lshrrev_b32_e32 v29, 16, v70
	v_lshrrev_b32_e32 v27, 16, v27
	;; [unrolled: 1-line block ×3, first 2 shown]
	v_min3_f16 v27, v29, v27, v31
	v_min3_f16 v27, v28, v30, v27
	v_cvt_f32_f16_e32 v27, v27
	v_max_f32_e32 v26, v26, v26
	v_min_f32_e32 v26, v26, v27
	v_cvt_f16_f32_e32 v28, v26
	v_lshl_add_u64 v[26:27], v[44:45], 1, v[20:21]
	flat_store_short v[26:27], v28
	s_or_b64 exec, exec, s[26:27]
	s_and_b64 s[26:27], s[16:17], s[18:19]
	s_and_saveexec_b64 s[18:19], s[26:27]
	s_cbranch_execz .LBB210_290
.LBB210_286:
	s_and_b64 vcc, exec, s[0:1]
	s_cbranch_vccnz .LBB210_288
; %bb.287:
	v_lshl_add_u64 v[24:25], v[46:47], 1, v[24:25]
	flat_load_ushort v24, v[24:25]
	s_waitcnt vmcnt(0) lgkmcnt(0)
	v_mul_f16_e32 v24, v52, v24
	v_cvt_f32_f16_e32 v24, v24
	s_branch .LBB210_289
.LBB210_288:
	v_mov_b32_e32 v24, 0
.LBB210_289:
	v_pk_add_f16 v22, v2, v22
	v_max_f16_e32 v25, v69, v69
	v_pk_add_f16 v23, v3, v23
	v_min_f16_e32 v25, v25, v22
	v_lshrrev_b32_e32 v26, 16, v69
	v_lshrrev_b32_e32 v22, 16, v22
	;; [unrolled: 1-line block ×3, first 2 shown]
	v_min3_f16 v22, v26, v22, v27
	v_min3_f16 v22, v25, v23, v22
	v_cvt_f32_f16_e32 v22, v22
	v_max_f32_e32 v23, v24, v24
	v_lshl_add_u64 v[20:21], v[46:47], 1, v[20:21]
	v_min_f32_e32 v22, v23, v22
	v_cvt_f16_f32_e32 v22, v22
	flat_store_short v[20:21], v22
.LBB210_290:
	s_or_b64 exec, exec, s[18:19]
	v_add_u32_e32 v24, 48, v92
	v_mad_i64_i32 v[20:21], s[26:27], v24, s29, 0
	v_cmp_gt_i32_e64 s[18:19], s21, v24
	v_lshl_add_u64 v[22:23], v[20:21], 1, s[24:25]
	v_mad_i64_i32 v[20:21], s[26:27], v24, s28, 0
	v_lshl_add_u64 v[20:21], v[20:21], 1, s[22:23]
	s_and_b64 s[30:31], s[4:5], s[18:19]
	s_and_saveexec_b64 s[26:27], s[30:31]
	s_cbranch_execnz .LBB210_298
; %bb.291:
	s_or_b64 exec, exec, s[26:27]
	s_and_b64 s[30:31], s[2:3], s[18:19]
	s_and_saveexec_b64 s[26:27], s[30:31]
	s_cbranch_execnz .LBB210_302
.LBB210_292:
	s_or_b64 exec, exec, s[26:27]
	s_and_b64 s[30:31], s[6:7], s[18:19]
	s_and_saveexec_b64 s[26:27], s[30:31]
	s_cbranch_execnz .LBB210_306
.LBB210_293:
	s_or_b64 exec, exec, s[26:27]
	s_and_b64 s[30:31], s[8:9], s[18:19]
	s_and_saveexec_b64 s[26:27], s[30:31]
	s_cbranch_execnz .LBB210_310
.LBB210_294:
	s_or_b64 exec, exec, s[26:27]
	s_and_b64 s[30:31], s[10:11], s[18:19]
	s_and_saveexec_b64 s[26:27], s[30:31]
	s_cbranch_execnz .LBB210_314
.LBB210_295:
	s_or_b64 exec, exec, s[26:27]
	s_and_b64 s[30:31], s[12:13], s[18:19]
	s_and_saveexec_b64 s[26:27], s[30:31]
	s_cbranch_execnz .LBB210_318
.LBB210_296:
	s_or_b64 exec, exec, s[26:27]
	s_and_b64 s[30:31], s[14:15], s[18:19]
	s_and_saveexec_b64 s[26:27], s[30:31]
	s_cbranch_execnz .LBB210_322
.LBB210_297:
	s_or_b64 exec, exec, s[26:27]
	s_and_b64 s[26:27], s[16:17], s[18:19]
	s_and_saveexec_b64 s[18:19], s[26:27]
	s_cbranch_execnz .LBB210_326
	s_branch .LBB210_330
.LBB210_298:
	s_and_b64 vcc, exec, s[0:1]
	s_cbranch_vccnz .LBB210_300
; %bb.299:
	v_lshl_add_u64 v[24:25], v[32:33], 1, v[22:23]
	flat_load_ushort v24, v[24:25]
	s_waitcnt vmcnt(0) lgkmcnt(0)
	v_mul_f16_e32 v24, v52, v24
	v_cvt_f32_f16_e32 v24, v24
	s_branch .LBB210_301
.LBB210_300:
	v_mov_b32_e32 v24, 0
.LBB210_301:
	v_pk_add_f16 v25, v16, v4
	v_max_f16_e32 v26, v68, v68
	v_pk_add_f16 v28, v17, v5
	v_min_f16_e32 v26, v26, v25
	v_lshrrev_b32_e32 v27, 16, v68
	v_lshrrev_b32_e32 v25, 16, v25
	;; [unrolled: 1-line block ×3, first 2 shown]
	v_min3_f16 v25, v27, v25, v29
	v_min3_f16 v25, v26, v28, v25
	v_cvt_f32_f16_e32 v25, v25
	v_max_f32_e32 v24, v24, v24
	v_min_f32_e32 v24, v24, v25
	v_cvt_f16_f32_e32 v26, v24
	v_lshl_add_u64 v[24:25], v[32:33], 1, v[20:21]
	flat_store_short v[24:25], v26
	s_or_b64 exec, exec, s[26:27]
	s_and_b64 s[30:31], s[2:3], s[18:19]
	s_and_saveexec_b64 s[26:27], s[30:31]
	s_cbranch_execz .LBB210_292
.LBB210_302:
	s_and_b64 vcc, exec, s[0:1]
	s_cbranch_vccnz .LBB210_304
; %bb.303:
	v_lshl_add_u64 v[24:25], v[34:35], 1, v[22:23]
	flat_load_ushort v24, v[24:25]
	s_waitcnt vmcnt(0) lgkmcnt(0)
	v_mul_f16_e32 v24, v52, v24
	v_cvt_f32_f16_e32 v24, v24
	s_branch .LBB210_305
.LBB210_304:
	v_mov_b32_e32 v24, 0
.LBB210_305:
	v_pk_add_f16 v25, v18, v4
	v_max_f16_e32 v26, v67, v67
	v_pk_add_f16 v28, v19, v5
	v_min_f16_e32 v26, v26, v25
	v_lshrrev_b32_e32 v27, 16, v67
	v_lshrrev_b32_e32 v25, 16, v25
	;; [unrolled: 1-line block ×3, first 2 shown]
	v_min3_f16 v25, v27, v25, v29
	v_min3_f16 v25, v26, v28, v25
	v_cvt_f32_f16_e32 v25, v25
	v_max_f32_e32 v24, v24, v24
	v_min_f32_e32 v24, v24, v25
	v_cvt_f16_f32_e32 v26, v24
	v_lshl_add_u64 v[24:25], v[34:35], 1, v[20:21]
	flat_store_short v[24:25], v26
	s_or_b64 exec, exec, s[26:27]
	s_and_b64 s[30:31], s[6:7], s[18:19]
	s_and_saveexec_b64 s[26:27], s[30:31]
	s_cbranch_execz .LBB210_293
.LBB210_306:
	s_and_b64 vcc, exec, s[0:1]
	s_cbranch_vccnz .LBB210_308
; %bb.307:
	v_lshl_add_u64 v[24:25], v[36:37], 1, v[22:23]
	flat_load_ushort v24, v[24:25]
	s_waitcnt vmcnt(0) lgkmcnt(0)
	v_mul_f16_e32 v24, v52, v24
	v_cvt_f32_f16_e32 v24, v24
	s_branch .LBB210_309
.LBB210_308:
	v_mov_b32_e32 v24, 0
.LBB210_309:
	v_pk_add_f16 v25, v12, v4
	v_max_f16_e32 v26, v66, v66
	v_pk_add_f16 v28, v13, v5
	v_min_f16_e32 v26, v26, v25
	v_lshrrev_b32_e32 v27, 16, v66
	v_lshrrev_b32_e32 v25, 16, v25
	;; [unrolled: 1-line block ×3, first 2 shown]
	v_min3_f16 v25, v27, v25, v29
	v_min3_f16 v25, v26, v28, v25
	v_cvt_f32_f16_e32 v25, v25
	v_max_f32_e32 v24, v24, v24
	v_min_f32_e32 v24, v24, v25
	v_cvt_f16_f32_e32 v26, v24
	v_lshl_add_u64 v[24:25], v[36:37], 1, v[20:21]
	flat_store_short v[24:25], v26
	s_or_b64 exec, exec, s[26:27]
	s_and_b64 s[30:31], s[8:9], s[18:19]
	s_and_saveexec_b64 s[26:27], s[30:31]
	s_cbranch_execz .LBB210_294
.LBB210_310:
	s_and_b64 vcc, exec, s[0:1]
	s_cbranch_vccnz .LBB210_312
; %bb.311:
	v_lshl_add_u64 v[24:25], v[38:39], 1, v[22:23]
	flat_load_ushort v24, v[24:25]
	s_waitcnt vmcnt(0) lgkmcnt(0)
	v_mul_f16_e32 v24, v52, v24
	v_cvt_f32_f16_e32 v24, v24
	s_branch .LBB210_313
.LBB210_312:
	v_mov_b32_e32 v24, 0
.LBB210_313:
	v_pk_add_f16 v25, v14, v4
	v_max_f16_e32 v26, v65, v65
	v_pk_add_f16 v28, v15, v5
	v_min_f16_e32 v26, v26, v25
	v_lshrrev_b32_e32 v27, 16, v65
	v_lshrrev_b32_e32 v25, 16, v25
	;; [unrolled: 1-line block ×3, first 2 shown]
	v_min3_f16 v25, v27, v25, v29
	v_min3_f16 v25, v26, v28, v25
	v_cvt_f32_f16_e32 v25, v25
	v_max_f32_e32 v24, v24, v24
	v_min_f32_e32 v24, v24, v25
	v_cvt_f16_f32_e32 v26, v24
	v_lshl_add_u64 v[24:25], v[38:39], 1, v[20:21]
	flat_store_short v[24:25], v26
	s_or_b64 exec, exec, s[26:27]
	s_and_b64 s[30:31], s[10:11], s[18:19]
	s_and_saveexec_b64 s[26:27], s[30:31]
	s_cbranch_execz .LBB210_295
.LBB210_314:
	s_and_b64 vcc, exec, s[0:1]
	s_cbranch_vccnz .LBB210_316
; %bb.315:
	v_lshl_add_u64 v[24:25], v[40:41], 1, v[22:23]
	flat_load_ushort v24, v[24:25]
	s_waitcnt vmcnt(0) lgkmcnt(0)
	v_mul_f16_e32 v24, v52, v24
	v_cvt_f32_f16_e32 v24, v24
	s_branch .LBB210_317
.LBB210_316:
	v_mov_b32_e32 v24, 0
.LBB210_317:
	v_pk_add_f16 v25, v8, v4
	v_max_f16_e32 v26, v64, v64
	v_pk_add_f16 v28, v9, v5
	v_min_f16_e32 v26, v26, v25
	v_lshrrev_b32_e32 v27, 16, v64
	v_lshrrev_b32_e32 v25, 16, v25
	;; [unrolled: 1-line block ×3, first 2 shown]
	v_min3_f16 v25, v27, v25, v29
	v_min3_f16 v25, v26, v28, v25
	v_cvt_f32_f16_e32 v25, v25
	v_max_f32_e32 v24, v24, v24
	v_min_f32_e32 v24, v24, v25
	v_cvt_f16_f32_e32 v26, v24
	v_lshl_add_u64 v[24:25], v[40:41], 1, v[20:21]
	flat_store_short v[24:25], v26
	s_or_b64 exec, exec, s[26:27]
	s_and_b64 s[30:31], s[12:13], s[18:19]
	s_and_saveexec_b64 s[26:27], s[30:31]
	s_cbranch_execz .LBB210_296
.LBB210_318:
	s_and_b64 vcc, exec, s[0:1]
	s_cbranch_vccnz .LBB210_320
; %bb.319:
	v_lshl_add_u64 v[24:25], v[42:43], 1, v[22:23]
	flat_load_ushort v24, v[24:25]
	s_waitcnt vmcnt(0) lgkmcnt(0)
	v_mul_f16_e32 v24, v52, v24
	v_cvt_f32_f16_e32 v24, v24
	s_branch .LBB210_321
.LBB210_320:
	v_mov_b32_e32 v24, 0
.LBB210_321:
	v_pk_add_f16 v25, v10, v4
	v_max_f16_e32 v26, v63, v63
	v_pk_add_f16 v28, v11, v5
	v_min_f16_e32 v26, v26, v25
	v_lshrrev_b32_e32 v27, 16, v63
	v_lshrrev_b32_e32 v25, 16, v25
	;; [unrolled: 1-line block ×3, first 2 shown]
	v_min3_f16 v25, v27, v25, v29
	v_min3_f16 v25, v26, v28, v25
	v_cvt_f32_f16_e32 v25, v25
	v_max_f32_e32 v24, v24, v24
	v_min_f32_e32 v24, v24, v25
	v_cvt_f16_f32_e32 v26, v24
	v_lshl_add_u64 v[24:25], v[42:43], 1, v[20:21]
	flat_store_short v[24:25], v26
	s_or_b64 exec, exec, s[26:27]
	s_and_b64 s[30:31], s[14:15], s[18:19]
	s_and_saveexec_b64 s[26:27], s[30:31]
	s_cbranch_execz .LBB210_297
.LBB210_322:
	s_and_b64 vcc, exec, s[0:1]
	s_cbranch_vccnz .LBB210_324
; %bb.323:
	v_lshl_add_u64 v[24:25], v[44:45], 1, v[22:23]
	flat_load_ushort v24, v[24:25]
	s_waitcnt vmcnt(0) lgkmcnt(0)
	v_mul_f16_e32 v24, v52, v24
	v_cvt_f32_f16_e32 v24, v24
	s_branch .LBB210_325
.LBB210_324:
	v_mov_b32_e32 v24, 0
.LBB210_325:
	v_pk_add_f16 v25, v0, v4
	v_max_f16_e32 v26, v62, v62
	v_pk_add_f16 v28, v1, v5
	v_min_f16_e32 v26, v26, v25
	v_lshrrev_b32_e32 v27, 16, v62
	v_lshrrev_b32_e32 v25, 16, v25
	;; [unrolled: 1-line block ×3, first 2 shown]
	v_min3_f16 v25, v27, v25, v29
	v_min3_f16 v25, v26, v28, v25
	v_cvt_f32_f16_e32 v25, v25
	v_max_f32_e32 v24, v24, v24
	v_min_f32_e32 v24, v24, v25
	v_cvt_f16_f32_e32 v26, v24
	v_lshl_add_u64 v[24:25], v[44:45], 1, v[20:21]
	flat_store_short v[24:25], v26
	s_or_b64 exec, exec, s[26:27]
	s_and_b64 s[26:27], s[16:17], s[18:19]
	s_and_saveexec_b64 s[18:19], s[26:27]
	s_cbranch_execz .LBB210_330
.LBB210_326:
	s_and_b64 vcc, exec, s[0:1]
	s_cbranch_vccnz .LBB210_328
; %bb.327:
	v_lshl_add_u64 v[22:23], v[46:47], 1, v[22:23]
	flat_load_ushort v22, v[22:23]
	s_waitcnt vmcnt(0) lgkmcnt(0)
	v_mul_f16_e32 v22, v52, v22
	v_cvt_f32_f16_e32 v22, v22
	s_branch .LBB210_329
.LBB210_328:
	v_mov_b32_e32 v22, 0
.LBB210_329:
	v_pk_add_f16 v4, v2, v4
	v_max_f16_e32 v23, v61, v61
	v_pk_add_f16 v5, v3, v5
	v_min_f16_e32 v23, v23, v4
	v_lshrrev_b32_e32 v24, 16, v61
	v_lshrrev_b32_e32 v4, 16, v4
	;; [unrolled: 1-line block ×3, first 2 shown]
	v_min3_f16 v4, v24, v4, v25
	v_min3_f16 v4, v23, v5, v4
	v_cvt_f32_f16_e32 v4, v4
	v_max_f32_e32 v5, v22, v22
	v_min_f32_e32 v4, v5, v4
	v_cvt_f16_f32_e32 v22, v4
	v_lshl_add_u64 v[4:5], v[46:47], 1, v[20:21]
	flat_store_short v[4:5], v22
.LBB210_330:
	s_or_b64 exec, exec, s[18:19]
	v_add_u32_e32 v22, 56, v92
	v_cmp_gt_i32_e64 s[18:19], s21, v22
	v_mad_i64_i32 v[4:5], s[20:21], v22, s29, 0
	v_lshl_add_u64 v[20:21], v[4:5], 1, s[24:25]
	v_mad_i64_i32 v[4:5], s[20:21], v22, s28, 0
	v_lshl_add_u64 v[4:5], v[4:5], 1, s[22:23]
	s_and_b64 s[20:21], s[4:5], s[18:19]
	s_and_saveexec_b64 s[4:5], s[20:21]
	s_cbranch_execnz .LBB210_339
; %bb.331:
	s_or_b64 exec, exec, s[4:5]
	s_and_b64 s[4:5], s[2:3], s[18:19]
	s_and_saveexec_b64 s[2:3], s[4:5]
	s_cbranch_execnz .LBB210_343
.LBB210_332:
	s_or_b64 exec, exec, s[2:3]
	s_and_b64 s[4:5], s[6:7], s[18:19]
	s_and_saveexec_b64 s[2:3], s[4:5]
	s_cbranch_execnz .LBB210_347
.LBB210_333:
	s_or_b64 exec, exec, s[2:3]
	s_and_b64 s[4:5], s[8:9], s[18:19]
	s_and_saveexec_b64 s[2:3], s[4:5]
	s_cbranch_execnz .LBB210_351
.LBB210_334:
	s_or_b64 exec, exec, s[2:3]
	s_and_b64 s[4:5], s[10:11], s[18:19]
	s_and_saveexec_b64 s[2:3], s[4:5]
	s_cbranch_execnz .LBB210_355
.LBB210_335:
	s_or_b64 exec, exec, s[2:3]
	s_and_b64 s[4:5], s[12:13], s[18:19]
	s_and_saveexec_b64 s[2:3], s[4:5]
	s_cbranch_execnz .LBB210_359
.LBB210_336:
	s_or_b64 exec, exec, s[2:3]
	s_and_b64 s[4:5], s[14:15], s[18:19]
	s_and_saveexec_b64 s[2:3], s[4:5]
	s_cbranch_execnz .LBB210_363
.LBB210_337:
	s_or_b64 exec, exec, s[2:3]
	s_and_b64 s[2:3], s[16:17], s[18:19]
	s_and_saveexec_b64 s[4:5], s[2:3]
	s_cbranch_execnz .LBB210_367
.LBB210_338:
	s_endpgm
.LBB210_339:
	s_and_b64 vcc, exec, s[0:1]
	s_cbranch_vccnz .LBB210_341
; %bb.340:
	v_lshl_add_u64 v[22:23], v[32:33], 1, v[20:21]
	flat_load_ushort v22, v[22:23]
	s_waitcnt vmcnt(0) lgkmcnt(0)
	v_mul_f16_e32 v22, v52, v22
	v_cvt_f32_f16_e32 v22, v22
	s_branch .LBB210_342
.LBB210_341:
	v_mov_b32_e32 v22, 0
.LBB210_342:
	v_pk_add_f16 v16, v16, v6
	v_max_f16_e32 v23, v60, v60
	v_pk_add_f16 v17, v17, v7
	v_min_f16_e32 v23, v23, v16
	v_lshrrev_b32_e32 v24, 16, v60
	v_lshrrev_b32_e32 v16, 16, v16
	;; [unrolled: 1-line block ×3, first 2 shown]
	v_min3_f16 v16, v24, v16, v25
	v_min3_f16 v16, v23, v17, v16
	v_cvt_f32_f16_e32 v16, v16
	v_max_f32_e32 v17, v22, v22
	v_min_f32_e32 v16, v17, v16
	v_cvt_f16_f32_e32 v22, v16
	v_lshl_add_u64 v[16:17], v[32:33], 1, v[4:5]
	flat_store_short v[16:17], v22
	s_or_b64 exec, exec, s[4:5]
	s_and_b64 s[4:5], s[2:3], s[18:19]
	s_and_saveexec_b64 s[2:3], s[4:5]
	s_cbranch_execz .LBB210_332
.LBB210_343:
	s_and_b64 vcc, exec, s[0:1]
	s_cbranch_vccnz .LBB210_345
; %bb.344:
	v_lshl_add_u64 v[16:17], v[34:35], 1, v[20:21]
	flat_load_ushort v16, v[16:17]
	s_waitcnt vmcnt(0) lgkmcnt(0)
	v_mul_f16_e32 v16, v52, v16
	v_cvt_f32_f16_e32 v16, v16
	s_branch .LBB210_346
.LBB210_345:
	v_mov_b32_e32 v16, 0
.LBB210_346:
	v_pk_add_f16 v17, v18, v6
	v_max_f16_e32 v18, v59, v59
	v_pk_add_f16 v19, v19, v7
	v_min_f16_e32 v18, v18, v17
	v_lshrrev_b32_e32 v22, 16, v59
	v_lshrrev_b32_e32 v17, 16, v17
	;; [unrolled: 1-line block ×3, first 2 shown]
	v_min3_f16 v17, v22, v17, v23
	v_min3_f16 v17, v18, v19, v17
	v_cvt_f32_f16_e32 v17, v17
	v_max_f32_e32 v16, v16, v16
	v_min_f32_e32 v16, v16, v17
	v_cvt_f16_f32_e32 v18, v16
	v_lshl_add_u64 v[16:17], v[34:35], 1, v[4:5]
	flat_store_short v[16:17], v18
	s_or_b64 exec, exec, s[2:3]
	s_and_b64 s[4:5], s[6:7], s[18:19]
	s_and_saveexec_b64 s[2:3], s[4:5]
	s_cbranch_execz .LBB210_333
.LBB210_347:
	s_and_b64 vcc, exec, s[0:1]
	s_cbranch_vccnz .LBB210_349
; %bb.348:
	v_lshl_add_u64 v[16:17], v[36:37], 1, v[20:21]
	flat_load_ushort v16, v[16:17]
	s_waitcnt vmcnt(0) lgkmcnt(0)
	v_mul_f16_e32 v16, v52, v16
	v_cvt_f32_f16_e32 v16, v16
	s_branch .LBB210_350
.LBB210_349:
	v_mov_b32_e32 v16, 0
.LBB210_350:
	v_pk_add_f16 v12, v12, v6
	v_max_f16_e32 v17, v58, v58
	v_pk_add_f16 v13, v13, v7
	v_min_f16_e32 v17, v17, v12
	v_lshrrev_b32_e32 v18, 16, v58
	v_lshrrev_b32_e32 v12, 16, v12
	;; [unrolled: 1-line block ×3, first 2 shown]
	v_min3_f16 v12, v18, v12, v19
	v_min3_f16 v12, v17, v13, v12
	v_cvt_f32_f16_e32 v12, v12
	v_max_f32_e32 v13, v16, v16
	v_min_f32_e32 v12, v13, v12
	v_cvt_f16_f32_e32 v16, v12
	v_lshl_add_u64 v[12:13], v[36:37], 1, v[4:5]
	flat_store_short v[12:13], v16
	s_or_b64 exec, exec, s[2:3]
	s_and_b64 s[4:5], s[8:9], s[18:19]
	s_and_saveexec_b64 s[2:3], s[4:5]
	s_cbranch_execz .LBB210_334
.LBB210_351:
	s_and_b64 vcc, exec, s[0:1]
	s_cbranch_vccnz .LBB210_353
; %bb.352:
	v_lshl_add_u64 v[12:13], v[38:39], 1, v[20:21]
	flat_load_ushort v12, v[12:13]
	s_waitcnt vmcnt(0) lgkmcnt(0)
	v_mul_f16_e32 v12, v52, v12
	v_cvt_f32_f16_e32 v12, v12
	s_branch .LBB210_354
.LBB210_353:
	v_mov_b32_e32 v12, 0
.LBB210_354:
	v_pk_add_f16 v13, v14, v6
	v_max_f16_e32 v14, v57, v57
	v_pk_add_f16 v15, v15, v7
	v_min_f16_e32 v14, v14, v13
	v_lshrrev_b32_e32 v16, 16, v57
	v_lshrrev_b32_e32 v13, 16, v13
	;; [unrolled: 1-line block ×3, first 2 shown]
	v_min3_f16 v13, v16, v13, v17
	v_min3_f16 v13, v14, v15, v13
	v_cvt_f32_f16_e32 v13, v13
	v_max_f32_e32 v12, v12, v12
	v_min_f32_e32 v12, v12, v13
	v_cvt_f16_f32_e32 v14, v12
	v_lshl_add_u64 v[12:13], v[38:39], 1, v[4:5]
	flat_store_short v[12:13], v14
	s_or_b64 exec, exec, s[2:3]
	s_and_b64 s[4:5], s[10:11], s[18:19]
	s_and_saveexec_b64 s[2:3], s[4:5]
	s_cbranch_execz .LBB210_335
.LBB210_355:
	s_and_b64 vcc, exec, s[0:1]
	s_cbranch_vccnz .LBB210_357
; %bb.356:
	v_lshl_add_u64 v[12:13], v[40:41], 1, v[20:21]
	flat_load_ushort v12, v[12:13]
	s_waitcnt vmcnt(0) lgkmcnt(0)
	v_mul_f16_e32 v12, v52, v12
	v_cvt_f32_f16_e32 v12, v12
	s_branch .LBB210_358
.LBB210_357:
	v_mov_b32_e32 v12, 0
.LBB210_358:
	v_pk_add_f16 v8, v8, v6
	v_max_f16_e32 v13, v55, v55
	v_pk_add_f16 v9, v9, v7
	v_min_f16_e32 v13, v13, v8
	v_lshrrev_b32_e32 v14, 16, v55
	v_lshrrev_b32_e32 v8, 16, v8
	;; [unrolled: 1-line block ×3, first 2 shown]
	v_min3_f16 v8, v14, v8, v15
	v_min3_f16 v8, v13, v9, v8
	v_cvt_f32_f16_e32 v8, v8
	v_max_f32_e32 v9, v12, v12
	v_min_f32_e32 v8, v9, v8
	v_cvt_f16_f32_e32 v12, v8
	v_lshl_add_u64 v[8:9], v[40:41], 1, v[4:5]
	flat_store_short v[8:9], v12
	s_or_b64 exec, exec, s[2:3]
	s_and_b64 s[4:5], s[12:13], s[18:19]
	s_and_saveexec_b64 s[2:3], s[4:5]
	s_cbranch_execz .LBB210_336
.LBB210_359:
	s_and_b64 vcc, exec, s[0:1]
	s_cbranch_vccnz .LBB210_361
; %bb.360:
	v_lshl_add_u64 v[8:9], v[42:43], 1, v[20:21]
	flat_load_ushort v8, v[8:9]
	s_waitcnt vmcnt(0) lgkmcnt(0)
	v_mul_f16_e32 v8, v52, v8
	v_cvt_f32_f16_e32 v8, v8
	s_branch .LBB210_362
.LBB210_361:
	v_mov_b32_e32 v8, 0
.LBB210_362:
	v_pk_add_f16 v9, v10, v6
	v_max_f16_e32 v10, v54, v54
	v_pk_add_f16 v11, v11, v7
	v_min_f16_e32 v10, v10, v9
	v_lshrrev_b32_e32 v12, 16, v54
	v_lshrrev_b32_e32 v9, 16, v9
	v_lshrrev_b32_e32 v13, 16, v11
	v_min3_f16 v9, v12, v9, v13
	v_min3_f16 v9, v10, v11, v9
	v_cvt_f32_f16_e32 v9, v9
	v_max_f32_e32 v8, v8, v8
	v_min_f32_e32 v8, v8, v9
	v_cvt_f16_f32_e32 v10, v8
	v_lshl_add_u64 v[8:9], v[42:43], 1, v[4:5]
	flat_store_short v[8:9], v10
	s_or_b64 exec, exec, s[2:3]
	s_and_b64 s[4:5], s[14:15], s[18:19]
	s_and_saveexec_b64 s[2:3], s[4:5]
	s_cbranch_execz .LBB210_337
.LBB210_363:
	s_and_b64 vcc, exec, s[0:1]
	s_cbranch_vccnz .LBB210_365
; %bb.364:
	v_lshl_add_u64 v[8:9], v[44:45], 1, v[20:21]
	flat_load_ushort v8, v[8:9]
	s_waitcnt vmcnt(0) lgkmcnt(0)
	v_mul_f16_e32 v8, v52, v8
	v_cvt_f32_f16_e32 v8, v8
	s_branch .LBB210_366
.LBB210_365:
	v_mov_b32_e32 v8, 0
.LBB210_366:
	v_pk_add_f16 v0, v0, v6
	v_max_f16_e32 v9, v53, v53
	v_pk_add_f16 v1, v1, v7
	v_min_f16_e32 v9, v9, v0
	v_lshrrev_b32_e32 v10, 16, v53
	v_lshrrev_b32_e32 v0, 16, v0
	;; [unrolled: 1-line block ×3, first 2 shown]
	v_min3_f16 v0, v10, v0, v11
	v_min3_f16 v0, v9, v1, v0
	v_cvt_f32_f16_e32 v0, v0
	v_max_f32_e32 v1, v8, v8
	v_min_f32_e32 v0, v1, v0
	v_cvt_f16_f32_e32 v8, v0
	v_lshl_add_u64 v[0:1], v[44:45], 1, v[4:5]
	flat_store_short v[0:1], v8
	s_or_b64 exec, exec, s[2:3]
	s_and_b64 s[2:3], s[16:17], s[18:19]
	s_and_saveexec_b64 s[4:5], s[2:3]
	s_cbranch_execz .LBB210_338
.LBB210_367:
	s_and_b64 vcc, exec, s[0:1]
	s_cbranch_vccnz .LBB210_369
; %bb.368:
	v_lshl_add_u64 v[0:1], v[46:47], 1, v[20:21]
	flat_load_ushort v0, v[0:1]
	s_waitcnt vmcnt(0) lgkmcnt(0)
	v_mul_f16_e32 v0, v52, v0
	v_cvt_f32_f16_e32 v0, v0
	s_branch .LBB210_370
.LBB210_369:
	v_mov_b32_e32 v0, 0
.LBB210_370:
	v_pk_add_f16 v1, v2, v6
	v_max_f16_e32 v2, v56, v56
	v_pk_add_f16 v3, v3, v7
	v_min_f16_e32 v2, v2, v1
	v_lshrrev_b32_e32 v6, 16, v56
	v_lshrrev_b32_e32 v1, 16, v1
	;; [unrolled: 1-line block ×3, first 2 shown]
	v_min3_f16 v1, v6, v1, v7
	v_min3_f16 v1, v2, v3, v1
	v_cvt_f32_f16_e32 v1, v1
	v_max_f32_e32 v0, v0, v0
	v_min_f32_e32 v0, v0, v1
	v_cvt_f16_f32_e32 v2, v0
	v_lshl_add_u64 v[0:1], v[46:47], 1, v[4:5]
	flat_store_short v[0:1], v2
	s_endpgm
	.section	.rodata,"a",@progbits
	.p2align	6, 0x0
	.amdhsa_kernel _ZN12_GLOBAL__N_120geam_min_plus_kernelIDF16_Dv2_DF16_S1_Li32ELi8ELi256ELi64ELi4ELi64ELi4ELi4ELi64ELc78ELc78ELb0ELb1ELb1EPKDF16_KS3_KPDF16_EEviiiT16_PT17_ilS9_ilS7_S9_ilPT18_ili26rocblas_geam_ex_operation_
		.amdhsa_group_segment_fixed_size 5120
		.amdhsa_private_segment_fixed_size 0
		.amdhsa_kernarg_size 136
		.amdhsa_user_sgpr_count 2
		.amdhsa_user_sgpr_dispatch_ptr 0
		.amdhsa_user_sgpr_queue_ptr 0
		.amdhsa_user_sgpr_kernarg_segment_ptr 1
		.amdhsa_user_sgpr_dispatch_id 0
		.amdhsa_user_sgpr_kernarg_preload_length 0
		.amdhsa_user_sgpr_kernarg_preload_offset 0
		.amdhsa_user_sgpr_private_segment_size 0
		.amdhsa_uses_dynamic_stack 0
		.amdhsa_enable_private_segment 0
		.amdhsa_system_sgpr_workgroup_id_x 1
		.amdhsa_system_sgpr_workgroup_id_y 0
		.amdhsa_system_sgpr_workgroup_id_z 1
		.amdhsa_system_sgpr_workgroup_info 0
		.amdhsa_system_vgpr_workitem_id 1
		.amdhsa_next_free_vgpr 179
		.amdhsa_next_free_sgpr 38
		.amdhsa_accum_offset 180
		.amdhsa_reserve_vcc 1
		.amdhsa_float_round_mode_32 0
		.amdhsa_float_round_mode_16_64 0
		.amdhsa_float_denorm_mode_32 3
		.amdhsa_float_denorm_mode_16_64 3
		.amdhsa_dx10_clamp 1
		.amdhsa_ieee_mode 1
		.amdhsa_fp16_overflow 0
		.amdhsa_tg_split 0
		.amdhsa_exception_fp_ieee_invalid_op 0
		.amdhsa_exception_fp_denorm_src 0
		.amdhsa_exception_fp_ieee_div_zero 0
		.amdhsa_exception_fp_ieee_overflow 0
		.amdhsa_exception_fp_ieee_underflow 0
		.amdhsa_exception_fp_ieee_inexact 0
		.amdhsa_exception_int_div_zero 0
	.end_amdhsa_kernel
	.section	.text._ZN12_GLOBAL__N_120geam_min_plus_kernelIDF16_Dv2_DF16_S1_Li32ELi8ELi256ELi64ELi4ELi64ELi4ELi4ELi64ELc78ELc78ELb0ELb1ELb1EPKDF16_KS3_KPDF16_EEviiiT16_PT17_ilS9_ilS7_S9_ilPT18_ili26rocblas_geam_ex_operation_,"axG",@progbits,_ZN12_GLOBAL__N_120geam_min_plus_kernelIDF16_Dv2_DF16_S1_Li32ELi8ELi256ELi64ELi4ELi64ELi4ELi4ELi64ELc78ELc78ELb0ELb1ELb1EPKDF16_KS3_KPDF16_EEviiiT16_PT17_ilS9_ilS7_S9_ilPT18_ili26rocblas_geam_ex_operation_,comdat
.Lfunc_end210:
	.size	_ZN12_GLOBAL__N_120geam_min_plus_kernelIDF16_Dv2_DF16_S1_Li32ELi8ELi256ELi64ELi4ELi64ELi4ELi4ELi64ELc78ELc78ELb0ELb1ELb1EPKDF16_KS3_KPDF16_EEviiiT16_PT17_ilS9_ilS7_S9_ilPT18_ili26rocblas_geam_ex_operation_, .Lfunc_end210-_ZN12_GLOBAL__N_120geam_min_plus_kernelIDF16_Dv2_DF16_S1_Li32ELi8ELi256ELi64ELi4ELi64ELi4ELi4ELi64ELc78ELc78ELb0ELb1ELb1EPKDF16_KS3_KPDF16_EEviiiT16_PT17_ilS9_ilS7_S9_ilPT18_ili26rocblas_geam_ex_operation_
                                        ; -- End function
	.set _ZN12_GLOBAL__N_120geam_min_plus_kernelIDF16_Dv2_DF16_S1_Li32ELi8ELi256ELi64ELi4ELi64ELi4ELi4ELi64ELc78ELc78ELb0ELb1ELb1EPKDF16_KS3_KPDF16_EEviiiT16_PT17_ilS9_ilS7_S9_ilPT18_ili26rocblas_geam_ex_operation_.num_vgpr, 179
	.set _ZN12_GLOBAL__N_120geam_min_plus_kernelIDF16_Dv2_DF16_S1_Li32ELi8ELi256ELi64ELi4ELi64ELi4ELi4ELi64ELc78ELc78ELb0ELb1ELb1EPKDF16_KS3_KPDF16_EEviiiT16_PT17_ilS9_ilS7_S9_ilPT18_ili26rocblas_geam_ex_operation_.num_agpr, 0
	.set _ZN12_GLOBAL__N_120geam_min_plus_kernelIDF16_Dv2_DF16_S1_Li32ELi8ELi256ELi64ELi4ELi64ELi4ELi4ELi64ELc78ELc78ELb0ELb1ELb1EPKDF16_KS3_KPDF16_EEviiiT16_PT17_ilS9_ilS7_S9_ilPT18_ili26rocblas_geam_ex_operation_.numbered_sgpr, 38
	.set _ZN12_GLOBAL__N_120geam_min_plus_kernelIDF16_Dv2_DF16_S1_Li32ELi8ELi256ELi64ELi4ELi64ELi4ELi4ELi64ELc78ELc78ELb0ELb1ELb1EPKDF16_KS3_KPDF16_EEviiiT16_PT17_ilS9_ilS7_S9_ilPT18_ili26rocblas_geam_ex_operation_.num_named_barrier, 0
	.set _ZN12_GLOBAL__N_120geam_min_plus_kernelIDF16_Dv2_DF16_S1_Li32ELi8ELi256ELi64ELi4ELi64ELi4ELi4ELi64ELc78ELc78ELb0ELb1ELb1EPKDF16_KS3_KPDF16_EEviiiT16_PT17_ilS9_ilS7_S9_ilPT18_ili26rocblas_geam_ex_operation_.private_seg_size, 0
	.set _ZN12_GLOBAL__N_120geam_min_plus_kernelIDF16_Dv2_DF16_S1_Li32ELi8ELi256ELi64ELi4ELi64ELi4ELi4ELi64ELc78ELc78ELb0ELb1ELb1EPKDF16_KS3_KPDF16_EEviiiT16_PT17_ilS9_ilS7_S9_ilPT18_ili26rocblas_geam_ex_operation_.uses_vcc, 1
	.set _ZN12_GLOBAL__N_120geam_min_plus_kernelIDF16_Dv2_DF16_S1_Li32ELi8ELi256ELi64ELi4ELi64ELi4ELi4ELi64ELc78ELc78ELb0ELb1ELb1EPKDF16_KS3_KPDF16_EEviiiT16_PT17_ilS9_ilS7_S9_ilPT18_ili26rocblas_geam_ex_operation_.uses_flat_scratch, 0
	.set _ZN12_GLOBAL__N_120geam_min_plus_kernelIDF16_Dv2_DF16_S1_Li32ELi8ELi256ELi64ELi4ELi64ELi4ELi4ELi64ELc78ELc78ELb0ELb1ELb1EPKDF16_KS3_KPDF16_EEviiiT16_PT17_ilS9_ilS7_S9_ilPT18_ili26rocblas_geam_ex_operation_.has_dyn_sized_stack, 0
	.set _ZN12_GLOBAL__N_120geam_min_plus_kernelIDF16_Dv2_DF16_S1_Li32ELi8ELi256ELi64ELi4ELi64ELi4ELi4ELi64ELc78ELc78ELb0ELb1ELb1EPKDF16_KS3_KPDF16_EEviiiT16_PT17_ilS9_ilS7_S9_ilPT18_ili26rocblas_geam_ex_operation_.has_recursion, 0
	.set _ZN12_GLOBAL__N_120geam_min_plus_kernelIDF16_Dv2_DF16_S1_Li32ELi8ELi256ELi64ELi4ELi64ELi4ELi4ELi64ELc78ELc78ELb0ELb1ELb1EPKDF16_KS3_KPDF16_EEviiiT16_PT17_ilS9_ilS7_S9_ilPT18_ili26rocblas_geam_ex_operation_.has_indirect_call, 0
	.section	.AMDGPU.csdata,"",@progbits
; Kernel info:
; codeLenInByte = 20880
; TotalNumSgprs: 44
; NumVgprs: 179
; NumAgprs: 0
; TotalNumVgprs: 179
; ScratchSize: 0
; MemoryBound: 0
; FloatMode: 240
; IeeeMode: 1
; LDSByteSize: 5120 bytes/workgroup (compile time only)
; SGPRBlocks: 5
; VGPRBlocks: 22
; NumSGPRsForWavesPerEU: 44
; NumVGPRsForWavesPerEU: 179
; AccumOffset: 180
; Occupancy: 2
; WaveLimiterHint : 1
; COMPUTE_PGM_RSRC2:SCRATCH_EN: 0
; COMPUTE_PGM_RSRC2:USER_SGPR: 2
; COMPUTE_PGM_RSRC2:TRAP_HANDLER: 0
; COMPUTE_PGM_RSRC2:TGID_X_EN: 1
; COMPUTE_PGM_RSRC2:TGID_Y_EN: 0
; COMPUTE_PGM_RSRC2:TGID_Z_EN: 1
; COMPUTE_PGM_RSRC2:TIDIG_COMP_CNT: 1
; COMPUTE_PGM_RSRC3_GFX90A:ACCUM_OFFSET: 44
; COMPUTE_PGM_RSRC3_GFX90A:TG_SPLIT: 0
	.section	.text._ZN12_GLOBAL__N_120geam_min_plus_kernelIDF16_Dv2_DF16_S1_Li32ELi8ELi256ELi64ELi4ELi64ELi4ELi4ELi64ELc78ELc78ELb1ELb1ELb1EDF16_KPKDF16_KPDF16_EEviiiT16_PT17_ilS9_ilS7_S9_ilPT18_ili26rocblas_geam_ex_operation_,"axG",@progbits,_ZN12_GLOBAL__N_120geam_min_plus_kernelIDF16_Dv2_DF16_S1_Li32ELi8ELi256ELi64ELi4ELi64ELi4ELi4ELi64ELc78ELc78ELb1ELb1ELb1EDF16_KPKDF16_KPDF16_EEviiiT16_PT17_ilS9_ilS7_S9_ilPT18_ili26rocblas_geam_ex_operation_,comdat
	.globl	_ZN12_GLOBAL__N_120geam_min_plus_kernelIDF16_Dv2_DF16_S1_Li32ELi8ELi256ELi64ELi4ELi64ELi4ELi4ELi64ELc78ELc78ELb1ELb1ELb1EDF16_KPKDF16_KPDF16_EEviiiT16_PT17_ilS9_ilS7_S9_ilPT18_ili26rocblas_geam_ex_operation_ ; -- Begin function _ZN12_GLOBAL__N_120geam_min_plus_kernelIDF16_Dv2_DF16_S1_Li32ELi8ELi256ELi64ELi4ELi64ELi4ELi4ELi64ELc78ELc78ELb1ELb1ELb1EDF16_KPKDF16_KPDF16_EEviiiT16_PT17_ilS9_ilS7_S9_ilPT18_ili26rocblas_geam_ex_operation_
	.p2align	8
	.type	_ZN12_GLOBAL__N_120geam_min_plus_kernelIDF16_Dv2_DF16_S1_Li32ELi8ELi256ELi64ELi4ELi64ELi4ELi4ELi64ELc78ELc78ELb1ELb1ELb1EDF16_KPKDF16_KPDF16_EEviiiT16_PT17_ilS9_ilS7_S9_ilPT18_ili26rocblas_geam_ex_operation_,@function
_ZN12_GLOBAL__N_120geam_min_plus_kernelIDF16_Dv2_DF16_S1_Li32ELi8ELi256ELi64ELi4ELi64ELi4ELi4ELi64ELc78ELc78ELb1ELb1ELb1EDF16_KPKDF16_KPDF16_EEviiiT16_PT17_ilS9_ilS7_S9_ilPT18_ili26rocblas_geam_ex_operation_: ; @_ZN12_GLOBAL__N_120geam_min_plus_kernelIDF16_Dv2_DF16_S1_Li32ELi8ELi256ELi64ELi4ELi64ELi4ELi4ELi64ELc78ELc78ELb1ELb1ELb1EDF16_KPKDF16_KPDF16_EEviiiT16_PT17_ilS9_ilS7_S9_ilPT18_ili26rocblas_geam_ex_operation_
; %bb.0:
	s_load_dwordx4 s[20:23], s[0:1], 0x0
	s_load_dwordx4 s[4:7], s[0:1], 0x20
	s_mov_b32 s8, s3
	s_mov_b32 s9, 0
	s_waitcnt lgkmcnt(0)
	v_cmp_eq_f16_e64 s[10:11], s23, 0
	s_and_b64 vcc, exec, s[10:11]
	s_cbranch_vccnz .LBB211_3
; %bb.1:
	s_load_dwordx2 s[12:13], s[0:1], 0x10
	s_lshl_b64 s[14:15], s[8:9], 3
	s_waitcnt lgkmcnt(0)
	s_add_u32 s12, s12, s14
	s_addc_u32 s13, s13, s15
	s_load_dwordx2 s[12:13], s[12:13], 0x0
	s_lshl_b64 s[4:5], s[4:5], 1
	s_waitcnt lgkmcnt(0)
	s_add_u32 s16, s12, s4
	s_addc_u32 s17, s13, s5
	s_andn2_b64 vcc, exec, s[10:11]
	s_cbranch_vccnz .LBB211_4
.LBB211_2:
	s_mov_b32 s11, 0
	s_mov_b32 s10, s8
	s_mov_b64 s[24:25], 0
	s_mov_b64 s[18:19], 0
	s_cbranch_execz .LBB211_5
	s_branch .LBB211_6
.LBB211_3:
	s_mov_b64 s[16:17], 0
	s_andn2_b64 vcc, exec, s[10:11]
	s_cbranch_vccz .LBB211_2
.LBB211_4:
	s_mov_b64 s[10:11], s[8:9]
	s_mov_b64 s[24:25], 0
	;; [unrolled: 1-line block ×3, first 2 shown]
.LBB211_5:
	s_lshl_b64 s[8:9], s[8:9], 3
	s_add_u32 s6, s6, s8
	s_load_dwordx2 s[4:5], s[0:1], 0x38
	s_addc_u32 s7, s7, s9
	s_load_dwordx2 s[6:7], s[6:7], 0x0
	s_waitcnt lgkmcnt(0)
	s_lshl_b64 s[4:5], s[4:5], 1
	s_add_u32 s18, s6, s4
	s_addc_u32 s19, s7, s5
.LBB211_6:
	s_load_dword s30, s[0:1], 0x40
	s_load_dwordx4 s[4:7], s[0:1], 0x58
	s_waitcnt lgkmcnt(0)
	v_cmp_eq_f16_e64 s[8:9], s30, 0
	v_cmp_neq_f16_e64 s[14:15], s30, 0
	s_and_b64 vcc, exec, s[8:9]
	s_cbranch_vccnz .LBB211_8
; %bb.7:
	s_load_dwordx2 s[8:9], s[0:1], 0x48
	s_lshl_b64 s[12:13], s[10:11], 3
	s_waitcnt lgkmcnt(0)
	s_add_u32 s8, s8, s12
	s_addc_u32 s9, s9, s13
	s_load_dwordx2 s[8:9], s[8:9], 0x0
	s_lshl_b64 s[4:5], s[4:5], 1
	s_waitcnt lgkmcnt(0)
	s_add_u32 s24, s8, s4
	s_addc_u32 s25, s9, s5
.LBB211_8:
	s_lshl_b64 s[4:5], s[10:11], 3
	s_add_u32 s28, s6, s4
	s_addc_u32 s29, s7, s5
	s_add_i32 s3, s20, -1
	s_ashr_i32 s4, s3, 31
	s_lshr_b32 s4, s4, 24
	s_add_i32 s3, s3, s4
	s_ashr_i32 s3, s3, 8
	s_add_i32 s4, s3, 1
	v_cvt_f32_u32_e32 v1, s4
	v_and_b32_e32 v42, 0x3ff, v0
	v_bfe_u32 v43, v0, 10, 10
	s_not_b32 s3, s3
	v_rcp_iflag_f32_e32 v1, v1
	s_load_dword s26, s[0:1], 0x18
	v_lshl_add_u32 v7, v43, 5, v42
	v_and_b32_e32 v2, 63, v7
	v_mul_f32_e32 v0, 0x4f7ffffe, v1
	v_cvt_u32_f32_e32 v0, v0
	v_lshrrev_b32_e32 v45, 6, v7
	v_cmp_le_i32_e64 s[8:9], s22, v45
	v_mov_b32_e32 v3, 0x7c00
	v_readfirstlane_b32 s5, v0
	s_mul_i32 s3, s3, s5
	s_mul_hi_u32 s3, s5, s3
	s_add_i32 s5, s5, s3
	s_mul_hi_u32 s3, s2, s5
	s_mul_i32 s5, s3, s4
	s_sub_i32 s5, s2, s5
	s_add_i32 s6, s3, 1
	s_sub_i32 s7, s5, s4
	s_cmp_ge_u32 s5, s4
	s_cselect_b32 s3, s6, s3
	s_cselect_b32 s5, s7, s5
	s_add_i32 s6, s3, 1
	s_cmp_ge_u32 s5, s4
	s_cselect_b32 s10, s6, s3
	s_mul_i32 s3, s10, s4
	s_sub_i32 s2, s2, s3
	s_lshl_b32 s31, s2, 8
	v_or_b32_e32 v28, s31, v2
	s_waitcnt lgkmcnt(0)
	v_mad_i64_i32 v[0:1], s[2:3], s26, v45, 0
	v_cmp_le_i32_e32 vcc, s20, v28
	v_lshl_add_u64 v[0:1], v[0:1], 1, s[16:17]
	s_nor_b64 s[4:5], vcc, s[8:9]
	v_ashrrev_i32_e32 v29, 31, v28
	v_mov_b32_e32 v4, 0x7c00
	s_and_saveexec_b64 s[2:3], s[4:5]
	s_cbranch_execz .LBB211_10
; %bb.9:
	v_lshl_add_u64 v[4:5], v[28:29], 1, v[0:1]
	flat_load_ushort v4, v[4:5]
.LBB211_10:
	s_or_b64 exec, exec, s[2:3]
	v_or_b32_e32 v5, 64, v28
	v_cmp_le_i32_e64 s[2:3], s20, v5
	s_nor_b64 s[6:7], s[2:3], s[8:9]
	s_and_saveexec_b64 s[4:5], s[6:7]
	s_cbranch_execz .LBB211_12
; %bb.11:
	v_lshl_add_u64 v[8:9], v[28:29], 1, v[0:1]
	flat_load_ushort v3, v[8:9] offset:128
.LBB211_12:
	s_or_b64 exec, exec, s[4:5]
	v_or_b32_e32 v5, 0x80, v28
	v_cmp_le_i32_e64 s[4:5], s20, v5
	s_ashr_i32 s27, s26, 31
	s_nor_b64 s[12:13], s[4:5], s[8:9]
	v_mov_b32_e32 v5, 0x7c00
	v_mov_b32_e32 v6, 0x7c00
	s_and_saveexec_b64 s[6:7], s[12:13]
	s_cbranch_execz .LBB211_14
; %bb.13:
	v_lshl_add_u64 v[8:9], v[28:29], 1, v[0:1]
	flat_load_ushort v6, v[8:9] offset:256
.LBB211_14:
	s_or_b64 exec, exec, s[6:7]
	v_or_b32_e32 v8, 0xc0, v28
	v_cmp_le_i32_e64 s[6:7], s20, v8
	s_nor_b64 s[12:13], s[6:7], s[8:9]
	s_and_saveexec_b64 s[8:9], s[12:13]
	s_cbranch_execz .LBB211_16
; %bb.15:
	v_lshl_add_u64 v[0:1], v[28:29], 1, v[0:1]
	flat_load_ushort v5, v[0:1] offset:384
.LBB211_16:
	s_or_b64 exec, exec, s[8:9]
	s_load_dword s34, s[0:1], 0x30
	v_lshrrev_b32_e32 v7, 2, v7
	s_lshl_b32 s33, s10, 6
	v_and_b32_e32 v47, 3, v42
	v_add_u32_e32 v32, s33, v7
	v_cmp_gt_i32_e64 s[10:11], s22, v47
	v_cmp_gt_i32_e64 s[12:13], s21, v32
	v_cmp_le_i32_e64 s[8:9], s21, v32
	s_and_b64 s[12:13], s[10:11], s[12:13]
	v_mov_b32_e32 v33, 0x7c00
	v_lshlrev_b32_e32 v30, 1, v47
	v_mov_b32_e32 v8, 0x7c00
	s_and_saveexec_b64 s[10:11], s[12:13]
	s_cbranch_execz .LBB211_18
; %bb.17:
	s_waitcnt lgkmcnt(0)
	v_mad_i64_i32 v[0:1], s[12:13], v32, s34, 0
	v_lshl_add_u64 v[0:1], v[0:1], 1, s[18:19]
	v_mov_b32_e32 v31, 0
	v_lshl_add_u64 v[0:1], v[0:1], 0, v[30:31]
	flat_load_ushort v8, v[0:1]
.LBB211_18:
	s_or_b64 exec, exec, s[10:11]
	v_add_u32_e32 v0, 4, v45
	v_cmp_le_i32_e64 s[10:11], s22, v0
	v_mad_i64_i32 v[0:1], s[12:13], s26, v0, 0
	v_lshl_add_u64 v[0:1], v[0:1], 1, s[16:17]
	s_nor_b64 s[36:37], vcc, s[10:11]
	s_and_saveexec_b64 s[12:13], s[36:37]
	s_cbranch_execz .LBB211_20
; %bb.19:
	v_lshl_add_u64 v[10:11], v[28:29], 1, v[0:1]
	flat_load_ushort v33, v[10:11]
.LBB211_20:
	s_or_b64 exec, exec, s[12:13]
	s_nor_b64 s[36:37], s[2:3], s[10:11]
	v_mov_b32_e32 v34, 0x7c00
	v_mov_b32_e32 v35, 0x7c00
	s_and_saveexec_b64 s[12:13], s[36:37]
	s_cbranch_execz .LBB211_22
; %bb.21:
	v_lshl_add_u64 v[10:11], v[28:29], 1, v[0:1]
	flat_load_ushort v35, v[10:11] offset:128
.LBB211_22:
	s_or_b64 exec, exec, s[12:13]
	s_nor_b64 s[36:37], s[4:5], s[10:11]
	s_and_saveexec_b64 s[12:13], s[36:37]
	s_cbranch_execz .LBB211_24
; %bb.23:
	v_lshl_add_u64 v[10:11], v[28:29], 1, v[0:1]
	flat_load_ushort v34, v[10:11] offset:256
.LBB211_24:
	s_or_b64 exec, exec, s[12:13]
	s_nor_b64 s[12:13], s[6:7], s[10:11]
	v_mov_b32_e32 v31, 0x7c00
	v_mov_b32_e32 v36, 0x7c00
	s_and_saveexec_b64 s[10:11], s[12:13]
	s_cbranch_execz .LBB211_26
; %bb.25:
	v_lshl_add_u64 v[0:1], v[28:29], 1, v[0:1]
	flat_load_ushort v36, v[0:1] offset:384
.LBB211_26:
	s_or_b64 exec, exec, s[10:11]
	v_or_b32_e32 v0, 4, v47
	v_cmp_gt_i32_e64 s[10:11], s22, v0
	s_xor_b64 s[12:13], s[8:9], -1
	s_and_b64 s[10:11], s[10:11], s[12:13]
	s_and_saveexec_b64 s[8:9], s[10:11]
	s_cbranch_execz .LBB211_28
; %bb.27:
	s_waitcnt lgkmcnt(0)
	v_mad_i64_i32 v[0:1], s[10:11], v32, s34, 0
	v_lshl_add_u64 v[0:1], v[0:1], 1, s[18:19]
	v_mov_b32_e32 v31, 0
	v_lshl_add_u64 v[0:1], v[0:1], 0, v[30:31]
	flat_load_ushort v31, v[0:1] offset:8
.LBB211_28:
	s_or_b64 exec, exec, s[8:9]
	v_lshlrev_b32_e32 v0, 3, v2
	v_lshlrev_b32_e32 v44, 3, v43
	v_lshl_add_u32 v48, v45, 1, v0
	v_lshl_or_b32 v37, v7, 3, v30
	v_lshlrev_b32_e32 v46, 3, v42
	v_add_u32_e32 v49, 0x1000, v44
	s_load_dwordx2 s[10:11], s[28:29], 0x0
	s_waitcnt vmcnt(0) lgkmcnt(0)
	ds_write_b16 v48, v4
	ds_write_b16 v48, v3 offset:512
	ds_write_b16 v48, v6 offset:1024
	ds_write_b16 v48, v5 offset:1536
	ds_write_b16 v37, v8 offset:4096
	s_waitcnt lgkmcnt(0)
	s_barrier
	ds_read2_b64 v[16:19], v46 offset1:32
	ds_read2_b64 v[12:15], v46 offset0:64 offset1:96
	ds_read2_b64 v[4:7], v46 offset0:128 offset1:160
	ds_read2_b64 v[38:41], v49 offset1:8
	ds_read2_b64 v[0:3], v46 offset0:192 offset1:224
	ds_read2_b64 v[24:27], v49 offset0:16 offset1:24
	;; [unrolled: 1-line block ×4, first 2 shown]
	s_movk_i32 s8, 0x7c00
	s_waitcnt lgkmcnt(4)
	v_pk_add_f16 v50, v16, v38
	v_pk_add_f16 v51, v18, v38
	;; [unrolled: 1-line block ×6, first 2 shown]
	s_waitcnt lgkmcnt(3)
	v_pk_add_f16 v56, v0, v38
	v_pk_add_f16 v38, v2, v38
	v_pk_add_f16 v57, v16, v40
	v_pk_add_f16 v58, v18, v40
	v_pk_add_f16 v59, v12, v40
	v_pk_add_f16 v60, v14, v40
	v_pk_add_f16 v61, v4, v40
	v_pk_add_f16 v62, v6, v40
	v_pk_add_f16 v63, v0, v40
	v_pk_add_f16 v40, v2, v40
	s_waitcnt lgkmcnt(2)
	v_pk_add_f16 v64, v16, v24
	v_pk_add_f16 v65, v18, v24
	v_pk_add_f16 v66, v12, v24
	v_pk_add_f16 v67, v14, v24
	v_pk_add_f16 v68, v4, v24
	v_pk_add_f16 v69, v6, v24
	v_pk_add_f16 v70, v0, v24
	v_pk_add_f16 v24, v2, v24
	v_pk_add_f16 v71, v16, v26
	v_pk_add_f16 v72, v18, v26
	v_pk_add_f16 v73, v12, v26
	v_pk_add_f16 v74, v14, v26
	v_pk_add_f16 v75, v4, v26
	v_pk_add_f16 v76, v6, v26
	v_pk_add_f16 v77, v0, v26
	v_pk_add_f16 v26, v2, v26
	s_waitcnt lgkmcnt(1)
	v_pk_add_f16 v78, v16, v20
	v_pk_add_f16 v79, v18, v20
	v_pk_add_f16 v80, v12, v20
	v_pk_add_f16 v102, v14, v20
	v_pk_add_f16 v117, v4, v20
	v_pk_add_f16 v118, v6, v20
	;; [unrolled: 17-line block ×3, first 2 shown]
	v_pk_add_f16 v133, v0, v8
	v_pk_add_f16 v8, v2, v8
	v_pk_add_f16 v16, v16, v10
	v_pk_add_f16 v18, v18, v10
	v_pk_add_f16 v12, v12, v10
	v_pk_add_f16 v14, v14, v10
	v_pk_add_f16 v4, v4, v10
	v_pk_add_f16 v6, v6, v10
	v_pk_add_f16 v134, v0, v10
	v_pk_add_f16 v0, v2, v10
	v_pk_add_f16 v2, v17, v39
	v_pk_min_f16 v10, v50, s8 op_sel_hi:[1,0]
	v_pk_min_f16 v8, v8, s8 op_sel_hi:[1,0]
	v_pk_min_f16 v116, v10, v2
	v_pk_add_f16 v2, v19, v39
	v_pk_min_f16 v10, v51, s8 op_sel_hi:[1,0]
	v_pk_min_f16 v4, v4, s8 op_sel_hi:[1,0]
	v_pk_min_f16 v115, v10, v2
	v_pk_add_f16 v2, v13, v39
	;; [unrolled: 4-line block ×3, first 2 shown]
	v_pk_min_f16 v10, v53, s8 op_sel_hi:[1,0]
	s_cmp_lt_i32 s22, 9
	v_pk_min_f16 v113, v10, v2
	v_pk_add_f16 v2, v5, v39
	v_pk_min_f16 v10, v54, s8 op_sel_hi:[1,0]
	ds_write_b16 v48, v33 offset:2048
	ds_write_b16 v48, v35 offset:2560
	;; [unrolled: 1-line block ×5, first 2 shown]
	v_pk_min_f16 v112, v10, v2
	v_pk_add_f16 v2, v7, v39
	v_pk_min_f16 v10, v55, s8 op_sel_hi:[1,0]
	s_waitcnt lgkmcnt(0)
	v_pk_min_f16 v111, v10, v2
	v_pk_add_f16 v2, v1, v39
	v_pk_min_f16 v10, v56, s8 op_sel_hi:[1,0]
	s_barrier
	v_pk_min_f16 v110, v10, v2
	v_pk_add_f16 v2, v3, v39
	v_pk_min_f16 v10, v38, s8 op_sel_hi:[1,0]
	s_nop 0
	v_pk_min_f16 v109, v10, v2
	v_pk_add_f16 v2, v17, v41
	v_pk_min_f16 v10, v57, s8 op_sel_hi:[1,0]
	s_nop 0
	;; [unrolled: 4-line block ×47, first 2 shown]
	v_pk_min_f16 v62, v10, v2
	v_pk_add_f16 v2, v1, v9
	v_pk_min_f16 v10, v133, s8 op_sel_hi:[1,0]
	v_pk_add_f16 v1, v1, v11
	v_pk_min_f16 v61, v10, v2
	v_pk_add_f16 v2, v3, v9
	s_nop 0
	v_pk_min_f16 v60, v8, v2
	v_pk_add_f16 v2, v17, v11
	v_pk_min_f16 v8, v16, s8 op_sel_hi:[1,0]
	s_nop 0
	v_pk_min_f16 v59, v8, v2
	v_pk_add_f16 v2, v19, v11
	v_pk_min_f16 v8, v18, s8 op_sel_hi:[1,0]
	;; [unrolled: 4-line block ×4, first 2 shown]
	s_nop 0
	v_pk_min_f16 v56, v8, v2
	v_pk_add_f16 v2, v5, v11
	s_nop 0
	v_pk_min_f16 v54, v4, v2
	v_pk_add_f16 v2, v7, v11
	v_pk_min_f16 v4, v6, s8 op_sel_hi:[1,0]
	s_nop 0
	v_pk_min_f16 v53, v4, v2
	v_pk_min_f16 v2, v134, s8 op_sel_hi:[1,0]
	s_nop 0
	v_pk_min_f16 v52, v2, v1
	v_pk_add_f16 v1, v3, v11
	s_nop 0
	v_pk_min_f16 v55, v0, v1
	s_cbranch_scc1 .LBB211_51
; %bb.29:
	v_mov_b32_e32 v0, 0x800
	v_lshl_add_u32 v117, v42, 3, v0
	v_mov_b32_e32 v0, 0x1200
	v_lshl_add_u32 v118, v43, 3, v0
	v_mad_i64_i32 v[0:1], s[8:9], s34, v32, 0
	v_mov_b32_e32 v31, 0
	v_lshl_add_u64 v[0:1], v[0:1], 1, v[30:31]
	v_lshl_add_u64 v[0:1], s[18:19], 0, v[0:1]
	;; [unrolled: 1-line block ×3, first 2 shown]
	v_add_u32_e32 v0, 8, v45
	v_mad_i64_i32 v[0:1], s[8:9], v0, s26, 0
	v_lshlrev_b64 v[34:35], 1, v[0:1]
	v_add_u32_e32 v0, 12, v45
	v_mad_i64_i32 v[0:1], s[8:9], v0, s26, 0
	v_add_u32_e32 v50, 0x1000, v37
	v_add_u32_e32 v51, 0x800, v48
	;; [unrolled: 1-line block ×3, first 2 shown]
	s_add_i32 s23, s22, -8
	v_lshl_add_u64 v[36:37], v[28:29], 1, s[16:17]
	s_lshl_b64 s[16:17], s[26:27], 4
	v_lshlrev_b64 v[38:39], 1, v[0:1]
	s_mov_b32 s26, 0
	s_branch .LBB211_31
.LBB211_30:                             ;   in Loop: Header=BB211_31 Depth=1
	s_or_b64 exec, exec, s[8:9]
	v_pk_add_f16 v40, v16, v28
	v_pk_max_f16 v41, v116, v116
	v_pk_max_f16 v115, v115, v115
	v_pk_min_f16 v40, v41, v40
	v_pk_add_f16 v41, v18, v28
	v_pk_max_f16 v114, v114, v114
	v_pk_min_f16 v41, v115, v41
	v_pk_add_f16 v115, v12, v28
	v_pk_max_f16 v113, v113, v113
	v_pk_min_f16 v114, v114, v115
	v_pk_add_f16 v115, v14, v28
	v_pk_max_f16 v112, v112, v112
	v_pk_min_f16 v113, v113, v115
	v_pk_add_f16 v115, v4, v28
	v_pk_max_f16 v111, v111, v111
	v_pk_min_f16 v112, v112, v115
	v_pk_add_f16 v115, v6, v28
	v_pk_max_f16 v109, v109, v109
	v_pk_min_f16 v111, v111, v115
	v_pk_add_f16 v115, v0, v28
	v_pk_add_f16 v28, v2, v28
	v_pk_max_f16 v108, v108, v108
	v_pk_min_f16 v28, v109, v28
	v_pk_add_f16 v109, v16, v30
	v_pk_max_f16 v107, v107, v107
	v_pk_min_f16 v108, v108, v109
	v_pk_add_f16 v109, v18, v30
	v_pk_max_f16 v106, v106, v106
	v_pk_min_f16 v107, v107, v109
	v_pk_add_f16 v109, v12, v30
	v_pk_max_f16 v104, v104, v104
	v_pk_min_f16 v106, v106, v109
	v_pk_add_f16 v109, v14, v30
	v_pk_max_f16 v101, v101, v101
	v_pk_min_f16 v104, v104, v109
	v_pk_add_f16 v109, v4, v30
	v_pk_max_f16 v99, v99, v99
	v_pk_min_f16 v101, v101, v109
	v_pk_add_f16 v109, v6, v30
	v_pk_max_f16 v95, v95, v95
	v_pk_min_f16 v99, v99, v109
	v_pk_add_f16 v109, v0, v30
	v_pk_add_f16 v30, v2, v30
	v_pk_max_f16 v93, v93, v93
	v_pk_min_f16 v30, v95, v30
	v_pk_add_f16 v95, v16, v24
	;; [unrolled: 22-line block ×4, first 2 shown]
	v_pk_max_f16 v82, v82, v82
	v_pk_min_f16 v83, v83, v84
	v_pk_add_f16 v84, v18, v20
	v_pk_max_f16 v81, v81, v81
	v_pk_min_f16 v82, v82, v84
	v_pk_add_f16 v84, v12, v20
	;; [unrolled: 3-line block ×3, first 2 shown]
	v_pk_max_f16 v80, v80, v80
	v_pk_max_f16 v100, v100, v100
	v_pk_min_f16 v85, v85, v98
	v_pk_min_f16 v98, v80, v81
	v_pk_add_f16 v80, v4, v20
	v_pk_max_f16 v79, v79, v79
	v_pk_max_f16 v97, v97, v97
	v_pk_min_f16 v100, v100, v105
	v_pk_min_f16 v105, v79, v80
	v_pk_add_f16 v79, v6, v20
	v_pk_max_f16 v78, v78, v78
	v_pk_min_f16 v97, v97, v109
	v_pk_min_f16 v109, v78, v79
	v_pk_add_f16 v78, v0, v20
	v_pk_add_f16 v20, v2, v20
	v_pk_max_f16 v76, v76, v76
	v_pk_max_f16 v75, v75, v75
	v_pk_min_f16 v20, v76, v20
	v_pk_add_f16 v76, v16, v22
	v_pk_max_f16 v74, v74, v74
	v_pk_min_f16 v116, v75, v76
	v_pk_add_f16 v75, v18, v22
	;; [unrolled: 3-line block ×7, first 2 shown]
	v_pk_add_f16 v22, v2, v22
	v_pk_min_f16 v129, v68, v70
	v_pk_max_f16 v68, v69, v69
	v_pk_max_f16 v67, v67, v67
	v_pk_min_f16 v22, v68, v22
	v_pk_add_f16 v68, v16, v8
	v_pk_max_f16 v66, v66, v66
	v_pk_min_f16 v130, v67, v68
	v_pk_add_f16 v67, v18, v8
	;; [unrolled: 3-line block ×6, first 2 shown]
	v_pk_add_f16 v16, v16, v10
	v_pk_min_f16 v135, v62, v63
	v_pk_add_f16 v62, v0, v8
	v_pk_add_f16 v8, v2, v8
	;; [unrolled: 1-line block ×9, first 2 shown]
	v_pk_max_f16 v10, v55, v55
	v_pk_max_f16 v110, v110, v110
	v_pk_min_f16 v2, v10, v2
	v_pk_add_f16 v10, v17, v29
	v_pk_min_f16 v110, v110, v115
	v_pk_min_f16 v137, v40, v10
	v_pk_add_f16 v10, v19, v29
	v_pk_max_f16 v77, v77, v77
	v_pk_min_f16 v138, v41, v10
	v_pk_add_f16 v10, v13, v29
	v_pk_min_f16 v115, v77, v78
	v_pk_min_f16 v114, v114, v10
	v_pk_add_f16 v10, v15, v29
	;; [unrolled: 6-line block ×11, first 2 shown]
	s_add_i32 s26, s26, 8
	v_pk_min_f16 v81, v103, v10
	v_pk_add_f16 v10, v1, v25
	v_pk_max_f16 v81, v81, v81
	v_pk_min_f16 v80, v100, v10
	v_pk_add_f16 v10, v3, v25
	v_pk_max_f16 v80, v80, v80
	;; [unrolled: 3-line block ×11, first 2 shown]
	v_pk_min_f16 v73, v83, v10
	v_pk_add_f16 v10, v19, v21
	v_lshl_add_u64 v[32:33], v[32:33], 0, 16
	v_pk_min_f16 v71, v82, v10
	v_pk_add_f16 v10, v13, v21
	s_cmp_ge_i32 s26, s23
	v_pk_min_f16 v69, v84, v10
	v_pk_add_f16 v10, v15, v21
	v_lshl_add_u64 v[36:37], v[36:37], 0, s[16:17]
	v_pk_min_f16 v67, v98, v10
	v_pk_add_f16 v10, v5, v21
	v_pk_max_f16 v67, v67, v67
	v_pk_min_f16 v66, v105, v10
	v_pk_add_f16 v10, v7, v21
	v_pk_max_f16 v66, v66, v66
	v_pk_min_f16 v65, v109, v10
	v_pk_add_f16 v10, v1, v21
	v_pk_max_f16 v109, v137, v137
	v_pk_min_f16 v64, v115, v10
	v_pk_add_f16 v10, v3, v21
	v_pk_max_f16 v65, v65, v65
	v_pk_min_f16 v63, v20, v10
	v_pk_add_f16 v10, v17, v23
	v_pk_max_f16 v63, v63, v63
	v_pk_min_f16 v62, v116, v10
	v_pk_add_f16 v10, v19, v23
	v_pk_max_f16 v64, v64, v64
	v_pk_min_f16 v61, v124, v10
	v_pk_add_f16 v10, v13, v23
	s_nop 0
	v_pk_min_f16 v60, v125, v10
	v_pk_add_f16 v10, v15, v23
	s_nop 0
	;; [unrolled: 3-line block ×10, first 2 shown]
	v_pk_min_f16 v28, v133, v10
	v_pk_add_f16 v10, v5, v9
	v_pk_add_f16 v5, v5, v11
	v_pk_min_f16 v27, v134, v10
	v_pk_add_f16 v10, v7, v9
	v_pk_min_f16 v124, v4, v5
	v_pk_min_f16 v26, v135, v10
	v_pk_add_f16 v10, v1, v9
	v_pk_add_f16 v9, v3, v9
	;; [unrolled: 1-line block ×3, first 2 shown]
	v_pk_min_f16 v24, v8, v9
	v_pk_add_f16 v8, v17, v11
	v_pk_add_f16 v4, v7, v11
	v_pk_min_f16 v40, v16, v8
	v_pk_add_f16 v8, v19, v11
	v_pk_min_f16 v126, v0, v1
	v_pk_min_f16 v31, v18, v8
	v_pk_add_f16 v8, v13, v11
	v_pk_add_f16 v0, v3, v11
	v_pk_min_f16 v54, v12, v8
	v_pk_add_f16 v8, v15, v11
	v_pk_min_f16 v25, v136, v10
	v_pk_min_f16 v53, v14, v8
	;; [unrolled: 1-line block ×4, first 2 shown]
	ds_read2_b64 v[12:15], v46 offset1:32
	ds_read2_b64 v[4:7], v46 offset0:64 offset1:96
	ds_read2_b64 v[82:85], v49 offset1:8
	ds_read2_b64 v[8:11], v46 offset0:128 offset1:160
	ds_read2_b64 v[0:3], v46 offset0:192 offset1:224
	;; [unrolled: 1-line block ×4, first 2 shown]
	s_waitcnt lgkmcnt(0)
	v_pk_add_f16 v86, v12, v82
	v_pk_add_f16 v88, v14, v82
	v_pk_min_f16 v86, v109, v86
	v_pk_add_f16 v109, v13, v83
	v_pk_add_f16 v90, v4, v82
	v_pk_min_f16 v116, v86, v109
	v_pk_max_f16 v109, v138, v138
	v_pk_add_f16 v92, v6, v82
	v_pk_min_f16 v88, v109, v88
	v_pk_add_f16 v109, v15, v83
	v_pk_add_f16 v94, v8, v82
	v_pk_min_f16 v115, v88, v109
	v_pk_max_f16 v109, v114, v114
	;; [unrolled: 6-line block ×4, first 2 shown]
	v_pk_add_f16 v86, v6, v20
	v_pk_min_f16 v94, v109, v94
	v_pk_add_f16 v109, v9, v83
	v_pk_add_f16 v88, v8, v20
	v_pk_add_f16 v90, v10, v20
	v_pk_add_f16 v92, v0, v20
	v_pk_min_f16 v112, v94, v109
	v_pk_add_f16 v94, v2, v20
	v_pk_max_f16 v20, v111, v111
	v_pk_add_f16 v96, v0, v82
	v_pk_min_f16 v20, v20, v95
	v_pk_add_f16 v95, v11, v83
	v_pk_add_f16 v82, v2, v82
	v_pk_min_f16 v111, v20, v95
	v_pk_max_f16 v20, v110, v110
	v_pk_add_f16 v95, v1, v83
	v_pk_min_f16 v20, v20, v96
	v_pk_add_f16 v98, v12, v84
	v_pk_min_f16 v110, v20, v95
	v_pk_max_f16 v20, v139, v139
	v_pk_add_f16 v100, v14, v84
	v_pk_min_f16 v20, v20, v82
	v_pk_add_f16 v82, v3, v83
	v_pk_add_f16 v83, v13, v85
	v_pk_min_f16 v109, v20, v82
	v_pk_max_f16 v20, v108, v108
	v_pk_add_f16 v95, v15, v85
	v_pk_min_f16 v20, v20, v98
	v_pk_add_f16 v103, v4, v84
	v_pk_min_f16 v108, v20, v83
	v_pk_max_f16 v20, v107, v107
	v_pk_add_f16 v105, v6, v84
	v_pk_min_f16 v20, v20, v100
	;; [unrolled: 5-line block ×5, first 2 shown]
	v_pk_add_f16 v134, v14, v22
	v_pk_min_f16 v101, v20, v95
	v_pk_max_f16 v20, v99, v99
	v_pk_add_f16 v82, v4, v22
	v_pk_add_f16 v83, v6, v22
	;; [unrolled: 1-line block ×6, first 2 shown]
	v_pk_min_f16 v20, v20, v128
	v_pk_add_f16 v22, v11, v85
	v_pk_add_f16 v129, v0, v84
	v_pk_min_f16 v99, v20, v22
	v_pk_max_f16 v22, v97, v97
	v_pk_add_f16 v20, v1, v85
	v_pk_min_f16 v22, v22, v129
	v_pk_add_f16 v84, v2, v84
	v_pk_min_f16 v97, v22, v20
	v_pk_max_f16 v22, v140, v140
	v_pk_add_f16 v20, v3, v85
	v_pk_min_f16 v22, v22, v84
	;; [unrolled: 5-line block ×4, first 2 shown]
	v_pk_min_f16 v68, v68, v127
	v_pk_min_f16 v91, v22, v20
	v_pk_max_f16 v22, v89, v89
	v_pk_add_f16 v20, v5, v21
	v_pk_min_f16 v22, v22, v132
	v_pk_add_f16 v139, v1, v23
	v_pk_min_f16 v89, v22, v20
	v_pk_max_f16 v22, v87, v87
	v_pk_add_f16 v20, v7, v21
	v_pk_min_f16 v22, v22, v86
	v_pk_min_f16 v70, v70, v137
	;; [unrolled: 1-line block ×3, first 2 shown]
	v_pk_max_f16 v20, v141, v141
	v_pk_add_f16 v141, v12, v16
	v_pk_min_f16 v85, v20, v88
	v_pk_add_f16 v142, v14, v16
	v_pk_min_f16 v105, v85, v84
	v_pk_min_f16 v84, v68, v140
	v_pk_max_f16 v68, v73, v73
	v_pk_min_f16 v85, v70, v139
	v_pk_min_f16 v68, v68, v141
	v_pk_add_f16 v70, v13, v17
	v_pk_min_f16 v75, v75, v83
	v_pk_min_f16 v83, v68, v70
	v_pk_max_f16 v68, v71, v71
	v_pk_add_f16 v86, v11, v21
	v_pk_min_f16 v81, v81, v90
	v_pk_min_f16 v68, v68, v142
	v_pk_add_f16 v70, v15, v17
	v_pk_min_f16 v103, v81, v86
	v_pk_add_f16 v81, v4, v16
	v_pk_min_f16 v76, v76, v82
	v_pk_min_f16 v82, v68, v70
	v_pk_max_f16 v68, v69, v69
	v_pk_add_f16 v143, v6, v16
	v_pk_min_f16 v68, v68, v81
	v_pk_add_f16 v69, v5, v17
	v_pk_add_f16 v88, v1, v21
	v_pk_min_f16 v80, v80, v92
	v_pk_add_f16 v144, v8, v16
	v_pk_min_f16 v81, v68, v69
	v_pk_min_f16 v67, v67, v143
	v_pk_add_f16 v68, v7, v17
	v_pk_add_f16 v96, v3, v21
	v_pk_min_f16 v100, v80, v88
	v_pk_min_f16 v79, v79, v94
	v_pk_add_f16 v145, v10, v16
	v_pk_min_f16 v80, v67, v68
	v_pk_min_f16 v66, v66, v144
	v_pk_add_f16 v67, v9, v17
	v_pk_add_f16 v128, v13, v23
	v_pk_min_f16 v98, v79, v96
	v_pk_add_f16 v146, v0, v16
	v_pk_min_f16 v78, v78, v133
	;; [unrolled: 2-line block ×3, first 2 shown]
	v_pk_min_f16 v65, v65, v145
	v_pk_add_f16 v66, v11, v17
	v_pk_add_f16 v130, v5, v23
	v_pk_min_f16 v96, v78, v128
	v_pk_min_f16 v78, v65, v66
	v_pk_add_f16 v65, v1, v17
	v_pk_min_f16 v16, v63, v16
	v_pk_add_f16 v17, v3, v17
	v_pk_add_f16 v128, v12, v18
	v_pk_min_f16 v92, v76, v130
	v_pk_min_f16 v76, v16, v17
	v_pk_max_f16 v16, v62, v62
	v_pk_add_f16 v131, v7, v23
	v_pk_min_f16 v16, v16, v128
	v_pk_add_f16 v17, v13, v19
	v_pk_add_f16 v133, v14, v18
	v_pk_min_f16 v90, v75, v131
	v_pk_min_f16 v75, v16, v17
	v_pk_max_f16 v16, v61, v61
	v_pk_add_f16 v129, v15, v23
	v_pk_add_f16 v132, v9, v23
	v_pk_min_f16 v77, v77, v134
	v_pk_min_f16 v74, v74, v135
	;; [unrolled: 1-line block ×3, first 2 shown]
	v_pk_add_f16 v17, v15, v19
	v_pk_min_f16 v94, v77, v129
	v_pk_add_f16 v129, v4, v18
	v_pk_min_f16 v88, v74, v132
	v_pk_min_f16 v74, v16, v17
	v_pk_max_f16 v17, v60, v60
	v_pk_add_f16 v16, v5, v19
	v_pk_min_f16 v17, v17, v129
	v_pk_add_f16 v134, v6, v18
	v_pk_min_f16 v73, v17, v16
	v_pk_max_f16 v17, v59, v59
	v_pk_add_f16 v138, v11, v23
	v_pk_min_f16 v72, v72, v136
	v_pk_add_f16 v16, v7, v19
	v_pk_min_f16 v17, v17, v134
	v_pk_add_f16 v130, v8, v18
	v_pk_min_f16 v86, v72, v138
	v_pk_min_f16 v72, v17, v16
	v_pk_max_f16 v17, v58, v58
	v_pk_add_f16 v16, v9, v19
	v_pk_min_f16 v17, v17, v130
	v_pk_add_f16 v147, v10, v18
	v_pk_min_f16 v71, v17, v16
	v_pk_max_f16 v17, v57, v57
	ds_read2_b64 v[20:23], v49 offset0:48 offset1:56
	v_pk_add_f16 v16, v11, v19
	v_pk_min_f16 v17, v17, v147
	v_pk_add_f16 v131, v0, v18
	v_pk_min_f16 v70, v17, v16
	v_pk_max_f16 v17, v56, v56
	v_pk_add_f16 v16, v1, v19
	v_pk_min_f16 v17, v17, v131
	v_pk_add_f16 v18, v2, v18
	v_pk_min_f16 v68, v17, v16
	v_pk_max_f16 v17, v29, v29
	v_pk_add_f16 v16, v3, v19
	v_pk_min_f16 v17, v17, v18
	s_waitcnt lgkmcnt(0)
	v_pk_add_f16 v132, v12, v20
	v_pk_min_f16 v69, v17, v16
	v_pk_max_f16 v17, v52, v52
	v_pk_add_f16 v16, v13, v21
	v_pk_min_f16 v17, v17, v132
	v_pk_add_f16 v135, v14, v20
	v_pk_min_f16 v67, v17, v16
	v_pk_max_f16 v17, v41, v41
	v_pk_add_f16 v16, v15, v21
	v_pk_min_f16 v17, v17, v135
	v_pk_add_f16 v136, v4, v20
	v_pk_min_f16 v66, v17, v16
	v_pk_max_f16 v17, v30, v30
	v_pk_min_f16 v64, v64, v146
	v_pk_add_f16 v16, v5, v21
	v_pk_min_f16 v17, v17, v136
	v_pk_add_f16 v137, v6, v20
	v_pk_min_f16 v77, v64, v65
	v_pk_min_f16 v65, v17, v16
	v_pk_max_f16 v17, v28, v28
	v_pk_add_f16 v16, v7, v21
	v_pk_min_f16 v17, v17, v137
	v_pk_add_f16 v138, v8, v20
	v_pk_min_f16 v64, v17, v16
	v_pk_max_f16 v17, v27, v27
	v_pk_add_f16 v16, v9, v21
	v_pk_min_f16 v17, v17, v138
	v_pk_add_f16 v127, v10, v20
	;; [unrolled: 5-line block ×12, first 2 shown]
	v_pk_min_f16 v52, v0, v1
	v_pk_max_f16 v1, v125, v125
	v_pk_add_f16 v0, v3, v23
	v_pk_min_f16 v1, v1, v2
	s_waitcnt vmcnt(0)
	ds_write_b16 v51, v119
	ds_write_b16 v51, v121 offset:512
	ds_write_b16 v51, v120 offset:1024
	;; [unrolled: 1-line block ×3, first 2 shown]
	ds_write_b16 v102, v122
	v_pk_min_f16 v55, v1, v0
	s_waitcnt lgkmcnt(0)
	s_barrier
	s_cbranch_scc1 .LBB211_51
.LBB211_31:                             ; =>This Inner Loop Header: Depth=1
	v_add_u32_e32 v40, s26, v45
	v_add_u32_e32 v0, 8, v40
	v_cmp_le_i32_e64 s[8:9], s22, v0
	s_nor_b64 s[28:29], vcc, s[8:9]
	v_mov_b32_e32 v41, 0x7c00
	v_lshl_add_u64 v[0:1], v[36:37], 0, v[34:35]
	v_mov_b32_e32 v120, 0x7c00
	s_and_saveexec_b64 s[18:19], s[28:29]
	s_cbranch_execz .LBB211_33
; %bb.32:                               ;   in Loop: Header=BB211_31 Depth=1
	flat_load_ushort v120, v[0:1]
.LBB211_33:                             ;   in Loop: Header=BB211_31 Depth=1
	s_or_b64 exec, exec, s[18:19]
	s_nor_b64 s[28:29], s[2:3], s[8:9]
	s_and_saveexec_b64 s[18:19], s[28:29]
	s_cbranch_execz .LBB211_35
; %bb.34:                               ;   in Loop: Header=BB211_31 Depth=1
	flat_load_ushort v41, v[0:1] offset:128
.LBB211_35:                             ;   in Loop: Header=BB211_31 Depth=1
	s_or_b64 exec, exec, s[18:19]
	s_nor_b64 s[28:29], s[4:5], s[8:9]
	v_mov_b32_e32 v121, 0x7c00
	v_mov_b32_e32 v122, 0x7c00
	s_and_saveexec_b64 s[18:19], s[28:29]
	s_cbranch_execz .LBB211_37
; %bb.36:                               ;   in Loop: Header=BB211_31 Depth=1
	flat_load_ushort v122, v[0:1] offset:256
.LBB211_37:                             ;   in Loop: Header=BB211_31 Depth=1
	s_or_b64 exec, exec, s[18:19]
	s_nor_b64 s[18:19], s[6:7], s[8:9]
	s_and_saveexec_b64 s[8:9], s[18:19]
	s_cbranch_execz .LBB211_39
; %bb.38:                               ;   in Loop: Header=BB211_31 Depth=1
	flat_load_ushort v121, v[0:1] offset:384
.LBB211_39:                             ;   in Loop: Header=BB211_31 Depth=1
	s_or_b64 exec, exec, s[8:9]
	v_add_u32_e32 v124, s26, v47
	v_add_u32_e32 v0, 8, v124
	v_cmp_gt_i32_e64 s[8:9], s22, v0
	s_and_b64 s[8:9], s[8:9], s[12:13]
	v_mov_b32_e32 v119, 0x7c00
	v_mov_b32_e32 v123, 0x7c00
	s_and_saveexec_b64 s[18:19], s[8:9]
	s_cbranch_execz .LBB211_41
; %bb.40:                               ;   in Loop: Header=BB211_31 Depth=1
	v_add_co_u32_e64 v0, s[8:9], -8, v32
	s_nop 1
	v_addc_co_u32_e64 v1, s[8:9], -1, v33, s[8:9]
	flat_load_ushort v123, v[0:1]
.LBB211_41:                             ;   in Loop: Header=BB211_31 Depth=1
	s_or_b64 exec, exec, s[18:19]
	ds_read2_b64 v[16:19], v117 offset1:32
	ds_read2_b64 v[12:15], v117 offset0:64 offset1:96
	ds_read2_b64 v[4:7], v117 offset0:128 offset1:160
	;; [unrolled: 1-line block ×3, first 2 shown]
	ds_read2_b64 v[28:31], v118 offset1:8
	ds_read2_b64 v[24:27], v118 offset0:16 offset1:24
	ds_read2_b64 v[20:23], v118 offset0:32 offset1:40
	ds_read2_b64 v[8:11], v118 offset0:48 offset1:56
	v_add_u32_e32 v40, 12, v40
	v_cmp_le_i32_e64 s[8:9], s22, v40
	s_waitcnt vmcnt(0) lgkmcnt(0)
	ds_write_b16 v48, v120
	ds_write_b16 v48, v41 offset:512
	ds_write_b16 v48, v122 offset:1024
	;; [unrolled: 1-line block ×3, first 2 shown]
	ds_write_b16 v50, v123
	s_nor_b64 s[28:29], vcc, s[8:9]
	v_lshl_add_u64 v[40:41], v[36:37], 0, v[38:39]
	s_waitcnt lgkmcnt(0)
	s_barrier
	s_and_saveexec_b64 s[18:19], s[28:29]
	s_cbranch_execz .LBB211_43
; %bb.42:                               ;   in Loop: Header=BB211_31 Depth=1
	flat_load_ushort v119, v[40:41]
.LBB211_43:                             ;   in Loop: Header=BB211_31 Depth=1
	s_or_b64 exec, exec, s[18:19]
	s_nor_b64 s[28:29], s[2:3], s[8:9]
	v_mov_b32_e32 v120, 0x7c00
	v_mov_b32_e32 v121, 0x7c00
	s_and_saveexec_b64 s[18:19], s[28:29]
	s_cbranch_execz .LBB211_45
; %bb.44:                               ;   in Loop: Header=BB211_31 Depth=1
	flat_load_ushort v121, v[40:41] offset:128
.LBB211_45:                             ;   in Loop: Header=BB211_31 Depth=1
	s_or_b64 exec, exec, s[18:19]
	s_nor_b64 s[28:29], s[4:5], s[8:9]
	s_and_saveexec_b64 s[18:19], s[28:29]
	s_cbranch_execz .LBB211_47
; %bb.46:                               ;   in Loop: Header=BB211_31 Depth=1
	flat_load_ushort v120, v[40:41] offset:256
.LBB211_47:                             ;   in Loop: Header=BB211_31 Depth=1
	s_or_b64 exec, exec, s[18:19]
	s_nor_b64 s[18:19], s[6:7], s[8:9]
	v_mov_b32_e32 v122, 0x7c00
	v_mov_b32_e32 v123, 0x7c00
	s_and_saveexec_b64 s[8:9], s[18:19]
	s_cbranch_execz .LBB211_49
; %bb.48:                               ;   in Loop: Header=BB211_31 Depth=1
	flat_load_ushort v123, v[40:41] offset:384
.LBB211_49:                             ;   in Loop: Header=BB211_31 Depth=1
	s_or_b64 exec, exec, s[8:9]
	v_add_u32_e32 v40, 12, v124
	v_cmp_gt_i32_e64 s[8:9], s22, v40
	s_and_b64 s[18:19], s[8:9], s[12:13]
	s_and_saveexec_b64 s[8:9], s[18:19]
	s_cbranch_execz .LBB211_30
; %bb.50:                               ;   in Loop: Header=BB211_31 Depth=1
	flat_load_ushort v122, v[32:33]
	s_branch .LBB211_30
.LBB211_51:
	s_load_dwordx2 s[2:3], s[0:1], 0x70
	s_load_dword s29, s[0:1], 0x50
	s_load_dword s28, s[0:1], 0x68
	v_add_u32_e32 v0, 0x800, v46
	v_add_u32_e32 v4, 0x1000, v44
	ds_read2_b64 v[16:19], v0 offset1:32
	ds_read2_b64 v[12:15], v0 offset0:64 offset1:96
	ds_read2_b64 v[8:11], v0 offset0:128 offset1:160
	;; [unrolled: 1-line block ×7, first 2 shown]
	s_waitcnt lgkmcnt(0)
	s_lshl_b64 s[0:1], s[2:3], 1
	s_add_u32 s22, s10, s0
	v_add_u32_e32 v102, s33, v43
	s_addc_u32 s23, s11, s1
	v_mad_i64_i32 v[34:35], s[0:1], v102, s29, 0
	v_add_u32_e32 v32, s31, v42
	v_lshl_add_u64 v[50:51], v[34:35], 1, s[24:25]
	v_mad_i64_i32 v[34:35], s[0:1], v102, s28, 0
	v_cmp_gt_i32_e64 s[2:3], s20, v32
	v_cmp_gt_i32_e64 s[18:19], s21, v102
	v_lshl_add_u64 v[48:49], v[34:35], 1, s[22:23]
	v_cndmask_b32_e64 v34, 0, 1, s[14:15]
	v_ashrrev_i32_e32 v33, 31, v32
	s_and_b64 s[6:7], s[2:3], s[18:19]
	v_cmp_ne_u32_e64 s[0:1], 1, v34
	s_and_saveexec_b64 s[4:5], s[6:7]
	s_cbranch_execz .LBB211_56
; %bb.52:
	s_and_b64 vcc, exec, s[0:1]
	s_cbranch_vccnz .LBB211_54
; %bb.53:
	v_lshl_add_u64 v[34:35], v[32:33], 1, v[50:51]
	flat_load_ushort v34, v[34:35]
	s_waitcnt vmcnt(0) lgkmcnt(0)
	v_mul_f16_e32 v34, s30, v34
	v_cvt_f32_f16_e32 v34, v34
	s_branch .LBB211_55
.LBB211_54:
	v_mov_b32_e32 v34, 0
.LBB211_55:
	v_pk_add_f16 v35, v16, v28
	v_max_f16_e32 v36, v116, v116
	v_pk_add_f16 v38, v17, v29
	v_min_f16_e32 v36, v36, v35
	v_lshrrev_b32_e32 v37, 16, v116
	v_lshrrev_b32_e32 v35, 16, v35
	v_lshrrev_b32_e32 v39, 16, v38
	v_min3_f16 v35, v37, v35, v39
	v_min3_f16 v35, v36, v38, v35
	v_cvt_f32_f16_e32 v35, v35
	v_max_f32_e32 v34, v34, v34
	v_min_f32_e32 v34, v34, v35
	v_cvt_f16_f32_e32 v36, v34
	v_lshl_add_u64 v[34:35], v[32:33], 1, v[48:49]
	flat_store_short v[34:35], v36
.LBB211_56:
	s_or_b64 exec, exec, s[4:5]
	v_add_u32_e32 v34, 32, v32
	v_cmp_gt_i32_e64 s[4:5], s20, v34
	v_ashrrev_i32_e32 v35, 31, v34
	s_and_b64 s[8:9], s[4:5], s[18:19]
	s_and_saveexec_b64 s[6:7], s[8:9]
	s_cbranch_execz .LBB211_61
; %bb.57:
	s_and_b64 vcc, exec, s[0:1]
	s_cbranch_vccnz .LBB211_59
; %bb.58:
	v_lshl_add_u64 v[36:37], v[34:35], 1, v[50:51]
	flat_load_ushort v36, v[36:37]
	s_waitcnt vmcnt(0) lgkmcnt(0)
	v_mul_f16_e32 v36, s30, v36
	v_cvt_f32_f16_e32 v36, v36
	s_branch .LBB211_60
.LBB211_59:
	v_mov_b32_e32 v36, 0
.LBB211_60:
	v_pk_add_f16 v37, v18, v28
	v_max_f16_e32 v38, v115, v115
	v_pk_add_f16 v40, v19, v29
	v_min_f16_e32 v38, v38, v37
	v_lshrrev_b32_e32 v39, 16, v115
	v_lshrrev_b32_e32 v37, 16, v37
	v_lshrrev_b32_e32 v41, 16, v40
	v_min3_f16 v37, v39, v37, v41
	v_min3_f16 v37, v38, v40, v37
	v_cvt_f32_f16_e32 v37, v37
	v_max_f32_e32 v36, v36, v36
	v_min_f32_e32 v36, v36, v37
	v_cvt_f16_f32_e32 v38, v36
	v_lshl_add_u64 v[36:37], v[34:35], 1, v[48:49]
	flat_store_short v[36:37], v38
.LBB211_61:
	s_or_b64 exec, exec, s[6:7]
	v_add_u32_e32 v36, 64, v32
	v_cmp_gt_i32_e64 s[6:7], s20, v36
	v_ashrrev_i32_e32 v37, 31, v36
	s_and_b64 s[10:11], s[6:7], s[18:19]
	;; [unrolled: 36-line block ×5, first 2 shown]
	s_and_saveexec_b64 s[14:15], s[16:17]
	s_cbranch_execz .LBB211_81
; %bb.77:
	s_and_b64 vcc, exec, s[0:1]
	s_cbranch_vccnz .LBB211_79
; %bb.78:
	v_lshl_add_u64 v[44:45], v[42:43], 1, v[50:51]
	flat_load_ushort v44, v[44:45]
	s_waitcnt vmcnt(0) lgkmcnt(0)
	v_mul_f16_e32 v44, s30, v44
	v_cvt_f32_f16_e32 v44, v44
	s_branch .LBB211_80
.LBB211_79:
	v_mov_b32_e32 v44, 0
.LBB211_80:
	v_pk_add_f16 v45, v10, v28
	v_max_f16_e32 v46, v111, v111
	v_lshrrev_b32_e32 v47, 16, v111
	v_pk_add_f16 v111, v11, v29
	v_min_f16_e32 v46, v46, v45
	v_lshrrev_b32_e32 v45, 16, v45
	v_lshrrev_b32_e32 v112, 16, v111
	v_min3_f16 v45, v47, v45, v112
	v_min3_f16 v45, v46, v111, v45
	v_cvt_f32_f16_e32 v45, v45
	v_max_f32_e32 v44, v44, v44
	v_min_f32_e32 v44, v44, v45
	v_cvt_f16_f32_e32 v46, v44
	v_lshl_add_u64 v[44:45], v[42:43], 1, v[48:49]
	flat_store_short v[44:45], v46
.LBB211_81:
	s_or_b64 exec, exec, s[14:15]
	v_add_u32_e32 v44, 0xc0, v32
	v_cmp_gt_i32_e64 s[14:15], s20, v44
	v_ashrrev_i32_e32 v45, 31, v44
	s_and_b64 s[26:27], s[14:15], s[18:19]
	s_and_saveexec_b64 s[16:17], s[26:27]
	s_cbranch_execz .LBB211_86
; %bb.82:
	s_and_b64 vcc, exec, s[0:1]
	s_cbranch_vccnz .LBB211_84
; %bb.83:
	v_lshl_add_u64 v[46:47], v[44:45], 1, v[50:51]
	flat_load_ushort v46, v[46:47]
	s_waitcnt vmcnt(0) lgkmcnt(0)
	v_mul_f16_e32 v46, s30, v46
	v_cvt_f32_f16_e32 v46, v46
	s_branch .LBB211_85
.LBB211_84:
	v_mov_b32_e32 v46, 0
.LBB211_85:
	v_pk_add_f16 v47, v0, v28
	v_max_f16_e32 v111, v110, v110
	v_pk_add_f16 v112, v1, v29
	v_min_f16_e32 v111, v111, v47
	v_lshrrev_b32_e32 v110, 16, v110
	v_lshrrev_b32_e32 v47, 16, v47
	;; [unrolled: 1-line block ×3, first 2 shown]
	v_min3_f16 v47, v110, v47, v113
	v_min3_f16 v47, v111, v112, v47
	v_cvt_f32_f16_e32 v47, v47
	v_max_f32_e32 v46, v46, v46
	v_min_f32_e32 v46, v46, v47
	v_cvt_f16_f32_e32 v110, v46
	v_lshl_add_u64 v[46:47], v[44:45], 1, v[48:49]
	flat_store_short v[46:47], v110
.LBB211_86:
	s_or_b64 exec, exec, s[16:17]
	v_add_u32_e32 v46, 0xe0, v32
	v_cmp_gt_i32_e64 s[16:17], s20, v46
	v_ashrrev_i32_e32 v47, 31, v46
	s_and_b64 s[26:27], s[16:17], s[18:19]
	s_and_saveexec_b64 s[18:19], s[26:27]
	s_cbranch_execz .LBB211_91
; %bb.87:
	s_and_b64 vcc, exec, s[0:1]
	s_cbranch_vccnz .LBB211_89
; %bb.88:
	v_lshl_add_u64 v[50:51], v[46:47], 1, v[50:51]
	flat_load_ushort v50, v[50:51]
	s_waitcnt vmcnt(0) lgkmcnt(0)
	v_mul_f16_e32 v50, s30, v50
	v_cvt_f32_f16_e32 v50, v50
	s_branch .LBB211_90
.LBB211_89:
	v_mov_b32_e32 v50, 0
.LBB211_90:
	v_pk_add_f16 v28, v2, v28
	v_max_f16_e32 v51, v109, v109
	v_pk_add_f16 v29, v3, v29
	v_min_f16_e32 v51, v51, v28
	v_lshrrev_b32_e32 v109, 16, v109
	v_lshrrev_b32_e32 v28, 16, v28
	;; [unrolled: 1-line block ×3, first 2 shown]
	v_min3_f16 v28, v109, v28, v110
	v_min3_f16 v28, v51, v29, v28
	v_cvt_f32_f16_e32 v28, v28
	v_max_f32_e32 v29, v50, v50
	v_min_f32_e32 v28, v29, v28
	v_cvt_f16_f32_e32 v50, v28
	v_lshl_add_u64 v[28:29], v[46:47], 1, v[48:49]
	flat_store_short v[28:29], v50
.LBB211_91:
	s_or_b64 exec, exec, s[18:19]
	v_add_u32_e32 v50, 8, v102
	v_mad_i64_i32 v[28:29], s[26:27], v50, s29, 0
	v_cmp_gt_i32_e64 s[18:19], s21, v50
	v_lshl_add_u64 v[48:49], v[28:29], 1, s[24:25]
	v_mad_i64_i32 v[28:29], s[26:27], v50, s28, 0
	v_lshl_add_u64 v[28:29], v[28:29], 1, s[22:23]
	s_and_b64 s[34:35], s[2:3], s[18:19]
	s_and_saveexec_b64 s[26:27], s[34:35]
	s_cbranch_execnz .LBB211_99
; %bb.92:
	s_or_b64 exec, exec, s[26:27]
	s_and_b64 s[34:35], s[4:5], s[18:19]
	s_and_saveexec_b64 s[26:27], s[34:35]
	s_cbranch_execnz .LBB211_103
.LBB211_93:
	s_or_b64 exec, exec, s[26:27]
	s_and_b64 s[34:35], s[6:7], s[18:19]
	s_and_saveexec_b64 s[26:27], s[34:35]
	s_cbranch_execnz .LBB211_107
.LBB211_94:
	s_or_b64 exec, exec, s[26:27]
	s_and_b64 s[34:35], s[8:9], s[18:19]
	s_and_saveexec_b64 s[26:27], s[34:35]
	s_cbranch_execnz .LBB211_111
.LBB211_95:
	s_or_b64 exec, exec, s[26:27]
	s_and_b64 s[34:35], s[10:11], s[18:19]
	s_and_saveexec_b64 s[26:27], s[34:35]
	s_cbranch_execnz .LBB211_115
.LBB211_96:
	s_or_b64 exec, exec, s[26:27]
	s_and_b64 s[34:35], s[12:13], s[18:19]
	s_and_saveexec_b64 s[26:27], s[34:35]
	s_cbranch_execnz .LBB211_119
.LBB211_97:
	s_or_b64 exec, exec, s[26:27]
	s_and_b64 s[34:35], s[14:15], s[18:19]
	s_and_saveexec_b64 s[26:27], s[34:35]
	s_cbranch_execnz .LBB211_123
.LBB211_98:
	s_or_b64 exec, exec, s[26:27]
	s_and_b64 s[26:27], s[16:17], s[18:19]
	s_and_saveexec_b64 s[18:19], s[26:27]
	s_cbranch_execnz .LBB211_127
	s_branch .LBB211_131
.LBB211_99:
	s_and_b64 vcc, exec, s[0:1]
	s_cbranch_vccnz .LBB211_101
; %bb.100:
	v_lshl_add_u64 v[50:51], v[32:33], 1, v[48:49]
	flat_load_ushort v50, v[50:51]
	s_waitcnt vmcnt(0) lgkmcnt(0)
	v_mul_f16_e32 v50, s30, v50
	v_cvt_f32_f16_e32 v50, v50
	s_branch .LBB211_102
.LBB211_101:
	v_mov_b32_e32 v50, 0
.LBB211_102:
	v_pk_add_f16 v51, v16, v30
	v_max_f16_e32 v109, v108, v108
	v_pk_add_f16 v110, v17, v31
	v_min_f16_e32 v109, v109, v51
	v_lshrrev_b32_e32 v108, 16, v108
	v_lshrrev_b32_e32 v51, 16, v51
	;; [unrolled: 1-line block ×3, first 2 shown]
	v_min3_f16 v51, v108, v51, v111
	v_min3_f16 v51, v109, v110, v51
	v_cvt_f32_f16_e32 v51, v51
	v_max_f32_e32 v50, v50, v50
	v_min_f32_e32 v50, v50, v51
	v_cvt_f16_f32_e32 v108, v50
	v_lshl_add_u64 v[50:51], v[32:33], 1, v[28:29]
	flat_store_short v[50:51], v108
	s_or_b64 exec, exec, s[26:27]
	s_and_b64 s[34:35], s[4:5], s[18:19]
	s_and_saveexec_b64 s[26:27], s[34:35]
	s_cbranch_execz .LBB211_93
.LBB211_103:
	s_and_b64 vcc, exec, s[0:1]
	s_cbranch_vccnz .LBB211_105
; %bb.104:
	v_lshl_add_u64 v[50:51], v[34:35], 1, v[48:49]
	flat_load_ushort v50, v[50:51]
	s_waitcnt vmcnt(0) lgkmcnt(0)
	v_mul_f16_e32 v50, s30, v50
	v_cvt_f32_f16_e32 v50, v50
	s_branch .LBB211_106
.LBB211_105:
	v_mov_b32_e32 v50, 0
.LBB211_106:
	v_pk_add_f16 v51, v18, v30
	v_max_f16_e32 v108, v107, v107
	v_pk_add_f16 v109, v19, v31
	v_min_f16_e32 v108, v108, v51
	v_lshrrev_b32_e32 v107, 16, v107
	v_lshrrev_b32_e32 v51, 16, v51
	;; [unrolled: 1-line block ×3, first 2 shown]
	v_min3_f16 v51, v107, v51, v110
	v_min3_f16 v51, v108, v109, v51
	v_cvt_f32_f16_e32 v51, v51
	v_max_f32_e32 v50, v50, v50
	v_min_f32_e32 v50, v50, v51
	v_cvt_f16_f32_e32 v107, v50
	v_lshl_add_u64 v[50:51], v[34:35], 1, v[28:29]
	flat_store_short v[50:51], v107
	s_or_b64 exec, exec, s[26:27]
	s_and_b64 s[34:35], s[6:7], s[18:19]
	s_and_saveexec_b64 s[26:27], s[34:35]
	s_cbranch_execz .LBB211_94
.LBB211_107:
	s_and_b64 vcc, exec, s[0:1]
	s_cbranch_vccnz .LBB211_109
; %bb.108:
	v_lshl_add_u64 v[50:51], v[36:37], 1, v[48:49]
	flat_load_ushort v50, v[50:51]
	s_waitcnt vmcnt(0) lgkmcnt(0)
	v_mul_f16_e32 v50, s30, v50
	v_cvt_f32_f16_e32 v50, v50
	s_branch .LBB211_110
.LBB211_109:
	v_mov_b32_e32 v50, 0
.LBB211_110:
	v_pk_add_f16 v51, v12, v30
	v_max_f16_e32 v107, v106, v106
	v_pk_add_f16 v108, v13, v31
	v_min_f16_e32 v107, v107, v51
	v_lshrrev_b32_e32 v106, 16, v106
	v_lshrrev_b32_e32 v51, 16, v51
	;; [unrolled: 1-line block ×3, first 2 shown]
	v_min3_f16 v51, v106, v51, v109
	v_min3_f16 v51, v107, v108, v51
	v_cvt_f32_f16_e32 v51, v51
	v_max_f32_e32 v50, v50, v50
	v_min_f32_e32 v50, v50, v51
	v_cvt_f16_f32_e32 v106, v50
	v_lshl_add_u64 v[50:51], v[36:37], 1, v[28:29]
	flat_store_short v[50:51], v106
	s_or_b64 exec, exec, s[26:27]
	s_and_b64 s[34:35], s[8:9], s[18:19]
	s_and_saveexec_b64 s[26:27], s[34:35]
	s_cbranch_execz .LBB211_95
.LBB211_111:
	s_and_b64 vcc, exec, s[0:1]
	s_cbranch_vccnz .LBB211_113
; %bb.112:
	v_lshl_add_u64 v[50:51], v[38:39], 1, v[48:49]
	flat_load_ushort v50, v[50:51]
	s_waitcnt vmcnt(0) lgkmcnt(0)
	v_mul_f16_e32 v50, s30, v50
	v_cvt_f32_f16_e32 v50, v50
	s_branch .LBB211_114
.LBB211_113:
	v_mov_b32_e32 v50, 0
.LBB211_114:
	v_pk_add_f16 v51, v14, v30
	v_max_f16_e32 v106, v104, v104
	v_pk_add_f16 v107, v15, v31
	v_min_f16_e32 v106, v106, v51
	v_lshrrev_b32_e32 v104, 16, v104
	v_lshrrev_b32_e32 v51, 16, v51
	;; [unrolled: 1-line block ×3, first 2 shown]
	v_min3_f16 v51, v104, v51, v108
	v_min3_f16 v51, v106, v107, v51
	v_cvt_f32_f16_e32 v51, v51
	v_max_f32_e32 v50, v50, v50
	v_min_f32_e32 v50, v50, v51
	v_cvt_f16_f32_e32 v104, v50
	v_lshl_add_u64 v[50:51], v[38:39], 1, v[28:29]
	flat_store_short v[50:51], v104
	s_or_b64 exec, exec, s[26:27]
	s_and_b64 s[34:35], s[10:11], s[18:19]
	s_and_saveexec_b64 s[26:27], s[34:35]
	s_cbranch_execz .LBB211_96
.LBB211_115:
	s_and_b64 vcc, exec, s[0:1]
	s_cbranch_vccnz .LBB211_117
; %bb.116:
	v_lshl_add_u64 v[50:51], v[40:41], 1, v[48:49]
	flat_load_ushort v50, v[50:51]
	s_waitcnt vmcnt(0) lgkmcnt(0)
	v_mul_f16_e32 v50, s30, v50
	v_cvt_f32_f16_e32 v50, v50
	s_branch .LBB211_118
.LBB211_117:
	v_mov_b32_e32 v50, 0
.LBB211_118:
	v_pk_add_f16 v51, v8, v30
	v_max_f16_e32 v104, v101, v101
	v_pk_add_f16 v106, v9, v31
	v_min_f16_e32 v104, v104, v51
	v_lshrrev_b32_e32 v101, 16, v101
	v_lshrrev_b32_e32 v51, 16, v51
	;; [unrolled: 1-line block ×3, first 2 shown]
	v_min3_f16 v51, v101, v51, v107
	v_min3_f16 v51, v104, v106, v51
	v_cvt_f32_f16_e32 v51, v51
	v_max_f32_e32 v50, v50, v50
	v_min_f32_e32 v50, v50, v51
	v_cvt_f16_f32_e32 v101, v50
	v_lshl_add_u64 v[50:51], v[40:41], 1, v[28:29]
	flat_store_short v[50:51], v101
	s_or_b64 exec, exec, s[26:27]
	s_and_b64 s[34:35], s[12:13], s[18:19]
	s_and_saveexec_b64 s[26:27], s[34:35]
	s_cbranch_execz .LBB211_97
.LBB211_119:
	s_and_b64 vcc, exec, s[0:1]
	s_cbranch_vccnz .LBB211_121
; %bb.120:
	v_lshl_add_u64 v[50:51], v[42:43], 1, v[48:49]
	flat_load_ushort v50, v[50:51]
	s_waitcnt vmcnt(0) lgkmcnt(0)
	v_mul_f16_e32 v50, s30, v50
	v_cvt_f32_f16_e32 v50, v50
	s_branch .LBB211_122
.LBB211_121:
	v_mov_b32_e32 v50, 0
.LBB211_122:
	v_pk_add_f16 v51, v10, v30
	v_max_f16_e32 v101, v99, v99
	v_pk_add_f16 v104, v11, v31
	v_min_f16_e32 v101, v101, v51
	v_lshrrev_b32_e32 v99, 16, v99
	v_lshrrev_b32_e32 v51, 16, v51
	;; [unrolled: 1-line block ×3, first 2 shown]
	v_min3_f16 v51, v99, v51, v106
	v_min3_f16 v51, v101, v104, v51
	v_cvt_f32_f16_e32 v51, v51
	v_max_f32_e32 v50, v50, v50
	v_min_f32_e32 v50, v50, v51
	v_cvt_f16_f32_e32 v99, v50
	v_lshl_add_u64 v[50:51], v[42:43], 1, v[28:29]
	flat_store_short v[50:51], v99
	s_or_b64 exec, exec, s[26:27]
	s_and_b64 s[34:35], s[14:15], s[18:19]
	s_and_saveexec_b64 s[26:27], s[34:35]
	s_cbranch_execz .LBB211_98
.LBB211_123:
	s_and_b64 vcc, exec, s[0:1]
	s_cbranch_vccnz .LBB211_125
; %bb.124:
	v_lshl_add_u64 v[50:51], v[44:45], 1, v[48:49]
	flat_load_ushort v50, v[50:51]
	s_waitcnt vmcnt(0) lgkmcnt(0)
	v_mul_f16_e32 v50, s30, v50
	v_cvt_f32_f16_e32 v50, v50
	s_branch .LBB211_126
.LBB211_125:
	v_mov_b32_e32 v50, 0
.LBB211_126:
	v_pk_add_f16 v51, v0, v30
	v_max_f16_e32 v99, v97, v97
	v_pk_add_f16 v101, v1, v31
	v_min_f16_e32 v99, v99, v51
	v_lshrrev_b32_e32 v97, 16, v97
	v_lshrrev_b32_e32 v51, 16, v51
	;; [unrolled: 1-line block ×3, first 2 shown]
	v_min3_f16 v51, v97, v51, v104
	v_min3_f16 v51, v99, v101, v51
	v_cvt_f32_f16_e32 v51, v51
	v_max_f32_e32 v50, v50, v50
	v_min_f32_e32 v50, v50, v51
	v_cvt_f16_f32_e32 v97, v50
	v_lshl_add_u64 v[50:51], v[44:45], 1, v[28:29]
	flat_store_short v[50:51], v97
	s_or_b64 exec, exec, s[26:27]
	s_and_b64 s[26:27], s[16:17], s[18:19]
	s_and_saveexec_b64 s[18:19], s[26:27]
	s_cbranch_execz .LBB211_131
.LBB211_127:
	s_and_b64 vcc, exec, s[0:1]
	s_cbranch_vccnz .LBB211_129
; %bb.128:
	v_lshl_add_u64 v[48:49], v[46:47], 1, v[48:49]
	flat_load_ushort v48, v[48:49]
	s_waitcnt vmcnt(0) lgkmcnt(0)
	v_mul_f16_e32 v48, s30, v48
	v_cvt_f32_f16_e32 v48, v48
	s_branch .LBB211_130
.LBB211_129:
	v_mov_b32_e32 v48, 0
.LBB211_130:
	v_pk_add_f16 v30, v2, v30
	v_max_f16_e32 v49, v95, v95
	v_pk_add_f16 v31, v3, v31
	v_min_f16_e32 v49, v49, v30
	v_lshrrev_b32_e32 v50, 16, v95
	v_lshrrev_b32_e32 v30, 16, v30
	;; [unrolled: 1-line block ×3, first 2 shown]
	v_min3_f16 v30, v50, v30, v51
	v_min3_f16 v30, v49, v31, v30
	v_cvt_f32_f16_e32 v30, v30
	v_max_f32_e32 v31, v48, v48
	v_lshl_add_u64 v[28:29], v[46:47], 1, v[28:29]
	v_min_f32_e32 v30, v31, v30
	v_cvt_f16_f32_e32 v30, v30
	flat_store_short v[28:29], v30
.LBB211_131:
	s_or_b64 exec, exec, s[18:19]
	v_add_u32_e32 v48, 16, v102
	v_mad_i64_i32 v[28:29], s[26:27], v48, s29, 0
	v_cmp_gt_i32_e64 s[18:19], s21, v48
	v_lshl_add_u64 v[30:31], v[28:29], 1, s[24:25]
	v_mad_i64_i32 v[28:29], s[26:27], v48, s28, 0
	v_lshl_add_u64 v[28:29], v[28:29], 1, s[22:23]
	s_and_b64 s[34:35], s[2:3], s[18:19]
	s_and_saveexec_b64 s[26:27], s[34:35]
	s_cbranch_execnz .LBB211_139
; %bb.132:
	s_or_b64 exec, exec, s[26:27]
	s_and_b64 s[34:35], s[4:5], s[18:19]
	s_and_saveexec_b64 s[26:27], s[34:35]
	s_cbranch_execnz .LBB211_143
.LBB211_133:
	s_or_b64 exec, exec, s[26:27]
	s_and_b64 s[34:35], s[6:7], s[18:19]
	s_and_saveexec_b64 s[26:27], s[34:35]
	s_cbranch_execnz .LBB211_147
.LBB211_134:
	s_or_b64 exec, exec, s[26:27]
	s_and_b64 s[34:35], s[8:9], s[18:19]
	s_and_saveexec_b64 s[26:27], s[34:35]
	s_cbranch_execnz .LBB211_151
.LBB211_135:
	s_or_b64 exec, exec, s[26:27]
	s_and_b64 s[34:35], s[10:11], s[18:19]
	s_and_saveexec_b64 s[26:27], s[34:35]
	s_cbranch_execnz .LBB211_155
.LBB211_136:
	s_or_b64 exec, exec, s[26:27]
	s_and_b64 s[34:35], s[12:13], s[18:19]
	s_and_saveexec_b64 s[26:27], s[34:35]
	s_cbranch_execnz .LBB211_159
.LBB211_137:
	s_or_b64 exec, exec, s[26:27]
	s_and_b64 s[34:35], s[14:15], s[18:19]
	s_and_saveexec_b64 s[26:27], s[34:35]
	s_cbranch_execnz .LBB211_163
.LBB211_138:
	s_or_b64 exec, exec, s[26:27]
	s_and_b64 s[26:27], s[16:17], s[18:19]
	s_and_saveexec_b64 s[18:19], s[26:27]
	s_cbranch_execnz .LBB211_167
	s_branch .LBB211_171
.LBB211_139:
	s_and_b64 vcc, exec, s[0:1]
	s_cbranch_vccnz .LBB211_141
; %bb.140:
	v_lshl_add_u64 v[48:49], v[32:33], 1, v[30:31]
	flat_load_ushort v48, v[48:49]
	s_waitcnt vmcnt(0) lgkmcnt(0)
	v_mul_f16_e32 v48, s30, v48
	v_cvt_f32_f16_e32 v48, v48
	s_branch .LBB211_142
.LBB211_141:
	v_mov_b32_e32 v48, 0
.LBB211_142:
	v_pk_add_f16 v49, v16, v24
	v_max_f16_e32 v50, v93, v93
	v_lshrrev_b32_e32 v51, 16, v93
	v_pk_add_f16 v93, v17, v25
	v_min_f16_e32 v50, v50, v49
	v_lshrrev_b32_e32 v49, 16, v49
	v_lshrrev_b32_e32 v95, 16, v93
	v_min3_f16 v49, v51, v49, v95
	v_min3_f16 v49, v50, v93, v49
	v_cvt_f32_f16_e32 v49, v49
	v_max_f32_e32 v48, v48, v48
	v_min_f32_e32 v48, v48, v49
	v_cvt_f16_f32_e32 v50, v48
	v_lshl_add_u64 v[48:49], v[32:33], 1, v[28:29]
	flat_store_short v[48:49], v50
	s_or_b64 exec, exec, s[26:27]
	s_and_b64 s[34:35], s[4:5], s[18:19]
	s_and_saveexec_b64 s[26:27], s[34:35]
	s_cbranch_execz .LBB211_133
.LBB211_143:
	s_and_b64 vcc, exec, s[0:1]
	s_cbranch_vccnz .LBB211_145
; %bb.144:
	v_lshl_add_u64 v[48:49], v[34:35], 1, v[30:31]
	flat_load_ushort v48, v[48:49]
	s_waitcnt vmcnt(0) lgkmcnt(0)
	v_mul_f16_e32 v48, s30, v48
	v_cvt_f32_f16_e32 v48, v48
	s_branch .LBB211_146
.LBB211_145:
	v_mov_b32_e32 v48, 0
.LBB211_146:
	v_pk_add_f16 v49, v18, v24
	v_max_f16_e32 v50, v91, v91
	v_lshrrev_b32_e32 v51, 16, v91
	v_pk_add_f16 v91, v19, v25
	v_min_f16_e32 v50, v50, v49
	v_lshrrev_b32_e32 v49, 16, v49
	v_lshrrev_b32_e32 v93, 16, v91
	v_min3_f16 v49, v51, v49, v93
	v_min3_f16 v49, v50, v91, v49
	v_cvt_f32_f16_e32 v49, v49
	v_max_f32_e32 v48, v48, v48
	v_min_f32_e32 v48, v48, v49
	v_cvt_f16_f32_e32 v50, v48
	v_lshl_add_u64 v[48:49], v[34:35], 1, v[28:29]
	flat_store_short v[48:49], v50
	s_or_b64 exec, exec, s[26:27]
	s_and_b64 s[34:35], s[6:7], s[18:19]
	s_and_saveexec_b64 s[26:27], s[34:35]
	s_cbranch_execz .LBB211_134
.LBB211_147:
	s_and_b64 vcc, exec, s[0:1]
	s_cbranch_vccnz .LBB211_149
; %bb.148:
	v_lshl_add_u64 v[48:49], v[36:37], 1, v[30:31]
	flat_load_ushort v48, v[48:49]
	s_waitcnt vmcnt(0) lgkmcnt(0)
	v_mul_f16_e32 v48, s30, v48
	v_cvt_f32_f16_e32 v48, v48
	s_branch .LBB211_150
.LBB211_149:
	v_mov_b32_e32 v48, 0
.LBB211_150:
	v_pk_add_f16 v49, v12, v24
	v_max_f16_e32 v50, v89, v89
	v_lshrrev_b32_e32 v51, 16, v89
	v_pk_add_f16 v89, v13, v25
	v_min_f16_e32 v50, v50, v49
	v_lshrrev_b32_e32 v49, 16, v49
	v_lshrrev_b32_e32 v91, 16, v89
	v_min3_f16 v49, v51, v49, v91
	v_min3_f16 v49, v50, v89, v49
	v_cvt_f32_f16_e32 v49, v49
	v_max_f32_e32 v48, v48, v48
	v_min_f32_e32 v48, v48, v49
	v_cvt_f16_f32_e32 v50, v48
	v_lshl_add_u64 v[48:49], v[36:37], 1, v[28:29]
	flat_store_short v[48:49], v50
	s_or_b64 exec, exec, s[26:27]
	s_and_b64 s[34:35], s[8:9], s[18:19]
	s_and_saveexec_b64 s[26:27], s[34:35]
	s_cbranch_execz .LBB211_135
.LBB211_151:
	s_and_b64 vcc, exec, s[0:1]
	s_cbranch_vccnz .LBB211_153
; %bb.152:
	v_lshl_add_u64 v[48:49], v[38:39], 1, v[30:31]
	flat_load_ushort v48, v[48:49]
	s_waitcnt vmcnt(0) lgkmcnt(0)
	v_mul_f16_e32 v48, s30, v48
	v_cvt_f32_f16_e32 v48, v48
	s_branch .LBB211_154
.LBB211_153:
	v_mov_b32_e32 v48, 0
.LBB211_154:
	v_pk_add_f16 v49, v14, v24
	v_max_f16_e32 v50, v87, v87
	v_lshrrev_b32_e32 v51, 16, v87
	v_pk_add_f16 v87, v15, v25
	v_min_f16_e32 v50, v50, v49
	v_lshrrev_b32_e32 v49, 16, v49
	v_lshrrev_b32_e32 v89, 16, v87
	v_min3_f16 v49, v51, v49, v89
	v_min3_f16 v49, v50, v87, v49
	v_cvt_f32_f16_e32 v49, v49
	v_max_f32_e32 v48, v48, v48
	v_min_f32_e32 v48, v48, v49
	v_cvt_f16_f32_e32 v50, v48
	v_lshl_add_u64 v[48:49], v[38:39], 1, v[28:29]
	flat_store_short v[48:49], v50
	s_or_b64 exec, exec, s[26:27]
	s_and_b64 s[34:35], s[10:11], s[18:19]
	s_and_saveexec_b64 s[26:27], s[34:35]
	s_cbranch_execz .LBB211_136
.LBB211_155:
	s_and_b64 vcc, exec, s[0:1]
	s_cbranch_vccnz .LBB211_157
; %bb.156:
	v_lshl_add_u64 v[48:49], v[40:41], 1, v[30:31]
	flat_load_ushort v48, v[48:49]
	s_waitcnt vmcnt(0) lgkmcnt(0)
	v_mul_f16_e32 v48, s30, v48
	v_cvt_f32_f16_e32 v48, v48
	s_branch .LBB211_158
.LBB211_157:
	v_mov_b32_e32 v48, 0
.LBB211_158:
	v_pk_add_f16 v49, v8, v24
	v_max_f16_e32 v50, v105, v105
	v_pk_add_f16 v87, v9, v25
	v_min_f16_e32 v50, v50, v49
	v_lshrrev_b32_e32 v51, 16, v105
	v_lshrrev_b32_e32 v49, 16, v49
	;; [unrolled: 1-line block ×3, first 2 shown]
	v_min3_f16 v49, v51, v49, v89
	v_min3_f16 v49, v50, v87, v49
	v_cvt_f32_f16_e32 v49, v49
	v_max_f32_e32 v48, v48, v48
	v_min_f32_e32 v48, v48, v49
	v_cvt_f16_f32_e32 v50, v48
	v_lshl_add_u64 v[48:49], v[40:41], 1, v[28:29]
	flat_store_short v[48:49], v50
	s_or_b64 exec, exec, s[26:27]
	s_and_b64 s[34:35], s[12:13], s[18:19]
	s_and_saveexec_b64 s[26:27], s[34:35]
	s_cbranch_execz .LBB211_137
.LBB211_159:
	s_and_b64 vcc, exec, s[0:1]
	s_cbranch_vccnz .LBB211_161
; %bb.160:
	v_lshl_add_u64 v[48:49], v[42:43], 1, v[30:31]
	flat_load_ushort v48, v[48:49]
	s_waitcnt vmcnt(0) lgkmcnt(0)
	v_mul_f16_e32 v48, s30, v48
	v_cvt_f32_f16_e32 v48, v48
	s_branch .LBB211_162
.LBB211_161:
	v_mov_b32_e32 v48, 0
.LBB211_162:
	v_pk_add_f16 v49, v10, v24
	v_max_f16_e32 v50, v103, v103
	v_pk_add_f16 v87, v11, v25
	v_min_f16_e32 v50, v50, v49
	v_lshrrev_b32_e32 v51, 16, v103
	v_lshrrev_b32_e32 v49, 16, v49
	;; [unrolled: 1-line block ×3, first 2 shown]
	v_min3_f16 v49, v51, v49, v89
	v_min3_f16 v49, v50, v87, v49
	v_cvt_f32_f16_e32 v49, v49
	v_max_f32_e32 v48, v48, v48
	v_min_f32_e32 v48, v48, v49
	v_cvt_f16_f32_e32 v50, v48
	v_lshl_add_u64 v[48:49], v[42:43], 1, v[28:29]
	flat_store_short v[48:49], v50
	s_or_b64 exec, exec, s[26:27]
	s_and_b64 s[34:35], s[14:15], s[18:19]
	s_and_saveexec_b64 s[26:27], s[34:35]
	s_cbranch_execz .LBB211_138
.LBB211_163:
	s_and_b64 vcc, exec, s[0:1]
	s_cbranch_vccnz .LBB211_165
; %bb.164:
	v_lshl_add_u64 v[48:49], v[44:45], 1, v[30:31]
	flat_load_ushort v48, v[48:49]
	s_waitcnt vmcnt(0) lgkmcnt(0)
	v_mul_f16_e32 v48, s30, v48
	v_cvt_f32_f16_e32 v48, v48
	s_branch .LBB211_166
.LBB211_165:
	v_mov_b32_e32 v48, 0
.LBB211_166:
	v_pk_add_f16 v49, v0, v24
	v_max_f16_e32 v50, v100, v100
	v_pk_add_f16 v87, v1, v25
	v_min_f16_e32 v50, v50, v49
	v_lshrrev_b32_e32 v51, 16, v100
	v_lshrrev_b32_e32 v49, 16, v49
	;; [unrolled: 1-line block ×3, first 2 shown]
	v_min3_f16 v49, v51, v49, v89
	v_min3_f16 v49, v50, v87, v49
	v_cvt_f32_f16_e32 v49, v49
	v_max_f32_e32 v48, v48, v48
	v_min_f32_e32 v48, v48, v49
	v_cvt_f16_f32_e32 v50, v48
	v_lshl_add_u64 v[48:49], v[44:45], 1, v[28:29]
	flat_store_short v[48:49], v50
	s_or_b64 exec, exec, s[26:27]
	s_and_b64 s[26:27], s[16:17], s[18:19]
	s_and_saveexec_b64 s[18:19], s[26:27]
	s_cbranch_execz .LBB211_171
.LBB211_167:
	s_and_b64 vcc, exec, s[0:1]
	s_cbranch_vccnz .LBB211_169
; %bb.168:
	v_lshl_add_u64 v[30:31], v[46:47], 1, v[30:31]
	flat_load_ushort v30, v[30:31]
	s_waitcnt vmcnt(0) lgkmcnt(0)
	v_mul_f16_e32 v30, s30, v30
	v_cvt_f32_f16_e32 v30, v30
	s_branch .LBB211_170
.LBB211_169:
	v_mov_b32_e32 v30, 0
.LBB211_170:
	v_pk_add_f16 v24, v2, v24
	v_max_f16_e32 v31, v98, v98
	v_pk_add_f16 v25, v3, v25
	v_min_f16_e32 v31, v31, v24
	v_lshrrev_b32_e32 v48, 16, v98
	v_lshrrev_b32_e32 v24, 16, v24
	;; [unrolled: 1-line block ×3, first 2 shown]
	v_min3_f16 v24, v48, v24, v49
	v_min3_f16 v24, v31, v25, v24
	v_cvt_f32_f16_e32 v24, v24
	v_max_f32_e32 v25, v30, v30
	v_min_f32_e32 v24, v25, v24
	v_cvt_f16_f32_e32 v30, v24
	v_lshl_add_u64 v[24:25], v[46:47], 1, v[28:29]
	flat_store_short v[24:25], v30
.LBB211_171:
	s_or_b64 exec, exec, s[18:19]
	v_add_u32_e32 v30, 24, v102
	v_mad_i64_i32 v[24:25], s[26:27], v30, s29, 0
	v_cmp_gt_i32_e64 s[18:19], s21, v30
	v_lshl_add_u64 v[28:29], v[24:25], 1, s[24:25]
	v_mad_i64_i32 v[24:25], s[26:27], v30, s28, 0
	v_lshl_add_u64 v[24:25], v[24:25], 1, s[22:23]
	s_and_b64 s[34:35], s[2:3], s[18:19]
	s_and_saveexec_b64 s[26:27], s[34:35]
	s_cbranch_execnz .LBB211_179
; %bb.172:
	s_or_b64 exec, exec, s[26:27]
	s_and_b64 s[34:35], s[4:5], s[18:19]
	s_and_saveexec_b64 s[26:27], s[34:35]
	s_cbranch_execnz .LBB211_183
.LBB211_173:
	s_or_b64 exec, exec, s[26:27]
	s_and_b64 s[34:35], s[6:7], s[18:19]
	s_and_saveexec_b64 s[26:27], s[34:35]
	s_cbranch_execnz .LBB211_187
.LBB211_174:
	s_or_b64 exec, exec, s[26:27]
	s_and_b64 s[34:35], s[8:9], s[18:19]
	s_and_saveexec_b64 s[26:27], s[34:35]
	s_cbranch_execnz .LBB211_191
.LBB211_175:
	s_or_b64 exec, exec, s[26:27]
	s_and_b64 s[34:35], s[10:11], s[18:19]
	s_and_saveexec_b64 s[26:27], s[34:35]
	s_cbranch_execnz .LBB211_195
.LBB211_176:
	s_or_b64 exec, exec, s[26:27]
	s_and_b64 s[34:35], s[12:13], s[18:19]
	s_and_saveexec_b64 s[26:27], s[34:35]
	s_cbranch_execnz .LBB211_199
.LBB211_177:
	s_or_b64 exec, exec, s[26:27]
	s_and_b64 s[34:35], s[14:15], s[18:19]
	s_and_saveexec_b64 s[26:27], s[34:35]
	s_cbranch_execnz .LBB211_203
.LBB211_178:
	s_or_b64 exec, exec, s[26:27]
	s_and_b64 s[26:27], s[16:17], s[18:19]
	s_and_saveexec_b64 s[18:19], s[26:27]
	s_cbranch_execnz .LBB211_207
	s_branch .LBB211_211
.LBB211_179:
	s_and_b64 vcc, exec, s[0:1]
	s_cbranch_vccnz .LBB211_181
; %bb.180:
	v_lshl_add_u64 v[30:31], v[32:33], 1, v[28:29]
	flat_load_ushort v30, v[30:31]
	s_waitcnt vmcnt(0) lgkmcnt(0)
	v_mul_f16_e32 v30, s30, v30
	v_cvt_f32_f16_e32 v30, v30
	s_branch .LBB211_182
.LBB211_181:
	v_mov_b32_e32 v30, 0
.LBB211_182:
	v_pk_add_f16 v31, v16, v26
	v_max_f16_e32 v48, v96, v96
	v_pk_add_f16 v50, v17, v27
	v_min_f16_e32 v48, v48, v31
	v_lshrrev_b32_e32 v49, 16, v96
	v_lshrrev_b32_e32 v31, 16, v31
	v_lshrrev_b32_e32 v51, 16, v50
	v_min3_f16 v31, v49, v31, v51
	v_min3_f16 v31, v48, v50, v31
	v_cvt_f32_f16_e32 v31, v31
	v_max_f32_e32 v30, v30, v30
	v_min_f32_e32 v30, v30, v31
	v_cvt_f16_f32_e32 v48, v30
	v_lshl_add_u64 v[30:31], v[32:33], 1, v[24:25]
	flat_store_short v[30:31], v48
	s_or_b64 exec, exec, s[26:27]
	s_and_b64 s[34:35], s[4:5], s[18:19]
	s_and_saveexec_b64 s[26:27], s[34:35]
	s_cbranch_execz .LBB211_173
.LBB211_183:
	s_and_b64 vcc, exec, s[0:1]
	s_cbranch_vccnz .LBB211_185
; %bb.184:
	v_lshl_add_u64 v[30:31], v[34:35], 1, v[28:29]
	flat_load_ushort v30, v[30:31]
	s_waitcnt vmcnt(0) lgkmcnt(0)
	v_mul_f16_e32 v30, s30, v30
	v_cvt_f32_f16_e32 v30, v30
	s_branch .LBB211_186
.LBB211_185:
	v_mov_b32_e32 v30, 0
.LBB211_186:
	v_pk_add_f16 v31, v18, v26
	v_max_f16_e32 v48, v94, v94
	v_pk_add_f16 v50, v19, v27
	v_min_f16_e32 v48, v48, v31
	v_lshrrev_b32_e32 v49, 16, v94
	v_lshrrev_b32_e32 v31, 16, v31
	v_lshrrev_b32_e32 v51, 16, v50
	v_min3_f16 v31, v49, v31, v51
	v_min3_f16 v31, v48, v50, v31
	v_cvt_f32_f16_e32 v31, v31
	v_max_f32_e32 v30, v30, v30
	v_min_f32_e32 v30, v30, v31
	v_cvt_f16_f32_e32 v48, v30
	v_lshl_add_u64 v[30:31], v[34:35], 1, v[24:25]
	flat_store_short v[30:31], v48
	s_or_b64 exec, exec, s[26:27]
	s_and_b64 s[34:35], s[6:7], s[18:19]
	s_and_saveexec_b64 s[26:27], s[34:35]
	s_cbranch_execz .LBB211_174
.LBB211_187:
	s_and_b64 vcc, exec, s[0:1]
	s_cbranch_vccnz .LBB211_189
; %bb.188:
	v_lshl_add_u64 v[30:31], v[36:37], 1, v[28:29]
	flat_load_ushort v30, v[30:31]
	s_waitcnt vmcnt(0) lgkmcnt(0)
	v_mul_f16_e32 v30, s30, v30
	v_cvt_f32_f16_e32 v30, v30
	s_branch .LBB211_190
.LBB211_189:
	v_mov_b32_e32 v30, 0
.LBB211_190:
	v_pk_add_f16 v31, v12, v26
	v_max_f16_e32 v48, v92, v92
	v_pk_add_f16 v50, v13, v27
	v_min_f16_e32 v48, v48, v31
	v_lshrrev_b32_e32 v49, 16, v92
	v_lshrrev_b32_e32 v31, 16, v31
	v_lshrrev_b32_e32 v51, 16, v50
	v_min3_f16 v31, v49, v31, v51
	v_min3_f16 v31, v48, v50, v31
	v_cvt_f32_f16_e32 v31, v31
	v_max_f32_e32 v30, v30, v30
	v_min_f32_e32 v30, v30, v31
	v_cvt_f16_f32_e32 v48, v30
	v_lshl_add_u64 v[30:31], v[36:37], 1, v[24:25]
	flat_store_short v[30:31], v48
	s_or_b64 exec, exec, s[26:27]
	s_and_b64 s[34:35], s[8:9], s[18:19]
	s_and_saveexec_b64 s[26:27], s[34:35]
	s_cbranch_execz .LBB211_175
.LBB211_191:
	s_and_b64 vcc, exec, s[0:1]
	s_cbranch_vccnz .LBB211_193
; %bb.192:
	v_lshl_add_u64 v[30:31], v[38:39], 1, v[28:29]
	flat_load_ushort v30, v[30:31]
	s_waitcnt vmcnt(0) lgkmcnt(0)
	v_mul_f16_e32 v30, s30, v30
	v_cvt_f32_f16_e32 v30, v30
	s_branch .LBB211_194
.LBB211_193:
	v_mov_b32_e32 v30, 0
.LBB211_194:
	v_pk_add_f16 v31, v14, v26
	v_max_f16_e32 v48, v90, v90
	v_pk_add_f16 v50, v15, v27
	v_min_f16_e32 v48, v48, v31
	v_lshrrev_b32_e32 v49, 16, v90
	v_lshrrev_b32_e32 v31, 16, v31
	;; [unrolled: 1-line block ×3, first 2 shown]
	v_min3_f16 v31, v49, v31, v51
	v_min3_f16 v31, v48, v50, v31
	v_cvt_f32_f16_e32 v31, v31
	v_max_f32_e32 v30, v30, v30
	v_min_f32_e32 v30, v30, v31
	v_cvt_f16_f32_e32 v48, v30
	v_lshl_add_u64 v[30:31], v[38:39], 1, v[24:25]
	flat_store_short v[30:31], v48
	s_or_b64 exec, exec, s[26:27]
	s_and_b64 s[34:35], s[10:11], s[18:19]
	s_and_saveexec_b64 s[26:27], s[34:35]
	s_cbranch_execz .LBB211_176
.LBB211_195:
	s_and_b64 vcc, exec, s[0:1]
	s_cbranch_vccnz .LBB211_197
; %bb.196:
	v_lshl_add_u64 v[30:31], v[40:41], 1, v[28:29]
	flat_load_ushort v30, v[30:31]
	s_waitcnt vmcnt(0) lgkmcnt(0)
	v_mul_f16_e32 v30, s30, v30
	v_cvt_f32_f16_e32 v30, v30
	s_branch .LBB211_198
.LBB211_197:
	v_mov_b32_e32 v30, 0
.LBB211_198:
	v_pk_add_f16 v31, v8, v26
	v_max_f16_e32 v48, v88, v88
	v_pk_add_f16 v50, v9, v27
	v_min_f16_e32 v48, v48, v31
	v_lshrrev_b32_e32 v49, 16, v88
	v_lshrrev_b32_e32 v31, 16, v31
	;; [unrolled: 1-line block ×3, first 2 shown]
	v_min3_f16 v31, v49, v31, v51
	v_min3_f16 v31, v48, v50, v31
	v_cvt_f32_f16_e32 v31, v31
	v_max_f32_e32 v30, v30, v30
	v_min_f32_e32 v30, v30, v31
	v_cvt_f16_f32_e32 v48, v30
	v_lshl_add_u64 v[30:31], v[40:41], 1, v[24:25]
	flat_store_short v[30:31], v48
	s_or_b64 exec, exec, s[26:27]
	s_and_b64 s[34:35], s[12:13], s[18:19]
	s_and_saveexec_b64 s[26:27], s[34:35]
	s_cbranch_execz .LBB211_177
.LBB211_199:
	s_and_b64 vcc, exec, s[0:1]
	s_cbranch_vccnz .LBB211_201
; %bb.200:
	v_lshl_add_u64 v[30:31], v[42:43], 1, v[28:29]
	flat_load_ushort v30, v[30:31]
	s_waitcnt vmcnt(0) lgkmcnt(0)
	v_mul_f16_e32 v30, s30, v30
	v_cvt_f32_f16_e32 v30, v30
	s_branch .LBB211_202
.LBB211_201:
	v_mov_b32_e32 v30, 0
.LBB211_202:
	v_pk_add_f16 v31, v10, v26
	v_max_f16_e32 v48, v86, v86
	v_pk_add_f16 v50, v11, v27
	v_min_f16_e32 v48, v48, v31
	v_lshrrev_b32_e32 v49, 16, v86
	v_lshrrev_b32_e32 v31, 16, v31
	;; [unrolled: 1-line block ×3, first 2 shown]
	v_min3_f16 v31, v49, v31, v51
	v_min3_f16 v31, v48, v50, v31
	v_cvt_f32_f16_e32 v31, v31
	v_max_f32_e32 v30, v30, v30
	v_min_f32_e32 v30, v30, v31
	v_cvt_f16_f32_e32 v48, v30
	v_lshl_add_u64 v[30:31], v[42:43], 1, v[24:25]
	flat_store_short v[30:31], v48
	s_or_b64 exec, exec, s[26:27]
	s_and_b64 s[34:35], s[14:15], s[18:19]
	s_and_saveexec_b64 s[26:27], s[34:35]
	s_cbranch_execz .LBB211_178
.LBB211_203:
	s_and_b64 vcc, exec, s[0:1]
	s_cbranch_vccnz .LBB211_205
; %bb.204:
	v_lshl_add_u64 v[30:31], v[44:45], 1, v[28:29]
	flat_load_ushort v30, v[30:31]
	s_waitcnt vmcnt(0) lgkmcnt(0)
	v_mul_f16_e32 v30, s30, v30
	v_cvt_f32_f16_e32 v30, v30
	s_branch .LBB211_206
.LBB211_205:
	v_mov_b32_e32 v30, 0
.LBB211_206:
	v_pk_add_f16 v31, v0, v26
	v_max_f16_e32 v48, v85, v85
	v_pk_add_f16 v50, v1, v27
	v_min_f16_e32 v48, v48, v31
	v_lshrrev_b32_e32 v49, 16, v85
	v_lshrrev_b32_e32 v31, 16, v31
	v_lshrrev_b32_e32 v51, 16, v50
	v_min3_f16 v31, v49, v31, v51
	v_min3_f16 v31, v48, v50, v31
	v_cvt_f32_f16_e32 v31, v31
	v_max_f32_e32 v30, v30, v30
	v_min_f32_e32 v30, v30, v31
	v_cvt_f16_f32_e32 v48, v30
	v_lshl_add_u64 v[30:31], v[44:45], 1, v[24:25]
	flat_store_short v[30:31], v48
	s_or_b64 exec, exec, s[26:27]
	s_and_b64 s[26:27], s[16:17], s[18:19]
	s_and_saveexec_b64 s[18:19], s[26:27]
	s_cbranch_execz .LBB211_211
.LBB211_207:
	s_and_b64 vcc, exec, s[0:1]
	s_cbranch_vccnz .LBB211_209
; %bb.208:
	v_lshl_add_u64 v[28:29], v[46:47], 1, v[28:29]
	flat_load_ushort v28, v[28:29]
	s_waitcnt vmcnt(0) lgkmcnt(0)
	v_mul_f16_e32 v28, s30, v28
	v_cvt_f32_f16_e32 v28, v28
	s_branch .LBB211_210
.LBB211_209:
	v_mov_b32_e32 v28, 0
.LBB211_210:
	v_pk_add_f16 v26, v2, v26
	v_max_f16_e32 v29, v84, v84
	v_pk_add_f16 v27, v3, v27
	v_min_f16_e32 v29, v29, v26
	v_lshrrev_b32_e32 v30, 16, v84
	v_lshrrev_b32_e32 v26, 16, v26
	;; [unrolled: 1-line block ×3, first 2 shown]
	v_min3_f16 v26, v30, v26, v31
	v_min3_f16 v26, v29, v27, v26
	v_cvt_f32_f16_e32 v26, v26
	v_max_f32_e32 v27, v28, v28
	v_lshl_add_u64 v[24:25], v[46:47], 1, v[24:25]
	v_min_f32_e32 v26, v27, v26
	v_cvt_f16_f32_e32 v26, v26
	flat_store_short v[24:25], v26
.LBB211_211:
	s_or_b64 exec, exec, s[18:19]
	v_add_u32_e32 v28, 32, v102
	v_mad_i64_i32 v[24:25], s[26:27], v28, s29, 0
	v_cmp_gt_i32_e64 s[18:19], s21, v28
	v_lshl_add_u64 v[26:27], v[24:25], 1, s[24:25]
	v_mad_i64_i32 v[24:25], s[26:27], v28, s28, 0
	v_lshl_add_u64 v[24:25], v[24:25], 1, s[22:23]
	s_and_b64 s[34:35], s[2:3], s[18:19]
	s_and_saveexec_b64 s[26:27], s[34:35]
	s_cbranch_execnz .LBB211_219
; %bb.212:
	s_or_b64 exec, exec, s[26:27]
	s_and_b64 s[34:35], s[4:5], s[18:19]
	s_and_saveexec_b64 s[26:27], s[34:35]
	s_cbranch_execnz .LBB211_223
.LBB211_213:
	s_or_b64 exec, exec, s[26:27]
	s_and_b64 s[34:35], s[6:7], s[18:19]
	s_and_saveexec_b64 s[26:27], s[34:35]
	s_cbranch_execnz .LBB211_227
.LBB211_214:
	s_or_b64 exec, exec, s[26:27]
	s_and_b64 s[34:35], s[8:9], s[18:19]
	s_and_saveexec_b64 s[26:27], s[34:35]
	s_cbranch_execnz .LBB211_231
.LBB211_215:
	s_or_b64 exec, exec, s[26:27]
	s_and_b64 s[34:35], s[10:11], s[18:19]
	s_and_saveexec_b64 s[26:27], s[34:35]
	s_cbranch_execnz .LBB211_235
.LBB211_216:
	s_or_b64 exec, exec, s[26:27]
	s_and_b64 s[34:35], s[12:13], s[18:19]
	s_and_saveexec_b64 s[26:27], s[34:35]
	s_cbranch_execnz .LBB211_239
.LBB211_217:
	s_or_b64 exec, exec, s[26:27]
	s_and_b64 s[34:35], s[14:15], s[18:19]
	s_and_saveexec_b64 s[26:27], s[34:35]
	s_cbranch_execnz .LBB211_243
.LBB211_218:
	s_or_b64 exec, exec, s[26:27]
	s_and_b64 s[26:27], s[16:17], s[18:19]
	s_and_saveexec_b64 s[18:19], s[26:27]
	s_cbranch_execnz .LBB211_247
	s_branch .LBB211_251
.LBB211_219:
	s_and_b64 vcc, exec, s[0:1]
	s_cbranch_vccnz .LBB211_221
; %bb.220:
	v_lshl_add_u64 v[28:29], v[32:33], 1, v[26:27]
	flat_load_ushort v28, v[28:29]
	s_waitcnt vmcnt(0) lgkmcnt(0)
	v_mul_f16_e32 v28, s30, v28
	v_cvt_f32_f16_e32 v28, v28
	s_branch .LBB211_222
.LBB211_221:
	v_mov_b32_e32 v28, 0
.LBB211_222:
	v_pk_add_f16 v29, v16, v20
	v_max_f16_e32 v30, v83, v83
	v_pk_add_f16 v48, v17, v21
	v_min_f16_e32 v30, v30, v29
	v_lshrrev_b32_e32 v31, 16, v83
	v_lshrrev_b32_e32 v29, 16, v29
	;; [unrolled: 1-line block ×3, first 2 shown]
	v_min3_f16 v29, v31, v29, v49
	v_min3_f16 v29, v30, v48, v29
	v_cvt_f32_f16_e32 v29, v29
	v_max_f32_e32 v28, v28, v28
	v_min_f32_e32 v28, v28, v29
	v_cvt_f16_f32_e32 v30, v28
	v_lshl_add_u64 v[28:29], v[32:33], 1, v[24:25]
	flat_store_short v[28:29], v30
	s_or_b64 exec, exec, s[26:27]
	s_and_b64 s[34:35], s[4:5], s[18:19]
	s_and_saveexec_b64 s[26:27], s[34:35]
	s_cbranch_execz .LBB211_213
.LBB211_223:
	s_and_b64 vcc, exec, s[0:1]
	s_cbranch_vccnz .LBB211_225
; %bb.224:
	v_lshl_add_u64 v[28:29], v[34:35], 1, v[26:27]
	flat_load_ushort v28, v[28:29]
	s_waitcnt vmcnt(0) lgkmcnt(0)
	v_mul_f16_e32 v28, s30, v28
	v_cvt_f32_f16_e32 v28, v28
	s_branch .LBB211_226
.LBB211_225:
	v_mov_b32_e32 v28, 0
.LBB211_226:
	v_pk_add_f16 v29, v18, v20
	v_max_f16_e32 v30, v82, v82
	v_pk_add_f16 v48, v19, v21
	v_min_f16_e32 v30, v30, v29
	v_lshrrev_b32_e32 v31, 16, v82
	v_lshrrev_b32_e32 v29, 16, v29
	;; [unrolled: 1-line block ×3, first 2 shown]
	v_min3_f16 v29, v31, v29, v49
	v_min3_f16 v29, v30, v48, v29
	v_cvt_f32_f16_e32 v29, v29
	v_max_f32_e32 v28, v28, v28
	v_min_f32_e32 v28, v28, v29
	v_cvt_f16_f32_e32 v30, v28
	v_lshl_add_u64 v[28:29], v[34:35], 1, v[24:25]
	flat_store_short v[28:29], v30
	s_or_b64 exec, exec, s[26:27]
	s_and_b64 s[34:35], s[6:7], s[18:19]
	s_and_saveexec_b64 s[26:27], s[34:35]
	s_cbranch_execz .LBB211_214
.LBB211_227:
	s_and_b64 vcc, exec, s[0:1]
	s_cbranch_vccnz .LBB211_229
; %bb.228:
	v_lshl_add_u64 v[28:29], v[36:37], 1, v[26:27]
	flat_load_ushort v28, v[28:29]
	s_waitcnt vmcnt(0) lgkmcnt(0)
	v_mul_f16_e32 v28, s30, v28
	v_cvt_f32_f16_e32 v28, v28
	s_branch .LBB211_230
.LBB211_229:
	v_mov_b32_e32 v28, 0
.LBB211_230:
	v_pk_add_f16 v29, v12, v20
	v_max_f16_e32 v30, v81, v81
	v_pk_add_f16 v48, v13, v21
	v_min_f16_e32 v30, v30, v29
	v_lshrrev_b32_e32 v31, 16, v81
	v_lshrrev_b32_e32 v29, 16, v29
	;; [unrolled: 1-line block ×3, first 2 shown]
	v_min3_f16 v29, v31, v29, v49
	v_min3_f16 v29, v30, v48, v29
	v_cvt_f32_f16_e32 v29, v29
	v_max_f32_e32 v28, v28, v28
	v_min_f32_e32 v28, v28, v29
	v_cvt_f16_f32_e32 v30, v28
	v_lshl_add_u64 v[28:29], v[36:37], 1, v[24:25]
	flat_store_short v[28:29], v30
	s_or_b64 exec, exec, s[26:27]
	s_and_b64 s[34:35], s[8:9], s[18:19]
	s_and_saveexec_b64 s[26:27], s[34:35]
	s_cbranch_execz .LBB211_215
.LBB211_231:
	s_and_b64 vcc, exec, s[0:1]
	s_cbranch_vccnz .LBB211_233
; %bb.232:
	v_lshl_add_u64 v[28:29], v[38:39], 1, v[26:27]
	flat_load_ushort v28, v[28:29]
	s_waitcnt vmcnt(0) lgkmcnt(0)
	v_mul_f16_e32 v28, s30, v28
	v_cvt_f32_f16_e32 v28, v28
	s_branch .LBB211_234
.LBB211_233:
	v_mov_b32_e32 v28, 0
.LBB211_234:
	v_pk_add_f16 v29, v14, v20
	v_max_f16_e32 v30, v80, v80
	v_pk_add_f16 v48, v15, v21
	v_min_f16_e32 v30, v30, v29
	v_lshrrev_b32_e32 v31, 16, v80
	v_lshrrev_b32_e32 v29, 16, v29
	v_lshrrev_b32_e32 v49, 16, v48
	v_min3_f16 v29, v31, v29, v49
	v_min3_f16 v29, v30, v48, v29
	v_cvt_f32_f16_e32 v29, v29
	v_max_f32_e32 v28, v28, v28
	v_min_f32_e32 v28, v28, v29
	v_cvt_f16_f32_e32 v30, v28
	v_lshl_add_u64 v[28:29], v[38:39], 1, v[24:25]
	flat_store_short v[28:29], v30
	s_or_b64 exec, exec, s[26:27]
	s_and_b64 s[34:35], s[10:11], s[18:19]
	s_and_saveexec_b64 s[26:27], s[34:35]
	s_cbranch_execz .LBB211_216
.LBB211_235:
	s_and_b64 vcc, exec, s[0:1]
	s_cbranch_vccnz .LBB211_237
; %bb.236:
	v_lshl_add_u64 v[28:29], v[40:41], 1, v[26:27]
	flat_load_ushort v28, v[28:29]
	s_waitcnt vmcnt(0) lgkmcnt(0)
	v_mul_f16_e32 v28, s30, v28
	v_cvt_f32_f16_e32 v28, v28
	s_branch .LBB211_238
.LBB211_237:
	v_mov_b32_e32 v28, 0
.LBB211_238:
	v_pk_add_f16 v29, v8, v20
	v_max_f16_e32 v30, v79, v79
	v_pk_add_f16 v48, v9, v21
	v_min_f16_e32 v30, v30, v29
	v_lshrrev_b32_e32 v31, 16, v79
	v_lshrrev_b32_e32 v29, 16, v29
	;; [unrolled: 1-line block ×3, first 2 shown]
	v_min3_f16 v29, v31, v29, v49
	v_min3_f16 v29, v30, v48, v29
	v_cvt_f32_f16_e32 v29, v29
	v_max_f32_e32 v28, v28, v28
	v_min_f32_e32 v28, v28, v29
	v_cvt_f16_f32_e32 v30, v28
	v_lshl_add_u64 v[28:29], v[40:41], 1, v[24:25]
	flat_store_short v[28:29], v30
	s_or_b64 exec, exec, s[26:27]
	s_and_b64 s[34:35], s[12:13], s[18:19]
	s_and_saveexec_b64 s[26:27], s[34:35]
	s_cbranch_execz .LBB211_217
.LBB211_239:
	s_and_b64 vcc, exec, s[0:1]
	s_cbranch_vccnz .LBB211_241
; %bb.240:
	v_lshl_add_u64 v[28:29], v[42:43], 1, v[26:27]
	flat_load_ushort v28, v[28:29]
	s_waitcnt vmcnt(0) lgkmcnt(0)
	v_mul_f16_e32 v28, s30, v28
	v_cvt_f32_f16_e32 v28, v28
	s_branch .LBB211_242
.LBB211_241:
	v_mov_b32_e32 v28, 0
.LBB211_242:
	v_pk_add_f16 v29, v10, v20
	v_max_f16_e32 v30, v78, v78
	v_pk_add_f16 v48, v11, v21
	v_min_f16_e32 v30, v30, v29
	v_lshrrev_b32_e32 v31, 16, v78
	v_lshrrev_b32_e32 v29, 16, v29
	v_lshrrev_b32_e32 v49, 16, v48
	v_min3_f16 v29, v31, v29, v49
	v_min3_f16 v29, v30, v48, v29
	v_cvt_f32_f16_e32 v29, v29
	v_max_f32_e32 v28, v28, v28
	v_min_f32_e32 v28, v28, v29
	v_cvt_f16_f32_e32 v30, v28
	v_lshl_add_u64 v[28:29], v[42:43], 1, v[24:25]
	flat_store_short v[28:29], v30
	s_or_b64 exec, exec, s[26:27]
	s_and_b64 s[34:35], s[14:15], s[18:19]
	s_and_saveexec_b64 s[26:27], s[34:35]
	s_cbranch_execz .LBB211_218
.LBB211_243:
	s_and_b64 vcc, exec, s[0:1]
	s_cbranch_vccnz .LBB211_245
; %bb.244:
	v_lshl_add_u64 v[28:29], v[44:45], 1, v[26:27]
	flat_load_ushort v28, v[28:29]
	s_waitcnt vmcnt(0) lgkmcnt(0)
	v_mul_f16_e32 v28, s30, v28
	v_cvt_f32_f16_e32 v28, v28
	s_branch .LBB211_246
.LBB211_245:
	v_mov_b32_e32 v28, 0
.LBB211_246:
	v_pk_add_f16 v29, v0, v20
	v_max_f16_e32 v30, v77, v77
	v_pk_add_f16 v48, v1, v21
	v_min_f16_e32 v30, v30, v29
	v_lshrrev_b32_e32 v31, 16, v77
	v_lshrrev_b32_e32 v29, 16, v29
	;; [unrolled: 1-line block ×3, first 2 shown]
	v_min3_f16 v29, v31, v29, v49
	v_min3_f16 v29, v30, v48, v29
	v_cvt_f32_f16_e32 v29, v29
	v_max_f32_e32 v28, v28, v28
	v_min_f32_e32 v28, v28, v29
	v_cvt_f16_f32_e32 v30, v28
	v_lshl_add_u64 v[28:29], v[44:45], 1, v[24:25]
	flat_store_short v[28:29], v30
	s_or_b64 exec, exec, s[26:27]
	s_and_b64 s[26:27], s[16:17], s[18:19]
	s_and_saveexec_b64 s[18:19], s[26:27]
	s_cbranch_execz .LBB211_251
.LBB211_247:
	s_and_b64 vcc, exec, s[0:1]
	s_cbranch_vccnz .LBB211_249
; %bb.248:
	v_lshl_add_u64 v[26:27], v[46:47], 1, v[26:27]
	flat_load_ushort v26, v[26:27]
	s_waitcnt vmcnt(0) lgkmcnt(0)
	v_mul_f16_e32 v26, s30, v26
	v_cvt_f32_f16_e32 v26, v26
	s_branch .LBB211_250
.LBB211_249:
	v_mov_b32_e32 v26, 0
.LBB211_250:
	v_pk_add_f16 v20, v2, v20
	v_max_f16_e32 v27, v76, v76
	v_pk_add_f16 v21, v3, v21
	v_min_f16_e32 v27, v27, v20
	v_lshrrev_b32_e32 v28, 16, v76
	v_lshrrev_b32_e32 v20, 16, v20
	;; [unrolled: 1-line block ×3, first 2 shown]
	v_min3_f16 v20, v28, v20, v29
	v_min3_f16 v20, v27, v21, v20
	v_cvt_f32_f16_e32 v20, v20
	v_max_f32_e32 v21, v26, v26
	v_min_f32_e32 v20, v21, v20
	v_cvt_f16_f32_e32 v26, v20
	v_lshl_add_u64 v[20:21], v[46:47], 1, v[24:25]
	flat_store_short v[20:21], v26
.LBB211_251:
	s_or_b64 exec, exec, s[18:19]
	v_add_u32_e32 v26, 40, v102
	v_mad_i64_i32 v[20:21], s[26:27], v26, s29, 0
	v_cmp_gt_i32_e64 s[18:19], s21, v26
	v_lshl_add_u64 v[24:25], v[20:21], 1, s[24:25]
	v_mad_i64_i32 v[20:21], s[26:27], v26, s28, 0
	v_lshl_add_u64 v[20:21], v[20:21], 1, s[22:23]
	s_and_b64 s[34:35], s[2:3], s[18:19]
	s_and_saveexec_b64 s[26:27], s[34:35]
	s_cbranch_execnz .LBB211_259
; %bb.252:
	s_or_b64 exec, exec, s[26:27]
	s_and_b64 s[34:35], s[4:5], s[18:19]
	s_and_saveexec_b64 s[26:27], s[34:35]
	s_cbranch_execnz .LBB211_263
.LBB211_253:
	s_or_b64 exec, exec, s[26:27]
	s_and_b64 s[34:35], s[6:7], s[18:19]
	s_and_saveexec_b64 s[26:27], s[34:35]
	s_cbranch_execnz .LBB211_267
.LBB211_254:
	s_or_b64 exec, exec, s[26:27]
	s_and_b64 s[34:35], s[8:9], s[18:19]
	s_and_saveexec_b64 s[26:27], s[34:35]
	s_cbranch_execnz .LBB211_271
.LBB211_255:
	s_or_b64 exec, exec, s[26:27]
	s_and_b64 s[34:35], s[10:11], s[18:19]
	s_and_saveexec_b64 s[26:27], s[34:35]
	s_cbranch_execnz .LBB211_275
.LBB211_256:
	s_or_b64 exec, exec, s[26:27]
	s_and_b64 s[34:35], s[12:13], s[18:19]
	s_and_saveexec_b64 s[26:27], s[34:35]
	s_cbranch_execnz .LBB211_279
.LBB211_257:
	s_or_b64 exec, exec, s[26:27]
	s_and_b64 s[34:35], s[14:15], s[18:19]
	s_and_saveexec_b64 s[26:27], s[34:35]
	s_cbranch_execnz .LBB211_283
.LBB211_258:
	s_or_b64 exec, exec, s[26:27]
	s_and_b64 s[26:27], s[16:17], s[18:19]
	s_and_saveexec_b64 s[18:19], s[26:27]
	s_cbranch_execnz .LBB211_287
	s_branch .LBB211_291
.LBB211_259:
	s_and_b64 vcc, exec, s[0:1]
	s_cbranch_vccnz .LBB211_261
; %bb.260:
	v_lshl_add_u64 v[26:27], v[32:33], 1, v[24:25]
	flat_load_ushort v26, v[26:27]
	s_waitcnt vmcnt(0) lgkmcnt(0)
	v_mul_f16_e32 v26, s30, v26
	v_cvt_f32_f16_e32 v26, v26
	s_branch .LBB211_262
.LBB211_261:
	v_mov_b32_e32 v26, 0
.LBB211_262:
	v_pk_add_f16 v27, v16, v22
	v_max_f16_e32 v28, v75, v75
	v_pk_add_f16 v30, v17, v23
	v_min_f16_e32 v28, v28, v27
	v_lshrrev_b32_e32 v29, 16, v75
	v_lshrrev_b32_e32 v27, 16, v27
	;; [unrolled: 1-line block ×3, first 2 shown]
	v_min3_f16 v27, v29, v27, v31
	v_min3_f16 v27, v28, v30, v27
	v_cvt_f32_f16_e32 v27, v27
	v_max_f32_e32 v26, v26, v26
	v_min_f32_e32 v26, v26, v27
	v_cvt_f16_f32_e32 v28, v26
	v_lshl_add_u64 v[26:27], v[32:33], 1, v[20:21]
	flat_store_short v[26:27], v28
	s_or_b64 exec, exec, s[26:27]
	s_and_b64 s[34:35], s[4:5], s[18:19]
	s_and_saveexec_b64 s[26:27], s[34:35]
	s_cbranch_execz .LBB211_253
.LBB211_263:
	s_and_b64 vcc, exec, s[0:1]
	s_cbranch_vccnz .LBB211_265
; %bb.264:
	v_lshl_add_u64 v[26:27], v[34:35], 1, v[24:25]
	flat_load_ushort v26, v[26:27]
	s_waitcnt vmcnt(0) lgkmcnt(0)
	v_mul_f16_e32 v26, s30, v26
	v_cvt_f32_f16_e32 v26, v26
	s_branch .LBB211_266
.LBB211_265:
	v_mov_b32_e32 v26, 0
.LBB211_266:
	v_pk_add_f16 v27, v18, v22
	v_max_f16_e32 v28, v74, v74
	v_pk_add_f16 v30, v19, v23
	v_min_f16_e32 v28, v28, v27
	v_lshrrev_b32_e32 v29, 16, v74
	v_lshrrev_b32_e32 v27, 16, v27
	;; [unrolled: 1-line block ×3, first 2 shown]
	v_min3_f16 v27, v29, v27, v31
	v_min3_f16 v27, v28, v30, v27
	v_cvt_f32_f16_e32 v27, v27
	v_max_f32_e32 v26, v26, v26
	v_min_f32_e32 v26, v26, v27
	v_cvt_f16_f32_e32 v28, v26
	v_lshl_add_u64 v[26:27], v[34:35], 1, v[20:21]
	flat_store_short v[26:27], v28
	s_or_b64 exec, exec, s[26:27]
	s_and_b64 s[34:35], s[6:7], s[18:19]
	s_and_saveexec_b64 s[26:27], s[34:35]
	s_cbranch_execz .LBB211_254
.LBB211_267:
	s_and_b64 vcc, exec, s[0:1]
	s_cbranch_vccnz .LBB211_269
; %bb.268:
	v_lshl_add_u64 v[26:27], v[36:37], 1, v[24:25]
	flat_load_ushort v26, v[26:27]
	s_waitcnt vmcnt(0) lgkmcnt(0)
	v_mul_f16_e32 v26, s30, v26
	v_cvt_f32_f16_e32 v26, v26
	s_branch .LBB211_270
.LBB211_269:
	v_mov_b32_e32 v26, 0
.LBB211_270:
	v_pk_add_f16 v27, v12, v22
	v_max_f16_e32 v28, v73, v73
	v_pk_add_f16 v30, v13, v23
	v_min_f16_e32 v28, v28, v27
	v_lshrrev_b32_e32 v29, 16, v73
	v_lshrrev_b32_e32 v27, 16, v27
	;; [unrolled: 1-line block ×3, first 2 shown]
	v_min3_f16 v27, v29, v27, v31
	v_min3_f16 v27, v28, v30, v27
	v_cvt_f32_f16_e32 v27, v27
	v_max_f32_e32 v26, v26, v26
	v_min_f32_e32 v26, v26, v27
	v_cvt_f16_f32_e32 v28, v26
	v_lshl_add_u64 v[26:27], v[36:37], 1, v[20:21]
	flat_store_short v[26:27], v28
	s_or_b64 exec, exec, s[26:27]
	s_and_b64 s[34:35], s[8:9], s[18:19]
	s_and_saveexec_b64 s[26:27], s[34:35]
	s_cbranch_execz .LBB211_255
.LBB211_271:
	s_and_b64 vcc, exec, s[0:1]
	s_cbranch_vccnz .LBB211_273
; %bb.272:
	v_lshl_add_u64 v[26:27], v[38:39], 1, v[24:25]
	flat_load_ushort v26, v[26:27]
	s_waitcnt vmcnt(0) lgkmcnt(0)
	v_mul_f16_e32 v26, s30, v26
	v_cvt_f32_f16_e32 v26, v26
	s_branch .LBB211_274
.LBB211_273:
	v_mov_b32_e32 v26, 0
.LBB211_274:
	v_pk_add_f16 v27, v14, v22
	v_max_f16_e32 v28, v72, v72
	v_pk_add_f16 v30, v15, v23
	v_min_f16_e32 v28, v28, v27
	v_lshrrev_b32_e32 v29, 16, v72
	v_lshrrev_b32_e32 v27, 16, v27
	;; [unrolled: 1-line block ×3, first 2 shown]
	v_min3_f16 v27, v29, v27, v31
	v_min3_f16 v27, v28, v30, v27
	v_cvt_f32_f16_e32 v27, v27
	v_max_f32_e32 v26, v26, v26
	v_min_f32_e32 v26, v26, v27
	v_cvt_f16_f32_e32 v28, v26
	v_lshl_add_u64 v[26:27], v[38:39], 1, v[20:21]
	flat_store_short v[26:27], v28
	s_or_b64 exec, exec, s[26:27]
	s_and_b64 s[34:35], s[10:11], s[18:19]
	s_and_saveexec_b64 s[26:27], s[34:35]
	s_cbranch_execz .LBB211_256
.LBB211_275:
	s_and_b64 vcc, exec, s[0:1]
	s_cbranch_vccnz .LBB211_277
; %bb.276:
	v_lshl_add_u64 v[26:27], v[40:41], 1, v[24:25]
	flat_load_ushort v26, v[26:27]
	s_waitcnt vmcnt(0) lgkmcnt(0)
	v_mul_f16_e32 v26, s30, v26
	v_cvt_f32_f16_e32 v26, v26
	s_branch .LBB211_278
.LBB211_277:
	v_mov_b32_e32 v26, 0
.LBB211_278:
	v_pk_add_f16 v27, v8, v22
	v_max_f16_e32 v28, v71, v71
	v_pk_add_f16 v30, v9, v23
	v_min_f16_e32 v28, v28, v27
	v_lshrrev_b32_e32 v29, 16, v71
	v_lshrrev_b32_e32 v27, 16, v27
	;; [unrolled: 1-line block ×3, first 2 shown]
	v_min3_f16 v27, v29, v27, v31
	v_min3_f16 v27, v28, v30, v27
	v_cvt_f32_f16_e32 v27, v27
	v_max_f32_e32 v26, v26, v26
	v_min_f32_e32 v26, v26, v27
	v_cvt_f16_f32_e32 v28, v26
	v_lshl_add_u64 v[26:27], v[40:41], 1, v[20:21]
	flat_store_short v[26:27], v28
	s_or_b64 exec, exec, s[26:27]
	s_and_b64 s[34:35], s[12:13], s[18:19]
	s_and_saveexec_b64 s[26:27], s[34:35]
	s_cbranch_execz .LBB211_257
.LBB211_279:
	s_and_b64 vcc, exec, s[0:1]
	s_cbranch_vccnz .LBB211_281
; %bb.280:
	v_lshl_add_u64 v[26:27], v[42:43], 1, v[24:25]
	flat_load_ushort v26, v[26:27]
	s_waitcnt vmcnt(0) lgkmcnt(0)
	v_mul_f16_e32 v26, s30, v26
	v_cvt_f32_f16_e32 v26, v26
	s_branch .LBB211_282
.LBB211_281:
	v_mov_b32_e32 v26, 0
.LBB211_282:
	v_pk_add_f16 v27, v10, v22
	v_max_f16_e32 v28, v70, v70
	v_pk_add_f16 v30, v11, v23
	v_min_f16_e32 v28, v28, v27
	v_lshrrev_b32_e32 v29, 16, v70
	v_lshrrev_b32_e32 v27, 16, v27
	;; [unrolled: 1-line block ×3, first 2 shown]
	v_min3_f16 v27, v29, v27, v31
	v_min3_f16 v27, v28, v30, v27
	v_cvt_f32_f16_e32 v27, v27
	v_max_f32_e32 v26, v26, v26
	v_min_f32_e32 v26, v26, v27
	v_cvt_f16_f32_e32 v28, v26
	v_lshl_add_u64 v[26:27], v[42:43], 1, v[20:21]
	flat_store_short v[26:27], v28
	s_or_b64 exec, exec, s[26:27]
	s_and_b64 s[34:35], s[14:15], s[18:19]
	s_and_saveexec_b64 s[26:27], s[34:35]
	s_cbranch_execz .LBB211_258
.LBB211_283:
	s_and_b64 vcc, exec, s[0:1]
	s_cbranch_vccnz .LBB211_285
; %bb.284:
	v_lshl_add_u64 v[26:27], v[44:45], 1, v[24:25]
	flat_load_ushort v26, v[26:27]
	s_waitcnt vmcnt(0) lgkmcnt(0)
	v_mul_f16_e32 v26, s30, v26
	v_cvt_f32_f16_e32 v26, v26
	s_branch .LBB211_286
.LBB211_285:
	v_mov_b32_e32 v26, 0
.LBB211_286:
	v_pk_add_f16 v27, v0, v22
	v_max_f16_e32 v28, v68, v68
	v_pk_add_f16 v30, v1, v23
	v_min_f16_e32 v28, v28, v27
	v_lshrrev_b32_e32 v29, 16, v68
	v_lshrrev_b32_e32 v27, 16, v27
	;; [unrolled: 1-line block ×3, first 2 shown]
	v_min3_f16 v27, v29, v27, v31
	v_min3_f16 v27, v28, v30, v27
	v_cvt_f32_f16_e32 v27, v27
	v_max_f32_e32 v26, v26, v26
	v_min_f32_e32 v26, v26, v27
	v_cvt_f16_f32_e32 v28, v26
	v_lshl_add_u64 v[26:27], v[44:45], 1, v[20:21]
	flat_store_short v[26:27], v28
	s_or_b64 exec, exec, s[26:27]
	s_and_b64 s[26:27], s[16:17], s[18:19]
	s_and_saveexec_b64 s[18:19], s[26:27]
	s_cbranch_execz .LBB211_291
.LBB211_287:
	s_and_b64 vcc, exec, s[0:1]
	s_cbranch_vccnz .LBB211_289
; %bb.288:
	v_lshl_add_u64 v[24:25], v[46:47], 1, v[24:25]
	flat_load_ushort v24, v[24:25]
	s_waitcnt vmcnt(0) lgkmcnt(0)
	v_mul_f16_e32 v24, s30, v24
	v_cvt_f32_f16_e32 v24, v24
	s_branch .LBB211_290
.LBB211_289:
	v_mov_b32_e32 v24, 0
.LBB211_290:
	v_pk_add_f16 v22, v2, v22
	v_max_f16_e32 v25, v69, v69
	v_pk_add_f16 v23, v3, v23
	v_min_f16_e32 v25, v25, v22
	v_lshrrev_b32_e32 v26, 16, v69
	v_lshrrev_b32_e32 v22, 16, v22
	v_lshrrev_b32_e32 v27, 16, v23
	v_min3_f16 v22, v26, v22, v27
	v_min3_f16 v22, v25, v23, v22
	v_cvt_f32_f16_e32 v22, v22
	v_max_f32_e32 v23, v24, v24
	v_lshl_add_u64 v[20:21], v[46:47], 1, v[20:21]
	v_min_f32_e32 v22, v23, v22
	v_cvt_f16_f32_e32 v22, v22
	flat_store_short v[20:21], v22
.LBB211_291:
	s_or_b64 exec, exec, s[18:19]
	v_add_u32_e32 v24, 48, v102
	v_mad_i64_i32 v[20:21], s[26:27], v24, s29, 0
	v_cmp_gt_i32_e64 s[18:19], s21, v24
	v_lshl_add_u64 v[22:23], v[20:21], 1, s[24:25]
	v_mad_i64_i32 v[20:21], s[26:27], v24, s28, 0
	v_lshl_add_u64 v[20:21], v[20:21], 1, s[22:23]
	s_and_b64 s[34:35], s[2:3], s[18:19]
	s_and_saveexec_b64 s[26:27], s[34:35]
	s_cbranch_execnz .LBB211_299
; %bb.292:
	s_or_b64 exec, exec, s[26:27]
	s_and_b64 s[34:35], s[4:5], s[18:19]
	s_and_saveexec_b64 s[26:27], s[34:35]
	s_cbranch_execnz .LBB211_303
.LBB211_293:
	s_or_b64 exec, exec, s[26:27]
	s_and_b64 s[34:35], s[6:7], s[18:19]
	s_and_saveexec_b64 s[26:27], s[34:35]
	s_cbranch_execnz .LBB211_307
.LBB211_294:
	s_or_b64 exec, exec, s[26:27]
	s_and_b64 s[34:35], s[8:9], s[18:19]
	s_and_saveexec_b64 s[26:27], s[34:35]
	s_cbranch_execnz .LBB211_311
.LBB211_295:
	s_or_b64 exec, exec, s[26:27]
	s_and_b64 s[34:35], s[10:11], s[18:19]
	s_and_saveexec_b64 s[26:27], s[34:35]
	s_cbranch_execnz .LBB211_315
.LBB211_296:
	s_or_b64 exec, exec, s[26:27]
	s_and_b64 s[34:35], s[12:13], s[18:19]
	s_and_saveexec_b64 s[26:27], s[34:35]
	s_cbranch_execnz .LBB211_319
.LBB211_297:
	s_or_b64 exec, exec, s[26:27]
	s_and_b64 s[34:35], s[14:15], s[18:19]
	s_and_saveexec_b64 s[26:27], s[34:35]
	s_cbranch_execnz .LBB211_323
.LBB211_298:
	s_or_b64 exec, exec, s[26:27]
	s_and_b64 s[26:27], s[16:17], s[18:19]
	s_and_saveexec_b64 s[18:19], s[26:27]
	s_cbranch_execnz .LBB211_327
	s_branch .LBB211_331
.LBB211_299:
	s_and_b64 vcc, exec, s[0:1]
	s_cbranch_vccnz .LBB211_301
; %bb.300:
	v_lshl_add_u64 v[24:25], v[32:33], 1, v[22:23]
	flat_load_ushort v24, v[24:25]
	s_waitcnt vmcnt(0) lgkmcnt(0)
	v_mul_f16_e32 v24, s30, v24
	v_cvt_f32_f16_e32 v24, v24
	s_branch .LBB211_302
.LBB211_301:
	v_mov_b32_e32 v24, 0
.LBB211_302:
	v_pk_add_f16 v25, v16, v4
	v_max_f16_e32 v26, v67, v67
	v_pk_add_f16 v28, v17, v5
	v_min_f16_e32 v26, v26, v25
	v_lshrrev_b32_e32 v27, 16, v67
	v_lshrrev_b32_e32 v25, 16, v25
	v_lshrrev_b32_e32 v29, 16, v28
	v_min3_f16 v25, v27, v25, v29
	v_min3_f16 v25, v26, v28, v25
	v_cvt_f32_f16_e32 v25, v25
	v_max_f32_e32 v24, v24, v24
	v_min_f32_e32 v24, v24, v25
	v_cvt_f16_f32_e32 v26, v24
	v_lshl_add_u64 v[24:25], v[32:33], 1, v[20:21]
	flat_store_short v[24:25], v26
	s_or_b64 exec, exec, s[26:27]
	s_and_b64 s[34:35], s[4:5], s[18:19]
	s_and_saveexec_b64 s[26:27], s[34:35]
	s_cbranch_execz .LBB211_293
.LBB211_303:
	s_and_b64 vcc, exec, s[0:1]
	s_cbranch_vccnz .LBB211_305
; %bb.304:
	v_lshl_add_u64 v[24:25], v[34:35], 1, v[22:23]
	flat_load_ushort v24, v[24:25]
	s_waitcnt vmcnt(0) lgkmcnt(0)
	v_mul_f16_e32 v24, s30, v24
	v_cvt_f32_f16_e32 v24, v24
	s_branch .LBB211_306
.LBB211_305:
	v_mov_b32_e32 v24, 0
.LBB211_306:
	v_pk_add_f16 v25, v18, v4
	v_max_f16_e32 v26, v66, v66
	v_pk_add_f16 v28, v19, v5
	v_min_f16_e32 v26, v26, v25
	v_lshrrev_b32_e32 v27, 16, v66
	v_lshrrev_b32_e32 v25, 16, v25
	;; [unrolled: 1-line block ×3, first 2 shown]
	v_min3_f16 v25, v27, v25, v29
	v_min3_f16 v25, v26, v28, v25
	v_cvt_f32_f16_e32 v25, v25
	v_max_f32_e32 v24, v24, v24
	v_min_f32_e32 v24, v24, v25
	v_cvt_f16_f32_e32 v26, v24
	v_lshl_add_u64 v[24:25], v[34:35], 1, v[20:21]
	flat_store_short v[24:25], v26
	s_or_b64 exec, exec, s[26:27]
	s_and_b64 s[34:35], s[6:7], s[18:19]
	s_and_saveexec_b64 s[26:27], s[34:35]
	s_cbranch_execz .LBB211_294
.LBB211_307:
	s_and_b64 vcc, exec, s[0:1]
	s_cbranch_vccnz .LBB211_309
; %bb.308:
	v_lshl_add_u64 v[24:25], v[36:37], 1, v[22:23]
	flat_load_ushort v24, v[24:25]
	s_waitcnt vmcnt(0) lgkmcnt(0)
	v_mul_f16_e32 v24, s30, v24
	v_cvt_f32_f16_e32 v24, v24
	s_branch .LBB211_310
.LBB211_309:
	v_mov_b32_e32 v24, 0
.LBB211_310:
	v_pk_add_f16 v25, v12, v4
	v_max_f16_e32 v26, v65, v65
	v_pk_add_f16 v28, v13, v5
	v_min_f16_e32 v26, v26, v25
	v_lshrrev_b32_e32 v27, 16, v65
	v_lshrrev_b32_e32 v25, 16, v25
	v_lshrrev_b32_e32 v29, 16, v28
	v_min3_f16 v25, v27, v25, v29
	v_min3_f16 v25, v26, v28, v25
	v_cvt_f32_f16_e32 v25, v25
	v_max_f32_e32 v24, v24, v24
	v_min_f32_e32 v24, v24, v25
	v_cvt_f16_f32_e32 v26, v24
	v_lshl_add_u64 v[24:25], v[36:37], 1, v[20:21]
	flat_store_short v[24:25], v26
	s_or_b64 exec, exec, s[26:27]
	s_and_b64 s[34:35], s[8:9], s[18:19]
	s_and_saveexec_b64 s[26:27], s[34:35]
	s_cbranch_execz .LBB211_295
.LBB211_311:
	s_and_b64 vcc, exec, s[0:1]
	s_cbranch_vccnz .LBB211_313
; %bb.312:
	v_lshl_add_u64 v[24:25], v[38:39], 1, v[22:23]
	flat_load_ushort v24, v[24:25]
	s_waitcnt vmcnt(0) lgkmcnt(0)
	v_mul_f16_e32 v24, s30, v24
	v_cvt_f32_f16_e32 v24, v24
	s_branch .LBB211_314
.LBB211_313:
	v_mov_b32_e32 v24, 0
.LBB211_314:
	v_pk_add_f16 v25, v14, v4
	v_max_f16_e32 v26, v64, v64
	v_pk_add_f16 v28, v15, v5
	v_min_f16_e32 v26, v26, v25
	v_lshrrev_b32_e32 v27, 16, v64
	v_lshrrev_b32_e32 v25, 16, v25
	v_lshrrev_b32_e32 v29, 16, v28
	v_min3_f16 v25, v27, v25, v29
	v_min3_f16 v25, v26, v28, v25
	v_cvt_f32_f16_e32 v25, v25
	v_max_f32_e32 v24, v24, v24
	v_min_f32_e32 v24, v24, v25
	v_cvt_f16_f32_e32 v26, v24
	v_lshl_add_u64 v[24:25], v[38:39], 1, v[20:21]
	flat_store_short v[24:25], v26
	s_or_b64 exec, exec, s[26:27]
	s_and_b64 s[34:35], s[10:11], s[18:19]
	s_and_saveexec_b64 s[26:27], s[34:35]
	s_cbranch_execz .LBB211_296
.LBB211_315:
	s_and_b64 vcc, exec, s[0:1]
	s_cbranch_vccnz .LBB211_317
; %bb.316:
	v_lshl_add_u64 v[24:25], v[40:41], 1, v[22:23]
	flat_load_ushort v24, v[24:25]
	s_waitcnt vmcnt(0) lgkmcnt(0)
	v_mul_f16_e32 v24, s30, v24
	v_cvt_f32_f16_e32 v24, v24
	s_branch .LBB211_318
.LBB211_317:
	v_mov_b32_e32 v24, 0
.LBB211_318:
	v_pk_add_f16 v25, v8, v4
	v_max_f16_e32 v26, v63, v63
	v_pk_add_f16 v28, v9, v5
	v_min_f16_e32 v26, v26, v25
	v_lshrrev_b32_e32 v27, 16, v63
	v_lshrrev_b32_e32 v25, 16, v25
	;; [unrolled: 1-line block ×3, first 2 shown]
	v_min3_f16 v25, v27, v25, v29
	v_min3_f16 v25, v26, v28, v25
	v_cvt_f32_f16_e32 v25, v25
	v_max_f32_e32 v24, v24, v24
	v_min_f32_e32 v24, v24, v25
	v_cvt_f16_f32_e32 v26, v24
	v_lshl_add_u64 v[24:25], v[40:41], 1, v[20:21]
	flat_store_short v[24:25], v26
	s_or_b64 exec, exec, s[26:27]
	s_and_b64 s[34:35], s[12:13], s[18:19]
	s_and_saveexec_b64 s[26:27], s[34:35]
	s_cbranch_execz .LBB211_297
.LBB211_319:
	s_and_b64 vcc, exec, s[0:1]
	s_cbranch_vccnz .LBB211_321
; %bb.320:
	v_lshl_add_u64 v[24:25], v[42:43], 1, v[22:23]
	flat_load_ushort v24, v[24:25]
	s_waitcnt vmcnt(0) lgkmcnt(0)
	v_mul_f16_e32 v24, s30, v24
	v_cvt_f32_f16_e32 v24, v24
	s_branch .LBB211_322
.LBB211_321:
	v_mov_b32_e32 v24, 0
.LBB211_322:
	v_pk_add_f16 v25, v10, v4
	v_max_f16_e32 v26, v62, v62
	v_pk_add_f16 v28, v11, v5
	v_min_f16_e32 v26, v26, v25
	v_lshrrev_b32_e32 v27, 16, v62
	v_lshrrev_b32_e32 v25, 16, v25
	;; [unrolled: 1-line block ×3, first 2 shown]
	v_min3_f16 v25, v27, v25, v29
	v_min3_f16 v25, v26, v28, v25
	v_cvt_f32_f16_e32 v25, v25
	v_max_f32_e32 v24, v24, v24
	v_min_f32_e32 v24, v24, v25
	v_cvt_f16_f32_e32 v26, v24
	v_lshl_add_u64 v[24:25], v[42:43], 1, v[20:21]
	flat_store_short v[24:25], v26
	s_or_b64 exec, exec, s[26:27]
	s_and_b64 s[34:35], s[14:15], s[18:19]
	s_and_saveexec_b64 s[26:27], s[34:35]
	s_cbranch_execz .LBB211_298
.LBB211_323:
	s_and_b64 vcc, exec, s[0:1]
	s_cbranch_vccnz .LBB211_325
; %bb.324:
	v_lshl_add_u64 v[24:25], v[44:45], 1, v[22:23]
	flat_load_ushort v24, v[24:25]
	s_waitcnt vmcnt(0) lgkmcnt(0)
	v_mul_f16_e32 v24, s30, v24
	v_cvt_f32_f16_e32 v24, v24
	s_branch .LBB211_326
.LBB211_325:
	v_mov_b32_e32 v24, 0
.LBB211_326:
	v_pk_add_f16 v25, v0, v4
	v_max_f16_e32 v26, v61, v61
	v_pk_add_f16 v28, v1, v5
	v_min_f16_e32 v26, v26, v25
	v_lshrrev_b32_e32 v27, 16, v61
	v_lshrrev_b32_e32 v25, 16, v25
	;; [unrolled: 1-line block ×3, first 2 shown]
	v_min3_f16 v25, v27, v25, v29
	v_min3_f16 v25, v26, v28, v25
	v_cvt_f32_f16_e32 v25, v25
	v_max_f32_e32 v24, v24, v24
	v_min_f32_e32 v24, v24, v25
	v_cvt_f16_f32_e32 v26, v24
	v_lshl_add_u64 v[24:25], v[44:45], 1, v[20:21]
	flat_store_short v[24:25], v26
	s_or_b64 exec, exec, s[26:27]
	s_and_b64 s[26:27], s[16:17], s[18:19]
	s_and_saveexec_b64 s[18:19], s[26:27]
	s_cbranch_execz .LBB211_331
.LBB211_327:
	s_and_b64 vcc, exec, s[0:1]
	s_cbranch_vccnz .LBB211_329
; %bb.328:
	v_lshl_add_u64 v[22:23], v[46:47], 1, v[22:23]
	flat_load_ushort v22, v[22:23]
	s_waitcnt vmcnt(0) lgkmcnt(0)
	v_mul_f16_e32 v22, s30, v22
	v_cvt_f32_f16_e32 v22, v22
	s_branch .LBB211_330
.LBB211_329:
	v_mov_b32_e32 v22, 0
.LBB211_330:
	v_pk_add_f16 v4, v2, v4
	v_max_f16_e32 v23, v60, v60
	v_pk_add_f16 v5, v3, v5
	v_min_f16_e32 v23, v23, v4
	v_lshrrev_b32_e32 v24, 16, v60
	v_lshrrev_b32_e32 v4, 16, v4
	;; [unrolled: 1-line block ×3, first 2 shown]
	v_min3_f16 v4, v24, v4, v25
	v_min3_f16 v4, v23, v5, v4
	v_cvt_f32_f16_e32 v4, v4
	v_max_f32_e32 v5, v22, v22
	v_min_f32_e32 v4, v5, v4
	v_cvt_f16_f32_e32 v22, v4
	v_lshl_add_u64 v[4:5], v[46:47], 1, v[20:21]
	flat_store_short v[4:5], v22
.LBB211_331:
	s_or_b64 exec, exec, s[18:19]
	v_add_u32_e32 v22, 56, v102
	v_cmp_gt_i32_e64 s[18:19], s21, v22
	v_mad_i64_i32 v[4:5], s[20:21], v22, s29, 0
	v_lshl_add_u64 v[20:21], v[4:5], 1, s[24:25]
	v_mad_i64_i32 v[4:5], s[20:21], v22, s28, 0
	v_lshl_add_u64 v[4:5], v[4:5], 1, s[22:23]
	s_and_b64 s[20:21], s[2:3], s[18:19]
	s_and_saveexec_b64 s[2:3], s[20:21]
	s_cbranch_execnz .LBB211_340
; %bb.332:
	s_or_b64 exec, exec, s[2:3]
	s_and_b64 s[4:5], s[4:5], s[18:19]
	s_and_saveexec_b64 s[2:3], s[4:5]
	s_cbranch_execnz .LBB211_344
.LBB211_333:
	s_or_b64 exec, exec, s[2:3]
	s_and_b64 s[4:5], s[6:7], s[18:19]
	s_and_saveexec_b64 s[2:3], s[4:5]
	s_cbranch_execnz .LBB211_348
.LBB211_334:
	s_or_b64 exec, exec, s[2:3]
	s_and_b64 s[4:5], s[8:9], s[18:19]
	s_and_saveexec_b64 s[2:3], s[4:5]
	s_cbranch_execnz .LBB211_352
.LBB211_335:
	s_or_b64 exec, exec, s[2:3]
	s_and_b64 s[4:5], s[10:11], s[18:19]
	s_and_saveexec_b64 s[2:3], s[4:5]
	s_cbranch_execnz .LBB211_356
.LBB211_336:
	s_or_b64 exec, exec, s[2:3]
	s_and_b64 s[4:5], s[12:13], s[18:19]
	s_and_saveexec_b64 s[2:3], s[4:5]
	s_cbranch_execnz .LBB211_360
.LBB211_337:
	s_or_b64 exec, exec, s[2:3]
	s_and_b64 s[4:5], s[14:15], s[18:19]
	s_and_saveexec_b64 s[2:3], s[4:5]
	s_cbranch_execnz .LBB211_364
.LBB211_338:
	s_or_b64 exec, exec, s[2:3]
	s_and_b64 s[2:3], s[16:17], s[18:19]
	s_and_saveexec_b64 s[4:5], s[2:3]
	s_cbranch_execnz .LBB211_368
.LBB211_339:
	s_endpgm
.LBB211_340:
	s_and_b64 vcc, exec, s[0:1]
	s_cbranch_vccnz .LBB211_342
; %bb.341:
	v_lshl_add_u64 v[22:23], v[32:33], 1, v[20:21]
	flat_load_ushort v22, v[22:23]
	s_waitcnt vmcnt(0) lgkmcnt(0)
	v_mul_f16_e32 v22, s30, v22
	v_cvt_f32_f16_e32 v22, v22
	s_branch .LBB211_343
.LBB211_342:
	v_mov_b32_e32 v22, 0
.LBB211_343:
	v_pk_add_f16 v16, v16, v6
	v_max_f16_e32 v23, v59, v59
	v_pk_add_f16 v17, v17, v7
	v_min_f16_e32 v23, v23, v16
	v_lshrrev_b32_e32 v24, 16, v59
	v_lshrrev_b32_e32 v16, 16, v16
	;; [unrolled: 1-line block ×3, first 2 shown]
	v_min3_f16 v16, v24, v16, v25
	v_min3_f16 v16, v23, v17, v16
	v_cvt_f32_f16_e32 v16, v16
	v_max_f32_e32 v17, v22, v22
	v_min_f32_e32 v16, v17, v16
	v_cvt_f16_f32_e32 v22, v16
	v_lshl_add_u64 v[16:17], v[32:33], 1, v[4:5]
	flat_store_short v[16:17], v22
	s_or_b64 exec, exec, s[2:3]
	s_and_b64 s[4:5], s[4:5], s[18:19]
	s_and_saveexec_b64 s[2:3], s[4:5]
	s_cbranch_execz .LBB211_333
.LBB211_344:
	s_and_b64 vcc, exec, s[0:1]
	s_cbranch_vccnz .LBB211_346
; %bb.345:
	v_lshl_add_u64 v[16:17], v[34:35], 1, v[20:21]
	flat_load_ushort v16, v[16:17]
	s_waitcnt vmcnt(0) lgkmcnt(0)
	v_mul_f16_e32 v16, s30, v16
	v_cvt_f32_f16_e32 v16, v16
	s_branch .LBB211_347
.LBB211_346:
	v_mov_b32_e32 v16, 0
.LBB211_347:
	v_pk_add_f16 v17, v18, v6
	v_max_f16_e32 v18, v58, v58
	v_pk_add_f16 v19, v19, v7
	v_min_f16_e32 v18, v18, v17
	v_lshrrev_b32_e32 v22, 16, v58
	v_lshrrev_b32_e32 v17, 16, v17
	;; [unrolled: 1-line block ×3, first 2 shown]
	v_min3_f16 v17, v22, v17, v23
	v_min3_f16 v17, v18, v19, v17
	v_cvt_f32_f16_e32 v17, v17
	v_max_f32_e32 v16, v16, v16
	v_min_f32_e32 v16, v16, v17
	v_cvt_f16_f32_e32 v18, v16
	v_lshl_add_u64 v[16:17], v[34:35], 1, v[4:5]
	flat_store_short v[16:17], v18
	s_or_b64 exec, exec, s[2:3]
	s_and_b64 s[4:5], s[6:7], s[18:19]
	s_and_saveexec_b64 s[2:3], s[4:5]
	s_cbranch_execz .LBB211_334
.LBB211_348:
	s_and_b64 vcc, exec, s[0:1]
	s_cbranch_vccnz .LBB211_350
; %bb.349:
	v_lshl_add_u64 v[16:17], v[36:37], 1, v[20:21]
	flat_load_ushort v16, v[16:17]
	s_waitcnt vmcnt(0) lgkmcnt(0)
	v_mul_f16_e32 v16, s30, v16
	v_cvt_f32_f16_e32 v16, v16
	s_branch .LBB211_351
.LBB211_350:
	v_mov_b32_e32 v16, 0
.LBB211_351:
	v_pk_add_f16 v12, v12, v6
	v_max_f16_e32 v17, v57, v57
	v_pk_add_f16 v13, v13, v7
	v_min_f16_e32 v17, v17, v12
	v_lshrrev_b32_e32 v18, 16, v57
	v_lshrrev_b32_e32 v12, 16, v12
	;; [unrolled: 1-line block ×3, first 2 shown]
	v_min3_f16 v12, v18, v12, v19
	v_min3_f16 v12, v17, v13, v12
	v_cvt_f32_f16_e32 v12, v12
	v_max_f32_e32 v13, v16, v16
	v_min_f32_e32 v12, v13, v12
	v_cvt_f16_f32_e32 v16, v12
	v_lshl_add_u64 v[12:13], v[36:37], 1, v[4:5]
	flat_store_short v[12:13], v16
	s_or_b64 exec, exec, s[2:3]
	s_and_b64 s[4:5], s[8:9], s[18:19]
	s_and_saveexec_b64 s[2:3], s[4:5]
	s_cbranch_execz .LBB211_335
.LBB211_352:
	s_and_b64 vcc, exec, s[0:1]
	s_cbranch_vccnz .LBB211_354
; %bb.353:
	v_lshl_add_u64 v[12:13], v[38:39], 1, v[20:21]
	flat_load_ushort v12, v[12:13]
	s_waitcnt vmcnt(0) lgkmcnt(0)
	v_mul_f16_e32 v12, s30, v12
	v_cvt_f32_f16_e32 v12, v12
	s_branch .LBB211_355
.LBB211_354:
	v_mov_b32_e32 v12, 0
.LBB211_355:
	v_pk_add_f16 v13, v14, v6
	v_max_f16_e32 v14, v56, v56
	v_pk_add_f16 v15, v15, v7
	v_min_f16_e32 v14, v14, v13
	v_lshrrev_b32_e32 v16, 16, v56
	v_lshrrev_b32_e32 v13, 16, v13
	;; [unrolled: 1-line block ×3, first 2 shown]
	v_min3_f16 v13, v16, v13, v17
	v_min3_f16 v13, v14, v15, v13
	v_cvt_f32_f16_e32 v13, v13
	v_max_f32_e32 v12, v12, v12
	v_min_f32_e32 v12, v12, v13
	v_cvt_f16_f32_e32 v14, v12
	v_lshl_add_u64 v[12:13], v[38:39], 1, v[4:5]
	flat_store_short v[12:13], v14
	s_or_b64 exec, exec, s[2:3]
	s_and_b64 s[4:5], s[10:11], s[18:19]
	s_and_saveexec_b64 s[2:3], s[4:5]
	s_cbranch_execz .LBB211_336
.LBB211_356:
	s_and_b64 vcc, exec, s[0:1]
	s_cbranch_vccnz .LBB211_358
; %bb.357:
	v_lshl_add_u64 v[12:13], v[40:41], 1, v[20:21]
	flat_load_ushort v12, v[12:13]
	s_waitcnt vmcnt(0) lgkmcnt(0)
	v_mul_f16_e32 v12, s30, v12
	v_cvt_f32_f16_e32 v12, v12
	s_branch .LBB211_359
.LBB211_358:
	v_mov_b32_e32 v12, 0
.LBB211_359:
	v_pk_add_f16 v8, v8, v6
	v_max_f16_e32 v13, v54, v54
	v_pk_add_f16 v9, v9, v7
	v_min_f16_e32 v13, v13, v8
	v_lshrrev_b32_e32 v14, 16, v54
	v_lshrrev_b32_e32 v8, 16, v8
	;; [unrolled: 1-line block ×3, first 2 shown]
	v_min3_f16 v8, v14, v8, v15
	v_min3_f16 v8, v13, v9, v8
	v_cvt_f32_f16_e32 v8, v8
	v_max_f32_e32 v9, v12, v12
	v_min_f32_e32 v8, v9, v8
	v_cvt_f16_f32_e32 v12, v8
	v_lshl_add_u64 v[8:9], v[40:41], 1, v[4:5]
	flat_store_short v[8:9], v12
	s_or_b64 exec, exec, s[2:3]
	s_and_b64 s[4:5], s[12:13], s[18:19]
	s_and_saveexec_b64 s[2:3], s[4:5]
	s_cbranch_execz .LBB211_337
.LBB211_360:
	s_and_b64 vcc, exec, s[0:1]
	s_cbranch_vccnz .LBB211_362
; %bb.361:
	v_lshl_add_u64 v[8:9], v[42:43], 1, v[20:21]
	flat_load_ushort v8, v[8:9]
	s_waitcnt vmcnt(0) lgkmcnt(0)
	v_mul_f16_e32 v8, s30, v8
	v_cvt_f32_f16_e32 v8, v8
	s_branch .LBB211_363
.LBB211_362:
	v_mov_b32_e32 v8, 0
.LBB211_363:
	v_pk_add_f16 v9, v10, v6
	v_max_f16_e32 v10, v53, v53
	v_pk_add_f16 v11, v11, v7
	v_min_f16_e32 v10, v10, v9
	v_lshrrev_b32_e32 v12, 16, v53
	v_lshrrev_b32_e32 v9, 16, v9
	v_lshrrev_b32_e32 v13, 16, v11
	v_min3_f16 v9, v12, v9, v13
	v_min3_f16 v9, v10, v11, v9
	v_cvt_f32_f16_e32 v9, v9
	v_max_f32_e32 v8, v8, v8
	v_min_f32_e32 v8, v8, v9
	v_cvt_f16_f32_e32 v10, v8
	v_lshl_add_u64 v[8:9], v[42:43], 1, v[4:5]
	flat_store_short v[8:9], v10
	s_or_b64 exec, exec, s[2:3]
	s_and_b64 s[4:5], s[14:15], s[18:19]
	s_and_saveexec_b64 s[2:3], s[4:5]
	s_cbranch_execz .LBB211_338
.LBB211_364:
	s_and_b64 vcc, exec, s[0:1]
	s_cbranch_vccnz .LBB211_366
; %bb.365:
	v_lshl_add_u64 v[8:9], v[44:45], 1, v[20:21]
	flat_load_ushort v8, v[8:9]
	s_waitcnt vmcnt(0) lgkmcnt(0)
	v_mul_f16_e32 v8, s30, v8
	v_cvt_f32_f16_e32 v8, v8
	s_branch .LBB211_367
.LBB211_366:
	v_mov_b32_e32 v8, 0
.LBB211_367:
	v_pk_add_f16 v0, v0, v6
	v_max_f16_e32 v9, v52, v52
	v_pk_add_f16 v1, v1, v7
	v_min_f16_e32 v9, v9, v0
	v_lshrrev_b32_e32 v10, 16, v52
	v_lshrrev_b32_e32 v0, 16, v0
	;; [unrolled: 1-line block ×3, first 2 shown]
	v_min3_f16 v0, v10, v0, v11
	v_min3_f16 v0, v9, v1, v0
	v_cvt_f32_f16_e32 v0, v0
	v_max_f32_e32 v1, v8, v8
	v_min_f32_e32 v0, v1, v0
	v_cvt_f16_f32_e32 v8, v0
	v_lshl_add_u64 v[0:1], v[44:45], 1, v[4:5]
	flat_store_short v[0:1], v8
	s_or_b64 exec, exec, s[2:3]
	s_and_b64 s[2:3], s[16:17], s[18:19]
	s_and_saveexec_b64 s[4:5], s[2:3]
	s_cbranch_execz .LBB211_339
.LBB211_368:
	s_and_b64 vcc, exec, s[0:1]
	s_cbranch_vccnz .LBB211_370
; %bb.369:
	v_lshl_add_u64 v[0:1], v[46:47], 1, v[20:21]
	flat_load_ushort v0, v[0:1]
	s_waitcnt vmcnt(0) lgkmcnt(0)
	v_mul_f16_e32 v0, s30, v0
	v_cvt_f32_f16_e32 v0, v0
	s_branch .LBB211_371
.LBB211_370:
	v_mov_b32_e32 v0, 0
.LBB211_371:
	v_pk_add_f16 v1, v2, v6
	v_max_f16_e32 v2, v55, v55
	v_pk_add_f16 v3, v3, v7
	v_min_f16_e32 v2, v2, v1
	v_lshrrev_b32_e32 v6, 16, v55
	v_lshrrev_b32_e32 v1, 16, v1
	;; [unrolled: 1-line block ×3, first 2 shown]
	v_min3_f16 v1, v6, v1, v7
	v_min3_f16 v1, v2, v3, v1
	v_cvt_f32_f16_e32 v1, v1
	v_max_f32_e32 v0, v0, v0
	v_min_f32_e32 v0, v0, v1
	v_cvt_f16_f32_e32 v2, v0
	v_lshl_add_u64 v[0:1], v[46:47], 1, v[4:5]
	flat_store_short v[0:1], v2
	s_endpgm
	.section	.rodata,"a",@progbits
	.p2align	6, 0x0
	.amdhsa_kernel _ZN12_GLOBAL__N_120geam_min_plus_kernelIDF16_Dv2_DF16_S1_Li32ELi8ELi256ELi64ELi4ELi64ELi4ELi4ELi64ELc78ELc78ELb1ELb1ELb1EDF16_KPKDF16_KPDF16_EEviiiT16_PT17_ilS9_ilS7_S9_ilPT18_ili26rocblas_geam_ex_operation_
		.amdhsa_group_segment_fixed_size 5120
		.amdhsa_private_segment_fixed_size 0
		.amdhsa_kernarg_size 128
		.amdhsa_user_sgpr_count 2
		.amdhsa_user_sgpr_dispatch_ptr 0
		.amdhsa_user_sgpr_queue_ptr 0
		.amdhsa_user_sgpr_kernarg_segment_ptr 1
		.amdhsa_user_sgpr_dispatch_id 0
		.amdhsa_user_sgpr_kernarg_preload_length 0
		.amdhsa_user_sgpr_kernarg_preload_offset 0
		.amdhsa_user_sgpr_private_segment_size 0
		.amdhsa_uses_dynamic_stack 0
		.amdhsa_enable_private_segment 0
		.amdhsa_system_sgpr_workgroup_id_x 1
		.amdhsa_system_sgpr_workgroup_id_y 0
		.amdhsa_system_sgpr_workgroup_id_z 1
		.amdhsa_system_sgpr_workgroup_info 0
		.amdhsa_system_vgpr_workitem_id 1
		.amdhsa_next_free_vgpr 148
		.amdhsa_next_free_sgpr 38
		.amdhsa_accum_offset 148
		.amdhsa_reserve_vcc 1
		.amdhsa_float_round_mode_32 0
		.amdhsa_float_round_mode_16_64 0
		.amdhsa_float_denorm_mode_32 3
		.amdhsa_float_denorm_mode_16_64 3
		.amdhsa_dx10_clamp 1
		.amdhsa_ieee_mode 1
		.amdhsa_fp16_overflow 0
		.amdhsa_tg_split 0
		.amdhsa_exception_fp_ieee_invalid_op 0
		.amdhsa_exception_fp_denorm_src 0
		.amdhsa_exception_fp_ieee_div_zero 0
		.amdhsa_exception_fp_ieee_overflow 0
		.amdhsa_exception_fp_ieee_underflow 0
		.amdhsa_exception_fp_ieee_inexact 0
		.amdhsa_exception_int_div_zero 0
	.end_amdhsa_kernel
	.section	.text._ZN12_GLOBAL__N_120geam_min_plus_kernelIDF16_Dv2_DF16_S1_Li32ELi8ELi256ELi64ELi4ELi64ELi4ELi4ELi64ELc78ELc78ELb1ELb1ELb1EDF16_KPKDF16_KPDF16_EEviiiT16_PT17_ilS9_ilS7_S9_ilPT18_ili26rocblas_geam_ex_operation_,"axG",@progbits,_ZN12_GLOBAL__N_120geam_min_plus_kernelIDF16_Dv2_DF16_S1_Li32ELi8ELi256ELi64ELi4ELi64ELi4ELi4ELi64ELc78ELc78ELb1ELb1ELb1EDF16_KPKDF16_KPDF16_EEviiiT16_PT17_ilS9_ilS7_S9_ilPT18_ili26rocblas_geam_ex_operation_,comdat
.Lfunc_end211:
	.size	_ZN12_GLOBAL__N_120geam_min_plus_kernelIDF16_Dv2_DF16_S1_Li32ELi8ELi256ELi64ELi4ELi64ELi4ELi4ELi64ELc78ELc78ELb1ELb1ELb1EDF16_KPKDF16_KPDF16_EEviiiT16_PT17_ilS9_ilS7_S9_ilPT18_ili26rocblas_geam_ex_operation_, .Lfunc_end211-_ZN12_GLOBAL__N_120geam_min_plus_kernelIDF16_Dv2_DF16_S1_Li32ELi8ELi256ELi64ELi4ELi64ELi4ELi4ELi64ELc78ELc78ELb1ELb1ELb1EDF16_KPKDF16_KPDF16_EEviiiT16_PT17_ilS9_ilS7_S9_ilPT18_ili26rocblas_geam_ex_operation_
                                        ; -- End function
	.set _ZN12_GLOBAL__N_120geam_min_plus_kernelIDF16_Dv2_DF16_S1_Li32ELi8ELi256ELi64ELi4ELi64ELi4ELi4ELi64ELc78ELc78ELb1ELb1ELb1EDF16_KPKDF16_KPDF16_EEviiiT16_PT17_ilS9_ilS7_S9_ilPT18_ili26rocblas_geam_ex_operation_.num_vgpr, 148
	.set _ZN12_GLOBAL__N_120geam_min_plus_kernelIDF16_Dv2_DF16_S1_Li32ELi8ELi256ELi64ELi4ELi64ELi4ELi4ELi64ELc78ELc78ELb1ELb1ELb1EDF16_KPKDF16_KPDF16_EEviiiT16_PT17_ilS9_ilS7_S9_ilPT18_ili26rocblas_geam_ex_operation_.num_agpr, 0
	.set _ZN12_GLOBAL__N_120geam_min_plus_kernelIDF16_Dv2_DF16_S1_Li32ELi8ELi256ELi64ELi4ELi64ELi4ELi4ELi64ELc78ELc78ELb1ELb1ELb1EDF16_KPKDF16_KPDF16_EEviiiT16_PT17_ilS9_ilS7_S9_ilPT18_ili26rocblas_geam_ex_operation_.numbered_sgpr, 38
	.set _ZN12_GLOBAL__N_120geam_min_plus_kernelIDF16_Dv2_DF16_S1_Li32ELi8ELi256ELi64ELi4ELi64ELi4ELi4ELi64ELc78ELc78ELb1ELb1ELb1EDF16_KPKDF16_KPDF16_EEviiiT16_PT17_ilS9_ilS7_S9_ilPT18_ili26rocblas_geam_ex_operation_.num_named_barrier, 0
	.set _ZN12_GLOBAL__N_120geam_min_plus_kernelIDF16_Dv2_DF16_S1_Li32ELi8ELi256ELi64ELi4ELi64ELi4ELi4ELi64ELc78ELc78ELb1ELb1ELb1EDF16_KPKDF16_KPDF16_EEviiiT16_PT17_ilS9_ilS7_S9_ilPT18_ili26rocblas_geam_ex_operation_.private_seg_size, 0
	.set _ZN12_GLOBAL__N_120geam_min_plus_kernelIDF16_Dv2_DF16_S1_Li32ELi8ELi256ELi64ELi4ELi64ELi4ELi4ELi64ELc78ELc78ELb1ELb1ELb1EDF16_KPKDF16_KPDF16_EEviiiT16_PT17_ilS9_ilS7_S9_ilPT18_ili26rocblas_geam_ex_operation_.uses_vcc, 1
	.set _ZN12_GLOBAL__N_120geam_min_plus_kernelIDF16_Dv2_DF16_S1_Li32ELi8ELi256ELi64ELi4ELi64ELi4ELi4ELi64ELc78ELc78ELb1ELb1ELb1EDF16_KPKDF16_KPDF16_EEviiiT16_PT17_ilS9_ilS7_S9_ilPT18_ili26rocblas_geam_ex_operation_.uses_flat_scratch, 0
	.set _ZN12_GLOBAL__N_120geam_min_plus_kernelIDF16_Dv2_DF16_S1_Li32ELi8ELi256ELi64ELi4ELi64ELi4ELi4ELi64ELc78ELc78ELb1ELb1ELb1EDF16_KPKDF16_KPDF16_EEviiiT16_PT17_ilS9_ilS7_S9_ilPT18_ili26rocblas_geam_ex_operation_.has_dyn_sized_stack, 0
	.set _ZN12_GLOBAL__N_120geam_min_plus_kernelIDF16_Dv2_DF16_S1_Li32ELi8ELi256ELi64ELi4ELi64ELi4ELi4ELi64ELc78ELc78ELb1ELb1ELb1EDF16_KPKDF16_KPDF16_EEviiiT16_PT17_ilS9_ilS7_S9_ilPT18_ili26rocblas_geam_ex_operation_.has_recursion, 0
	.set _ZN12_GLOBAL__N_120geam_min_plus_kernelIDF16_Dv2_DF16_S1_Li32ELi8ELi256ELi64ELi4ELi64ELi4ELi4ELi64ELc78ELc78ELb1ELb1ELb1EDF16_KPKDF16_KPDF16_EEviiiT16_PT17_ilS9_ilS7_S9_ilPT18_ili26rocblas_geam_ex_operation_.has_indirect_call, 0
	.section	.AMDGPU.csdata,"",@progbits
; Kernel info:
; codeLenInByte = 20264
; TotalNumSgprs: 44
; NumVgprs: 148
; NumAgprs: 0
; TotalNumVgprs: 148
; ScratchSize: 0
; MemoryBound: 0
; FloatMode: 240
; IeeeMode: 1
; LDSByteSize: 5120 bytes/workgroup (compile time only)
; SGPRBlocks: 5
; VGPRBlocks: 18
; NumSGPRsForWavesPerEU: 44
; NumVGPRsForWavesPerEU: 148
; AccumOffset: 148
; Occupancy: 3
; WaveLimiterHint : 1
; COMPUTE_PGM_RSRC2:SCRATCH_EN: 0
; COMPUTE_PGM_RSRC2:USER_SGPR: 2
; COMPUTE_PGM_RSRC2:TRAP_HANDLER: 0
; COMPUTE_PGM_RSRC2:TGID_X_EN: 1
; COMPUTE_PGM_RSRC2:TGID_Y_EN: 0
; COMPUTE_PGM_RSRC2:TGID_Z_EN: 1
; COMPUTE_PGM_RSRC2:TIDIG_COMP_CNT: 1
; COMPUTE_PGM_RSRC3_GFX90A:ACCUM_OFFSET: 36
; COMPUTE_PGM_RSRC3_GFX90A:TG_SPLIT: 0
	.section	.text._ZN12_GLOBAL__N_120geam_min_plus_kernelIDF16_Dv2_DF16_S1_Li32ELi8ELi256ELi64ELi4ELi64ELi4ELi4ELi64ELc78ELc78ELb0ELb1ELb1EDF16_KPKDF16_KPDF16_EEviiiT16_PT17_ilS9_ilS7_S9_ilPT18_ili26rocblas_geam_ex_operation_,"axG",@progbits,_ZN12_GLOBAL__N_120geam_min_plus_kernelIDF16_Dv2_DF16_S1_Li32ELi8ELi256ELi64ELi4ELi64ELi4ELi4ELi64ELc78ELc78ELb0ELb1ELb1EDF16_KPKDF16_KPDF16_EEviiiT16_PT17_ilS9_ilS7_S9_ilPT18_ili26rocblas_geam_ex_operation_,comdat
	.globl	_ZN12_GLOBAL__N_120geam_min_plus_kernelIDF16_Dv2_DF16_S1_Li32ELi8ELi256ELi64ELi4ELi64ELi4ELi4ELi64ELc78ELc78ELb0ELb1ELb1EDF16_KPKDF16_KPDF16_EEviiiT16_PT17_ilS9_ilS7_S9_ilPT18_ili26rocblas_geam_ex_operation_ ; -- Begin function _ZN12_GLOBAL__N_120geam_min_plus_kernelIDF16_Dv2_DF16_S1_Li32ELi8ELi256ELi64ELi4ELi64ELi4ELi4ELi64ELc78ELc78ELb0ELb1ELb1EDF16_KPKDF16_KPDF16_EEviiiT16_PT17_ilS9_ilS7_S9_ilPT18_ili26rocblas_geam_ex_operation_
	.p2align	8
	.type	_ZN12_GLOBAL__N_120geam_min_plus_kernelIDF16_Dv2_DF16_S1_Li32ELi8ELi256ELi64ELi4ELi64ELi4ELi4ELi64ELc78ELc78ELb0ELb1ELb1EDF16_KPKDF16_KPDF16_EEviiiT16_PT17_ilS9_ilS7_S9_ilPT18_ili26rocblas_geam_ex_operation_,@function
_ZN12_GLOBAL__N_120geam_min_plus_kernelIDF16_Dv2_DF16_S1_Li32ELi8ELi256ELi64ELi4ELi64ELi4ELi4ELi64ELc78ELc78ELb0ELb1ELb1EDF16_KPKDF16_KPDF16_EEviiiT16_PT17_ilS9_ilS7_S9_ilPT18_ili26rocblas_geam_ex_operation_: ; @_ZN12_GLOBAL__N_120geam_min_plus_kernelIDF16_Dv2_DF16_S1_Li32ELi8ELi256ELi64ELi4ELi64ELi4ELi4ELi64ELc78ELc78ELb0ELb1ELb1EDF16_KPKDF16_KPDF16_EEviiiT16_PT17_ilS9_ilS7_S9_ilPT18_ili26rocblas_geam_ex_operation_
; %bb.0:
	s_load_dwordx4 s[20:23], s[0:1], 0x0
	s_load_dwordx4 s[4:7], s[0:1], 0x20
	s_mov_b32 s8, s3
	s_mov_b32 s9, 0
	s_waitcnt lgkmcnt(0)
	v_cmp_eq_f16_e64 s[10:11], s23, 0
	s_and_b64 vcc, exec, s[10:11]
	s_cbranch_vccnz .LBB212_3
; %bb.1:
	s_load_dwordx2 s[12:13], s[0:1], 0x10
	s_lshl_b64 s[14:15], s[8:9], 3
	s_waitcnt lgkmcnt(0)
	s_add_u32 s12, s12, s14
	s_addc_u32 s13, s13, s15
	s_load_dwordx2 s[12:13], s[12:13], 0x0
	s_lshl_b64 s[4:5], s[4:5], 1
	s_waitcnt lgkmcnt(0)
	s_add_u32 s16, s12, s4
	s_addc_u32 s17, s13, s5
	s_andn2_b64 vcc, exec, s[10:11]
	s_cbranch_vccnz .LBB212_4
.LBB212_2:
	s_mov_b32 s11, 0
	s_mov_b32 s10, s8
	s_mov_b64 s[24:25], 0
	s_mov_b64 s[28:29], 0
	s_cbranch_execz .LBB212_5
	s_branch .LBB212_6
.LBB212_3:
	s_mov_b64 s[16:17], 0
	s_andn2_b64 vcc, exec, s[10:11]
	s_cbranch_vccz .LBB212_2
.LBB212_4:
	s_mov_b64 s[10:11], s[8:9]
	s_mov_b64 s[24:25], 0
	;; [unrolled: 1-line block ×3, first 2 shown]
.LBB212_5:
	s_lshl_b64 s[8:9], s[8:9], 3
	s_add_u32 s6, s6, s8
	s_load_dwordx2 s[4:5], s[0:1], 0x38
	s_addc_u32 s7, s7, s9
	s_load_dwordx2 s[6:7], s[6:7], 0x0
	s_waitcnt lgkmcnt(0)
	s_lshl_b64 s[4:5], s[4:5], 1
	s_add_u32 s28, s6, s4
	s_addc_u32 s29, s7, s5
.LBB212_6:
	s_load_dword s30, s[0:1], 0x40
	s_load_dwordx4 s[4:7], s[0:1], 0x58
	s_waitcnt lgkmcnt(0)
	v_cmp_eq_f16_e64 s[8:9], s30, 0
	v_cmp_neq_f16_e64 s[14:15], s30, 0
	s_and_b64 vcc, exec, s[8:9]
	s_cbranch_vccnz .LBB212_8
; %bb.7:
	s_load_dwordx2 s[8:9], s[0:1], 0x48
	s_lshl_b64 s[12:13], s[10:11], 3
	s_waitcnt lgkmcnt(0)
	s_add_u32 s8, s8, s12
	s_addc_u32 s9, s9, s13
	s_load_dwordx2 s[8:9], s[8:9], 0x0
	s_lshl_b64 s[4:5], s[4:5], 1
	s_waitcnt lgkmcnt(0)
	s_add_u32 s24, s8, s4
	s_addc_u32 s25, s9, s5
.LBB212_8:
	s_lshl_b64 s[4:5], s[10:11], 3
	s_add_u32 s26, s6, s4
	s_addc_u32 s27, s7, s5
	s_add_i32 s10, s20, -1
	s_ashr_i32 s3, s10, 31
	s_lshr_b32 s3, s3, 24
	s_add_i32 s3, s10, s3
	s_ashr_i32 s3, s3, 8
	s_add_i32 s4, s3, 1
	v_cvt_f32_u32_e32 v1, s4
	v_and_b32_e32 v44, 0x3ff, v0
	v_bfe_u32 v45, v0, 10, 10
	s_not_b32 s3, s3
	v_rcp_iflag_f32_e32 v1, v1
	s_load_dword s34, s[0:1], 0x18
	v_lshl_add_u32 v7, v45, 5, v44
	v_and_b32_e32 v2, 63, v7
	v_mul_f32_e32 v0, 0x4f7ffffe, v1
	v_cvt_u32_f32_e32 v0, v0
	v_lshrrev_b32_e32 v46, 6, v7
	v_cmp_le_i32_e64 s[8:9], s22, v46
	v_cmp_eq_f16_e64 s[18:19], s23, 0
	v_readfirstlane_b32 s5, v0
	s_mul_i32 s3, s3, s5
	s_mul_hi_u32 s3, s5, s3
	s_add_i32 s5, s5, s3
	s_mul_hi_u32 s3, s2, s5
	s_mul_i32 s5, s3, s4
	s_sub_i32 s5, s2, s5
	s_add_i32 s6, s3, 1
	s_sub_i32 s7, s5, s4
	s_cmp_ge_u32 s5, s4
	s_cselect_b32 s3, s6, s3
	s_cselect_b32 s5, s7, s5
	s_add_i32 s6, s3, 1
	s_cmp_ge_u32 s5, s4
	s_cselect_b32 s11, s6, s3
	s_mul_i32 s3, s11, s4
	s_sub_i32 s2, s2, s3
	s_lshl_b32 s31, s2, 8
	s_add_i32 s35, s22, -1
	v_or_b32_e32 v32, s31, v2
	v_min_i32_e32 v0, s35, v46
	s_waitcnt lgkmcnt(0)
	v_mad_i64_i32 v[0:1], s[2:3], s34, v0, 0
	v_cmp_le_i32_e32 vcc, s20, v32
	v_mov_b32_e32 v4, 0x7c00
	s_or_b64 s[2:3], vcc, s[8:9]
	v_lshl_add_u64 v[0:1], v[0:1], 1, s[16:17]
	v_cndmask_b32_e64 v3, 0, v4, s[2:3]
	s_nor_b64 s[4:5], s[18:19], s[2:3]
	v_ashrrev_i32_e32 v33, 31, v32
	s_and_saveexec_b64 s[2:3], s[4:5]
	s_cbranch_execz .LBB212_10
; %bb.9:
	v_lshl_add_u64 v[8:9], v[32:33], 1, v[0:1]
	flat_load_ushort v3, v[8:9]
	s_waitcnt vmcnt(0) lgkmcnt(0)
	v_mul_f16_e32 v3, s23, v3
.LBB212_10:
	s_or_b64 exec, exec, s[2:3]
	v_or_b32_e32 v5, 64, v32
	v_cmp_le_i32_e64 s[2:3], s20, v5
	v_min_i32_e32 v34, s10, v5
	s_or_b64 s[4:5], s[2:3], s[8:9]
	v_cndmask_b32_e64 v4, 0, v4, s[4:5]
	s_nor_b64 s[6:7], s[4:5], s[18:19]
	v_ashrrev_i32_e32 v35, 31, v34
	s_and_saveexec_b64 s[4:5], s[6:7]
	s_cbranch_execz .LBB212_12
; %bb.11:
	v_lshl_add_u64 v[4:5], v[34:35], 1, v[0:1]
	flat_load_ushort v4, v[4:5]
	s_waitcnt vmcnt(0) lgkmcnt(0)
	v_mul_f16_e32 v4, s23, v4
.LBB212_12:
	s_or_b64 exec, exec, s[4:5]
	v_or_b32_e32 v5, 0x80, v32
	v_cmp_le_i32_e64 s[4:5], s20, v5
	v_min_i32_e32 v36, s10, v5
	v_mov_b32_e32 v6, 0x7c00
	s_or_b64 s[6:7], s[4:5], s[8:9]
	v_cndmask_b32_e64 v5, 0, v6, s[6:7]
	s_nor_b64 s[12:13], s[6:7], s[18:19]
	v_ashrrev_i32_e32 v37, 31, v36
	s_and_saveexec_b64 s[6:7], s[12:13]
	s_cbranch_execz .LBB212_14
; %bb.13:
	v_lshl_add_u64 v[8:9], v[36:37], 1, v[0:1]
	flat_load_ushort v5, v[8:9]
	s_waitcnt vmcnt(0) lgkmcnt(0)
	v_mul_f16_e32 v5, s23, v5
.LBB212_14:
	s_or_b64 exec, exec, s[6:7]
	v_or_b32_e32 v8, 0xc0, v32
	v_cmp_le_i32_e64 s[6:7], s20, v8
	v_min_i32_e32 v38, s10, v8
	s_or_b64 s[8:9], s[6:7], s[8:9]
	v_cndmask_b32_e64 v6, 0, v6, s[8:9]
	s_nor_b64 s[12:13], s[8:9], s[18:19]
	v_ashrrev_i32_e32 v39, 31, v38
	s_and_saveexec_b64 s[8:9], s[12:13]
	s_cbranch_execz .LBB212_16
; %bb.15:
	v_lshl_add_u64 v[0:1], v[38:39], 1, v[0:1]
	flat_load_ushort v0, v[0:1]
	s_waitcnt vmcnt(0) lgkmcnt(0)
	v_mul_f16_e32 v6, s23, v0
.LBB212_16:
	s_or_b64 exec, exec, s[8:9]
	s_load_dword s37, s[0:1], 0x30
	v_lshrrev_b32_e32 v7, 2, v7
	s_lshl_b32 s33, s11, 6
	v_and_b32_e32 v49, 3, v44
	v_add_u32_e32 v29, s33, v7
	v_cmp_le_i32_e64 s[10:11], s22, v49
	v_cmp_le_i32_e64 s[8:9], s21, v29
	v_mov_b32_e32 v9, 0x7c00
	s_or_b64 s[10:11], s[10:11], s[8:9]
	v_cndmask_b32_e64 v8, 0, v9, s[10:11]
	s_nor_b64 s[12:13], s[18:19], s[10:11]
	s_and_saveexec_b64 s[10:11], s[12:13]
	s_cbranch_execz .LBB212_18
; %bb.17:
	s_waitcnt lgkmcnt(0)
	v_mad_i64_i32 v[0:1], s[12:13], v29, s37, 0
	v_min_u32_e32 v8, s35, v49
	v_lshl_add_u64 v[0:1], v[0:1], 1, s[28:29]
	v_lshlrev_b32_e32 v10, 1, v8
	v_mov_b32_e32 v11, 0
	v_lshl_add_u64 v[0:1], v[0:1], 0, v[10:11]
	flat_load_ushort v0, v[0:1]
	s_waitcnt vmcnt(0) lgkmcnt(0)
	v_mul_f16_e32 v8, s23, v0
.LBB212_18:
	s_or_b64 exec, exec, s[10:11]
	v_add_u32_e32 v0, 4, v46
	v_cmp_le_i32_e64 s[10:11], s22, v0
	v_min_i32_e32 v0, s35, v0
	v_mad_i64_i32 v[0:1], s[12:13], s34, v0, 0
	s_or_b64 s[12:13], vcc, s[10:11]
	v_lshl_add_u64 v[0:1], v[0:1], 1, s[16:17]
	v_cndmask_b32_e64 v30, 0, v9, s[12:13]
	s_nor_b64 s[38:39], s[18:19], s[12:13]
	s_and_saveexec_b64 s[12:13], s[38:39]
	s_cbranch_execz .LBB212_20
; %bb.19:
	v_lshl_add_u64 v[10:11], v[32:33], 1, v[0:1]
	flat_load_ushort v9, v[10:11]
	s_waitcnt vmcnt(0) lgkmcnt(0)
	v_mul_f16_e32 v30, s23, v9
.LBB212_20:
	s_or_b64 exec, exec, s[12:13]
	v_mov_b32_e32 v9, 0x7c00
	s_or_b64 s[12:13], s[2:3], s[10:11]
	v_cndmask_b32_e64 v31, 0, v9, s[12:13]
	s_nor_b64 s[38:39], s[12:13], s[18:19]
	s_and_saveexec_b64 s[12:13], s[38:39]
	s_cbranch_execz .LBB212_22
; %bb.21:
	v_lshl_add_u64 v[10:11], v[34:35], 1, v[0:1]
	flat_load_ushort v10, v[10:11]
	s_waitcnt vmcnt(0) lgkmcnt(0)
	v_mul_f16_e32 v31, s23, v10
.LBB212_22:
	s_or_b64 exec, exec, s[12:13]
	s_or_b64 s[12:13], s[4:5], s[10:11]
	v_cndmask_b32_e64 v40, 0, v9, s[12:13]
	s_nor_b64 s[38:39], s[12:13], s[18:19]
	s_and_saveexec_b64 s[12:13], s[38:39]
	s_cbranch_execz .LBB212_24
; %bb.23:
	v_lshl_add_u64 v[10:11], v[36:37], 1, v[0:1]
	flat_load_ushort v9, v[10:11]
	s_waitcnt vmcnt(0) lgkmcnt(0)
	v_mul_f16_e32 v40, s23, v9
.LBB212_24:
	s_or_b64 exec, exec, s[12:13]
	v_mov_b32_e32 v9, 0x7c00
	s_or_b64 s[10:11], s[6:7], s[10:11]
	v_cndmask_b32_e64 v41, 0, v9, s[10:11]
	s_nor_b64 s[12:13], s[10:11], s[18:19]
	s_and_saveexec_b64 s[10:11], s[12:13]
	s_cbranch_execz .LBB212_26
; %bb.25:
	v_lshl_add_u64 v[0:1], v[38:39], 1, v[0:1]
	flat_load_ushort v0, v[0:1]
	s_waitcnt vmcnt(0) lgkmcnt(0)
	v_mul_f16_e32 v41, s23, v0
.LBB212_26:
	s_or_b64 exec, exec, s[10:11]
	v_or_b32_e32 v0, 4, v49
	v_cmp_le_i32_e64 s[10:11], s22, v0
	s_or_b64 s[10:11], s[10:11], s[8:9]
	s_nor_b64 s[38:39], s[18:19], s[10:11]
	v_cndmask_b32_e64 v42, 0, v9, s[10:11]
	s_movk_i32 s12, 0x7c00
	s_and_saveexec_b64 s[10:11], s[38:39]
	s_cbranch_execz .LBB212_28
; %bb.27:
	s_waitcnt lgkmcnt(0)
	v_mad_i64_i32 v[10:11], s[38:39], v29, s37, 0
	v_min_u32_e32 v0, s35, v0
	v_lshl_add_u64 v[10:11], v[10:11], 1, s[28:29]
	v_lshlrev_b32_e32 v0, 1, v0
	v_mov_b32_e32 v1, 0
	v_lshl_add_u64 v[0:1], v[10:11], 0, v[0:1]
	flat_load_ushort v0, v[0:1]
	s_waitcnt vmcnt(0) lgkmcnt(0)
	v_mul_f16_e32 v42, s23, v0
.LBB212_28:
	s_or_b64 exec, exec, s[10:11]
	v_lshlrev_b32_e32 v0, 3, v2
	v_lshlrev_b32_e32 v28, 1, v49
	;; [unrolled: 1-line block ×3, first 2 shown]
	v_lshl_add_u32 v50, v46, 1, v0
	v_lshl_or_b32 v43, v7, 3, v28
	v_lshlrev_b32_e32 v48, 3, v44
	v_add_u32_e32 v51, 0x1000, v47
	s_load_dwordx2 s[26:27], s[26:27], 0x0
	ds_write_b16 v50, v3
	ds_write_b16 v50, v4 offset:512
	ds_write_b16 v50, v5 offset:1024
	;; [unrolled: 1-line block ×4, first 2 shown]
	s_waitcnt lgkmcnt(0)
	s_barrier
	ds_read2_b64 v[16:19], v48 offset1:32
	ds_read2_b64 v[12:15], v48 offset0:64 offset1:96
	ds_read2_b64 v[4:7], v48 offset0:128 offset1:160
	ds_read2_b64 v[52:55], v51 offset1:8
	ds_read2_b64 v[0:3], v48 offset0:192 offset1:224
	ds_read2_b64 v[24:27], v51 offset0:16 offset1:24
	;; [unrolled: 1-line block ×4, first 2 shown]
	s_cmp_lt_i32 s22, 9
	s_waitcnt lgkmcnt(4)
	v_pk_add_f16 v56, v16, v52
	v_pk_add_f16 v57, v18, v52
	;; [unrolled: 1-line block ×6, first 2 shown]
	s_waitcnt lgkmcnt(3)
	v_pk_add_f16 v62, v0, v52
	v_pk_add_f16 v52, v2, v52
	v_pk_add_f16 v63, v16, v54
	v_pk_add_f16 v64, v18, v54
	v_pk_add_f16 v65, v12, v54
	v_pk_add_f16 v66, v14, v54
	v_pk_add_f16 v67, v4, v54
	v_pk_add_f16 v68, v6, v54
	v_pk_add_f16 v69, v0, v54
	v_pk_add_f16 v54, v2, v54
	s_waitcnt lgkmcnt(2)
	v_pk_add_f16 v70, v16, v24
	v_pk_add_f16 v71, v18, v24
	v_pk_add_f16 v72, v12, v24
	v_pk_add_f16 v73, v14, v24
	v_pk_add_f16 v74, v4, v24
	v_pk_add_f16 v75, v6, v24
	v_pk_add_f16 v76, v0, v24
	v_pk_add_f16 v24, v2, v24
	v_pk_add_f16 v77, v16, v26
	v_pk_add_f16 v78, v18, v26
	v_pk_add_f16 v79, v12, v26
	v_pk_add_f16 v80, v14, v26
	v_pk_add_f16 v81, v4, v26
	v_pk_add_f16 v82, v6, v26
	v_pk_add_f16 v83, v0, v26
	v_pk_add_f16 v26, v2, v26
	s_waitcnt lgkmcnt(1)
	v_pk_add_f16 v101, v16, v20
	v_pk_add_f16 v117, v18, v20
	v_pk_add_f16 v118, v12, v20
	v_pk_add_f16 v119, v14, v20
	v_pk_add_f16 v120, v4, v20
	v_pk_add_f16 v121, v6, v20
	;; [unrolled: 17-line block ×3, first 2 shown]
	v_pk_add_f16 v136, v0, v8
	v_pk_add_f16 v8, v2, v8
	;; [unrolled: 1-line block ×11, first 2 shown]
	v_pk_min_f16 v10, v56, s12 op_sel_hi:[1,0]
	v_pk_min_f16 v8, v8, s12 op_sel_hi:[1,0]
	v_pk_min_f16 v116, v10, v2
	v_pk_add_f16 v2, v19, v53
	v_pk_min_f16 v10, v57, s12 op_sel_hi:[1,0]
	v_pk_min_f16 v4, v4, s12 op_sel_hi:[1,0]
	v_pk_min_f16 v115, v10, v2
	v_pk_add_f16 v2, v13, v53
	;; [unrolled: 4-line block ×3, first 2 shown]
	v_pk_min_f16 v10, v59, s12 op_sel_hi:[1,0]
	ds_write_b16 v50, v30 offset:2048
	ds_write_b16 v50, v31 offset:2560
	ds_write_b16 v50, v40 offset:3072
	ds_write_b16 v50, v41 offset:3584
	ds_write_b16 v43, v42 offset:4608
	v_pk_min_f16 v113, v10, v2
	v_pk_add_f16 v2, v5, v53
	v_pk_min_f16 v10, v60, s12 op_sel_hi:[1,0]
	s_waitcnt lgkmcnt(0)
	v_pk_min_f16 v112, v10, v2
	v_pk_add_f16 v2, v7, v53
	v_pk_min_f16 v10, v61, s12 op_sel_hi:[1,0]
	s_barrier
	v_pk_min_f16 v111, v10, v2
	v_pk_add_f16 v2, v1, v53
	v_pk_min_f16 v10, v62, s12 op_sel_hi:[1,0]
	s_nop 0
	v_pk_min_f16 v110, v10, v2
	v_pk_add_f16 v2, v3, v53
	v_pk_min_f16 v10, v52, s12 op_sel_hi:[1,0]
	s_nop 0
	v_pk_min_f16 v109, v10, v2
	v_pk_add_f16 v2, v17, v55
	v_pk_min_f16 v10, v63, s12 op_sel_hi:[1,0]
	s_nop 0
	v_pk_min_f16 v108, v10, v2
	v_pk_add_f16 v2, v19, v55
	v_pk_min_f16 v10, v64, s12 op_sel_hi:[1,0]
	s_nop 0
	v_pk_min_f16 v107, v10, v2
	v_pk_add_f16 v2, v13, v55
	v_pk_min_f16 v10, v65, s12 op_sel_hi:[1,0]
	s_nop 0
	v_pk_min_f16 v105, v10, v2
	v_pk_add_f16 v2, v15, v55
	v_pk_min_f16 v10, v66, s12 op_sel_hi:[1,0]
	s_nop 0
	v_pk_min_f16 v103, v10, v2
	v_pk_add_f16 v2, v5, v55
	v_pk_min_f16 v10, v67, s12 op_sel_hi:[1,0]
	s_nop 0
	v_pk_min_f16 v100, v10, v2
	v_pk_add_f16 v2, v7, v55
	v_pk_min_f16 v10, v68, s12 op_sel_hi:[1,0]
	s_nop 0
	v_pk_min_f16 v98, v10, v2
	v_pk_add_f16 v2, v1, v55
	v_pk_min_f16 v10, v69, s12 op_sel_hi:[1,0]
	s_nop 0
	v_pk_min_f16 v96, v10, v2
	v_pk_add_f16 v2, v3, v55
	v_pk_min_f16 v10, v54, s12 op_sel_hi:[1,0]
	s_nop 0
	v_pk_min_f16 v94, v10, v2
	v_pk_add_f16 v2, v17, v25
	v_pk_min_f16 v10, v70, s12 op_sel_hi:[1,0]
	s_nop 0
	v_pk_min_f16 v92, v10, v2
	v_pk_add_f16 v2, v19, v25
	v_pk_min_f16 v10, v71, s12 op_sel_hi:[1,0]
	s_nop 0
	v_pk_min_f16 v90, v10, v2
	v_pk_add_f16 v2, v13, v25
	v_pk_min_f16 v10, v72, s12 op_sel_hi:[1,0]
	s_nop 0
	v_pk_min_f16 v88, v10, v2
	v_pk_add_f16 v2, v15, v25
	v_pk_min_f16 v10, v73, s12 op_sel_hi:[1,0]
	s_nop 0
	v_pk_min_f16 v106, v10, v2
	v_pk_add_f16 v2, v5, v25
	v_pk_min_f16 v10, v74, s12 op_sel_hi:[1,0]
	s_nop 0
	v_pk_min_f16 v104, v10, v2
	v_pk_add_f16 v2, v7, v25
	v_pk_min_f16 v10, v75, s12 op_sel_hi:[1,0]
	s_nop 0
	v_pk_min_f16 v102, v10, v2
	v_pk_add_f16 v2, v1, v25
	v_pk_min_f16 v10, v76, s12 op_sel_hi:[1,0]
	s_nop 0
	v_pk_min_f16 v99, v10, v2
	v_pk_add_f16 v2, v3, v25
	v_pk_min_f16 v10, v24, s12 op_sel_hi:[1,0]
	s_nop 0
	v_pk_min_f16 v97, v10, v2
	v_pk_add_f16 v2, v17, v27
	v_pk_min_f16 v10, v77, s12 op_sel_hi:[1,0]
	s_nop 0
	v_pk_min_f16 v95, v10, v2
	v_pk_add_f16 v2, v19, v27
	v_pk_min_f16 v10, v78, s12 op_sel_hi:[1,0]
	s_nop 0
	v_pk_min_f16 v93, v10, v2
	v_pk_add_f16 v2, v13, v27
	v_pk_min_f16 v10, v79, s12 op_sel_hi:[1,0]
	s_nop 0
	v_pk_min_f16 v91, v10, v2
	v_pk_add_f16 v2, v15, v27
	v_pk_min_f16 v10, v80, s12 op_sel_hi:[1,0]
	s_nop 0
	v_pk_min_f16 v89, v10, v2
	v_pk_add_f16 v2, v5, v27
	v_pk_min_f16 v10, v81, s12 op_sel_hi:[1,0]
	s_nop 0
	v_pk_min_f16 v87, v10, v2
	v_pk_add_f16 v2, v7, v27
	v_pk_min_f16 v10, v82, s12 op_sel_hi:[1,0]
	s_nop 0
	v_pk_min_f16 v86, v10, v2
	v_pk_add_f16 v2, v1, v27
	v_pk_min_f16 v10, v83, s12 op_sel_hi:[1,0]
	s_nop 0
	v_pk_min_f16 v85, v10, v2
	v_pk_add_f16 v2, v3, v27
	v_pk_min_f16 v10, v26, s12 op_sel_hi:[1,0]
	s_nop 0
	v_pk_min_f16 v84, v10, v2
	v_pk_add_f16 v2, v17, v21
	v_pk_min_f16 v10, v101, s12 op_sel_hi:[1,0]
	s_nop 0
	v_pk_min_f16 v83, v10, v2
	v_pk_add_f16 v2, v19, v21
	v_pk_min_f16 v10, v117, s12 op_sel_hi:[1,0]
	s_nop 0
	v_pk_min_f16 v82, v10, v2
	v_pk_add_f16 v2, v13, v21
	v_pk_min_f16 v10, v118, s12 op_sel_hi:[1,0]
	s_nop 0
	v_pk_min_f16 v81, v10, v2
	v_pk_add_f16 v2, v15, v21
	v_pk_min_f16 v10, v119, s12 op_sel_hi:[1,0]
	s_nop 0
	v_pk_min_f16 v80, v10, v2
	v_pk_add_f16 v2, v5, v21
	v_pk_min_f16 v10, v120, s12 op_sel_hi:[1,0]
	s_nop 0
	v_pk_min_f16 v79, v10, v2
	v_pk_add_f16 v2, v7, v21
	v_pk_min_f16 v10, v121, s12 op_sel_hi:[1,0]
	s_nop 0
	v_pk_min_f16 v78, v10, v2
	v_pk_add_f16 v2, v1, v21
	v_pk_min_f16 v10, v122, s12 op_sel_hi:[1,0]
	s_nop 0
	v_pk_min_f16 v77, v10, v2
	v_pk_add_f16 v2, v3, v21
	v_pk_min_f16 v10, v20, s12 op_sel_hi:[1,0]
	s_nop 0
	v_pk_min_f16 v76, v10, v2
	v_pk_add_f16 v2, v17, v23
	v_pk_min_f16 v10, v123, s12 op_sel_hi:[1,0]
	s_nop 0
	v_pk_min_f16 v75, v10, v2
	v_pk_add_f16 v2, v19, v23
	v_pk_min_f16 v10, v124, s12 op_sel_hi:[1,0]
	s_nop 0
	v_pk_min_f16 v74, v10, v2
	v_pk_add_f16 v2, v13, v23
	v_pk_min_f16 v10, v125, s12 op_sel_hi:[1,0]
	s_nop 0
	v_pk_min_f16 v73, v10, v2
	v_pk_add_f16 v2, v15, v23
	v_pk_min_f16 v10, v126, s12 op_sel_hi:[1,0]
	s_nop 0
	v_pk_min_f16 v72, v10, v2
	v_pk_add_f16 v2, v5, v23
	v_pk_min_f16 v10, v127, s12 op_sel_hi:[1,0]
	s_nop 0
	v_pk_min_f16 v71, v10, v2
	v_pk_add_f16 v2, v7, v23
	v_pk_min_f16 v10, v128, s12 op_sel_hi:[1,0]
	s_nop 0
	v_pk_min_f16 v70, v10, v2
	v_pk_add_f16 v2, v1, v23
	v_pk_min_f16 v10, v129, s12 op_sel_hi:[1,0]
	s_nop 0
	v_pk_min_f16 v69, v10, v2
	v_pk_add_f16 v2, v3, v23
	v_pk_min_f16 v10, v22, s12 op_sel_hi:[1,0]
	s_nop 0
	v_pk_min_f16 v68, v10, v2
	v_pk_add_f16 v2, v17, v9
	v_pk_min_f16 v10, v130, s12 op_sel_hi:[1,0]
	s_nop 0
	v_pk_min_f16 v67, v10, v2
	v_pk_add_f16 v2, v19, v9
	v_pk_min_f16 v10, v131, s12 op_sel_hi:[1,0]
	s_nop 0
	v_pk_min_f16 v66, v10, v2
	v_pk_add_f16 v2, v13, v9
	v_pk_min_f16 v10, v132, s12 op_sel_hi:[1,0]
	s_nop 0
	v_pk_min_f16 v65, v10, v2
	v_pk_add_f16 v2, v15, v9
	v_pk_min_f16 v10, v133, s12 op_sel_hi:[1,0]
	s_nop 0
	v_pk_min_f16 v64, v10, v2
	v_pk_add_f16 v2, v5, v9
	v_pk_min_f16 v10, v134, s12 op_sel_hi:[1,0]
	s_nop 0
	v_pk_min_f16 v63, v10, v2
	v_pk_add_f16 v2, v7, v9
	v_pk_min_f16 v10, v135, s12 op_sel_hi:[1,0]
	s_nop 0
	v_pk_min_f16 v62, v10, v2
	v_pk_add_f16 v2, v1, v9
	v_pk_min_f16 v10, v136, s12 op_sel_hi:[1,0]
	v_pk_add_f16 v1, v1, v11
	v_pk_min_f16 v61, v10, v2
	v_pk_add_f16 v2, v3, v9
	s_nop 0
	v_pk_min_f16 v60, v8, v2
	v_pk_add_f16 v2, v17, v11
	v_pk_min_f16 v8, v16, s12 op_sel_hi:[1,0]
	s_nop 0
	v_pk_min_f16 v59, v8, v2
	v_pk_add_f16 v2, v19, v11
	v_pk_min_f16 v8, v18, s12 op_sel_hi:[1,0]
	;; [unrolled: 4-line block ×4, first 2 shown]
	s_nop 0
	v_pk_min_f16 v56, v8, v2
	v_pk_add_f16 v2, v5, v11
	s_nop 0
	v_pk_min_f16 v54, v4, v2
	v_pk_add_f16 v2, v7, v11
	v_pk_min_f16 v4, v6, s12 op_sel_hi:[1,0]
	s_nop 0
	v_pk_min_f16 v53, v4, v2
	v_pk_min_f16 v2, v137, s12 op_sel_hi:[1,0]
	s_nop 0
	v_pk_min_f16 v52, v2, v1
	v_pk_add_f16 v1, v3, v11
	s_nop 0
	v_pk_min_f16 v55, v0, v1
	s_cbranch_scc1 .LBB212_51
; %bb.29:
	v_mov_b32_e32 v0, 0x800
	v_lshl_add_u32 v119, v44, 3, v0
	v_mov_b32_e32 v0, 0x1200
	v_lshl_add_u32 v120, v45, 3, v0
	v_mad_i64_i32 v[0:1], s[10:11], s37, v29, 0
	v_mov_b32_e32 v29, 0
	v_lshl_add_u64 v[0:1], v[0:1], 1, v[28:29]
	v_lshl_add_u64 v[0:1], s[28:29], 0, v[0:1]
	v_add_u32_e32 v101, 0x1000, v43
	v_add_u32_e32 v117, 0x800, v50
	;; [unrolled: 1-line block ×3, first 2 shown]
	s_add_i32 s36, s22, -8
	v_lshl_add_u64 v[40:41], v[0:1], 0, 24
	s_mov_b32 s28, 0
	v_mov_b32_e32 v121, 0x7c00
	s_branch .LBB212_31
.LBB212_30:                             ;   in Loop: Header=BB212_31 Depth=1
	s_or_b64 exec, exec, s[10:11]
	v_pk_add_f16 v43, v16, v28
	v_pk_max_f16 v116, v116, v116
	v_pk_max_f16 v115, v115, v115
	v_pk_min_f16 v43, v116, v43
	v_pk_add_f16 v116, v18, v28
	v_pk_max_f16 v114, v114, v114
	v_pk_min_f16 v115, v115, v116
	v_pk_add_f16 v116, v12, v28
	v_pk_max_f16 v113, v113, v113
	v_pk_min_f16 v114, v114, v116
	v_pk_add_f16 v116, v14, v28
	v_pk_max_f16 v112, v112, v112
	v_pk_min_f16 v113, v113, v116
	v_pk_add_f16 v116, v4, v28
	v_pk_max_f16 v111, v111, v111
	v_pk_min_f16 v112, v112, v116
	v_pk_add_f16 v116, v6, v28
	v_pk_max_f16 v109, v109, v109
	v_pk_min_f16 v111, v111, v116
	v_pk_add_f16 v116, v0, v28
	v_pk_add_f16 v28, v2, v28
	v_pk_max_f16 v108, v108, v108
	v_pk_min_f16 v28, v109, v28
	v_pk_add_f16 v109, v16, v30
	v_pk_max_f16 v107, v107, v107
	v_pk_min_f16 v108, v108, v109
	v_pk_add_f16 v109, v18, v30
	v_pk_max_f16 v105, v105, v105
	v_pk_min_f16 v107, v107, v109
	v_pk_add_f16 v109, v12, v30
	v_pk_max_f16 v103, v103, v103
	v_pk_min_f16 v105, v105, v109
	v_pk_add_f16 v109, v14, v30
	v_pk_max_f16 v100, v100, v100
	v_pk_min_f16 v103, v103, v109
	v_pk_add_f16 v109, v4, v30
	v_pk_max_f16 v98, v98, v98
	v_pk_min_f16 v100, v100, v109
	v_pk_add_f16 v109, v6, v30
	v_pk_max_f16 v94, v94, v94
	v_pk_min_f16 v98, v98, v109
	v_pk_add_f16 v109, v0, v30
	v_pk_add_f16 v30, v2, v30
	v_pk_max_f16 v92, v92, v92
	v_pk_min_f16 v30, v94, v30
	v_pk_add_f16 v94, v16, v24
	;; [unrolled: 22-line block ×4, first 2 shown]
	v_pk_max_f16 v82, v82, v82
	v_pk_min_f16 v83, v83, v84
	v_pk_add_f16 v84, v18, v20
	v_pk_max_f16 v85, v85, v85
	v_pk_min_f16 v84, v82, v84
	v_pk_add_f16 v82, v12, v20
	v_pk_max_f16 v81, v81, v81
	v_pk_max_f16 v99, v99, v99
	v_pk_min_f16 v85, v85, v97
	v_pk_min_f16 v97, v81, v82
	v_pk_add_f16 v81, v14, v20
	v_pk_max_f16 v80, v80, v80
	v_pk_max_f16 v96, v96, v96
	v_pk_min_f16 v99, v99, v106
	;; [unrolled: 5-line block ×3, first 2 shown]
	v_pk_min_f16 v109, v79, v80
	v_pk_add_f16 v79, v6, v20
	v_pk_max_f16 v78, v78, v78
	v_pk_min_f16 v110, v110, v116
	v_pk_min_f16 v116, v78, v79
	v_pk_add_f16 v78, v0, v20
	v_pk_add_f16 v20, v2, v20
	v_pk_max_f16 v76, v76, v76
	v_pk_max_f16 v75, v75, v75
	v_pk_min_f16 v20, v76, v20
	v_pk_add_f16 v76, v16, v22
	v_pk_max_f16 v74, v74, v74
	v_pk_min_f16 v127, v75, v76
	v_pk_add_f16 v75, v18, v22
	;; [unrolled: 3-line block ×7, first 2 shown]
	v_pk_add_f16 v22, v2, v22
	v_pk_max_f16 v67, v67, v67
	v_pk_min_f16 v22, v68, v22
	v_pk_add_f16 v68, v16, v8
	v_pk_max_f16 v66, v66, v66
	v_pk_min_f16 v134, v67, v68
	;; [unrolled: 3-line block ×6, first 2 shown]
	v_pk_add_f16 v63, v6, v8
	v_pk_add_f16 v16, v16, v10
	v_pk_min_f16 v139, v62, v63
	v_pk_add_f16 v62, v0, v8
	v_pk_add_f16 v8, v2, v8
	;; [unrolled: 1-line block ×9, first 2 shown]
	v_pk_max_f16 v10, v55, v55
	v_pk_max_f16 v77, v77, v77
	v_pk_min_f16 v2, v10, v2
	v_pk_add_f16 v10, v17, v29
	v_pk_min_f16 v126, v77, v78
	v_pk_min_f16 v141, v43, v10
	v_pk_add_f16 v10, v19, v29
	v_pk_max_f16 v69, v69, v69
	v_pk_min_f16 v115, v115, v10
	v_pk_add_f16 v10, v13, v29
	v_pk_min_f16 v133, v69, v70
	v_pk_min_f16 v114, v114, v10
	v_pk_add_f16 v10, v15, v29
	;; [unrolled: 6-line block ×11, first 2 shown]
	v_pk_max_f16 v82, v82, v82
	v_pk_min_f16 v81, v102, v10
	v_pk_add_f16 v10, v1, v25
	v_pk_max_f16 v81, v81, v81
	v_pk_min_f16 v80, v99, v10
	v_pk_add_f16 v10, v3, v25
	;; [unrolled: 3-line block ×12, first 2 shown]
	s_add_i32 s28, s28, 8
	v_pk_min_f16 v70, v84, v10
	v_pk_add_f16 v10, v13, v21
	s_cmp_ge_i32 s28, s36
	v_pk_min_f16 v68, v97, v10
	v_pk_add_f16 v10, v15, v21
	v_pk_max_f16 v68, v68, v68
	v_pk_min_f16 v67, v106, v10
	v_pk_add_f16 v10, v5, v21
	v_pk_max_f16 v67, v67, v67
	;; [unrolled: 3-line block ×6, first 2 shown]
	v_pk_min_f16 v62, v127, v10
	v_pk_add_f16 v10, v19, v23
	v_lshl_add_u64 v[40:41], v[40:41], 0, 16
	v_pk_min_f16 v61, v128, v10
	v_pk_add_f16 v10, v13, v23
	s_nop 0
	v_pk_min_f16 v60, v129, v10
	v_pk_add_f16 v10, v15, v23
	s_nop 0
	;; [unrolled: 3-line block ×10, first 2 shown]
	v_pk_min_f16 v28, v137, v10
	v_pk_add_f16 v10, v5, v9
	v_pk_add_f16 v5, v5, v11
	v_pk_min_f16 v27, v138, v10
	v_pk_add_f16 v10, v7, v9
	v_pk_min_f16 v127, v4, v5
	v_pk_min_f16 v26, v139, v10
	v_pk_add_f16 v10, v1, v9
	v_pk_add_f16 v9, v3, v9
	;; [unrolled: 1-line block ×3, first 2 shown]
	v_pk_min_f16 v24, v8, v9
	v_pk_add_f16 v8, v17, v11
	v_pk_add_f16 v4, v7, v11
	v_pk_min_f16 v43, v16, v8
	v_pk_add_f16 v8, v19, v11
	v_pk_min_f16 v129, v0, v1
	v_pk_min_f16 v31, v18, v8
	v_pk_add_f16 v8, v13, v11
	v_pk_add_f16 v0, v3, v11
	v_pk_min_f16 v56, v12, v8
	v_pk_add_f16 v8, v15, v11
	v_pk_min_f16 v25, v140, v10
	v_pk_min_f16 v55, v14, v8
	;; [unrolled: 1-line block ×4, first 2 shown]
	ds_read2_b64 v[12:15], v48 offset1:32
	ds_read2_b64 v[4:7], v48 offset0:64 offset1:96
	ds_read2_b64 v[84:87], v51 offset1:8
	ds_read2_b64 v[8:11], v48 offset0:128 offset1:160
	ds_read2_b64 v[0:3], v48 offset0:192 offset1:224
	;; [unrolled: 1-line block ×4, first 2 shown]
	s_waitcnt lgkmcnt(4)
	v_pk_add_f16 v89, v12, v84
	v_pk_add_f16 v91, v14, v84
	v_pk_min_f16 v89, v109, v89
	v_pk_add_f16 v109, v13, v85
	v_pk_add_f16 v93, v4, v84
	v_pk_min_f16 v116, v89, v109
	v_pk_max_f16 v109, v115, v115
	v_pk_add_f16 v94, v6, v84
	v_pk_min_f16 v91, v109, v91
	v_pk_add_f16 v109, v15, v85
	s_waitcnt lgkmcnt(1)
	v_pk_add_f16 v134, v12, v20
	v_pk_min_f16 v115, v91, v109
	v_pk_max_f16 v109, v114, v114
	v_pk_add_f16 v135, v14, v20
	v_pk_min_f16 v93, v109, v93
	v_pk_add_f16 v109, v5, v85
	v_pk_add_f16 v136, v4, v20
	;; [unrolled: 1-line block ×6, first 2 shown]
	v_pk_min_f16 v114, v93, v109
	v_pk_add_f16 v93, v2, v20
	v_pk_max_f16 v20, v113, v113
	v_pk_add_f16 v95, v8, v84
	v_pk_min_f16 v20, v20, v94
	v_pk_add_f16 v94, v7, v85
	v_pk_add_f16 v97, v10, v84
	v_pk_min_f16 v113, v20, v94
	v_pk_max_f16 v20, v112, v112
	v_pk_add_f16 v94, v9, v85
	v_pk_min_f16 v20, v20, v95
	v_pk_add_f16 v99, v0, v84
	v_pk_min_f16 v112, v20, v94
	v_pk_max_f16 v20, v111, v111
	v_pk_add_f16 v94, v11, v85
	v_pk_min_f16 v20, v20, v97
	;; [unrolled: 5-line block ×4, first 2 shown]
	v_pk_add_f16 v84, v3, v85
	v_pk_add_f16 v85, v13, v87
	v_pk_min_f16 v109, v20, v84
	v_pk_max_f16 v20, v108, v108
	v_pk_add_f16 v94, v15, v87
	v_pk_min_f16 v20, v20, v102
	v_pk_add_f16 v106, v4, v86
	v_pk_min_f16 v108, v20, v85
	v_pk_max_f16 v20, v107, v107
	v_pk_add_f16 v130, v6, v86
	v_pk_min_f16 v20, v20, v104
	;; [unrolled: 5-line block ×3, first 2 shown]
	v_pk_add_f16 v139, v14, v22
	v_pk_min_f16 v105, v20, v94
	v_pk_max_f16 v20, v103, v103
	v_pk_add_f16 v140, v4, v22
	v_pk_add_f16 v141, v6, v22
	;; [unrolled: 1-line block ×6, first 2 shown]
	v_pk_min_f16 v20, v20, v130
	v_pk_add_f16 v22, v7, v87
	v_pk_add_f16 v131, v8, v86
	v_pk_min_f16 v103, v20, v22
	v_pk_max_f16 v22, v100, v100
	v_pk_add_f16 v20, v9, v87
	v_pk_min_f16 v22, v22, v131
	v_pk_add_f16 v132, v10, v86
	v_pk_min_f16 v100, v22, v20
	v_pk_max_f16 v22, v98, v98
	v_pk_add_f16 v20, v11, v87
	v_pk_min_f16 v22, v22, v132
	;; [unrolled: 5-line block ×5, first 2 shown]
	v_pk_min_f16 v69, v69, v145
	v_pk_min_f16 v92, v22, v20
	v_pk_max_f16 v22, v90, v90
	v_pk_add_f16 v20, v15, v21
	v_pk_min_f16 v22, v22, v135
	v_pk_min_f16 v74, v74, v84
	;; [unrolled: 1-line block ×3, first 2 shown]
	v_pk_max_f16 v22, v88, v88
	v_pk_add_f16 v20, v5, v21
	v_pk_min_f16 v22, v22, v136
	v_pk_min_f16 v71, v71, v142
	;; [unrolled: 1-line block ×3, first 2 shown]
	v_pk_max_f16 v20, v144, v144
	s_waitcnt lgkmcnt(0)
	v_pk_add_f16 v144, v12, v16
	v_pk_min_f16 v87, v20, v137
	v_pk_add_f16 v137, v1, v23
	v_pk_min_f16 v84, v69, v143
	v_pk_max_f16 v69, v72, v72
	v_pk_min_f16 v73, v73, v85
	v_pk_min_f16 v85, v71, v137
	;; [unrolled: 1-line block ×3, first 2 shown]
	v_pk_add_f16 v71, v13, v17
	v_pk_add_f16 v86, v7, v21
	;; [unrolled: 1-line block ×12, first 2 shown]
	ds_read2_b64 v[20:23], v51 offset0:48 offset1:56
	v_pk_min_f16 v82, v82, v83
	v_pk_add_f16 v146, v14, v16
	v_pk_min_f16 v83, v69, v71
	v_pk_max_f16 v69, v70, v70
	v_pk_add_f16 v147, v4, v16
	v_pk_min_f16 v69, v69, v146
	v_pk_add_f16 v70, v15, v17
	v_pk_min_f16 v104, v82, v95
	v_pk_min_f16 v81, v81, v89
	v_pk_add_f16 v148, v6, v16
	v_pk_min_f16 v82, v69, v70
	;; [unrolled: 3-line block ×3, first 2 shown]
	v_pk_add_f16 v149, v8, v16
	v_pk_min_f16 v80, v80, v91
	v_pk_min_f16 v81, v68, v69
	;; [unrolled: 1-line block ×3, first 2 shown]
	v_pk_add_f16 v68, v7, v17
	v_pk_add_f16 v150, v10, v16
	v_pk_min_f16 v99, v80, v99
	v_pk_min_f16 v79, v79, v93
	;; [unrolled: 1-line block ×8, first 2 shown]
	v_pk_add_f16 v67, v9, v17
	v_pk_min_f16 v106, v87, v86
	v_pk_add_f16 v151, v0, v16
	v_pk_add_f16 v16, v2, v16
	v_pk_min_f16 v97, v79, v130
	v_pk_add_f16 v130, v12, v18
	;; [unrolled: 3-line block ×5, first 2 shown]
	v_pk_add_f16 v18, v2, v18
	v_pk_min_f16 v89, v75, v134
	s_waitcnt lgkmcnt(0)
	v_pk_add_f16 v134, v12, v20
	v_pk_add_f16 v141, v14, v20
	v_pk_min_f16 v87, v74, v135
	v_pk_add_f16 v135, v4, v20
	v_pk_add_f16 v152, v6, v20
	v_pk_min_f16 v86, v73, v136
	v_pk_add_f16 v136, v8, v20
	v_pk_add_f16 v142, v10, v20
	;; [unrolled: 1-line block ×9, first 2 shown]
	v_pk_min_f16 v79, v66, v67
	v_pk_add_f16 v10, v10, v22
	v_pk_min_f16 v65, v65, v150
	v_pk_add_f16 v66, v11, v17
	v_pk_add_f16 v0, v0, v22
	;; [unrolled: 1-line block ×3, first 2 shown]
	v_pk_max_f16 v22, v63, v63
	v_pk_min_f16 v78, v65, v66
	v_pk_add_f16 v65, v1, v17
	v_pk_min_f16 v16, v22, v16
	v_pk_add_f16 v17, v3, v17
	v_pk_min_f16 v64, v64, v151
	v_pk_min_f16 v76, v16, v17
	v_pk_max_f16 v17, v62, v62
	v_pk_add_f16 v16, v13, v19
	v_pk_min_f16 v17, v17, v130
	v_pk_min_f16 v77, v64, v65
	;; [unrolled: 1-line block ×3, first 2 shown]
	v_pk_max_f16 v17, v61, v61
	v_pk_add_f16 v16, v15, v19
	v_pk_min_f16 v17, v17, v138
	ds_write_b16 v117, v122
	ds_write_b16 v117, v123 offset:512
	ds_write_b16 v117, v124 offset:1024
	;; [unrolled: 1-line block ×3, first 2 shown]
	ds_write_b16 v118, v42
	v_pk_min_f16 v74, v17, v16
	v_pk_max_f16 v17, v60, v60
	v_pk_add_f16 v16, v5, v19
	v_pk_min_f16 v17, v17, v131
	s_waitcnt lgkmcnt(0)
	v_pk_min_f16 v73, v17, v16
	v_pk_max_f16 v17, v59, v59
	v_pk_add_f16 v16, v7, v19
	v_pk_min_f16 v17, v17, v139
	s_barrier
	v_pk_min_f16 v72, v17, v16
	v_pk_max_f16 v17, v58, v58
	v_pk_add_f16 v16, v9, v19
	v_pk_min_f16 v17, v17, v132
	s_nop 0
	v_pk_min_f16 v71, v17, v16
	v_pk_max_f16 v17, v57, v57
	v_pk_add_f16 v16, v11, v19
	v_pk_min_f16 v17, v17, v140
	s_nop 0
	v_pk_min_f16 v70, v17, v16
	v_pk_max_f16 v17, v52, v52
	v_pk_add_f16 v16, v1, v19
	v_pk_min_f16 v17, v17, v133
	s_nop 0
	v_pk_min_f16 v69, v17, v16
	v_pk_max_f16 v17, v29, v29
	v_pk_add_f16 v16, v3, v19
	v_pk_min_f16 v17, v17, v18
	s_nop 0
	v_pk_min_f16 v68, v17, v16
	v_pk_max_f16 v17, v54, v54
	v_pk_add_f16 v16, v13, v21
	v_pk_min_f16 v17, v17, v134
	v_pk_add_f16 v13, v13, v23
	v_pk_min_f16 v67, v17, v16
	v_pk_max_f16 v17, v53, v53
	v_pk_add_f16 v16, v15, v21
	v_pk_min_f16 v17, v17, v141
	s_nop 0
	v_pk_min_f16 v66, v17, v16
	v_pk_max_f16 v17, v30, v30
	v_pk_add_f16 v16, v5, v21
	v_pk_min_f16 v17, v17, v135
	v_pk_add_f16 v5, v5, v23
	v_pk_min_f16 v65, v17, v16
	v_pk_max_f16 v17, v28, v28
	v_pk_add_f16 v16, v7, v21
	v_pk_min_f16 v17, v17, v152
	s_nop 0
	v_pk_min_f16 v64, v17, v16
	v_pk_max_f16 v17, v27, v27
	v_pk_add_f16 v16, v9, v21
	v_pk_min_f16 v17, v17, v136
	s_nop 0
	;; [unrolled: 5-line block ×3, first 2 shown]
	v_pk_min_f16 v62, v17, v16
	v_pk_max_f16 v17, v25, v25
	v_pk_add_f16 v16, v1, v21
	v_pk_min_f16 v17, v17, v137
	v_pk_add_f16 v1, v1, v23
	v_pk_min_f16 v61, v17, v16
	v_pk_max_f16 v17, v24, v24
	v_pk_add_f16 v16, v3, v21
	v_pk_min_f16 v17, v17, v20
	s_nop 0
	v_pk_min_f16 v60, v17, v16
	v_pk_max_f16 v16, v43, v43
	s_nop 0
	v_pk_min_f16 v12, v16, v12
	s_nop 0
	v_pk_min_f16 v59, v12, v13
	v_pk_max_f16 v13, v31, v31
	v_pk_add_f16 v12, v15, v23
	v_pk_min_f16 v13, v13, v14
	s_nop 0
	v_pk_min_f16 v58, v13, v12
	v_pk_max_f16 v12, v56, v56
	s_nop 0
	v_pk_min_f16 v4, v12, v4
	s_nop 0
	v_pk_min_f16 v57, v4, v5
	v_pk_max_f16 v5, v55, v55
	v_pk_add_f16 v4, v7, v23
	v_pk_min_f16 v5, v5, v6
	s_nop 0
	v_pk_min_f16 v56, v5, v4
	v_pk_max_f16 v5, v127, v127
	v_pk_add_f16 v4, v9, v23
	;; [unrolled: 5-line block ×3, first 2 shown]
	v_pk_min_f16 v5, v5, v10
	s_nop 0
	v_pk_min_f16 v53, v5, v4
	v_pk_max_f16 v4, v129, v129
	s_nop 0
	v_pk_min_f16 v0, v4, v0
	s_nop 0
	v_pk_min_f16 v52, v0, v1
	v_pk_max_f16 v1, v128, v128
	v_pk_add_f16 v0, v3, v23
	v_pk_min_f16 v1, v1, v2
	s_nop 0
	v_pk_min_f16 v55, v1, v0
	s_cbranch_scc1 .LBB212_51
.LBB212_31:                             ; =>This Inner Loop Header: Depth=1
	v_add_u32_e32 v42, s28, v46
	v_add_u32_e32 v0, 8, v42
	v_cmp_le_i32_e64 s[10:11], s22, v0
	v_min_i32_e32 v0, s35, v0
	v_mad_i64_i32 v[0:1], s[12:13], v0, s34, 0
	s_or_b64 s[12:13], vcc, s[10:11]
	v_lshl_add_u64 v[0:1], v[0:1], 1, s[16:17]
	v_cndmask_b32_e64 v43, 0, v121, s[12:13]
	s_nor_b64 s[38:39], s[18:19], s[12:13]
	s_and_saveexec_b64 s[12:13], s[38:39]
	s_cbranch_execz .LBB212_33
; %bb.32:                               ;   in Loop: Header=BB212_31 Depth=1
	v_lshl_add_u64 v[2:3], v[32:33], 1, v[0:1]
	flat_load_ushort v2, v[2:3]
	s_waitcnt vmcnt(0) lgkmcnt(0)
	v_mul_f16_e32 v43, s23, v2
.LBB212_33:                             ;   in Loop: Header=BB212_31 Depth=1
	s_or_b64 exec, exec, s[12:13]
	s_or_b64 s[12:13], s[2:3], s[10:11]
	v_cndmask_b32_e64 v122, 0, v121, s[12:13]
	s_nor_b64 s[38:39], s[12:13], s[18:19]
	s_and_saveexec_b64 s[12:13], s[38:39]
	s_cbranch_execz .LBB212_35
; %bb.34:                               ;   in Loop: Header=BB212_31 Depth=1
	v_lshl_add_u64 v[2:3], v[34:35], 1, v[0:1]
	flat_load_ushort v2, v[2:3]
	s_waitcnt vmcnt(0) lgkmcnt(0)
	v_mul_f16_e32 v122, s23, v2
.LBB212_35:                             ;   in Loop: Header=BB212_31 Depth=1
	s_or_b64 exec, exec, s[12:13]
	s_or_b64 s[12:13], s[4:5], s[10:11]
	;; [unrolled: 12-line block ×3, first 2 shown]
	v_cndmask_b32_e64 v124, 0, v121, s[10:11]
	s_nor_b64 s[12:13], s[10:11], s[18:19]
	s_and_saveexec_b64 s[10:11], s[12:13]
	s_cbranch_execz .LBB212_39
; %bb.38:                               ;   in Loop: Header=BB212_31 Depth=1
	v_lshl_add_u64 v[0:1], v[38:39], 1, v[0:1]
	flat_load_ushort v0, v[0:1]
	s_waitcnt vmcnt(0) lgkmcnt(0)
	v_mul_f16_e32 v124, s23, v0
.LBB212_39:                             ;   in Loop: Header=BB212_31 Depth=1
	s_or_b64 exec, exec, s[10:11]
	v_add_u32_e32 v126, s28, v49
	v_add_u32_e32 v0, 8, v126
	v_cmp_le_i32_e64 s[10:11], s22, v0
	s_or_b64 s[10:11], s[10:11], s[8:9]
	s_nop 0
	v_cndmask_b32_e64 v125, 0, v121, s[10:11]
	s_nor_b64 s[10:11], s[18:19], s[10:11]
	s_and_saveexec_b64 s[12:13], s[10:11]
	s_cbranch_execz .LBB212_41
; %bb.40:                               ;   in Loop: Header=BB212_31 Depth=1
	v_add_co_u32_e64 v0, s[10:11], -8, v40
	s_nop 1
	v_addc_co_u32_e64 v1, s[10:11], -1, v41, s[10:11]
	flat_load_ushort v0, v[0:1]
	s_waitcnt vmcnt(0) lgkmcnt(0)
	v_mul_f16_e32 v125, s23, v0
.LBB212_41:                             ;   in Loop: Header=BB212_31 Depth=1
	s_or_b64 exec, exec, s[12:13]
	ds_read2_b64 v[16:19], v119 offset1:32
	ds_read2_b64 v[12:15], v119 offset0:64 offset1:96
	ds_read2_b64 v[4:7], v119 offset0:128 offset1:160
	ds_read2_b64 v[0:3], v119 offset0:192 offset1:224
	ds_read2_b64 v[28:31], v120 offset1:8
	ds_read2_b64 v[24:27], v120 offset0:16 offset1:24
	ds_read2_b64 v[20:23], v120 offset0:32 offset1:40
	;; [unrolled: 1-line block ×3, first 2 shown]
	v_add_u32_e32 v42, 12, v42
	v_cmp_le_i32_e64 s[10:11], s22, v42
	v_min_i32_e32 v42, s35, v42
	ds_write_b16 v50, v43
	ds_write_b16 v50, v122 offset:512
	ds_write_b16 v50, v123 offset:1024
	;; [unrolled: 1-line block ×3, first 2 shown]
	ds_write_b16 v101, v125
	v_mad_i64_i32 v[42:43], s[12:13], v42, s34, 0
	s_or_b64 s[12:13], vcc, s[10:11]
	v_lshl_add_u64 v[42:43], v[42:43], 1, s[16:17]
	v_cndmask_b32_e64 v122, 0, v121, s[12:13]
	s_nor_b64 s[38:39], s[18:19], s[12:13]
	s_waitcnt lgkmcnt(0)
	s_barrier
	s_and_saveexec_b64 s[12:13], s[38:39]
	s_cbranch_execz .LBB212_43
; %bb.42:                               ;   in Loop: Header=BB212_31 Depth=1
	v_lshl_add_u64 v[122:123], v[32:33], 1, v[42:43]
	flat_load_ushort v122, v[122:123]
	s_waitcnt vmcnt(0) lgkmcnt(0)
	v_mul_f16_e32 v122, s23, v122
.LBB212_43:                             ;   in Loop: Header=BB212_31 Depth=1
	s_or_b64 exec, exec, s[12:13]
	s_or_b64 s[12:13], s[2:3], s[10:11]
	v_cndmask_b32_e64 v123, 0, v121, s[12:13]
	s_nor_b64 s[38:39], s[12:13], s[18:19]
	s_and_saveexec_b64 s[12:13], s[38:39]
	s_cbranch_execz .LBB212_45
; %bb.44:                               ;   in Loop: Header=BB212_31 Depth=1
	v_lshl_add_u64 v[124:125], v[34:35], 1, v[42:43]
	flat_load_ushort v123, v[124:125]
	s_waitcnt vmcnt(0) lgkmcnt(0)
	v_mul_f16_e32 v123, s23, v123
.LBB212_45:                             ;   in Loop: Header=BB212_31 Depth=1
	s_or_b64 exec, exec, s[12:13]
	s_or_b64 s[12:13], s[4:5], s[10:11]
	v_cndmask_b32_e64 v124, 0, v121, s[12:13]
	s_nor_b64 s[38:39], s[12:13], s[18:19]
	;; [unrolled: 12-line block ×3, first 2 shown]
	s_and_saveexec_b64 s[10:11], s[12:13]
	s_cbranch_execz .LBB212_49
; %bb.48:                               ;   in Loop: Header=BB212_31 Depth=1
	v_lshl_add_u64 v[42:43], v[38:39], 1, v[42:43]
	flat_load_ushort v42, v[42:43]
	s_waitcnt vmcnt(0) lgkmcnt(0)
	v_mul_f16_e32 v125, s23, v42
.LBB212_49:                             ;   in Loop: Header=BB212_31 Depth=1
	s_or_b64 exec, exec, s[10:11]
	v_add_u32_e32 v42, 12, v126
	v_cmp_le_i32_e64 s[10:11], s22, v42
	s_or_b64 s[10:11], s[10:11], s[8:9]
	s_nor_b64 s[12:13], s[18:19], s[10:11]
	v_cndmask_b32_e64 v42, 0, v121, s[10:11]
	s_and_saveexec_b64 s[10:11], s[12:13]
	s_cbranch_execz .LBB212_30
; %bb.50:                               ;   in Loop: Header=BB212_31 Depth=1
	flat_load_ushort v42, v[40:41]
	s_waitcnt vmcnt(0) lgkmcnt(0)
	v_mul_f16_e32 v42, s23, v42
	s_branch .LBB212_30
.LBB212_51:
	s_load_dwordx2 s[2:3], s[0:1], 0x70
	s_load_dword s29, s[0:1], 0x50
	s_load_dword s28, s[0:1], 0x68
	v_add_u32_e32 v0, 0x800, v48
	v_add_u32_e32 v4, 0x1000, v47
	ds_read2_b64 v[16:19], v0 offset1:32
	ds_read2_b64 v[12:15], v0 offset0:64 offset1:96
	ds_read2_b64 v[8:11], v0 offset0:128 offset1:160
	;; [unrolled: 1-line block ×7, first 2 shown]
	s_waitcnt lgkmcnt(0)
	s_lshl_b64 s[0:1], s[2:3], 1
	s_add_u32 s22, s26, s0
	v_add_u32_e32 v101, s33, v45
	s_addc_u32 s23, s27, s1
	v_mad_i64_i32 v[34:35], s[0:1], v101, s29, 0
	v_add_u32_e32 v32, s31, v44
	v_lshl_add_u64 v[50:51], v[34:35], 1, s[24:25]
	v_mad_i64_i32 v[34:35], s[0:1], v101, s28, 0
	v_cmp_gt_i32_e64 s[2:3], s20, v32
	v_cmp_gt_i32_e64 s[18:19], s21, v101
	v_lshl_add_u64 v[48:49], v[34:35], 1, s[22:23]
	v_cndmask_b32_e64 v34, 0, 1, s[14:15]
	v_ashrrev_i32_e32 v33, 31, v32
	s_and_b64 s[6:7], s[2:3], s[18:19]
	v_cmp_ne_u32_e64 s[0:1], 1, v34
	s_and_saveexec_b64 s[4:5], s[6:7]
	s_cbranch_execz .LBB212_56
; %bb.52:
	s_and_b64 vcc, exec, s[0:1]
	s_cbranch_vccnz .LBB212_54
; %bb.53:
	v_lshl_add_u64 v[34:35], v[32:33], 1, v[50:51]
	flat_load_ushort v34, v[34:35]
	s_waitcnt vmcnt(0) lgkmcnt(0)
	v_mul_f16_e32 v34, s30, v34
	v_cvt_f32_f16_e32 v34, v34
	s_branch .LBB212_55
.LBB212_54:
	v_mov_b32_e32 v34, 0
.LBB212_55:
	v_pk_add_f16 v35, v16, v28
	v_max_f16_e32 v36, v116, v116
	v_pk_add_f16 v38, v17, v29
	v_min_f16_e32 v36, v36, v35
	v_lshrrev_b32_e32 v37, 16, v116
	v_lshrrev_b32_e32 v35, 16, v35
	v_lshrrev_b32_e32 v39, 16, v38
	v_min3_f16 v35, v37, v35, v39
	v_min3_f16 v35, v36, v38, v35
	v_cvt_f32_f16_e32 v35, v35
	v_max_f32_e32 v34, v34, v34
	v_min_f32_e32 v34, v34, v35
	v_cvt_f16_f32_e32 v36, v34
	v_lshl_add_u64 v[34:35], v[32:33], 1, v[48:49]
	flat_store_short v[34:35], v36
.LBB212_56:
	s_or_b64 exec, exec, s[4:5]
	v_add_u32_e32 v34, 32, v32
	v_cmp_gt_i32_e64 s[4:5], s20, v34
	v_ashrrev_i32_e32 v35, 31, v34
	s_and_b64 s[8:9], s[4:5], s[18:19]
	s_and_saveexec_b64 s[6:7], s[8:9]
	s_cbranch_execz .LBB212_61
; %bb.57:
	s_and_b64 vcc, exec, s[0:1]
	s_cbranch_vccnz .LBB212_59
; %bb.58:
	v_lshl_add_u64 v[36:37], v[34:35], 1, v[50:51]
	flat_load_ushort v36, v[36:37]
	s_waitcnt vmcnt(0) lgkmcnt(0)
	v_mul_f16_e32 v36, s30, v36
	v_cvt_f32_f16_e32 v36, v36
	s_branch .LBB212_60
.LBB212_59:
	v_mov_b32_e32 v36, 0
.LBB212_60:
	v_pk_add_f16 v37, v18, v28
	v_max_f16_e32 v38, v115, v115
	v_pk_add_f16 v40, v19, v29
	v_min_f16_e32 v38, v38, v37
	v_lshrrev_b32_e32 v39, 16, v115
	v_lshrrev_b32_e32 v37, 16, v37
	v_lshrrev_b32_e32 v41, 16, v40
	v_min3_f16 v37, v39, v37, v41
	v_min3_f16 v37, v38, v40, v37
	v_cvt_f32_f16_e32 v37, v37
	v_max_f32_e32 v36, v36, v36
	v_min_f32_e32 v36, v36, v37
	v_cvt_f16_f32_e32 v38, v36
	v_lshl_add_u64 v[36:37], v[34:35], 1, v[48:49]
	flat_store_short v[36:37], v38
.LBB212_61:
	s_or_b64 exec, exec, s[6:7]
	v_add_u32_e32 v36, 64, v32
	v_cmp_gt_i32_e64 s[6:7], s20, v36
	v_ashrrev_i32_e32 v37, 31, v36
	s_and_b64 s[10:11], s[6:7], s[18:19]
	;; [unrolled: 36-line block ×5, first 2 shown]
	s_and_saveexec_b64 s[14:15], s[16:17]
	s_cbranch_execz .LBB212_81
; %bb.77:
	s_and_b64 vcc, exec, s[0:1]
	s_cbranch_vccnz .LBB212_79
; %bb.78:
	v_lshl_add_u64 v[44:45], v[42:43], 1, v[50:51]
	flat_load_ushort v44, v[44:45]
	s_waitcnt vmcnt(0) lgkmcnt(0)
	v_mul_f16_e32 v44, s30, v44
	v_cvt_f32_f16_e32 v44, v44
	s_branch .LBB212_80
.LBB212_79:
	v_mov_b32_e32 v44, 0
.LBB212_80:
	v_pk_add_f16 v45, v10, v28
	v_max_f16_e32 v46, v111, v111
	v_lshrrev_b32_e32 v47, 16, v111
	v_pk_add_f16 v111, v11, v29
	v_min_f16_e32 v46, v46, v45
	v_lshrrev_b32_e32 v45, 16, v45
	v_lshrrev_b32_e32 v112, 16, v111
	v_min3_f16 v45, v47, v45, v112
	v_min3_f16 v45, v46, v111, v45
	v_cvt_f32_f16_e32 v45, v45
	v_max_f32_e32 v44, v44, v44
	v_min_f32_e32 v44, v44, v45
	v_cvt_f16_f32_e32 v46, v44
	v_lshl_add_u64 v[44:45], v[42:43], 1, v[48:49]
	flat_store_short v[44:45], v46
.LBB212_81:
	s_or_b64 exec, exec, s[14:15]
	v_add_u32_e32 v44, 0xc0, v32
	v_cmp_gt_i32_e64 s[14:15], s20, v44
	v_ashrrev_i32_e32 v45, 31, v44
	s_and_b64 s[26:27], s[14:15], s[18:19]
	s_and_saveexec_b64 s[16:17], s[26:27]
	s_cbranch_execz .LBB212_86
; %bb.82:
	s_and_b64 vcc, exec, s[0:1]
	s_cbranch_vccnz .LBB212_84
; %bb.83:
	v_lshl_add_u64 v[46:47], v[44:45], 1, v[50:51]
	flat_load_ushort v46, v[46:47]
	s_waitcnt vmcnt(0) lgkmcnt(0)
	v_mul_f16_e32 v46, s30, v46
	v_cvt_f32_f16_e32 v46, v46
	s_branch .LBB212_85
.LBB212_84:
	v_mov_b32_e32 v46, 0
.LBB212_85:
	v_pk_add_f16 v47, v0, v28
	v_max_f16_e32 v111, v110, v110
	v_pk_add_f16 v112, v1, v29
	v_min_f16_e32 v111, v111, v47
	v_lshrrev_b32_e32 v110, 16, v110
	v_lshrrev_b32_e32 v47, 16, v47
	;; [unrolled: 1-line block ×3, first 2 shown]
	v_min3_f16 v47, v110, v47, v113
	v_min3_f16 v47, v111, v112, v47
	v_cvt_f32_f16_e32 v47, v47
	v_max_f32_e32 v46, v46, v46
	v_min_f32_e32 v46, v46, v47
	v_cvt_f16_f32_e32 v110, v46
	v_lshl_add_u64 v[46:47], v[44:45], 1, v[48:49]
	flat_store_short v[46:47], v110
.LBB212_86:
	s_or_b64 exec, exec, s[16:17]
	v_add_u32_e32 v46, 0xe0, v32
	v_cmp_gt_i32_e64 s[16:17], s20, v46
	v_ashrrev_i32_e32 v47, 31, v46
	s_and_b64 s[26:27], s[16:17], s[18:19]
	s_and_saveexec_b64 s[18:19], s[26:27]
	s_cbranch_execz .LBB212_91
; %bb.87:
	s_and_b64 vcc, exec, s[0:1]
	s_cbranch_vccnz .LBB212_89
; %bb.88:
	v_lshl_add_u64 v[50:51], v[46:47], 1, v[50:51]
	flat_load_ushort v50, v[50:51]
	s_waitcnt vmcnt(0) lgkmcnt(0)
	v_mul_f16_e32 v50, s30, v50
	v_cvt_f32_f16_e32 v50, v50
	s_branch .LBB212_90
.LBB212_89:
	v_mov_b32_e32 v50, 0
.LBB212_90:
	v_pk_add_f16 v28, v2, v28
	v_max_f16_e32 v51, v109, v109
	v_pk_add_f16 v29, v3, v29
	v_min_f16_e32 v51, v51, v28
	v_lshrrev_b32_e32 v109, 16, v109
	v_lshrrev_b32_e32 v28, 16, v28
	v_lshrrev_b32_e32 v110, 16, v29
	v_min3_f16 v28, v109, v28, v110
	v_min3_f16 v28, v51, v29, v28
	v_cvt_f32_f16_e32 v28, v28
	v_max_f32_e32 v29, v50, v50
	v_min_f32_e32 v28, v29, v28
	v_cvt_f16_f32_e32 v50, v28
	v_lshl_add_u64 v[28:29], v[46:47], 1, v[48:49]
	flat_store_short v[28:29], v50
.LBB212_91:
	s_or_b64 exec, exec, s[18:19]
	v_add_u32_e32 v50, 8, v101
	v_mad_i64_i32 v[28:29], s[26:27], v50, s29, 0
	v_cmp_gt_i32_e64 s[18:19], s21, v50
	v_lshl_add_u64 v[48:49], v[28:29], 1, s[24:25]
	v_mad_i64_i32 v[28:29], s[26:27], v50, s28, 0
	v_lshl_add_u64 v[28:29], v[28:29], 1, s[22:23]
	s_and_b64 s[34:35], s[2:3], s[18:19]
	s_and_saveexec_b64 s[26:27], s[34:35]
	s_cbranch_execnz .LBB212_99
; %bb.92:
	s_or_b64 exec, exec, s[26:27]
	s_and_b64 s[34:35], s[4:5], s[18:19]
	s_and_saveexec_b64 s[26:27], s[34:35]
	s_cbranch_execnz .LBB212_103
.LBB212_93:
	s_or_b64 exec, exec, s[26:27]
	s_and_b64 s[34:35], s[6:7], s[18:19]
	s_and_saveexec_b64 s[26:27], s[34:35]
	s_cbranch_execnz .LBB212_107
.LBB212_94:
	s_or_b64 exec, exec, s[26:27]
	s_and_b64 s[34:35], s[8:9], s[18:19]
	s_and_saveexec_b64 s[26:27], s[34:35]
	s_cbranch_execnz .LBB212_111
.LBB212_95:
	s_or_b64 exec, exec, s[26:27]
	s_and_b64 s[34:35], s[10:11], s[18:19]
	s_and_saveexec_b64 s[26:27], s[34:35]
	s_cbranch_execnz .LBB212_115
.LBB212_96:
	s_or_b64 exec, exec, s[26:27]
	s_and_b64 s[34:35], s[12:13], s[18:19]
	s_and_saveexec_b64 s[26:27], s[34:35]
	s_cbranch_execnz .LBB212_119
.LBB212_97:
	s_or_b64 exec, exec, s[26:27]
	s_and_b64 s[34:35], s[14:15], s[18:19]
	s_and_saveexec_b64 s[26:27], s[34:35]
	s_cbranch_execnz .LBB212_123
.LBB212_98:
	s_or_b64 exec, exec, s[26:27]
	s_and_b64 s[26:27], s[16:17], s[18:19]
	s_and_saveexec_b64 s[18:19], s[26:27]
	s_cbranch_execnz .LBB212_127
	s_branch .LBB212_131
.LBB212_99:
	s_and_b64 vcc, exec, s[0:1]
	s_cbranch_vccnz .LBB212_101
; %bb.100:
	v_lshl_add_u64 v[50:51], v[32:33], 1, v[48:49]
	flat_load_ushort v50, v[50:51]
	s_waitcnt vmcnt(0) lgkmcnt(0)
	v_mul_f16_e32 v50, s30, v50
	v_cvt_f32_f16_e32 v50, v50
	s_branch .LBB212_102
.LBB212_101:
	v_mov_b32_e32 v50, 0
.LBB212_102:
	v_pk_add_f16 v51, v16, v30
	v_max_f16_e32 v109, v108, v108
	v_pk_add_f16 v110, v17, v31
	v_min_f16_e32 v109, v109, v51
	v_lshrrev_b32_e32 v108, 16, v108
	v_lshrrev_b32_e32 v51, 16, v51
	;; [unrolled: 1-line block ×3, first 2 shown]
	v_min3_f16 v51, v108, v51, v111
	v_min3_f16 v51, v109, v110, v51
	v_cvt_f32_f16_e32 v51, v51
	v_max_f32_e32 v50, v50, v50
	v_min_f32_e32 v50, v50, v51
	v_cvt_f16_f32_e32 v108, v50
	v_lshl_add_u64 v[50:51], v[32:33], 1, v[28:29]
	flat_store_short v[50:51], v108
	s_or_b64 exec, exec, s[26:27]
	s_and_b64 s[34:35], s[4:5], s[18:19]
	s_and_saveexec_b64 s[26:27], s[34:35]
	s_cbranch_execz .LBB212_93
.LBB212_103:
	s_and_b64 vcc, exec, s[0:1]
	s_cbranch_vccnz .LBB212_105
; %bb.104:
	v_lshl_add_u64 v[50:51], v[34:35], 1, v[48:49]
	flat_load_ushort v50, v[50:51]
	s_waitcnt vmcnt(0) lgkmcnt(0)
	v_mul_f16_e32 v50, s30, v50
	v_cvt_f32_f16_e32 v50, v50
	s_branch .LBB212_106
.LBB212_105:
	v_mov_b32_e32 v50, 0
.LBB212_106:
	v_pk_add_f16 v51, v18, v30
	v_max_f16_e32 v108, v107, v107
	v_pk_add_f16 v109, v19, v31
	v_min_f16_e32 v108, v108, v51
	v_lshrrev_b32_e32 v107, 16, v107
	v_lshrrev_b32_e32 v51, 16, v51
	v_lshrrev_b32_e32 v110, 16, v109
	v_min3_f16 v51, v107, v51, v110
	v_min3_f16 v51, v108, v109, v51
	v_cvt_f32_f16_e32 v51, v51
	v_max_f32_e32 v50, v50, v50
	v_min_f32_e32 v50, v50, v51
	v_cvt_f16_f32_e32 v107, v50
	v_lshl_add_u64 v[50:51], v[34:35], 1, v[28:29]
	flat_store_short v[50:51], v107
	s_or_b64 exec, exec, s[26:27]
	s_and_b64 s[34:35], s[6:7], s[18:19]
	s_and_saveexec_b64 s[26:27], s[34:35]
	s_cbranch_execz .LBB212_94
.LBB212_107:
	s_and_b64 vcc, exec, s[0:1]
	s_cbranch_vccnz .LBB212_109
; %bb.108:
	v_lshl_add_u64 v[50:51], v[36:37], 1, v[48:49]
	flat_load_ushort v50, v[50:51]
	s_waitcnt vmcnt(0) lgkmcnt(0)
	v_mul_f16_e32 v50, s30, v50
	v_cvt_f32_f16_e32 v50, v50
	s_branch .LBB212_110
.LBB212_109:
	v_mov_b32_e32 v50, 0
.LBB212_110:
	v_pk_add_f16 v51, v12, v30
	v_max_f16_e32 v107, v105, v105
	v_pk_add_f16 v108, v13, v31
	v_min_f16_e32 v107, v107, v51
	v_lshrrev_b32_e32 v105, 16, v105
	v_lshrrev_b32_e32 v51, 16, v51
	;; [unrolled: 1-line block ×3, first 2 shown]
	v_min3_f16 v51, v105, v51, v109
	v_min3_f16 v51, v107, v108, v51
	v_cvt_f32_f16_e32 v51, v51
	v_max_f32_e32 v50, v50, v50
	v_min_f32_e32 v50, v50, v51
	v_cvt_f16_f32_e32 v105, v50
	v_lshl_add_u64 v[50:51], v[36:37], 1, v[28:29]
	flat_store_short v[50:51], v105
	s_or_b64 exec, exec, s[26:27]
	s_and_b64 s[34:35], s[8:9], s[18:19]
	s_and_saveexec_b64 s[26:27], s[34:35]
	s_cbranch_execz .LBB212_95
.LBB212_111:
	s_and_b64 vcc, exec, s[0:1]
	s_cbranch_vccnz .LBB212_113
; %bb.112:
	v_lshl_add_u64 v[50:51], v[38:39], 1, v[48:49]
	flat_load_ushort v50, v[50:51]
	s_waitcnt vmcnt(0) lgkmcnt(0)
	v_mul_f16_e32 v50, s30, v50
	v_cvt_f32_f16_e32 v50, v50
	s_branch .LBB212_114
.LBB212_113:
	v_mov_b32_e32 v50, 0
.LBB212_114:
	v_pk_add_f16 v51, v14, v30
	v_max_f16_e32 v105, v103, v103
	v_pk_add_f16 v107, v15, v31
	v_min_f16_e32 v105, v105, v51
	v_lshrrev_b32_e32 v103, 16, v103
	v_lshrrev_b32_e32 v51, 16, v51
	v_lshrrev_b32_e32 v108, 16, v107
	v_min3_f16 v51, v103, v51, v108
	v_min3_f16 v51, v105, v107, v51
	v_cvt_f32_f16_e32 v51, v51
	v_max_f32_e32 v50, v50, v50
	v_min_f32_e32 v50, v50, v51
	v_cvt_f16_f32_e32 v103, v50
	v_lshl_add_u64 v[50:51], v[38:39], 1, v[28:29]
	flat_store_short v[50:51], v103
	s_or_b64 exec, exec, s[26:27]
	s_and_b64 s[34:35], s[10:11], s[18:19]
	s_and_saveexec_b64 s[26:27], s[34:35]
	s_cbranch_execz .LBB212_96
.LBB212_115:
	s_and_b64 vcc, exec, s[0:1]
	s_cbranch_vccnz .LBB212_117
; %bb.116:
	v_lshl_add_u64 v[50:51], v[40:41], 1, v[48:49]
	flat_load_ushort v50, v[50:51]
	s_waitcnt vmcnt(0) lgkmcnt(0)
	v_mul_f16_e32 v50, s30, v50
	v_cvt_f32_f16_e32 v50, v50
	s_branch .LBB212_118
.LBB212_117:
	v_mov_b32_e32 v50, 0
.LBB212_118:
	v_pk_add_f16 v51, v8, v30
	v_max_f16_e32 v103, v100, v100
	v_pk_add_f16 v105, v9, v31
	v_min_f16_e32 v103, v103, v51
	v_lshrrev_b32_e32 v100, 16, v100
	v_lshrrev_b32_e32 v51, 16, v51
	;; [unrolled: 1-line block ×3, first 2 shown]
	v_min3_f16 v51, v100, v51, v107
	v_min3_f16 v51, v103, v105, v51
	v_cvt_f32_f16_e32 v51, v51
	v_max_f32_e32 v50, v50, v50
	v_min_f32_e32 v50, v50, v51
	v_cvt_f16_f32_e32 v100, v50
	v_lshl_add_u64 v[50:51], v[40:41], 1, v[28:29]
	flat_store_short v[50:51], v100
	s_or_b64 exec, exec, s[26:27]
	s_and_b64 s[34:35], s[12:13], s[18:19]
	s_and_saveexec_b64 s[26:27], s[34:35]
	s_cbranch_execz .LBB212_97
.LBB212_119:
	s_and_b64 vcc, exec, s[0:1]
	s_cbranch_vccnz .LBB212_121
; %bb.120:
	v_lshl_add_u64 v[50:51], v[42:43], 1, v[48:49]
	flat_load_ushort v50, v[50:51]
	s_waitcnt vmcnt(0) lgkmcnt(0)
	v_mul_f16_e32 v50, s30, v50
	v_cvt_f32_f16_e32 v50, v50
	s_branch .LBB212_122
.LBB212_121:
	v_mov_b32_e32 v50, 0
.LBB212_122:
	v_pk_add_f16 v51, v10, v30
	v_max_f16_e32 v100, v98, v98
	v_pk_add_f16 v103, v11, v31
	v_min_f16_e32 v100, v100, v51
	v_lshrrev_b32_e32 v98, 16, v98
	v_lshrrev_b32_e32 v51, 16, v51
	;; [unrolled: 1-line block ×3, first 2 shown]
	v_min3_f16 v51, v98, v51, v105
	v_min3_f16 v51, v100, v103, v51
	v_cvt_f32_f16_e32 v51, v51
	v_max_f32_e32 v50, v50, v50
	v_min_f32_e32 v50, v50, v51
	v_cvt_f16_f32_e32 v98, v50
	v_lshl_add_u64 v[50:51], v[42:43], 1, v[28:29]
	flat_store_short v[50:51], v98
	s_or_b64 exec, exec, s[26:27]
	s_and_b64 s[34:35], s[14:15], s[18:19]
	s_and_saveexec_b64 s[26:27], s[34:35]
	s_cbranch_execz .LBB212_98
.LBB212_123:
	s_and_b64 vcc, exec, s[0:1]
	s_cbranch_vccnz .LBB212_125
; %bb.124:
	v_lshl_add_u64 v[50:51], v[44:45], 1, v[48:49]
	flat_load_ushort v50, v[50:51]
	s_waitcnt vmcnt(0) lgkmcnt(0)
	v_mul_f16_e32 v50, s30, v50
	v_cvt_f32_f16_e32 v50, v50
	s_branch .LBB212_126
.LBB212_125:
	v_mov_b32_e32 v50, 0
.LBB212_126:
	v_pk_add_f16 v51, v0, v30
	v_max_f16_e32 v98, v96, v96
	v_pk_add_f16 v100, v1, v31
	v_min_f16_e32 v98, v98, v51
	v_lshrrev_b32_e32 v96, 16, v96
	v_lshrrev_b32_e32 v51, 16, v51
	;; [unrolled: 1-line block ×3, first 2 shown]
	v_min3_f16 v51, v96, v51, v103
	v_min3_f16 v51, v98, v100, v51
	v_cvt_f32_f16_e32 v51, v51
	v_max_f32_e32 v50, v50, v50
	v_min_f32_e32 v50, v50, v51
	v_cvt_f16_f32_e32 v96, v50
	v_lshl_add_u64 v[50:51], v[44:45], 1, v[28:29]
	flat_store_short v[50:51], v96
	s_or_b64 exec, exec, s[26:27]
	s_and_b64 s[26:27], s[16:17], s[18:19]
	s_and_saveexec_b64 s[18:19], s[26:27]
	s_cbranch_execz .LBB212_131
.LBB212_127:
	s_and_b64 vcc, exec, s[0:1]
	s_cbranch_vccnz .LBB212_129
; %bb.128:
	v_lshl_add_u64 v[48:49], v[46:47], 1, v[48:49]
	flat_load_ushort v48, v[48:49]
	s_waitcnt vmcnt(0) lgkmcnt(0)
	v_mul_f16_e32 v48, s30, v48
	v_cvt_f32_f16_e32 v48, v48
	s_branch .LBB212_130
.LBB212_129:
	v_mov_b32_e32 v48, 0
.LBB212_130:
	v_pk_add_f16 v30, v2, v30
	v_max_f16_e32 v49, v94, v94
	v_pk_add_f16 v31, v3, v31
	v_min_f16_e32 v49, v49, v30
	v_lshrrev_b32_e32 v50, 16, v94
	v_lshrrev_b32_e32 v30, 16, v30
	;; [unrolled: 1-line block ×3, first 2 shown]
	v_min3_f16 v30, v50, v30, v51
	v_min3_f16 v30, v49, v31, v30
	v_cvt_f32_f16_e32 v30, v30
	v_max_f32_e32 v31, v48, v48
	v_lshl_add_u64 v[28:29], v[46:47], 1, v[28:29]
	v_min_f32_e32 v30, v31, v30
	v_cvt_f16_f32_e32 v30, v30
	flat_store_short v[28:29], v30
.LBB212_131:
	s_or_b64 exec, exec, s[18:19]
	v_add_u32_e32 v48, 16, v101
	v_mad_i64_i32 v[28:29], s[26:27], v48, s29, 0
	v_cmp_gt_i32_e64 s[18:19], s21, v48
	v_lshl_add_u64 v[30:31], v[28:29], 1, s[24:25]
	v_mad_i64_i32 v[28:29], s[26:27], v48, s28, 0
	v_lshl_add_u64 v[28:29], v[28:29], 1, s[22:23]
	s_and_b64 s[34:35], s[2:3], s[18:19]
	s_and_saveexec_b64 s[26:27], s[34:35]
	s_cbranch_execnz .LBB212_139
; %bb.132:
	s_or_b64 exec, exec, s[26:27]
	s_and_b64 s[34:35], s[4:5], s[18:19]
	s_and_saveexec_b64 s[26:27], s[34:35]
	s_cbranch_execnz .LBB212_143
.LBB212_133:
	s_or_b64 exec, exec, s[26:27]
	s_and_b64 s[34:35], s[6:7], s[18:19]
	s_and_saveexec_b64 s[26:27], s[34:35]
	s_cbranch_execnz .LBB212_147
.LBB212_134:
	s_or_b64 exec, exec, s[26:27]
	s_and_b64 s[34:35], s[8:9], s[18:19]
	s_and_saveexec_b64 s[26:27], s[34:35]
	s_cbranch_execnz .LBB212_151
.LBB212_135:
	s_or_b64 exec, exec, s[26:27]
	s_and_b64 s[34:35], s[10:11], s[18:19]
	s_and_saveexec_b64 s[26:27], s[34:35]
	s_cbranch_execnz .LBB212_155
.LBB212_136:
	s_or_b64 exec, exec, s[26:27]
	s_and_b64 s[34:35], s[12:13], s[18:19]
	s_and_saveexec_b64 s[26:27], s[34:35]
	s_cbranch_execnz .LBB212_159
.LBB212_137:
	s_or_b64 exec, exec, s[26:27]
	s_and_b64 s[34:35], s[14:15], s[18:19]
	s_and_saveexec_b64 s[26:27], s[34:35]
	s_cbranch_execnz .LBB212_163
.LBB212_138:
	s_or_b64 exec, exec, s[26:27]
	s_and_b64 s[26:27], s[16:17], s[18:19]
	s_and_saveexec_b64 s[18:19], s[26:27]
	s_cbranch_execnz .LBB212_167
	s_branch .LBB212_171
.LBB212_139:
	s_and_b64 vcc, exec, s[0:1]
	s_cbranch_vccnz .LBB212_141
; %bb.140:
	v_lshl_add_u64 v[48:49], v[32:33], 1, v[30:31]
	flat_load_ushort v48, v[48:49]
	s_waitcnt vmcnt(0) lgkmcnt(0)
	v_mul_f16_e32 v48, s30, v48
	v_cvt_f32_f16_e32 v48, v48
	s_branch .LBB212_142
.LBB212_141:
	v_mov_b32_e32 v48, 0
.LBB212_142:
	v_pk_add_f16 v49, v16, v24
	v_max_f16_e32 v50, v92, v92
	v_lshrrev_b32_e32 v51, 16, v92
	v_pk_add_f16 v92, v17, v25
	v_min_f16_e32 v50, v50, v49
	v_lshrrev_b32_e32 v49, 16, v49
	v_lshrrev_b32_e32 v94, 16, v92
	v_min3_f16 v49, v51, v49, v94
	v_min3_f16 v49, v50, v92, v49
	v_cvt_f32_f16_e32 v49, v49
	v_max_f32_e32 v48, v48, v48
	v_min_f32_e32 v48, v48, v49
	v_cvt_f16_f32_e32 v50, v48
	v_lshl_add_u64 v[48:49], v[32:33], 1, v[28:29]
	flat_store_short v[48:49], v50
	s_or_b64 exec, exec, s[26:27]
	s_and_b64 s[34:35], s[4:5], s[18:19]
	s_and_saveexec_b64 s[26:27], s[34:35]
	s_cbranch_execz .LBB212_133
.LBB212_143:
	s_and_b64 vcc, exec, s[0:1]
	s_cbranch_vccnz .LBB212_145
; %bb.144:
	v_lshl_add_u64 v[48:49], v[34:35], 1, v[30:31]
	flat_load_ushort v48, v[48:49]
	s_waitcnt vmcnt(0) lgkmcnt(0)
	v_mul_f16_e32 v48, s30, v48
	v_cvt_f32_f16_e32 v48, v48
	s_branch .LBB212_146
.LBB212_145:
	v_mov_b32_e32 v48, 0
.LBB212_146:
	v_pk_add_f16 v49, v18, v24
	v_max_f16_e32 v50, v90, v90
	v_lshrrev_b32_e32 v51, 16, v90
	v_pk_add_f16 v90, v19, v25
	v_min_f16_e32 v50, v50, v49
	v_lshrrev_b32_e32 v49, 16, v49
	v_lshrrev_b32_e32 v92, 16, v90
	v_min3_f16 v49, v51, v49, v92
	v_min3_f16 v49, v50, v90, v49
	v_cvt_f32_f16_e32 v49, v49
	v_max_f32_e32 v48, v48, v48
	v_min_f32_e32 v48, v48, v49
	v_cvt_f16_f32_e32 v50, v48
	v_lshl_add_u64 v[48:49], v[34:35], 1, v[28:29]
	flat_store_short v[48:49], v50
	s_or_b64 exec, exec, s[26:27]
	s_and_b64 s[34:35], s[6:7], s[18:19]
	s_and_saveexec_b64 s[26:27], s[34:35]
	s_cbranch_execz .LBB212_134
.LBB212_147:
	s_and_b64 vcc, exec, s[0:1]
	s_cbranch_vccnz .LBB212_149
; %bb.148:
	v_lshl_add_u64 v[48:49], v[36:37], 1, v[30:31]
	flat_load_ushort v48, v[48:49]
	s_waitcnt vmcnt(0) lgkmcnt(0)
	v_mul_f16_e32 v48, s30, v48
	v_cvt_f32_f16_e32 v48, v48
	s_branch .LBB212_150
.LBB212_149:
	v_mov_b32_e32 v48, 0
.LBB212_150:
	v_pk_add_f16 v49, v12, v24
	v_max_f16_e32 v50, v88, v88
	v_lshrrev_b32_e32 v51, 16, v88
	v_pk_add_f16 v88, v13, v25
	v_min_f16_e32 v50, v50, v49
	v_lshrrev_b32_e32 v49, 16, v49
	v_lshrrev_b32_e32 v90, 16, v88
	v_min3_f16 v49, v51, v49, v90
	v_min3_f16 v49, v50, v88, v49
	v_cvt_f32_f16_e32 v49, v49
	v_max_f32_e32 v48, v48, v48
	v_min_f32_e32 v48, v48, v49
	v_cvt_f16_f32_e32 v50, v48
	v_lshl_add_u64 v[48:49], v[36:37], 1, v[28:29]
	flat_store_short v[48:49], v50
	s_or_b64 exec, exec, s[26:27]
	s_and_b64 s[34:35], s[8:9], s[18:19]
	s_and_saveexec_b64 s[26:27], s[34:35]
	s_cbranch_execz .LBB212_135
.LBB212_151:
	s_and_b64 vcc, exec, s[0:1]
	s_cbranch_vccnz .LBB212_153
; %bb.152:
	v_lshl_add_u64 v[48:49], v[38:39], 1, v[30:31]
	flat_load_ushort v48, v[48:49]
	s_waitcnt vmcnt(0) lgkmcnt(0)
	v_mul_f16_e32 v48, s30, v48
	v_cvt_f32_f16_e32 v48, v48
	s_branch .LBB212_154
.LBB212_153:
	v_mov_b32_e32 v48, 0
.LBB212_154:
	v_pk_add_f16 v49, v14, v24
	v_max_f16_e32 v50, v106, v106
	v_pk_add_f16 v88, v15, v25
	v_min_f16_e32 v50, v50, v49
	v_lshrrev_b32_e32 v51, 16, v106
	v_lshrrev_b32_e32 v49, 16, v49
	;; [unrolled: 1-line block ×3, first 2 shown]
	v_min3_f16 v49, v51, v49, v90
	v_min3_f16 v49, v50, v88, v49
	v_cvt_f32_f16_e32 v49, v49
	v_max_f32_e32 v48, v48, v48
	v_min_f32_e32 v48, v48, v49
	v_cvt_f16_f32_e32 v50, v48
	v_lshl_add_u64 v[48:49], v[38:39], 1, v[28:29]
	flat_store_short v[48:49], v50
	s_or_b64 exec, exec, s[26:27]
	s_and_b64 s[34:35], s[10:11], s[18:19]
	s_and_saveexec_b64 s[26:27], s[34:35]
	s_cbranch_execz .LBB212_136
.LBB212_155:
	s_and_b64 vcc, exec, s[0:1]
	s_cbranch_vccnz .LBB212_157
; %bb.156:
	v_lshl_add_u64 v[48:49], v[40:41], 1, v[30:31]
	flat_load_ushort v48, v[48:49]
	s_waitcnt vmcnt(0) lgkmcnt(0)
	v_mul_f16_e32 v48, s30, v48
	v_cvt_f32_f16_e32 v48, v48
	s_branch .LBB212_158
.LBB212_157:
	v_mov_b32_e32 v48, 0
.LBB212_158:
	v_pk_add_f16 v49, v8, v24
	v_max_f16_e32 v50, v104, v104
	v_pk_add_f16 v88, v9, v25
	v_min_f16_e32 v50, v50, v49
	v_lshrrev_b32_e32 v51, 16, v104
	v_lshrrev_b32_e32 v49, 16, v49
	;; [unrolled: 1-line block ×3, first 2 shown]
	v_min3_f16 v49, v51, v49, v90
	v_min3_f16 v49, v50, v88, v49
	v_cvt_f32_f16_e32 v49, v49
	v_max_f32_e32 v48, v48, v48
	v_min_f32_e32 v48, v48, v49
	v_cvt_f16_f32_e32 v50, v48
	v_lshl_add_u64 v[48:49], v[40:41], 1, v[28:29]
	flat_store_short v[48:49], v50
	s_or_b64 exec, exec, s[26:27]
	s_and_b64 s[34:35], s[12:13], s[18:19]
	s_and_saveexec_b64 s[26:27], s[34:35]
	s_cbranch_execz .LBB212_137
.LBB212_159:
	s_and_b64 vcc, exec, s[0:1]
	s_cbranch_vccnz .LBB212_161
; %bb.160:
	v_lshl_add_u64 v[48:49], v[42:43], 1, v[30:31]
	flat_load_ushort v48, v[48:49]
	s_waitcnt vmcnt(0) lgkmcnt(0)
	v_mul_f16_e32 v48, s30, v48
	v_cvt_f32_f16_e32 v48, v48
	s_branch .LBB212_162
.LBB212_161:
	v_mov_b32_e32 v48, 0
.LBB212_162:
	v_pk_add_f16 v49, v10, v24
	v_max_f16_e32 v50, v102, v102
	v_pk_add_f16 v88, v11, v25
	v_min_f16_e32 v50, v50, v49
	v_lshrrev_b32_e32 v51, 16, v102
	v_lshrrev_b32_e32 v49, 16, v49
	;; [unrolled: 1-line block ×3, first 2 shown]
	v_min3_f16 v49, v51, v49, v90
	v_min3_f16 v49, v50, v88, v49
	v_cvt_f32_f16_e32 v49, v49
	v_max_f32_e32 v48, v48, v48
	v_min_f32_e32 v48, v48, v49
	v_cvt_f16_f32_e32 v50, v48
	v_lshl_add_u64 v[48:49], v[42:43], 1, v[28:29]
	flat_store_short v[48:49], v50
	s_or_b64 exec, exec, s[26:27]
	s_and_b64 s[34:35], s[14:15], s[18:19]
	s_and_saveexec_b64 s[26:27], s[34:35]
	s_cbranch_execz .LBB212_138
.LBB212_163:
	s_and_b64 vcc, exec, s[0:1]
	s_cbranch_vccnz .LBB212_165
; %bb.164:
	v_lshl_add_u64 v[48:49], v[44:45], 1, v[30:31]
	flat_load_ushort v48, v[48:49]
	s_waitcnt vmcnt(0) lgkmcnt(0)
	v_mul_f16_e32 v48, s30, v48
	v_cvt_f32_f16_e32 v48, v48
	s_branch .LBB212_166
.LBB212_165:
	v_mov_b32_e32 v48, 0
.LBB212_166:
	v_pk_add_f16 v49, v0, v24
	v_max_f16_e32 v50, v99, v99
	v_pk_add_f16 v88, v1, v25
	v_min_f16_e32 v50, v50, v49
	v_lshrrev_b32_e32 v51, 16, v99
	v_lshrrev_b32_e32 v49, 16, v49
	;; [unrolled: 1-line block ×3, first 2 shown]
	v_min3_f16 v49, v51, v49, v90
	v_min3_f16 v49, v50, v88, v49
	v_cvt_f32_f16_e32 v49, v49
	v_max_f32_e32 v48, v48, v48
	v_min_f32_e32 v48, v48, v49
	v_cvt_f16_f32_e32 v50, v48
	v_lshl_add_u64 v[48:49], v[44:45], 1, v[28:29]
	flat_store_short v[48:49], v50
	s_or_b64 exec, exec, s[26:27]
	s_and_b64 s[26:27], s[16:17], s[18:19]
	s_and_saveexec_b64 s[18:19], s[26:27]
	s_cbranch_execz .LBB212_171
.LBB212_167:
	s_and_b64 vcc, exec, s[0:1]
	s_cbranch_vccnz .LBB212_169
; %bb.168:
	v_lshl_add_u64 v[30:31], v[46:47], 1, v[30:31]
	flat_load_ushort v30, v[30:31]
	s_waitcnt vmcnt(0) lgkmcnt(0)
	v_mul_f16_e32 v30, s30, v30
	v_cvt_f32_f16_e32 v30, v30
	s_branch .LBB212_170
.LBB212_169:
	v_mov_b32_e32 v30, 0
.LBB212_170:
	v_pk_add_f16 v24, v2, v24
	v_max_f16_e32 v31, v97, v97
	v_pk_add_f16 v25, v3, v25
	v_min_f16_e32 v31, v31, v24
	v_lshrrev_b32_e32 v48, 16, v97
	v_lshrrev_b32_e32 v24, 16, v24
	;; [unrolled: 1-line block ×3, first 2 shown]
	v_min3_f16 v24, v48, v24, v49
	v_min3_f16 v24, v31, v25, v24
	v_cvt_f32_f16_e32 v24, v24
	v_max_f32_e32 v25, v30, v30
	v_min_f32_e32 v24, v25, v24
	v_cvt_f16_f32_e32 v30, v24
	v_lshl_add_u64 v[24:25], v[46:47], 1, v[28:29]
	flat_store_short v[24:25], v30
.LBB212_171:
	s_or_b64 exec, exec, s[18:19]
	v_add_u32_e32 v30, 24, v101
	v_mad_i64_i32 v[24:25], s[26:27], v30, s29, 0
	v_cmp_gt_i32_e64 s[18:19], s21, v30
	v_lshl_add_u64 v[28:29], v[24:25], 1, s[24:25]
	v_mad_i64_i32 v[24:25], s[26:27], v30, s28, 0
	v_lshl_add_u64 v[24:25], v[24:25], 1, s[22:23]
	s_and_b64 s[34:35], s[2:3], s[18:19]
	s_and_saveexec_b64 s[26:27], s[34:35]
	s_cbranch_execnz .LBB212_179
; %bb.172:
	s_or_b64 exec, exec, s[26:27]
	s_and_b64 s[34:35], s[4:5], s[18:19]
	s_and_saveexec_b64 s[26:27], s[34:35]
	s_cbranch_execnz .LBB212_183
.LBB212_173:
	s_or_b64 exec, exec, s[26:27]
	s_and_b64 s[34:35], s[6:7], s[18:19]
	s_and_saveexec_b64 s[26:27], s[34:35]
	s_cbranch_execnz .LBB212_187
.LBB212_174:
	s_or_b64 exec, exec, s[26:27]
	s_and_b64 s[34:35], s[8:9], s[18:19]
	s_and_saveexec_b64 s[26:27], s[34:35]
	s_cbranch_execnz .LBB212_191
.LBB212_175:
	s_or_b64 exec, exec, s[26:27]
	s_and_b64 s[34:35], s[10:11], s[18:19]
	s_and_saveexec_b64 s[26:27], s[34:35]
	s_cbranch_execnz .LBB212_195
.LBB212_176:
	s_or_b64 exec, exec, s[26:27]
	s_and_b64 s[34:35], s[12:13], s[18:19]
	s_and_saveexec_b64 s[26:27], s[34:35]
	s_cbranch_execnz .LBB212_199
.LBB212_177:
	s_or_b64 exec, exec, s[26:27]
	s_and_b64 s[34:35], s[14:15], s[18:19]
	s_and_saveexec_b64 s[26:27], s[34:35]
	s_cbranch_execnz .LBB212_203
.LBB212_178:
	s_or_b64 exec, exec, s[26:27]
	s_and_b64 s[26:27], s[16:17], s[18:19]
	s_and_saveexec_b64 s[18:19], s[26:27]
	s_cbranch_execnz .LBB212_207
	s_branch .LBB212_211
.LBB212_179:
	s_and_b64 vcc, exec, s[0:1]
	s_cbranch_vccnz .LBB212_181
; %bb.180:
	v_lshl_add_u64 v[30:31], v[32:33], 1, v[28:29]
	flat_load_ushort v30, v[30:31]
	s_waitcnt vmcnt(0) lgkmcnt(0)
	v_mul_f16_e32 v30, s30, v30
	v_cvt_f32_f16_e32 v30, v30
	s_branch .LBB212_182
.LBB212_181:
	v_mov_b32_e32 v30, 0
.LBB212_182:
	v_pk_add_f16 v31, v16, v26
	v_max_f16_e32 v48, v95, v95
	v_pk_add_f16 v50, v17, v27
	v_min_f16_e32 v48, v48, v31
	v_lshrrev_b32_e32 v49, 16, v95
	v_lshrrev_b32_e32 v31, 16, v31
	;; [unrolled: 1-line block ×3, first 2 shown]
	v_min3_f16 v31, v49, v31, v51
	v_min3_f16 v31, v48, v50, v31
	v_cvt_f32_f16_e32 v31, v31
	v_max_f32_e32 v30, v30, v30
	v_min_f32_e32 v30, v30, v31
	v_cvt_f16_f32_e32 v48, v30
	v_lshl_add_u64 v[30:31], v[32:33], 1, v[24:25]
	flat_store_short v[30:31], v48
	s_or_b64 exec, exec, s[26:27]
	s_and_b64 s[34:35], s[4:5], s[18:19]
	s_and_saveexec_b64 s[26:27], s[34:35]
	s_cbranch_execz .LBB212_173
.LBB212_183:
	s_and_b64 vcc, exec, s[0:1]
	s_cbranch_vccnz .LBB212_185
; %bb.184:
	v_lshl_add_u64 v[30:31], v[34:35], 1, v[28:29]
	flat_load_ushort v30, v[30:31]
	s_waitcnt vmcnt(0) lgkmcnt(0)
	v_mul_f16_e32 v30, s30, v30
	v_cvt_f32_f16_e32 v30, v30
	s_branch .LBB212_186
.LBB212_185:
	v_mov_b32_e32 v30, 0
.LBB212_186:
	v_pk_add_f16 v31, v18, v26
	v_max_f16_e32 v48, v93, v93
	v_pk_add_f16 v50, v19, v27
	v_min_f16_e32 v48, v48, v31
	v_lshrrev_b32_e32 v49, 16, v93
	v_lshrrev_b32_e32 v31, 16, v31
	;; [unrolled: 1-line block ×3, first 2 shown]
	v_min3_f16 v31, v49, v31, v51
	v_min3_f16 v31, v48, v50, v31
	v_cvt_f32_f16_e32 v31, v31
	v_max_f32_e32 v30, v30, v30
	v_min_f32_e32 v30, v30, v31
	v_cvt_f16_f32_e32 v48, v30
	v_lshl_add_u64 v[30:31], v[34:35], 1, v[24:25]
	flat_store_short v[30:31], v48
	s_or_b64 exec, exec, s[26:27]
	s_and_b64 s[34:35], s[6:7], s[18:19]
	s_and_saveexec_b64 s[26:27], s[34:35]
	s_cbranch_execz .LBB212_174
.LBB212_187:
	s_and_b64 vcc, exec, s[0:1]
	s_cbranch_vccnz .LBB212_189
; %bb.188:
	v_lshl_add_u64 v[30:31], v[36:37], 1, v[28:29]
	flat_load_ushort v30, v[30:31]
	s_waitcnt vmcnt(0) lgkmcnt(0)
	v_mul_f16_e32 v30, s30, v30
	v_cvt_f32_f16_e32 v30, v30
	s_branch .LBB212_190
.LBB212_189:
	v_mov_b32_e32 v30, 0
.LBB212_190:
	v_pk_add_f16 v31, v12, v26
	v_max_f16_e32 v48, v91, v91
	v_pk_add_f16 v50, v13, v27
	v_min_f16_e32 v48, v48, v31
	v_lshrrev_b32_e32 v49, 16, v91
	v_lshrrev_b32_e32 v31, 16, v31
	;; [unrolled: 1-line block ×3, first 2 shown]
	v_min3_f16 v31, v49, v31, v51
	v_min3_f16 v31, v48, v50, v31
	v_cvt_f32_f16_e32 v31, v31
	v_max_f32_e32 v30, v30, v30
	v_min_f32_e32 v30, v30, v31
	v_cvt_f16_f32_e32 v48, v30
	v_lshl_add_u64 v[30:31], v[36:37], 1, v[24:25]
	flat_store_short v[30:31], v48
	s_or_b64 exec, exec, s[26:27]
	s_and_b64 s[34:35], s[8:9], s[18:19]
	s_and_saveexec_b64 s[26:27], s[34:35]
	s_cbranch_execz .LBB212_175
.LBB212_191:
	s_and_b64 vcc, exec, s[0:1]
	s_cbranch_vccnz .LBB212_193
; %bb.192:
	v_lshl_add_u64 v[30:31], v[38:39], 1, v[28:29]
	flat_load_ushort v30, v[30:31]
	s_waitcnt vmcnt(0) lgkmcnt(0)
	v_mul_f16_e32 v30, s30, v30
	v_cvt_f32_f16_e32 v30, v30
	s_branch .LBB212_194
.LBB212_193:
	v_mov_b32_e32 v30, 0
.LBB212_194:
	v_pk_add_f16 v31, v14, v26
	v_max_f16_e32 v48, v89, v89
	v_pk_add_f16 v50, v15, v27
	v_min_f16_e32 v48, v48, v31
	v_lshrrev_b32_e32 v49, 16, v89
	v_lshrrev_b32_e32 v31, 16, v31
	;; [unrolled: 1-line block ×3, first 2 shown]
	v_min3_f16 v31, v49, v31, v51
	v_min3_f16 v31, v48, v50, v31
	v_cvt_f32_f16_e32 v31, v31
	v_max_f32_e32 v30, v30, v30
	v_min_f32_e32 v30, v30, v31
	v_cvt_f16_f32_e32 v48, v30
	v_lshl_add_u64 v[30:31], v[38:39], 1, v[24:25]
	flat_store_short v[30:31], v48
	s_or_b64 exec, exec, s[26:27]
	s_and_b64 s[34:35], s[10:11], s[18:19]
	s_and_saveexec_b64 s[26:27], s[34:35]
	s_cbranch_execz .LBB212_176
.LBB212_195:
	s_and_b64 vcc, exec, s[0:1]
	s_cbranch_vccnz .LBB212_197
; %bb.196:
	v_lshl_add_u64 v[30:31], v[40:41], 1, v[28:29]
	flat_load_ushort v30, v[30:31]
	s_waitcnt vmcnt(0) lgkmcnt(0)
	v_mul_f16_e32 v30, s30, v30
	v_cvt_f32_f16_e32 v30, v30
	s_branch .LBB212_198
.LBB212_197:
	v_mov_b32_e32 v30, 0
.LBB212_198:
	v_pk_add_f16 v31, v8, v26
	v_max_f16_e32 v48, v87, v87
	v_pk_add_f16 v50, v9, v27
	v_min_f16_e32 v48, v48, v31
	v_lshrrev_b32_e32 v49, 16, v87
	v_lshrrev_b32_e32 v31, 16, v31
	;; [unrolled: 1-line block ×3, first 2 shown]
	v_min3_f16 v31, v49, v31, v51
	v_min3_f16 v31, v48, v50, v31
	v_cvt_f32_f16_e32 v31, v31
	v_max_f32_e32 v30, v30, v30
	v_min_f32_e32 v30, v30, v31
	v_cvt_f16_f32_e32 v48, v30
	v_lshl_add_u64 v[30:31], v[40:41], 1, v[24:25]
	flat_store_short v[30:31], v48
	s_or_b64 exec, exec, s[26:27]
	s_and_b64 s[34:35], s[12:13], s[18:19]
	s_and_saveexec_b64 s[26:27], s[34:35]
	s_cbranch_execz .LBB212_177
.LBB212_199:
	s_and_b64 vcc, exec, s[0:1]
	s_cbranch_vccnz .LBB212_201
; %bb.200:
	v_lshl_add_u64 v[30:31], v[42:43], 1, v[28:29]
	flat_load_ushort v30, v[30:31]
	s_waitcnt vmcnt(0) lgkmcnt(0)
	v_mul_f16_e32 v30, s30, v30
	v_cvt_f32_f16_e32 v30, v30
	s_branch .LBB212_202
.LBB212_201:
	v_mov_b32_e32 v30, 0
.LBB212_202:
	v_pk_add_f16 v31, v10, v26
	v_max_f16_e32 v48, v86, v86
	v_pk_add_f16 v50, v11, v27
	v_min_f16_e32 v48, v48, v31
	v_lshrrev_b32_e32 v49, 16, v86
	v_lshrrev_b32_e32 v31, 16, v31
	;; [unrolled: 1-line block ×3, first 2 shown]
	v_min3_f16 v31, v49, v31, v51
	v_min3_f16 v31, v48, v50, v31
	v_cvt_f32_f16_e32 v31, v31
	v_max_f32_e32 v30, v30, v30
	v_min_f32_e32 v30, v30, v31
	v_cvt_f16_f32_e32 v48, v30
	v_lshl_add_u64 v[30:31], v[42:43], 1, v[24:25]
	flat_store_short v[30:31], v48
	s_or_b64 exec, exec, s[26:27]
	s_and_b64 s[34:35], s[14:15], s[18:19]
	s_and_saveexec_b64 s[26:27], s[34:35]
	s_cbranch_execz .LBB212_178
.LBB212_203:
	s_and_b64 vcc, exec, s[0:1]
	s_cbranch_vccnz .LBB212_205
; %bb.204:
	v_lshl_add_u64 v[30:31], v[44:45], 1, v[28:29]
	flat_load_ushort v30, v[30:31]
	s_waitcnt vmcnt(0) lgkmcnt(0)
	v_mul_f16_e32 v30, s30, v30
	v_cvt_f32_f16_e32 v30, v30
	s_branch .LBB212_206
.LBB212_205:
	v_mov_b32_e32 v30, 0
.LBB212_206:
	v_pk_add_f16 v31, v0, v26
	v_max_f16_e32 v48, v85, v85
	v_pk_add_f16 v50, v1, v27
	v_min_f16_e32 v48, v48, v31
	v_lshrrev_b32_e32 v49, 16, v85
	v_lshrrev_b32_e32 v31, 16, v31
	;; [unrolled: 1-line block ×3, first 2 shown]
	v_min3_f16 v31, v49, v31, v51
	v_min3_f16 v31, v48, v50, v31
	v_cvt_f32_f16_e32 v31, v31
	v_max_f32_e32 v30, v30, v30
	v_min_f32_e32 v30, v30, v31
	v_cvt_f16_f32_e32 v48, v30
	v_lshl_add_u64 v[30:31], v[44:45], 1, v[24:25]
	flat_store_short v[30:31], v48
	s_or_b64 exec, exec, s[26:27]
	s_and_b64 s[26:27], s[16:17], s[18:19]
	s_and_saveexec_b64 s[18:19], s[26:27]
	s_cbranch_execz .LBB212_211
.LBB212_207:
	s_and_b64 vcc, exec, s[0:1]
	s_cbranch_vccnz .LBB212_209
; %bb.208:
	v_lshl_add_u64 v[28:29], v[46:47], 1, v[28:29]
	flat_load_ushort v28, v[28:29]
	s_waitcnt vmcnt(0) lgkmcnt(0)
	v_mul_f16_e32 v28, s30, v28
	v_cvt_f32_f16_e32 v28, v28
	s_branch .LBB212_210
.LBB212_209:
	v_mov_b32_e32 v28, 0
.LBB212_210:
	v_pk_add_f16 v26, v2, v26
	v_max_f16_e32 v29, v84, v84
	v_pk_add_f16 v27, v3, v27
	v_min_f16_e32 v29, v29, v26
	v_lshrrev_b32_e32 v30, 16, v84
	v_lshrrev_b32_e32 v26, 16, v26
	;; [unrolled: 1-line block ×3, first 2 shown]
	v_min3_f16 v26, v30, v26, v31
	v_min3_f16 v26, v29, v27, v26
	v_cvt_f32_f16_e32 v26, v26
	v_max_f32_e32 v27, v28, v28
	v_lshl_add_u64 v[24:25], v[46:47], 1, v[24:25]
	v_min_f32_e32 v26, v27, v26
	v_cvt_f16_f32_e32 v26, v26
	flat_store_short v[24:25], v26
.LBB212_211:
	s_or_b64 exec, exec, s[18:19]
	v_add_u32_e32 v28, 32, v101
	v_mad_i64_i32 v[24:25], s[26:27], v28, s29, 0
	v_cmp_gt_i32_e64 s[18:19], s21, v28
	v_lshl_add_u64 v[26:27], v[24:25], 1, s[24:25]
	v_mad_i64_i32 v[24:25], s[26:27], v28, s28, 0
	v_lshl_add_u64 v[24:25], v[24:25], 1, s[22:23]
	s_and_b64 s[34:35], s[2:3], s[18:19]
	s_and_saveexec_b64 s[26:27], s[34:35]
	s_cbranch_execnz .LBB212_219
; %bb.212:
	s_or_b64 exec, exec, s[26:27]
	s_and_b64 s[34:35], s[4:5], s[18:19]
	s_and_saveexec_b64 s[26:27], s[34:35]
	s_cbranch_execnz .LBB212_223
.LBB212_213:
	s_or_b64 exec, exec, s[26:27]
	s_and_b64 s[34:35], s[6:7], s[18:19]
	s_and_saveexec_b64 s[26:27], s[34:35]
	s_cbranch_execnz .LBB212_227
.LBB212_214:
	s_or_b64 exec, exec, s[26:27]
	s_and_b64 s[34:35], s[8:9], s[18:19]
	s_and_saveexec_b64 s[26:27], s[34:35]
	s_cbranch_execnz .LBB212_231
.LBB212_215:
	s_or_b64 exec, exec, s[26:27]
	s_and_b64 s[34:35], s[10:11], s[18:19]
	s_and_saveexec_b64 s[26:27], s[34:35]
	s_cbranch_execnz .LBB212_235
.LBB212_216:
	s_or_b64 exec, exec, s[26:27]
	s_and_b64 s[34:35], s[12:13], s[18:19]
	s_and_saveexec_b64 s[26:27], s[34:35]
	s_cbranch_execnz .LBB212_239
.LBB212_217:
	s_or_b64 exec, exec, s[26:27]
	s_and_b64 s[34:35], s[14:15], s[18:19]
	s_and_saveexec_b64 s[26:27], s[34:35]
	s_cbranch_execnz .LBB212_243
.LBB212_218:
	s_or_b64 exec, exec, s[26:27]
	s_and_b64 s[26:27], s[16:17], s[18:19]
	s_and_saveexec_b64 s[18:19], s[26:27]
	s_cbranch_execnz .LBB212_247
	s_branch .LBB212_251
.LBB212_219:
	s_and_b64 vcc, exec, s[0:1]
	s_cbranch_vccnz .LBB212_221
; %bb.220:
	v_lshl_add_u64 v[28:29], v[32:33], 1, v[26:27]
	flat_load_ushort v28, v[28:29]
	s_waitcnt vmcnt(0) lgkmcnt(0)
	v_mul_f16_e32 v28, s30, v28
	v_cvt_f32_f16_e32 v28, v28
	s_branch .LBB212_222
.LBB212_221:
	v_mov_b32_e32 v28, 0
.LBB212_222:
	v_pk_add_f16 v29, v16, v20
	v_max_f16_e32 v30, v83, v83
	v_pk_add_f16 v48, v17, v21
	v_min_f16_e32 v30, v30, v29
	v_lshrrev_b32_e32 v31, 16, v83
	v_lshrrev_b32_e32 v29, 16, v29
	;; [unrolled: 1-line block ×3, first 2 shown]
	v_min3_f16 v29, v31, v29, v49
	v_min3_f16 v29, v30, v48, v29
	v_cvt_f32_f16_e32 v29, v29
	v_max_f32_e32 v28, v28, v28
	v_min_f32_e32 v28, v28, v29
	v_cvt_f16_f32_e32 v30, v28
	v_lshl_add_u64 v[28:29], v[32:33], 1, v[24:25]
	flat_store_short v[28:29], v30
	s_or_b64 exec, exec, s[26:27]
	s_and_b64 s[34:35], s[4:5], s[18:19]
	s_and_saveexec_b64 s[26:27], s[34:35]
	s_cbranch_execz .LBB212_213
.LBB212_223:
	s_and_b64 vcc, exec, s[0:1]
	s_cbranch_vccnz .LBB212_225
; %bb.224:
	v_lshl_add_u64 v[28:29], v[34:35], 1, v[26:27]
	flat_load_ushort v28, v[28:29]
	s_waitcnt vmcnt(0) lgkmcnt(0)
	v_mul_f16_e32 v28, s30, v28
	v_cvt_f32_f16_e32 v28, v28
	s_branch .LBB212_226
.LBB212_225:
	v_mov_b32_e32 v28, 0
.LBB212_226:
	v_pk_add_f16 v29, v18, v20
	v_max_f16_e32 v30, v82, v82
	v_pk_add_f16 v48, v19, v21
	v_min_f16_e32 v30, v30, v29
	v_lshrrev_b32_e32 v31, 16, v82
	v_lshrrev_b32_e32 v29, 16, v29
	;; [unrolled: 1-line block ×3, first 2 shown]
	v_min3_f16 v29, v31, v29, v49
	v_min3_f16 v29, v30, v48, v29
	v_cvt_f32_f16_e32 v29, v29
	v_max_f32_e32 v28, v28, v28
	v_min_f32_e32 v28, v28, v29
	v_cvt_f16_f32_e32 v30, v28
	v_lshl_add_u64 v[28:29], v[34:35], 1, v[24:25]
	flat_store_short v[28:29], v30
	s_or_b64 exec, exec, s[26:27]
	s_and_b64 s[34:35], s[6:7], s[18:19]
	s_and_saveexec_b64 s[26:27], s[34:35]
	s_cbranch_execz .LBB212_214
.LBB212_227:
	s_and_b64 vcc, exec, s[0:1]
	s_cbranch_vccnz .LBB212_229
; %bb.228:
	v_lshl_add_u64 v[28:29], v[36:37], 1, v[26:27]
	flat_load_ushort v28, v[28:29]
	s_waitcnt vmcnt(0) lgkmcnt(0)
	v_mul_f16_e32 v28, s30, v28
	v_cvt_f32_f16_e32 v28, v28
	s_branch .LBB212_230
.LBB212_229:
	v_mov_b32_e32 v28, 0
.LBB212_230:
	v_pk_add_f16 v29, v12, v20
	v_max_f16_e32 v30, v81, v81
	v_pk_add_f16 v48, v13, v21
	v_min_f16_e32 v30, v30, v29
	v_lshrrev_b32_e32 v31, 16, v81
	v_lshrrev_b32_e32 v29, 16, v29
	;; [unrolled: 1-line block ×3, first 2 shown]
	v_min3_f16 v29, v31, v29, v49
	v_min3_f16 v29, v30, v48, v29
	v_cvt_f32_f16_e32 v29, v29
	v_max_f32_e32 v28, v28, v28
	v_min_f32_e32 v28, v28, v29
	v_cvt_f16_f32_e32 v30, v28
	v_lshl_add_u64 v[28:29], v[36:37], 1, v[24:25]
	flat_store_short v[28:29], v30
	s_or_b64 exec, exec, s[26:27]
	s_and_b64 s[34:35], s[8:9], s[18:19]
	s_and_saveexec_b64 s[26:27], s[34:35]
	s_cbranch_execz .LBB212_215
.LBB212_231:
	s_and_b64 vcc, exec, s[0:1]
	s_cbranch_vccnz .LBB212_233
; %bb.232:
	v_lshl_add_u64 v[28:29], v[38:39], 1, v[26:27]
	flat_load_ushort v28, v[28:29]
	s_waitcnt vmcnt(0) lgkmcnt(0)
	v_mul_f16_e32 v28, s30, v28
	v_cvt_f32_f16_e32 v28, v28
	s_branch .LBB212_234
.LBB212_233:
	v_mov_b32_e32 v28, 0
.LBB212_234:
	v_pk_add_f16 v29, v14, v20
	v_max_f16_e32 v30, v80, v80
	v_pk_add_f16 v48, v15, v21
	v_min_f16_e32 v30, v30, v29
	v_lshrrev_b32_e32 v31, 16, v80
	v_lshrrev_b32_e32 v29, 16, v29
	;; [unrolled: 1-line block ×3, first 2 shown]
	v_min3_f16 v29, v31, v29, v49
	v_min3_f16 v29, v30, v48, v29
	v_cvt_f32_f16_e32 v29, v29
	v_max_f32_e32 v28, v28, v28
	v_min_f32_e32 v28, v28, v29
	v_cvt_f16_f32_e32 v30, v28
	v_lshl_add_u64 v[28:29], v[38:39], 1, v[24:25]
	flat_store_short v[28:29], v30
	s_or_b64 exec, exec, s[26:27]
	s_and_b64 s[34:35], s[10:11], s[18:19]
	s_and_saveexec_b64 s[26:27], s[34:35]
	s_cbranch_execz .LBB212_216
.LBB212_235:
	s_and_b64 vcc, exec, s[0:1]
	s_cbranch_vccnz .LBB212_237
; %bb.236:
	v_lshl_add_u64 v[28:29], v[40:41], 1, v[26:27]
	flat_load_ushort v28, v[28:29]
	s_waitcnt vmcnt(0) lgkmcnt(0)
	v_mul_f16_e32 v28, s30, v28
	v_cvt_f32_f16_e32 v28, v28
	s_branch .LBB212_238
.LBB212_237:
	v_mov_b32_e32 v28, 0
.LBB212_238:
	v_pk_add_f16 v29, v8, v20
	v_max_f16_e32 v30, v79, v79
	v_pk_add_f16 v48, v9, v21
	v_min_f16_e32 v30, v30, v29
	v_lshrrev_b32_e32 v31, 16, v79
	v_lshrrev_b32_e32 v29, 16, v29
	;; [unrolled: 1-line block ×3, first 2 shown]
	v_min3_f16 v29, v31, v29, v49
	v_min3_f16 v29, v30, v48, v29
	v_cvt_f32_f16_e32 v29, v29
	v_max_f32_e32 v28, v28, v28
	v_min_f32_e32 v28, v28, v29
	v_cvt_f16_f32_e32 v30, v28
	v_lshl_add_u64 v[28:29], v[40:41], 1, v[24:25]
	flat_store_short v[28:29], v30
	s_or_b64 exec, exec, s[26:27]
	s_and_b64 s[34:35], s[12:13], s[18:19]
	s_and_saveexec_b64 s[26:27], s[34:35]
	s_cbranch_execz .LBB212_217
.LBB212_239:
	s_and_b64 vcc, exec, s[0:1]
	s_cbranch_vccnz .LBB212_241
; %bb.240:
	v_lshl_add_u64 v[28:29], v[42:43], 1, v[26:27]
	flat_load_ushort v28, v[28:29]
	s_waitcnt vmcnt(0) lgkmcnt(0)
	v_mul_f16_e32 v28, s30, v28
	v_cvt_f32_f16_e32 v28, v28
	s_branch .LBB212_242
.LBB212_241:
	v_mov_b32_e32 v28, 0
.LBB212_242:
	v_pk_add_f16 v29, v10, v20
	v_max_f16_e32 v30, v78, v78
	v_pk_add_f16 v48, v11, v21
	v_min_f16_e32 v30, v30, v29
	v_lshrrev_b32_e32 v31, 16, v78
	v_lshrrev_b32_e32 v29, 16, v29
	;; [unrolled: 1-line block ×3, first 2 shown]
	v_min3_f16 v29, v31, v29, v49
	v_min3_f16 v29, v30, v48, v29
	v_cvt_f32_f16_e32 v29, v29
	v_max_f32_e32 v28, v28, v28
	v_min_f32_e32 v28, v28, v29
	v_cvt_f16_f32_e32 v30, v28
	v_lshl_add_u64 v[28:29], v[42:43], 1, v[24:25]
	flat_store_short v[28:29], v30
	s_or_b64 exec, exec, s[26:27]
	s_and_b64 s[34:35], s[14:15], s[18:19]
	s_and_saveexec_b64 s[26:27], s[34:35]
	s_cbranch_execz .LBB212_218
.LBB212_243:
	s_and_b64 vcc, exec, s[0:1]
	s_cbranch_vccnz .LBB212_245
; %bb.244:
	v_lshl_add_u64 v[28:29], v[44:45], 1, v[26:27]
	flat_load_ushort v28, v[28:29]
	s_waitcnt vmcnt(0) lgkmcnt(0)
	v_mul_f16_e32 v28, s30, v28
	v_cvt_f32_f16_e32 v28, v28
	s_branch .LBB212_246
.LBB212_245:
	v_mov_b32_e32 v28, 0
.LBB212_246:
	v_pk_add_f16 v29, v0, v20
	v_max_f16_e32 v30, v77, v77
	v_pk_add_f16 v48, v1, v21
	v_min_f16_e32 v30, v30, v29
	v_lshrrev_b32_e32 v31, 16, v77
	v_lshrrev_b32_e32 v29, 16, v29
	;; [unrolled: 1-line block ×3, first 2 shown]
	v_min3_f16 v29, v31, v29, v49
	v_min3_f16 v29, v30, v48, v29
	v_cvt_f32_f16_e32 v29, v29
	v_max_f32_e32 v28, v28, v28
	v_min_f32_e32 v28, v28, v29
	v_cvt_f16_f32_e32 v30, v28
	v_lshl_add_u64 v[28:29], v[44:45], 1, v[24:25]
	flat_store_short v[28:29], v30
	s_or_b64 exec, exec, s[26:27]
	s_and_b64 s[26:27], s[16:17], s[18:19]
	s_and_saveexec_b64 s[18:19], s[26:27]
	s_cbranch_execz .LBB212_251
.LBB212_247:
	s_and_b64 vcc, exec, s[0:1]
	s_cbranch_vccnz .LBB212_249
; %bb.248:
	v_lshl_add_u64 v[26:27], v[46:47], 1, v[26:27]
	flat_load_ushort v26, v[26:27]
	s_waitcnt vmcnt(0) lgkmcnt(0)
	v_mul_f16_e32 v26, s30, v26
	v_cvt_f32_f16_e32 v26, v26
	s_branch .LBB212_250
.LBB212_249:
	v_mov_b32_e32 v26, 0
.LBB212_250:
	v_pk_add_f16 v20, v2, v20
	v_max_f16_e32 v27, v76, v76
	v_pk_add_f16 v21, v3, v21
	v_min_f16_e32 v27, v27, v20
	v_lshrrev_b32_e32 v28, 16, v76
	v_lshrrev_b32_e32 v20, 16, v20
	;; [unrolled: 1-line block ×3, first 2 shown]
	v_min3_f16 v20, v28, v20, v29
	v_min3_f16 v20, v27, v21, v20
	v_cvt_f32_f16_e32 v20, v20
	v_max_f32_e32 v21, v26, v26
	v_min_f32_e32 v20, v21, v20
	v_cvt_f16_f32_e32 v26, v20
	v_lshl_add_u64 v[20:21], v[46:47], 1, v[24:25]
	flat_store_short v[20:21], v26
.LBB212_251:
	s_or_b64 exec, exec, s[18:19]
	v_add_u32_e32 v26, 40, v101
	v_mad_i64_i32 v[20:21], s[26:27], v26, s29, 0
	v_cmp_gt_i32_e64 s[18:19], s21, v26
	v_lshl_add_u64 v[24:25], v[20:21], 1, s[24:25]
	v_mad_i64_i32 v[20:21], s[26:27], v26, s28, 0
	v_lshl_add_u64 v[20:21], v[20:21], 1, s[22:23]
	s_and_b64 s[34:35], s[2:3], s[18:19]
	s_and_saveexec_b64 s[26:27], s[34:35]
	s_cbranch_execnz .LBB212_259
; %bb.252:
	s_or_b64 exec, exec, s[26:27]
	s_and_b64 s[34:35], s[4:5], s[18:19]
	s_and_saveexec_b64 s[26:27], s[34:35]
	s_cbranch_execnz .LBB212_263
.LBB212_253:
	s_or_b64 exec, exec, s[26:27]
	s_and_b64 s[34:35], s[6:7], s[18:19]
	s_and_saveexec_b64 s[26:27], s[34:35]
	s_cbranch_execnz .LBB212_267
.LBB212_254:
	s_or_b64 exec, exec, s[26:27]
	s_and_b64 s[34:35], s[8:9], s[18:19]
	s_and_saveexec_b64 s[26:27], s[34:35]
	s_cbranch_execnz .LBB212_271
.LBB212_255:
	s_or_b64 exec, exec, s[26:27]
	s_and_b64 s[34:35], s[10:11], s[18:19]
	s_and_saveexec_b64 s[26:27], s[34:35]
	s_cbranch_execnz .LBB212_275
.LBB212_256:
	s_or_b64 exec, exec, s[26:27]
	s_and_b64 s[34:35], s[12:13], s[18:19]
	s_and_saveexec_b64 s[26:27], s[34:35]
	s_cbranch_execnz .LBB212_279
.LBB212_257:
	s_or_b64 exec, exec, s[26:27]
	s_and_b64 s[34:35], s[14:15], s[18:19]
	s_and_saveexec_b64 s[26:27], s[34:35]
	s_cbranch_execnz .LBB212_283
.LBB212_258:
	s_or_b64 exec, exec, s[26:27]
	s_and_b64 s[26:27], s[16:17], s[18:19]
	s_and_saveexec_b64 s[18:19], s[26:27]
	s_cbranch_execnz .LBB212_287
	s_branch .LBB212_291
.LBB212_259:
	s_and_b64 vcc, exec, s[0:1]
	s_cbranch_vccnz .LBB212_261
; %bb.260:
	v_lshl_add_u64 v[26:27], v[32:33], 1, v[24:25]
	flat_load_ushort v26, v[26:27]
	s_waitcnt vmcnt(0) lgkmcnt(0)
	v_mul_f16_e32 v26, s30, v26
	v_cvt_f32_f16_e32 v26, v26
	s_branch .LBB212_262
.LBB212_261:
	v_mov_b32_e32 v26, 0
.LBB212_262:
	v_pk_add_f16 v27, v16, v22
	v_max_f16_e32 v28, v75, v75
	v_pk_add_f16 v30, v17, v23
	v_min_f16_e32 v28, v28, v27
	v_lshrrev_b32_e32 v29, 16, v75
	v_lshrrev_b32_e32 v27, 16, v27
	v_lshrrev_b32_e32 v31, 16, v30
	v_min3_f16 v27, v29, v27, v31
	v_min3_f16 v27, v28, v30, v27
	v_cvt_f32_f16_e32 v27, v27
	v_max_f32_e32 v26, v26, v26
	v_min_f32_e32 v26, v26, v27
	v_cvt_f16_f32_e32 v28, v26
	v_lshl_add_u64 v[26:27], v[32:33], 1, v[20:21]
	flat_store_short v[26:27], v28
	s_or_b64 exec, exec, s[26:27]
	s_and_b64 s[34:35], s[4:5], s[18:19]
	s_and_saveexec_b64 s[26:27], s[34:35]
	s_cbranch_execz .LBB212_253
.LBB212_263:
	s_and_b64 vcc, exec, s[0:1]
	s_cbranch_vccnz .LBB212_265
; %bb.264:
	v_lshl_add_u64 v[26:27], v[34:35], 1, v[24:25]
	flat_load_ushort v26, v[26:27]
	s_waitcnt vmcnt(0) lgkmcnt(0)
	v_mul_f16_e32 v26, s30, v26
	v_cvt_f32_f16_e32 v26, v26
	s_branch .LBB212_266
.LBB212_265:
	v_mov_b32_e32 v26, 0
.LBB212_266:
	v_pk_add_f16 v27, v18, v22
	v_max_f16_e32 v28, v74, v74
	v_pk_add_f16 v30, v19, v23
	v_min_f16_e32 v28, v28, v27
	v_lshrrev_b32_e32 v29, 16, v74
	v_lshrrev_b32_e32 v27, 16, v27
	;; [unrolled: 1-line block ×3, first 2 shown]
	v_min3_f16 v27, v29, v27, v31
	v_min3_f16 v27, v28, v30, v27
	v_cvt_f32_f16_e32 v27, v27
	v_max_f32_e32 v26, v26, v26
	v_min_f32_e32 v26, v26, v27
	v_cvt_f16_f32_e32 v28, v26
	v_lshl_add_u64 v[26:27], v[34:35], 1, v[20:21]
	flat_store_short v[26:27], v28
	s_or_b64 exec, exec, s[26:27]
	s_and_b64 s[34:35], s[6:7], s[18:19]
	s_and_saveexec_b64 s[26:27], s[34:35]
	s_cbranch_execz .LBB212_254
.LBB212_267:
	s_and_b64 vcc, exec, s[0:1]
	s_cbranch_vccnz .LBB212_269
; %bb.268:
	v_lshl_add_u64 v[26:27], v[36:37], 1, v[24:25]
	flat_load_ushort v26, v[26:27]
	s_waitcnt vmcnt(0) lgkmcnt(0)
	v_mul_f16_e32 v26, s30, v26
	v_cvt_f32_f16_e32 v26, v26
	s_branch .LBB212_270
.LBB212_269:
	v_mov_b32_e32 v26, 0
.LBB212_270:
	v_pk_add_f16 v27, v12, v22
	v_max_f16_e32 v28, v73, v73
	v_pk_add_f16 v30, v13, v23
	v_min_f16_e32 v28, v28, v27
	v_lshrrev_b32_e32 v29, 16, v73
	v_lshrrev_b32_e32 v27, 16, v27
	;; [unrolled: 1-line block ×3, first 2 shown]
	v_min3_f16 v27, v29, v27, v31
	v_min3_f16 v27, v28, v30, v27
	v_cvt_f32_f16_e32 v27, v27
	v_max_f32_e32 v26, v26, v26
	v_min_f32_e32 v26, v26, v27
	v_cvt_f16_f32_e32 v28, v26
	v_lshl_add_u64 v[26:27], v[36:37], 1, v[20:21]
	flat_store_short v[26:27], v28
	s_or_b64 exec, exec, s[26:27]
	s_and_b64 s[34:35], s[8:9], s[18:19]
	s_and_saveexec_b64 s[26:27], s[34:35]
	s_cbranch_execz .LBB212_255
.LBB212_271:
	s_and_b64 vcc, exec, s[0:1]
	s_cbranch_vccnz .LBB212_273
; %bb.272:
	v_lshl_add_u64 v[26:27], v[38:39], 1, v[24:25]
	flat_load_ushort v26, v[26:27]
	s_waitcnt vmcnt(0) lgkmcnt(0)
	v_mul_f16_e32 v26, s30, v26
	v_cvt_f32_f16_e32 v26, v26
	s_branch .LBB212_274
.LBB212_273:
	v_mov_b32_e32 v26, 0
.LBB212_274:
	v_pk_add_f16 v27, v14, v22
	v_max_f16_e32 v28, v72, v72
	v_pk_add_f16 v30, v15, v23
	v_min_f16_e32 v28, v28, v27
	v_lshrrev_b32_e32 v29, 16, v72
	v_lshrrev_b32_e32 v27, 16, v27
	;; [unrolled: 1-line block ×3, first 2 shown]
	v_min3_f16 v27, v29, v27, v31
	v_min3_f16 v27, v28, v30, v27
	v_cvt_f32_f16_e32 v27, v27
	v_max_f32_e32 v26, v26, v26
	v_min_f32_e32 v26, v26, v27
	v_cvt_f16_f32_e32 v28, v26
	v_lshl_add_u64 v[26:27], v[38:39], 1, v[20:21]
	flat_store_short v[26:27], v28
	s_or_b64 exec, exec, s[26:27]
	s_and_b64 s[34:35], s[10:11], s[18:19]
	s_and_saveexec_b64 s[26:27], s[34:35]
	s_cbranch_execz .LBB212_256
.LBB212_275:
	s_and_b64 vcc, exec, s[0:1]
	s_cbranch_vccnz .LBB212_277
; %bb.276:
	v_lshl_add_u64 v[26:27], v[40:41], 1, v[24:25]
	flat_load_ushort v26, v[26:27]
	s_waitcnt vmcnt(0) lgkmcnt(0)
	v_mul_f16_e32 v26, s30, v26
	v_cvt_f32_f16_e32 v26, v26
	s_branch .LBB212_278
.LBB212_277:
	v_mov_b32_e32 v26, 0
.LBB212_278:
	v_pk_add_f16 v27, v8, v22
	v_max_f16_e32 v28, v71, v71
	v_pk_add_f16 v30, v9, v23
	v_min_f16_e32 v28, v28, v27
	v_lshrrev_b32_e32 v29, 16, v71
	v_lshrrev_b32_e32 v27, 16, v27
	;; [unrolled: 1-line block ×3, first 2 shown]
	v_min3_f16 v27, v29, v27, v31
	v_min3_f16 v27, v28, v30, v27
	v_cvt_f32_f16_e32 v27, v27
	v_max_f32_e32 v26, v26, v26
	v_min_f32_e32 v26, v26, v27
	v_cvt_f16_f32_e32 v28, v26
	v_lshl_add_u64 v[26:27], v[40:41], 1, v[20:21]
	flat_store_short v[26:27], v28
	s_or_b64 exec, exec, s[26:27]
	s_and_b64 s[34:35], s[12:13], s[18:19]
	s_and_saveexec_b64 s[26:27], s[34:35]
	s_cbranch_execz .LBB212_257
.LBB212_279:
	s_and_b64 vcc, exec, s[0:1]
	s_cbranch_vccnz .LBB212_281
; %bb.280:
	v_lshl_add_u64 v[26:27], v[42:43], 1, v[24:25]
	flat_load_ushort v26, v[26:27]
	s_waitcnt vmcnt(0) lgkmcnt(0)
	v_mul_f16_e32 v26, s30, v26
	v_cvt_f32_f16_e32 v26, v26
	s_branch .LBB212_282
.LBB212_281:
	v_mov_b32_e32 v26, 0
.LBB212_282:
	v_pk_add_f16 v27, v10, v22
	v_max_f16_e32 v28, v70, v70
	v_pk_add_f16 v30, v11, v23
	v_min_f16_e32 v28, v28, v27
	v_lshrrev_b32_e32 v29, 16, v70
	v_lshrrev_b32_e32 v27, 16, v27
	;; [unrolled: 1-line block ×3, first 2 shown]
	v_min3_f16 v27, v29, v27, v31
	v_min3_f16 v27, v28, v30, v27
	v_cvt_f32_f16_e32 v27, v27
	v_max_f32_e32 v26, v26, v26
	v_min_f32_e32 v26, v26, v27
	v_cvt_f16_f32_e32 v28, v26
	v_lshl_add_u64 v[26:27], v[42:43], 1, v[20:21]
	flat_store_short v[26:27], v28
	s_or_b64 exec, exec, s[26:27]
	s_and_b64 s[34:35], s[14:15], s[18:19]
	s_and_saveexec_b64 s[26:27], s[34:35]
	s_cbranch_execz .LBB212_258
.LBB212_283:
	s_and_b64 vcc, exec, s[0:1]
	s_cbranch_vccnz .LBB212_285
; %bb.284:
	v_lshl_add_u64 v[26:27], v[44:45], 1, v[24:25]
	flat_load_ushort v26, v[26:27]
	s_waitcnt vmcnt(0) lgkmcnt(0)
	v_mul_f16_e32 v26, s30, v26
	v_cvt_f32_f16_e32 v26, v26
	s_branch .LBB212_286
.LBB212_285:
	v_mov_b32_e32 v26, 0
.LBB212_286:
	v_pk_add_f16 v27, v0, v22
	v_max_f16_e32 v28, v69, v69
	v_pk_add_f16 v30, v1, v23
	v_min_f16_e32 v28, v28, v27
	v_lshrrev_b32_e32 v29, 16, v69
	v_lshrrev_b32_e32 v27, 16, v27
	;; [unrolled: 1-line block ×3, first 2 shown]
	v_min3_f16 v27, v29, v27, v31
	v_min3_f16 v27, v28, v30, v27
	v_cvt_f32_f16_e32 v27, v27
	v_max_f32_e32 v26, v26, v26
	v_min_f32_e32 v26, v26, v27
	v_cvt_f16_f32_e32 v28, v26
	v_lshl_add_u64 v[26:27], v[44:45], 1, v[20:21]
	flat_store_short v[26:27], v28
	s_or_b64 exec, exec, s[26:27]
	s_and_b64 s[26:27], s[16:17], s[18:19]
	s_and_saveexec_b64 s[18:19], s[26:27]
	s_cbranch_execz .LBB212_291
.LBB212_287:
	s_and_b64 vcc, exec, s[0:1]
	s_cbranch_vccnz .LBB212_289
; %bb.288:
	v_lshl_add_u64 v[24:25], v[46:47], 1, v[24:25]
	flat_load_ushort v24, v[24:25]
	s_waitcnt vmcnt(0) lgkmcnt(0)
	v_mul_f16_e32 v24, s30, v24
	v_cvt_f32_f16_e32 v24, v24
	s_branch .LBB212_290
.LBB212_289:
	v_mov_b32_e32 v24, 0
.LBB212_290:
	v_pk_add_f16 v22, v2, v22
	v_max_f16_e32 v25, v68, v68
	v_pk_add_f16 v23, v3, v23
	v_min_f16_e32 v25, v25, v22
	v_lshrrev_b32_e32 v26, 16, v68
	v_lshrrev_b32_e32 v22, 16, v22
	;; [unrolled: 1-line block ×3, first 2 shown]
	v_min3_f16 v22, v26, v22, v27
	v_min3_f16 v22, v25, v23, v22
	v_cvt_f32_f16_e32 v22, v22
	v_max_f32_e32 v23, v24, v24
	v_lshl_add_u64 v[20:21], v[46:47], 1, v[20:21]
	v_min_f32_e32 v22, v23, v22
	v_cvt_f16_f32_e32 v22, v22
	flat_store_short v[20:21], v22
.LBB212_291:
	s_or_b64 exec, exec, s[18:19]
	v_add_u32_e32 v24, 48, v101
	v_mad_i64_i32 v[20:21], s[26:27], v24, s29, 0
	v_cmp_gt_i32_e64 s[18:19], s21, v24
	v_lshl_add_u64 v[22:23], v[20:21], 1, s[24:25]
	v_mad_i64_i32 v[20:21], s[26:27], v24, s28, 0
	v_lshl_add_u64 v[20:21], v[20:21], 1, s[22:23]
	s_and_b64 s[34:35], s[2:3], s[18:19]
	s_and_saveexec_b64 s[26:27], s[34:35]
	s_cbranch_execnz .LBB212_299
; %bb.292:
	s_or_b64 exec, exec, s[26:27]
	s_and_b64 s[34:35], s[4:5], s[18:19]
	s_and_saveexec_b64 s[26:27], s[34:35]
	s_cbranch_execnz .LBB212_303
.LBB212_293:
	s_or_b64 exec, exec, s[26:27]
	s_and_b64 s[34:35], s[6:7], s[18:19]
	s_and_saveexec_b64 s[26:27], s[34:35]
	s_cbranch_execnz .LBB212_307
.LBB212_294:
	s_or_b64 exec, exec, s[26:27]
	s_and_b64 s[34:35], s[8:9], s[18:19]
	s_and_saveexec_b64 s[26:27], s[34:35]
	s_cbranch_execnz .LBB212_311
.LBB212_295:
	s_or_b64 exec, exec, s[26:27]
	s_and_b64 s[34:35], s[10:11], s[18:19]
	s_and_saveexec_b64 s[26:27], s[34:35]
	s_cbranch_execnz .LBB212_315
.LBB212_296:
	s_or_b64 exec, exec, s[26:27]
	s_and_b64 s[34:35], s[12:13], s[18:19]
	s_and_saveexec_b64 s[26:27], s[34:35]
	s_cbranch_execnz .LBB212_319
.LBB212_297:
	s_or_b64 exec, exec, s[26:27]
	s_and_b64 s[34:35], s[14:15], s[18:19]
	s_and_saveexec_b64 s[26:27], s[34:35]
	s_cbranch_execnz .LBB212_323
.LBB212_298:
	s_or_b64 exec, exec, s[26:27]
	s_and_b64 s[26:27], s[16:17], s[18:19]
	s_and_saveexec_b64 s[18:19], s[26:27]
	s_cbranch_execnz .LBB212_327
	s_branch .LBB212_331
.LBB212_299:
	s_and_b64 vcc, exec, s[0:1]
	s_cbranch_vccnz .LBB212_301
; %bb.300:
	v_lshl_add_u64 v[24:25], v[32:33], 1, v[22:23]
	flat_load_ushort v24, v[24:25]
	s_waitcnt vmcnt(0) lgkmcnt(0)
	v_mul_f16_e32 v24, s30, v24
	v_cvt_f32_f16_e32 v24, v24
	s_branch .LBB212_302
.LBB212_301:
	v_mov_b32_e32 v24, 0
.LBB212_302:
	v_pk_add_f16 v25, v16, v4
	v_max_f16_e32 v26, v67, v67
	v_pk_add_f16 v28, v17, v5
	v_min_f16_e32 v26, v26, v25
	v_lshrrev_b32_e32 v27, 16, v67
	v_lshrrev_b32_e32 v25, 16, v25
	v_lshrrev_b32_e32 v29, 16, v28
	v_min3_f16 v25, v27, v25, v29
	v_min3_f16 v25, v26, v28, v25
	v_cvt_f32_f16_e32 v25, v25
	v_max_f32_e32 v24, v24, v24
	v_min_f32_e32 v24, v24, v25
	v_cvt_f16_f32_e32 v26, v24
	v_lshl_add_u64 v[24:25], v[32:33], 1, v[20:21]
	flat_store_short v[24:25], v26
	s_or_b64 exec, exec, s[26:27]
	s_and_b64 s[34:35], s[4:5], s[18:19]
	s_and_saveexec_b64 s[26:27], s[34:35]
	s_cbranch_execz .LBB212_293
.LBB212_303:
	s_and_b64 vcc, exec, s[0:1]
	s_cbranch_vccnz .LBB212_305
; %bb.304:
	v_lshl_add_u64 v[24:25], v[34:35], 1, v[22:23]
	flat_load_ushort v24, v[24:25]
	s_waitcnt vmcnt(0) lgkmcnt(0)
	v_mul_f16_e32 v24, s30, v24
	v_cvt_f32_f16_e32 v24, v24
	s_branch .LBB212_306
.LBB212_305:
	v_mov_b32_e32 v24, 0
.LBB212_306:
	v_pk_add_f16 v25, v18, v4
	v_max_f16_e32 v26, v66, v66
	v_pk_add_f16 v28, v19, v5
	v_min_f16_e32 v26, v26, v25
	v_lshrrev_b32_e32 v27, 16, v66
	v_lshrrev_b32_e32 v25, 16, v25
	;; [unrolled: 1-line block ×3, first 2 shown]
	v_min3_f16 v25, v27, v25, v29
	v_min3_f16 v25, v26, v28, v25
	v_cvt_f32_f16_e32 v25, v25
	v_max_f32_e32 v24, v24, v24
	v_min_f32_e32 v24, v24, v25
	v_cvt_f16_f32_e32 v26, v24
	v_lshl_add_u64 v[24:25], v[34:35], 1, v[20:21]
	flat_store_short v[24:25], v26
	s_or_b64 exec, exec, s[26:27]
	s_and_b64 s[34:35], s[6:7], s[18:19]
	s_and_saveexec_b64 s[26:27], s[34:35]
	s_cbranch_execz .LBB212_294
.LBB212_307:
	s_and_b64 vcc, exec, s[0:1]
	s_cbranch_vccnz .LBB212_309
; %bb.308:
	v_lshl_add_u64 v[24:25], v[36:37], 1, v[22:23]
	flat_load_ushort v24, v[24:25]
	s_waitcnt vmcnt(0) lgkmcnt(0)
	v_mul_f16_e32 v24, s30, v24
	v_cvt_f32_f16_e32 v24, v24
	s_branch .LBB212_310
.LBB212_309:
	v_mov_b32_e32 v24, 0
.LBB212_310:
	v_pk_add_f16 v25, v12, v4
	v_max_f16_e32 v26, v65, v65
	v_pk_add_f16 v28, v13, v5
	v_min_f16_e32 v26, v26, v25
	v_lshrrev_b32_e32 v27, 16, v65
	v_lshrrev_b32_e32 v25, 16, v25
	;; [unrolled: 1-line block ×3, first 2 shown]
	v_min3_f16 v25, v27, v25, v29
	v_min3_f16 v25, v26, v28, v25
	v_cvt_f32_f16_e32 v25, v25
	v_max_f32_e32 v24, v24, v24
	v_min_f32_e32 v24, v24, v25
	v_cvt_f16_f32_e32 v26, v24
	v_lshl_add_u64 v[24:25], v[36:37], 1, v[20:21]
	flat_store_short v[24:25], v26
	s_or_b64 exec, exec, s[26:27]
	s_and_b64 s[34:35], s[8:9], s[18:19]
	s_and_saveexec_b64 s[26:27], s[34:35]
	s_cbranch_execz .LBB212_295
.LBB212_311:
	s_and_b64 vcc, exec, s[0:1]
	s_cbranch_vccnz .LBB212_313
; %bb.312:
	v_lshl_add_u64 v[24:25], v[38:39], 1, v[22:23]
	flat_load_ushort v24, v[24:25]
	s_waitcnt vmcnt(0) lgkmcnt(0)
	v_mul_f16_e32 v24, s30, v24
	v_cvt_f32_f16_e32 v24, v24
	s_branch .LBB212_314
.LBB212_313:
	v_mov_b32_e32 v24, 0
.LBB212_314:
	v_pk_add_f16 v25, v14, v4
	v_max_f16_e32 v26, v64, v64
	v_pk_add_f16 v28, v15, v5
	v_min_f16_e32 v26, v26, v25
	v_lshrrev_b32_e32 v27, 16, v64
	v_lshrrev_b32_e32 v25, 16, v25
	;; [unrolled: 1-line block ×3, first 2 shown]
	v_min3_f16 v25, v27, v25, v29
	v_min3_f16 v25, v26, v28, v25
	v_cvt_f32_f16_e32 v25, v25
	v_max_f32_e32 v24, v24, v24
	v_min_f32_e32 v24, v24, v25
	v_cvt_f16_f32_e32 v26, v24
	v_lshl_add_u64 v[24:25], v[38:39], 1, v[20:21]
	flat_store_short v[24:25], v26
	s_or_b64 exec, exec, s[26:27]
	s_and_b64 s[34:35], s[10:11], s[18:19]
	s_and_saveexec_b64 s[26:27], s[34:35]
	s_cbranch_execz .LBB212_296
.LBB212_315:
	s_and_b64 vcc, exec, s[0:1]
	s_cbranch_vccnz .LBB212_317
; %bb.316:
	v_lshl_add_u64 v[24:25], v[40:41], 1, v[22:23]
	flat_load_ushort v24, v[24:25]
	s_waitcnt vmcnt(0) lgkmcnt(0)
	v_mul_f16_e32 v24, s30, v24
	v_cvt_f32_f16_e32 v24, v24
	s_branch .LBB212_318
.LBB212_317:
	v_mov_b32_e32 v24, 0
.LBB212_318:
	v_pk_add_f16 v25, v8, v4
	v_max_f16_e32 v26, v63, v63
	v_pk_add_f16 v28, v9, v5
	v_min_f16_e32 v26, v26, v25
	v_lshrrev_b32_e32 v27, 16, v63
	v_lshrrev_b32_e32 v25, 16, v25
	v_lshrrev_b32_e32 v29, 16, v28
	v_min3_f16 v25, v27, v25, v29
	v_min3_f16 v25, v26, v28, v25
	v_cvt_f32_f16_e32 v25, v25
	v_max_f32_e32 v24, v24, v24
	v_min_f32_e32 v24, v24, v25
	v_cvt_f16_f32_e32 v26, v24
	v_lshl_add_u64 v[24:25], v[40:41], 1, v[20:21]
	flat_store_short v[24:25], v26
	s_or_b64 exec, exec, s[26:27]
	s_and_b64 s[34:35], s[12:13], s[18:19]
	s_and_saveexec_b64 s[26:27], s[34:35]
	s_cbranch_execz .LBB212_297
.LBB212_319:
	s_and_b64 vcc, exec, s[0:1]
	s_cbranch_vccnz .LBB212_321
; %bb.320:
	v_lshl_add_u64 v[24:25], v[42:43], 1, v[22:23]
	flat_load_ushort v24, v[24:25]
	s_waitcnt vmcnt(0) lgkmcnt(0)
	v_mul_f16_e32 v24, s30, v24
	v_cvt_f32_f16_e32 v24, v24
	s_branch .LBB212_322
.LBB212_321:
	v_mov_b32_e32 v24, 0
.LBB212_322:
	v_pk_add_f16 v25, v10, v4
	v_max_f16_e32 v26, v62, v62
	v_pk_add_f16 v28, v11, v5
	v_min_f16_e32 v26, v26, v25
	v_lshrrev_b32_e32 v27, 16, v62
	v_lshrrev_b32_e32 v25, 16, v25
	;; [unrolled: 1-line block ×3, first 2 shown]
	v_min3_f16 v25, v27, v25, v29
	v_min3_f16 v25, v26, v28, v25
	v_cvt_f32_f16_e32 v25, v25
	v_max_f32_e32 v24, v24, v24
	v_min_f32_e32 v24, v24, v25
	v_cvt_f16_f32_e32 v26, v24
	v_lshl_add_u64 v[24:25], v[42:43], 1, v[20:21]
	flat_store_short v[24:25], v26
	s_or_b64 exec, exec, s[26:27]
	s_and_b64 s[34:35], s[14:15], s[18:19]
	s_and_saveexec_b64 s[26:27], s[34:35]
	s_cbranch_execz .LBB212_298
.LBB212_323:
	s_and_b64 vcc, exec, s[0:1]
	s_cbranch_vccnz .LBB212_325
; %bb.324:
	v_lshl_add_u64 v[24:25], v[44:45], 1, v[22:23]
	flat_load_ushort v24, v[24:25]
	s_waitcnt vmcnt(0) lgkmcnt(0)
	v_mul_f16_e32 v24, s30, v24
	v_cvt_f32_f16_e32 v24, v24
	s_branch .LBB212_326
.LBB212_325:
	v_mov_b32_e32 v24, 0
.LBB212_326:
	v_pk_add_f16 v25, v0, v4
	v_max_f16_e32 v26, v61, v61
	v_pk_add_f16 v28, v1, v5
	v_min_f16_e32 v26, v26, v25
	v_lshrrev_b32_e32 v27, 16, v61
	v_lshrrev_b32_e32 v25, 16, v25
	;; [unrolled: 1-line block ×3, first 2 shown]
	v_min3_f16 v25, v27, v25, v29
	v_min3_f16 v25, v26, v28, v25
	v_cvt_f32_f16_e32 v25, v25
	v_max_f32_e32 v24, v24, v24
	v_min_f32_e32 v24, v24, v25
	v_cvt_f16_f32_e32 v26, v24
	v_lshl_add_u64 v[24:25], v[44:45], 1, v[20:21]
	flat_store_short v[24:25], v26
	s_or_b64 exec, exec, s[26:27]
	s_and_b64 s[26:27], s[16:17], s[18:19]
	s_and_saveexec_b64 s[18:19], s[26:27]
	s_cbranch_execz .LBB212_331
.LBB212_327:
	s_and_b64 vcc, exec, s[0:1]
	s_cbranch_vccnz .LBB212_329
; %bb.328:
	v_lshl_add_u64 v[22:23], v[46:47], 1, v[22:23]
	flat_load_ushort v22, v[22:23]
	s_waitcnt vmcnt(0) lgkmcnt(0)
	v_mul_f16_e32 v22, s30, v22
	v_cvt_f32_f16_e32 v22, v22
	s_branch .LBB212_330
.LBB212_329:
	v_mov_b32_e32 v22, 0
.LBB212_330:
	v_pk_add_f16 v4, v2, v4
	v_max_f16_e32 v23, v60, v60
	v_pk_add_f16 v5, v3, v5
	v_min_f16_e32 v23, v23, v4
	v_lshrrev_b32_e32 v24, 16, v60
	v_lshrrev_b32_e32 v4, 16, v4
	;; [unrolled: 1-line block ×3, first 2 shown]
	v_min3_f16 v4, v24, v4, v25
	v_min3_f16 v4, v23, v5, v4
	v_cvt_f32_f16_e32 v4, v4
	v_max_f32_e32 v5, v22, v22
	v_min_f32_e32 v4, v5, v4
	v_cvt_f16_f32_e32 v22, v4
	v_lshl_add_u64 v[4:5], v[46:47], 1, v[20:21]
	flat_store_short v[4:5], v22
.LBB212_331:
	s_or_b64 exec, exec, s[18:19]
	v_add_u32_e32 v22, 56, v101
	v_cmp_gt_i32_e64 s[18:19], s21, v22
	v_mad_i64_i32 v[4:5], s[20:21], v22, s29, 0
	v_lshl_add_u64 v[20:21], v[4:5], 1, s[24:25]
	v_mad_i64_i32 v[4:5], s[20:21], v22, s28, 0
	v_lshl_add_u64 v[4:5], v[4:5], 1, s[22:23]
	s_and_b64 s[20:21], s[2:3], s[18:19]
	s_and_saveexec_b64 s[2:3], s[20:21]
	s_cbranch_execnz .LBB212_340
; %bb.332:
	s_or_b64 exec, exec, s[2:3]
	s_and_b64 s[4:5], s[4:5], s[18:19]
	s_and_saveexec_b64 s[2:3], s[4:5]
	s_cbranch_execnz .LBB212_344
.LBB212_333:
	s_or_b64 exec, exec, s[2:3]
	s_and_b64 s[4:5], s[6:7], s[18:19]
	s_and_saveexec_b64 s[2:3], s[4:5]
	s_cbranch_execnz .LBB212_348
.LBB212_334:
	s_or_b64 exec, exec, s[2:3]
	s_and_b64 s[4:5], s[8:9], s[18:19]
	s_and_saveexec_b64 s[2:3], s[4:5]
	s_cbranch_execnz .LBB212_352
.LBB212_335:
	s_or_b64 exec, exec, s[2:3]
	s_and_b64 s[4:5], s[10:11], s[18:19]
	s_and_saveexec_b64 s[2:3], s[4:5]
	s_cbranch_execnz .LBB212_356
.LBB212_336:
	s_or_b64 exec, exec, s[2:3]
	s_and_b64 s[4:5], s[12:13], s[18:19]
	s_and_saveexec_b64 s[2:3], s[4:5]
	s_cbranch_execnz .LBB212_360
.LBB212_337:
	s_or_b64 exec, exec, s[2:3]
	s_and_b64 s[4:5], s[14:15], s[18:19]
	s_and_saveexec_b64 s[2:3], s[4:5]
	s_cbranch_execnz .LBB212_364
.LBB212_338:
	s_or_b64 exec, exec, s[2:3]
	s_and_b64 s[2:3], s[16:17], s[18:19]
	s_and_saveexec_b64 s[4:5], s[2:3]
	s_cbranch_execnz .LBB212_368
.LBB212_339:
	s_endpgm
.LBB212_340:
	s_and_b64 vcc, exec, s[0:1]
	s_cbranch_vccnz .LBB212_342
; %bb.341:
	v_lshl_add_u64 v[22:23], v[32:33], 1, v[20:21]
	flat_load_ushort v22, v[22:23]
	s_waitcnt vmcnt(0) lgkmcnt(0)
	v_mul_f16_e32 v22, s30, v22
	v_cvt_f32_f16_e32 v22, v22
	s_branch .LBB212_343
.LBB212_342:
	v_mov_b32_e32 v22, 0
.LBB212_343:
	v_pk_add_f16 v16, v16, v6
	v_max_f16_e32 v23, v59, v59
	v_pk_add_f16 v17, v17, v7
	v_min_f16_e32 v23, v23, v16
	v_lshrrev_b32_e32 v24, 16, v59
	v_lshrrev_b32_e32 v16, 16, v16
	;; [unrolled: 1-line block ×3, first 2 shown]
	v_min3_f16 v16, v24, v16, v25
	v_min3_f16 v16, v23, v17, v16
	v_cvt_f32_f16_e32 v16, v16
	v_max_f32_e32 v17, v22, v22
	v_min_f32_e32 v16, v17, v16
	v_cvt_f16_f32_e32 v22, v16
	v_lshl_add_u64 v[16:17], v[32:33], 1, v[4:5]
	flat_store_short v[16:17], v22
	s_or_b64 exec, exec, s[2:3]
	s_and_b64 s[4:5], s[4:5], s[18:19]
	s_and_saveexec_b64 s[2:3], s[4:5]
	s_cbranch_execz .LBB212_333
.LBB212_344:
	s_and_b64 vcc, exec, s[0:1]
	s_cbranch_vccnz .LBB212_346
; %bb.345:
	v_lshl_add_u64 v[16:17], v[34:35], 1, v[20:21]
	flat_load_ushort v16, v[16:17]
	s_waitcnt vmcnt(0) lgkmcnt(0)
	v_mul_f16_e32 v16, s30, v16
	v_cvt_f32_f16_e32 v16, v16
	s_branch .LBB212_347
.LBB212_346:
	v_mov_b32_e32 v16, 0
.LBB212_347:
	v_pk_add_f16 v17, v18, v6
	v_max_f16_e32 v18, v58, v58
	v_pk_add_f16 v19, v19, v7
	v_min_f16_e32 v18, v18, v17
	v_lshrrev_b32_e32 v22, 16, v58
	v_lshrrev_b32_e32 v17, 16, v17
	;; [unrolled: 1-line block ×3, first 2 shown]
	v_min3_f16 v17, v22, v17, v23
	v_min3_f16 v17, v18, v19, v17
	v_cvt_f32_f16_e32 v17, v17
	v_max_f32_e32 v16, v16, v16
	v_min_f32_e32 v16, v16, v17
	v_cvt_f16_f32_e32 v18, v16
	v_lshl_add_u64 v[16:17], v[34:35], 1, v[4:5]
	flat_store_short v[16:17], v18
	s_or_b64 exec, exec, s[2:3]
	s_and_b64 s[4:5], s[6:7], s[18:19]
	s_and_saveexec_b64 s[2:3], s[4:5]
	s_cbranch_execz .LBB212_334
.LBB212_348:
	s_and_b64 vcc, exec, s[0:1]
	s_cbranch_vccnz .LBB212_350
; %bb.349:
	v_lshl_add_u64 v[16:17], v[36:37], 1, v[20:21]
	flat_load_ushort v16, v[16:17]
	s_waitcnt vmcnt(0) lgkmcnt(0)
	v_mul_f16_e32 v16, s30, v16
	v_cvt_f32_f16_e32 v16, v16
	s_branch .LBB212_351
.LBB212_350:
	v_mov_b32_e32 v16, 0
.LBB212_351:
	v_pk_add_f16 v12, v12, v6
	v_max_f16_e32 v17, v57, v57
	v_pk_add_f16 v13, v13, v7
	v_min_f16_e32 v17, v17, v12
	v_lshrrev_b32_e32 v18, 16, v57
	v_lshrrev_b32_e32 v12, 16, v12
	;; [unrolled: 1-line block ×3, first 2 shown]
	v_min3_f16 v12, v18, v12, v19
	v_min3_f16 v12, v17, v13, v12
	v_cvt_f32_f16_e32 v12, v12
	v_max_f32_e32 v13, v16, v16
	v_min_f32_e32 v12, v13, v12
	v_cvt_f16_f32_e32 v16, v12
	v_lshl_add_u64 v[12:13], v[36:37], 1, v[4:5]
	flat_store_short v[12:13], v16
	s_or_b64 exec, exec, s[2:3]
	s_and_b64 s[4:5], s[8:9], s[18:19]
	s_and_saveexec_b64 s[2:3], s[4:5]
	s_cbranch_execz .LBB212_335
.LBB212_352:
	s_and_b64 vcc, exec, s[0:1]
	s_cbranch_vccnz .LBB212_354
; %bb.353:
	v_lshl_add_u64 v[12:13], v[38:39], 1, v[20:21]
	flat_load_ushort v12, v[12:13]
	s_waitcnt vmcnt(0) lgkmcnt(0)
	v_mul_f16_e32 v12, s30, v12
	v_cvt_f32_f16_e32 v12, v12
	s_branch .LBB212_355
.LBB212_354:
	v_mov_b32_e32 v12, 0
.LBB212_355:
	v_pk_add_f16 v13, v14, v6
	v_max_f16_e32 v14, v56, v56
	v_pk_add_f16 v15, v15, v7
	v_min_f16_e32 v14, v14, v13
	v_lshrrev_b32_e32 v16, 16, v56
	v_lshrrev_b32_e32 v13, 16, v13
	;; [unrolled: 1-line block ×3, first 2 shown]
	v_min3_f16 v13, v16, v13, v17
	v_min3_f16 v13, v14, v15, v13
	v_cvt_f32_f16_e32 v13, v13
	v_max_f32_e32 v12, v12, v12
	v_min_f32_e32 v12, v12, v13
	v_cvt_f16_f32_e32 v14, v12
	v_lshl_add_u64 v[12:13], v[38:39], 1, v[4:5]
	flat_store_short v[12:13], v14
	s_or_b64 exec, exec, s[2:3]
	s_and_b64 s[4:5], s[10:11], s[18:19]
	s_and_saveexec_b64 s[2:3], s[4:5]
	s_cbranch_execz .LBB212_336
.LBB212_356:
	s_and_b64 vcc, exec, s[0:1]
	s_cbranch_vccnz .LBB212_358
; %bb.357:
	v_lshl_add_u64 v[12:13], v[40:41], 1, v[20:21]
	flat_load_ushort v12, v[12:13]
	s_waitcnt vmcnt(0) lgkmcnt(0)
	v_mul_f16_e32 v12, s30, v12
	v_cvt_f32_f16_e32 v12, v12
	s_branch .LBB212_359
.LBB212_358:
	v_mov_b32_e32 v12, 0
.LBB212_359:
	v_pk_add_f16 v8, v8, v6
	v_max_f16_e32 v13, v54, v54
	v_pk_add_f16 v9, v9, v7
	v_min_f16_e32 v13, v13, v8
	v_lshrrev_b32_e32 v14, 16, v54
	v_lshrrev_b32_e32 v8, 16, v8
	;; [unrolled: 1-line block ×3, first 2 shown]
	v_min3_f16 v8, v14, v8, v15
	v_min3_f16 v8, v13, v9, v8
	v_cvt_f32_f16_e32 v8, v8
	v_max_f32_e32 v9, v12, v12
	v_min_f32_e32 v8, v9, v8
	v_cvt_f16_f32_e32 v12, v8
	v_lshl_add_u64 v[8:9], v[40:41], 1, v[4:5]
	flat_store_short v[8:9], v12
	s_or_b64 exec, exec, s[2:3]
	s_and_b64 s[4:5], s[12:13], s[18:19]
	s_and_saveexec_b64 s[2:3], s[4:5]
	s_cbranch_execz .LBB212_337
.LBB212_360:
	s_and_b64 vcc, exec, s[0:1]
	s_cbranch_vccnz .LBB212_362
; %bb.361:
	v_lshl_add_u64 v[8:9], v[42:43], 1, v[20:21]
	flat_load_ushort v8, v[8:9]
	s_waitcnt vmcnt(0) lgkmcnt(0)
	v_mul_f16_e32 v8, s30, v8
	v_cvt_f32_f16_e32 v8, v8
	s_branch .LBB212_363
.LBB212_362:
	v_mov_b32_e32 v8, 0
.LBB212_363:
	v_pk_add_f16 v9, v10, v6
	v_max_f16_e32 v10, v53, v53
	v_pk_add_f16 v11, v11, v7
	v_min_f16_e32 v10, v10, v9
	v_lshrrev_b32_e32 v12, 16, v53
	v_lshrrev_b32_e32 v9, 16, v9
	;; [unrolled: 1-line block ×3, first 2 shown]
	v_min3_f16 v9, v12, v9, v13
	v_min3_f16 v9, v10, v11, v9
	v_cvt_f32_f16_e32 v9, v9
	v_max_f32_e32 v8, v8, v8
	v_min_f32_e32 v8, v8, v9
	v_cvt_f16_f32_e32 v10, v8
	v_lshl_add_u64 v[8:9], v[42:43], 1, v[4:5]
	flat_store_short v[8:9], v10
	s_or_b64 exec, exec, s[2:3]
	s_and_b64 s[4:5], s[14:15], s[18:19]
	s_and_saveexec_b64 s[2:3], s[4:5]
	s_cbranch_execz .LBB212_338
.LBB212_364:
	s_and_b64 vcc, exec, s[0:1]
	s_cbranch_vccnz .LBB212_366
; %bb.365:
	v_lshl_add_u64 v[8:9], v[44:45], 1, v[20:21]
	flat_load_ushort v8, v[8:9]
	s_waitcnt vmcnt(0) lgkmcnt(0)
	v_mul_f16_e32 v8, s30, v8
	v_cvt_f32_f16_e32 v8, v8
	s_branch .LBB212_367
.LBB212_366:
	v_mov_b32_e32 v8, 0
.LBB212_367:
	v_pk_add_f16 v0, v0, v6
	v_max_f16_e32 v9, v52, v52
	v_pk_add_f16 v1, v1, v7
	v_min_f16_e32 v9, v9, v0
	v_lshrrev_b32_e32 v10, 16, v52
	v_lshrrev_b32_e32 v0, 16, v0
	v_lshrrev_b32_e32 v11, 16, v1
	v_min3_f16 v0, v10, v0, v11
	v_min3_f16 v0, v9, v1, v0
	v_cvt_f32_f16_e32 v0, v0
	v_max_f32_e32 v1, v8, v8
	v_min_f32_e32 v0, v1, v0
	v_cvt_f16_f32_e32 v8, v0
	v_lshl_add_u64 v[0:1], v[44:45], 1, v[4:5]
	flat_store_short v[0:1], v8
	s_or_b64 exec, exec, s[2:3]
	s_and_b64 s[2:3], s[16:17], s[18:19]
	s_and_saveexec_b64 s[4:5], s[2:3]
	s_cbranch_execz .LBB212_339
.LBB212_368:
	s_and_b64 vcc, exec, s[0:1]
	s_cbranch_vccnz .LBB212_370
; %bb.369:
	v_lshl_add_u64 v[0:1], v[46:47], 1, v[20:21]
	flat_load_ushort v0, v[0:1]
	s_waitcnt vmcnt(0) lgkmcnt(0)
	v_mul_f16_e32 v0, s30, v0
	v_cvt_f32_f16_e32 v0, v0
	s_branch .LBB212_371
.LBB212_370:
	v_mov_b32_e32 v0, 0
.LBB212_371:
	v_pk_add_f16 v1, v2, v6
	v_max_f16_e32 v2, v55, v55
	v_pk_add_f16 v3, v3, v7
	v_min_f16_e32 v2, v2, v1
	v_lshrrev_b32_e32 v6, 16, v55
	v_lshrrev_b32_e32 v1, 16, v1
	;; [unrolled: 1-line block ×3, first 2 shown]
	v_min3_f16 v1, v6, v1, v7
	v_min3_f16 v1, v2, v3, v1
	v_cvt_f32_f16_e32 v1, v1
	v_max_f32_e32 v0, v0, v0
	v_min_f32_e32 v0, v0, v1
	v_cvt_f16_f32_e32 v2, v0
	v_lshl_add_u64 v[0:1], v[46:47], 1, v[4:5]
	flat_store_short v[0:1], v2
	s_endpgm
	.section	.rodata,"a",@progbits
	.p2align	6, 0x0
	.amdhsa_kernel _ZN12_GLOBAL__N_120geam_min_plus_kernelIDF16_Dv2_DF16_S1_Li32ELi8ELi256ELi64ELi4ELi64ELi4ELi4ELi64ELc78ELc78ELb0ELb1ELb1EDF16_KPKDF16_KPDF16_EEviiiT16_PT17_ilS9_ilS7_S9_ilPT18_ili26rocblas_geam_ex_operation_
		.amdhsa_group_segment_fixed_size 5120
		.amdhsa_private_segment_fixed_size 0
		.amdhsa_kernarg_size 128
		.amdhsa_user_sgpr_count 2
		.amdhsa_user_sgpr_dispatch_ptr 0
		.amdhsa_user_sgpr_queue_ptr 0
		.amdhsa_user_sgpr_kernarg_segment_ptr 1
		.amdhsa_user_sgpr_dispatch_id 0
		.amdhsa_user_sgpr_kernarg_preload_length 0
		.amdhsa_user_sgpr_kernarg_preload_offset 0
		.amdhsa_user_sgpr_private_segment_size 0
		.amdhsa_uses_dynamic_stack 0
		.amdhsa_enable_private_segment 0
		.amdhsa_system_sgpr_workgroup_id_x 1
		.amdhsa_system_sgpr_workgroup_id_y 0
		.amdhsa_system_sgpr_workgroup_id_z 1
		.amdhsa_system_sgpr_workgroup_info 0
		.amdhsa_system_vgpr_workitem_id 1
		.amdhsa_next_free_vgpr 153
		.amdhsa_next_free_sgpr 40
		.amdhsa_accum_offset 156
		.amdhsa_reserve_vcc 1
		.amdhsa_float_round_mode_32 0
		.amdhsa_float_round_mode_16_64 0
		.amdhsa_float_denorm_mode_32 3
		.amdhsa_float_denorm_mode_16_64 3
		.amdhsa_dx10_clamp 1
		.amdhsa_ieee_mode 1
		.amdhsa_fp16_overflow 0
		.amdhsa_tg_split 0
		.amdhsa_exception_fp_ieee_invalid_op 0
		.amdhsa_exception_fp_denorm_src 0
		.amdhsa_exception_fp_ieee_div_zero 0
		.amdhsa_exception_fp_ieee_overflow 0
		.amdhsa_exception_fp_ieee_underflow 0
		.amdhsa_exception_fp_ieee_inexact 0
		.amdhsa_exception_int_div_zero 0
	.end_amdhsa_kernel
	.section	.text._ZN12_GLOBAL__N_120geam_min_plus_kernelIDF16_Dv2_DF16_S1_Li32ELi8ELi256ELi64ELi4ELi64ELi4ELi4ELi64ELc78ELc78ELb0ELb1ELb1EDF16_KPKDF16_KPDF16_EEviiiT16_PT17_ilS9_ilS7_S9_ilPT18_ili26rocblas_geam_ex_operation_,"axG",@progbits,_ZN12_GLOBAL__N_120geam_min_plus_kernelIDF16_Dv2_DF16_S1_Li32ELi8ELi256ELi64ELi4ELi64ELi4ELi4ELi64ELc78ELc78ELb0ELb1ELb1EDF16_KPKDF16_KPDF16_EEviiiT16_PT17_ilS9_ilS7_S9_ilPT18_ili26rocblas_geam_ex_operation_,comdat
.Lfunc_end212:
	.size	_ZN12_GLOBAL__N_120geam_min_plus_kernelIDF16_Dv2_DF16_S1_Li32ELi8ELi256ELi64ELi4ELi64ELi4ELi4ELi64ELc78ELc78ELb0ELb1ELb1EDF16_KPKDF16_KPDF16_EEviiiT16_PT17_ilS9_ilS7_S9_ilPT18_ili26rocblas_geam_ex_operation_, .Lfunc_end212-_ZN12_GLOBAL__N_120geam_min_plus_kernelIDF16_Dv2_DF16_S1_Li32ELi8ELi256ELi64ELi4ELi64ELi4ELi4ELi64ELc78ELc78ELb0ELb1ELb1EDF16_KPKDF16_KPDF16_EEviiiT16_PT17_ilS9_ilS7_S9_ilPT18_ili26rocblas_geam_ex_operation_
                                        ; -- End function
	.set _ZN12_GLOBAL__N_120geam_min_plus_kernelIDF16_Dv2_DF16_S1_Li32ELi8ELi256ELi64ELi4ELi64ELi4ELi4ELi64ELc78ELc78ELb0ELb1ELb1EDF16_KPKDF16_KPDF16_EEviiiT16_PT17_ilS9_ilS7_S9_ilPT18_ili26rocblas_geam_ex_operation_.num_vgpr, 153
	.set _ZN12_GLOBAL__N_120geam_min_plus_kernelIDF16_Dv2_DF16_S1_Li32ELi8ELi256ELi64ELi4ELi64ELi4ELi4ELi64ELc78ELc78ELb0ELb1ELb1EDF16_KPKDF16_KPDF16_EEviiiT16_PT17_ilS9_ilS7_S9_ilPT18_ili26rocblas_geam_ex_operation_.num_agpr, 0
	.set _ZN12_GLOBAL__N_120geam_min_plus_kernelIDF16_Dv2_DF16_S1_Li32ELi8ELi256ELi64ELi4ELi64ELi4ELi4ELi64ELc78ELc78ELb0ELb1ELb1EDF16_KPKDF16_KPDF16_EEviiiT16_PT17_ilS9_ilS7_S9_ilPT18_ili26rocblas_geam_ex_operation_.numbered_sgpr, 40
	.set _ZN12_GLOBAL__N_120geam_min_plus_kernelIDF16_Dv2_DF16_S1_Li32ELi8ELi256ELi64ELi4ELi64ELi4ELi4ELi64ELc78ELc78ELb0ELb1ELb1EDF16_KPKDF16_KPDF16_EEviiiT16_PT17_ilS9_ilS7_S9_ilPT18_ili26rocblas_geam_ex_operation_.num_named_barrier, 0
	.set _ZN12_GLOBAL__N_120geam_min_plus_kernelIDF16_Dv2_DF16_S1_Li32ELi8ELi256ELi64ELi4ELi64ELi4ELi4ELi64ELc78ELc78ELb0ELb1ELb1EDF16_KPKDF16_KPDF16_EEviiiT16_PT17_ilS9_ilS7_S9_ilPT18_ili26rocblas_geam_ex_operation_.private_seg_size, 0
	.set _ZN12_GLOBAL__N_120geam_min_plus_kernelIDF16_Dv2_DF16_S1_Li32ELi8ELi256ELi64ELi4ELi64ELi4ELi4ELi64ELc78ELc78ELb0ELb1ELb1EDF16_KPKDF16_KPDF16_EEviiiT16_PT17_ilS9_ilS7_S9_ilPT18_ili26rocblas_geam_ex_operation_.uses_vcc, 1
	.set _ZN12_GLOBAL__N_120geam_min_plus_kernelIDF16_Dv2_DF16_S1_Li32ELi8ELi256ELi64ELi4ELi64ELi4ELi4ELi64ELc78ELc78ELb0ELb1ELb1EDF16_KPKDF16_KPDF16_EEviiiT16_PT17_ilS9_ilS7_S9_ilPT18_ili26rocblas_geam_ex_operation_.uses_flat_scratch, 0
	.set _ZN12_GLOBAL__N_120geam_min_plus_kernelIDF16_Dv2_DF16_S1_Li32ELi8ELi256ELi64ELi4ELi64ELi4ELi4ELi64ELc78ELc78ELb0ELb1ELb1EDF16_KPKDF16_KPDF16_EEviiiT16_PT17_ilS9_ilS7_S9_ilPT18_ili26rocblas_geam_ex_operation_.has_dyn_sized_stack, 0
	.set _ZN12_GLOBAL__N_120geam_min_plus_kernelIDF16_Dv2_DF16_S1_Li32ELi8ELi256ELi64ELi4ELi64ELi4ELi4ELi64ELc78ELc78ELb0ELb1ELb1EDF16_KPKDF16_KPDF16_EEviiiT16_PT17_ilS9_ilS7_S9_ilPT18_ili26rocblas_geam_ex_operation_.has_recursion, 0
	.set _ZN12_GLOBAL__N_120geam_min_plus_kernelIDF16_Dv2_DF16_S1_Li32ELi8ELi256ELi64ELi4ELi64ELi4ELi4ELi64ELc78ELc78ELb0ELb1ELb1EDF16_KPKDF16_KPDF16_EEviiiT16_PT17_ilS9_ilS7_S9_ilPT18_ili26rocblas_geam_ex_operation_.has_indirect_call, 0
	.section	.AMDGPU.csdata,"",@progbits
; Kernel info:
; codeLenInByte = 20708
; TotalNumSgprs: 46
; NumVgprs: 153
; NumAgprs: 0
; TotalNumVgprs: 153
; ScratchSize: 0
; MemoryBound: 0
; FloatMode: 240
; IeeeMode: 1
; LDSByteSize: 5120 bytes/workgroup (compile time only)
; SGPRBlocks: 5
; VGPRBlocks: 19
; NumSGPRsForWavesPerEU: 46
; NumVGPRsForWavesPerEU: 153
; AccumOffset: 156
; Occupancy: 3
; WaveLimiterHint : 1
; COMPUTE_PGM_RSRC2:SCRATCH_EN: 0
; COMPUTE_PGM_RSRC2:USER_SGPR: 2
; COMPUTE_PGM_RSRC2:TRAP_HANDLER: 0
; COMPUTE_PGM_RSRC2:TGID_X_EN: 1
; COMPUTE_PGM_RSRC2:TGID_Y_EN: 0
; COMPUTE_PGM_RSRC2:TGID_Z_EN: 1
; COMPUTE_PGM_RSRC2:TIDIG_COMP_CNT: 1
; COMPUTE_PGM_RSRC3_GFX90A:ACCUM_OFFSET: 38
; COMPUTE_PGM_RSRC3_GFX90A:TG_SPLIT: 0
	.section	.text._ZN12_GLOBAL__N_120geam_min_plus_kernelIDF16_Dv2_DF16_S1_Li32ELi8ELi128ELi128ELi4ELi4ELi64ELi4ELi64ELc84ELc78ELb0ELb0ELb1EPKDF16_KS3_KPDF16_EEviiiT16_PT17_ilS9_ilS7_S9_ilPT18_ili26rocblas_geam_ex_operation_,"axG",@progbits,_ZN12_GLOBAL__N_120geam_min_plus_kernelIDF16_Dv2_DF16_S1_Li32ELi8ELi128ELi128ELi4ELi4ELi64ELi4ELi64ELc84ELc78ELb0ELb0ELb1EPKDF16_KS3_KPDF16_EEviiiT16_PT17_ilS9_ilS7_S9_ilPT18_ili26rocblas_geam_ex_operation_,comdat
	.globl	_ZN12_GLOBAL__N_120geam_min_plus_kernelIDF16_Dv2_DF16_S1_Li32ELi8ELi128ELi128ELi4ELi4ELi64ELi4ELi64ELc84ELc78ELb0ELb0ELb1EPKDF16_KS3_KPDF16_EEviiiT16_PT17_ilS9_ilS7_S9_ilPT18_ili26rocblas_geam_ex_operation_ ; -- Begin function _ZN12_GLOBAL__N_120geam_min_plus_kernelIDF16_Dv2_DF16_S1_Li32ELi8ELi128ELi128ELi4ELi4ELi64ELi4ELi64ELc84ELc78ELb0ELb0ELb1EPKDF16_KS3_KPDF16_EEviiiT16_PT17_ilS9_ilS7_S9_ilPT18_ili26rocblas_geam_ex_operation_
	.p2align	8
	.type	_ZN12_GLOBAL__N_120geam_min_plus_kernelIDF16_Dv2_DF16_S1_Li32ELi8ELi128ELi128ELi4ELi4ELi64ELi4ELi64ELc84ELc78ELb0ELb0ELb1EPKDF16_KS3_KPDF16_EEviiiT16_PT17_ilS9_ilS7_S9_ilPT18_ili26rocblas_geam_ex_operation_,@function
_ZN12_GLOBAL__N_120geam_min_plus_kernelIDF16_Dv2_DF16_S1_Li32ELi8ELi128ELi128ELi4ELi4ELi64ELi4ELi64ELc84ELc78ELb0ELb0ELb1EPKDF16_KS3_KPDF16_EEviiiT16_PT17_ilS9_ilS7_S9_ilPT18_ili26rocblas_geam_ex_operation_: ; @_ZN12_GLOBAL__N_120geam_min_plus_kernelIDF16_Dv2_DF16_S1_Li32ELi8ELi128ELi128ELi4ELi4ELi64ELi4ELi64ELc84ELc78ELb0ELb0ELb1EPKDF16_KS3_KPDF16_EEviiiT16_PT17_ilS9_ilS7_S9_ilPT18_ili26rocblas_geam_ex_operation_
; %bb.0:
	s_load_dwordx4 s[4:7], s[0:1], 0x10
	s_load_dwordx4 s[12:15], s[0:1], 0x28
	s_mov_b32 s22, s3
	s_mov_b32 s23, 0
	s_lshl_b64 s[8:9], s[22:23], 1
	s_waitcnt lgkmcnt(0)
	s_add_u32 s4, s4, s8
	s_addc_u32 s5, s5, s9
	v_mov_b32_e32 v1, 0
	global_load_ushort v94, v1, s[4:5]
	s_load_dwordx4 s[16:19], s[0:1], 0x40
	s_load_dwordx2 s[10:11], s[0:1], 0x50
	s_mov_b64 s[20:21], 0
	s_waitcnt lgkmcnt(0)
	s_add_u32 s24, s18, s8
	s_addc_u32 s25, s19, s9
	s_mov_b64 s[18:19], 0
	s_waitcnt vmcnt(0)
	v_cmp_eq_f16_e32 vcc, 0, v94
	s_and_b64 s[4:5], exec, vcc
	v_cmp_neq_f16_e64 s[8:9], 0, v94
	s_mov_b64 vcc, s[4:5]
	s_cbranch_vccnz .LBB213_2
; %bb.1:
	s_lshl_b64 s[18:19], s[22:23], 3
	s_add_u32 s6, s6, s18
	s_addc_u32 s7, s7, s19
	s_load_dwordx2 s[6:7], s[6:7], 0x0
	s_lshl_b64 s[12:13], s[12:13], 1
	s_waitcnt lgkmcnt(0)
	s_add_u32 s18, s6, s12
	s_addc_u32 s19, s7, s13
.LBB213_2:
	global_load_ushort v58, v1, s[24:25]
	v_cndmask_b32_e64 v1, 0, 1, s[8:9]
	v_cmp_ne_u32_e64 s[6:7], 1, v1
	s_andn2_b64 vcc, exec, s[8:9]
	s_cbranch_vccnz .LBB213_4
; %bb.3:
	s_lshl_b64 s[8:9], s[22:23], 3
	s_add_u32 s8, s14, s8
	s_addc_u32 s9, s15, s9
	s_load_dwordx2 s[8:9], s[8:9], 0x0
	s_lshl_b64 s[12:13], s[16:17], 1
	s_waitcnt lgkmcnt(0)
	s_add_u32 s20, s8, s12
	s_addc_u32 s21, s9, s13
.LBB213_4:
	s_load_dwordx4 s[12:15], s[0:1], 0x60
	s_waitcnt vmcnt(0)
	v_cmp_eq_f16_e32 vcc, 0, v58
	s_and_b64 s[8:9], exec, vcc
	s_mov_b64 vcc, s[8:9]
	s_cbranch_vccnz .LBB213_6
; %bb.5:
	s_lshl_b64 s[16:17], s[22:23], 3
	s_add_u32 s10, s10, s16
	s_addc_u32 s11, s11, s17
	s_load_dwordx2 s[10:11], s[10:11], 0x0
	s_waitcnt lgkmcnt(0)
	s_lshl_b64 s[12:13], s[12:13], 1
	s_add_u32 s10, s10, s12
	s_addc_u32 s11, s11, s13
	s_branch .LBB213_7
.LBB213_6:
	s_mov_b64 s[10:11], 0
.LBB213_7:
	s_load_dword s3, s[0:1], 0x0
	s_load_dword s24, s[0:1], 0x20
	s_waitcnt lgkmcnt(0)
	s_lshl_b64 s[12:13], s[22:23], 3
	s_add_u32 s12, s14, s12
	s_addc_u32 s13, s15, s13
	s_add_i32 s3, s3, -1
	s_ashr_i32 s14, s3, 31
	s_lshr_b32 s14, s14, 25
	s_add_i32 s3, s3, s14
	s_ashr_i32 s3, s3, 7
	s_add_i32 s14, s3, 1
	v_cvt_f32_u32_e32 v1, s14
	v_and_b32_e32 v88, 0x3ff, v0
	v_bfe_u32 v89, v0, 10, 10
	v_and_b32_e32 v4, 3, v0
	v_rcp_iflag_f32_e32 v2, v1
	s_not_b32 s3, s3
	v_mov_b32_e32 v1, 0
	v_mul_f32_e32 v0, 0x4f7ffffe, v2
	v_cvt_u32_f32_e32 v0, v0
	v_lshl_add_u32 v2, v89, 5, v88
	v_lshrrev_b32_e32 v5, 2, v2
	v_readfirstlane_b32 s15, v0
	s_mul_i32 s3, s3, s15
	s_mul_hi_u32 s3, s15, s3
	s_add_i32 s15, s15, s3
	s_mul_hi_u32 s3, s2, s15
	s_mul_i32 s15, s3, s14
	s_sub_i32 s15, s2, s15
	s_add_i32 s16, s3, 1
	s_sub_i32 s17, s15, s14
	s_cmp_ge_u32 s15, s14
	s_cselect_b32 s3, s16, s3
	s_cselect_b32 s15, s17, s15
	s_add_i32 s16, s3, 1
	s_cmp_ge_u32 s15, s14
	s_cselect_b32 s3, s16, s3
	s_mul_i32 s14, s3, s14
	s_sub_i32 s2, s2, s14
	s_lshl_b32 s14, s2, 7
	v_lshlrev_b32_e32 v0, 1, v4
	v_add_u32_e32 v32, s14, v5
	s_and_b64 vcc, exec, s[6:7]
	v_lshl_add_u64 v[2:3], s[18:19], 0, v[0:1]
	s_cbranch_vccnz .LBB213_9
; %bb.8:
	v_mad_i64_i32 v[6:7], s[16:17], v32, s24, 0
	v_lshl_add_u64 v[6:7], v[6:7], 1, v[2:3]
	flat_load_ushort v1, v[6:7]
	s_waitcnt vmcnt(0) lgkmcnt(0)
	v_mul_f16_e32 v1, v94, v1
.LBB213_9:
	s_load_dword s22, s[0:1], 0x38
	s_lshl_b32 s15, s3, 7
	v_and_b32_e32 v7, 0xffff, v1
	s_mov_b64 vcc, s[4:5]
	s_cbranch_vccz .LBB213_11
; %bb.10:
	v_and_b32_e32 v106, 0xffff, v7
	s_mov_b64 s[2:3], 0
	s_branch .LBB213_12
.LBB213_11:
	s_mov_b64 s[2:3], -1
                                        ; implicit-def: $vgpr106
.LBB213_12:
	v_add_u32_e32 v34, s15, v5
	v_mov_b32_e32 v6, 0
	v_mov_b32_e32 v36, 0
	s_andn2_b64 vcc, exec, s[2:3]
	v_add_u32_e32 v33, 64, v32
	v_add_u32_e32 v35, 64, v34
	v_mov_b32_e32 v37, 0
	s_cbranch_vccnz .LBB213_14
; %bb.13:
	v_mad_i64_i32 v[8:9], s[2:3], v33, s24, 0
	v_lshl_add_u64 v[8:9], v[8:9], 1, v[2:3]
	v_mov_b32_e32 v1, 0
	flat_load_ushort v12, v[8:9]
	v_lshl_add_u64 v[8:9], s[20:21], 0, v[0:1]
	s_waitcnt lgkmcnt(0)
	v_mad_i64_i32 v[10:11], s[2:3], v34, s22, 0
	v_lshl_add_u64 v[10:11], v[10:11], 1, v[8:9]
	flat_load_ushort v1, v[10:11]
	v_mad_i64_i32 v[10:11], s[2:3], v35, s22, 0
	v_lshl_add_u64 v[8:9], v[10:11], 1, v[8:9]
	flat_load_ushort v8, v[8:9]
	s_mov_b32 s2, 0x5040100
	s_waitcnt vmcnt(0)
	v_mul_f16_e32 v9, v94, v12
	v_perm_b32 v106, v9, v7, s2
	s_waitcnt lgkmcnt(0)
	v_mul_f16_e32 v1, v94, v1
	v_pack_b32_f16 v36, v1, 0
	v_mul_f16_e32 v37, v94, v8
.LBB213_14:
	s_and_b64 vcc, exec, s[6:7]
	s_cbranch_vccnz .LBB213_16
; %bb.15:
	v_mad_i64_i32 v[6:7], s[2:3], v32, s24, 0
	v_lshl_add_u64 v[6:7], v[6:7], 1, v[2:3]
	flat_load_ushort v1, v[6:7] offset:8
	s_waitcnt vmcnt(0) lgkmcnt(0)
	v_mul_f16_e32 v6, v94, v1
.LBB213_16:
	v_and_b32_e32 v6, 0xffff, v6
	s_mov_b64 vcc, s[4:5]
	s_cbranch_vccz .LBB213_19
; %bb.17:
	v_and_b32_e32 v111, 0xffff, v6
	s_cbranch_execz .LBB213_20
; %bb.18:
	v_mov_b32_e32 v39, 0
	v_mov_b32_e32 v38, 0
	s_branch .LBB213_21
.LBB213_19:
                                        ; implicit-def: $vgpr111
.LBB213_20:
	v_mad_i64_i32 v[8:9], s[2:3], v33, s24, 0
	v_lshl_add_u64 v[2:3], v[8:9], 1, v[2:3]
	v_mov_b32_e32 v1, 0
	flat_load_ushort v7, v[2:3] offset:8
	v_lshl_add_u64 v[0:1], s[20:21], 0, v[0:1]
	s_waitcnt lgkmcnt(0)
	v_mad_i64_i32 v[2:3], s[2:3], v34, s22, 0
	v_lshl_add_u64 v[2:3], v[2:3], 1, v[0:1]
	flat_load_ushort v8, v[2:3] offset:8
	v_mad_i64_i32 v[2:3], s[2:3], v35, s22, 0
	v_lshl_add_u64 v[0:1], v[2:3], 1, v[0:1]
	flat_load_ushort v0, v[0:1] offset:8
	s_mov_b32 s2, 0x5040100
	s_waitcnt vmcnt(0)
	v_mul_f16_e32 v1, v94, v7
	v_perm_b32 v111, v1, v6, s2
	s_waitcnt lgkmcnt(0)
	v_mul_f16_e32 v1, v94, v8
	v_pack_b32_f16 v38, v1, 0
	v_mul_f16_e32 v39, v94, v0
.LBB213_21:
	v_lshlrev_b32_e32 v0, 3, v5
	v_lshlrev_b32_e32 v98, 3, v89
	v_lshl_or_b32 v113, v4, 1, v0
	v_lshlrev_b32_e32 v100, 3, v88
	v_add_u32_e32 v115, 0x800, v98
	s_load_dwordx2 s[2:3], s[12:13], 0x0
	s_load_dword s16, s[0:1], 0x8
	ds_write_b16 v113, v106
	ds_write_b16_d16_hi v113, v106 offset:512
	ds_write_b16 v113, v36 offset:2048
	ds_write_b16 v113, v37 offset:2560
	s_waitcnt lgkmcnt(0)
	s_barrier
	ds_read2_b64 v[4:7], v100 offset1:32
	ds_read2_b64 v[0:3], v100 offset0:64 offset1:96
	ds_read2_b64 v[40:43], v115 offset1:8
	ds_read2_b64 v[44:47], v115 offset0:16 offset1:24
	ds_read2_b64 v[28:31], v115 offset0:32 offset1:40
	;; [unrolled: 1-line block ×7, first 2 shown]
	s_movk_i32 s12, 0x7c00
	s_cmp_lt_i32 s16, 9
	s_waitcnt lgkmcnt(7)
	v_pk_add_f16 v48, v4, v40
	v_pk_add_f16 v49, v6, v40
	v_pk_add_f16 v50, v0, v40
	v_pk_add_f16 v40, v2, v40
	v_pk_add_f16 v51, v4, v42
	v_pk_add_f16 v52, v6, v42
	v_pk_add_f16 v53, v0, v42
	v_pk_add_f16 v42, v2, v42
	s_waitcnt lgkmcnt(6)
	v_pk_add_f16 v54, v4, v44
	v_pk_add_f16 v55, v6, v44
	v_pk_add_f16 v56, v0, v44
	v_pk_add_f16 v44, v2, v44
	v_pk_add_f16 v57, v4, v46
	v_pk_add_f16 v59, v6, v46
	v_pk_add_f16 v60, v0, v46
	v_pk_add_f16 v46, v2, v46
	;; [unrolled: 9-line block ×8, first 2 shown]
	v_pk_add_f16 v2, v5, v41
	v_pk_min_f16 v10, v48, s12 op_sel_hi:[1,0]
	v_pk_min_f16 v8, v8, s12 op_sel_hi:[1,0]
	v_pk_min_f16 v131, v10, v2
	v_pk_add_f16 v2, v7, v41
	v_pk_min_f16 v10, v49, s12 op_sel_hi:[1,0]
	v_pk_min_f16 v4, v4, s12 op_sel_hi:[1,0]
	v_pk_min_f16 v130, v10, v2
	;; [unrolled: 4-line block ×3, first 2 shown]
	v_pk_add_f16 v2, v3, v41
	v_pk_min_f16 v10, v40, s12 op_sel_hi:[1,0]
	ds_write_b16 v113, v111 offset:1024
	ds_write_b16_d16_hi v113, v111 offset:1536
	ds_write_b16 v113, v38 offset:3072
	ds_write_b16 v113, v39 offset:3584
	v_pk_min_f16 v128, v10, v2
	v_pk_add_f16 v2, v5, v43
	v_pk_min_f16 v10, v51, s12 op_sel_hi:[1,0]
	s_waitcnt lgkmcnt(0)
	v_pk_min_f16 v127, v10, v2
	v_pk_add_f16 v2, v7, v43
	v_pk_min_f16 v10, v52, s12 op_sel_hi:[1,0]
	s_barrier
	v_pk_min_f16 v126, v10, v2
	v_pk_add_f16 v2, v1, v43
	v_pk_min_f16 v10, v53, s12 op_sel_hi:[1,0]
	s_nop 0
	v_pk_min_f16 v125, v10, v2
	v_pk_add_f16 v2, v3, v43
	v_pk_min_f16 v10, v42, s12 op_sel_hi:[1,0]
	s_nop 0
	v_pk_min_f16 v124, v10, v2
	v_pk_add_f16 v2, v5, v45
	v_pk_min_f16 v10, v54, s12 op_sel_hi:[1,0]
	s_nop 0
	v_pk_min_f16 v123, v10, v2
	v_pk_add_f16 v2, v7, v45
	v_pk_min_f16 v10, v55, s12 op_sel_hi:[1,0]
	s_nop 0
	v_pk_min_f16 v122, v10, v2
	v_pk_add_f16 v2, v1, v45
	v_pk_min_f16 v10, v56, s12 op_sel_hi:[1,0]
	s_nop 0
	v_pk_min_f16 v121, v10, v2
	v_pk_add_f16 v2, v3, v45
	v_pk_min_f16 v10, v44, s12 op_sel_hi:[1,0]
	s_nop 0
	v_pk_min_f16 v120, v10, v2
	v_pk_add_f16 v2, v5, v47
	v_pk_min_f16 v10, v57, s12 op_sel_hi:[1,0]
	s_nop 0
	v_pk_min_f16 v119, v10, v2
	v_pk_add_f16 v2, v7, v47
	v_pk_min_f16 v10, v59, s12 op_sel_hi:[1,0]
	s_nop 0
	v_pk_min_f16 v118, v10, v2
	v_pk_add_f16 v2, v1, v47
	v_pk_min_f16 v10, v60, s12 op_sel_hi:[1,0]
	s_nop 0
	v_pk_min_f16 v117, v10, v2
	v_pk_add_f16 v2, v3, v47
	v_pk_min_f16 v10, v46, s12 op_sel_hi:[1,0]
	s_nop 0
	v_pk_min_f16 v116, v10, v2
	v_pk_add_f16 v2, v5, v29
	v_pk_min_f16 v10, v61, s12 op_sel_hi:[1,0]
	s_nop 0
	v_pk_min_f16 v114, v10, v2
	v_pk_add_f16 v2, v7, v29
	v_pk_min_f16 v10, v62, s12 op_sel_hi:[1,0]
	s_nop 0
	v_pk_min_f16 v112, v10, v2
	v_pk_add_f16 v2, v1, v29
	v_pk_min_f16 v10, v63, s12 op_sel_hi:[1,0]
	s_nop 0
	v_pk_min_f16 v110, v10, v2
	v_pk_add_f16 v2, v3, v29
	v_pk_min_f16 v10, v28, s12 op_sel_hi:[1,0]
	s_nop 0
	v_pk_min_f16 v109, v10, v2
	v_pk_add_f16 v2, v5, v31
	v_pk_min_f16 v10, v64, s12 op_sel_hi:[1,0]
	s_nop 0
	v_pk_min_f16 v108, v10, v2
	v_pk_add_f16 v2, v7, v31
	v_pk_min_f16 v10, v65, s12 op_sel_hi:[1,0]
	s_nop 0
	v_pk_min_f16 v107, v10, v2
	v_pk_add_f16 v2, v1, v31
	v_pk_min_f16 v10, v66, s12 op_sel_hi:[1,0]
	s_nop 0
	v_pk_min_f16 v105, v10, v2
	v_pk_add_f16 v2, v3, v31
	v_pk_min_f16 v10, v30, s12 op_sel_hi:[1,0]
	s_nop 0
	v_pk_min_f16 v104, v10, v2
	v_pk_add_f16 v2, v5, v25
	v_pk_min_f16 v10, v67, s12 op_sel_hi:[1,0]
	s_nop 0
	v_pk_min_f16 v103, v10, v2
	v_pk_add_f16 v2, v7, v25
	v_pk_min_f16 v10, v68, s12 op_sel_hi:[1,0]
	s_nop 0
	v_pk_min_f16 v102, v10, v2
	v_pk_add_f16 v2, v1, v25
	v_pk_min_f16 v10, v69, s12 op_sel_hi:[1,0]
	s_nop 0
	v_pk_min_f16 v101, v10, v2
	v_pk_add_f16 v2, v3, v25
	v_pk_min_f16 v10, v24, s12 op_sel_hi:[1,0]
	s_nop 0
	v_pk_min_f16 v99, v10, v2
	v_pk_add_f16 v2, v5, v27
	v_pk_min_f16 v10, v70, s12 op_sel_hi:[1,0]
	s_nop 0
	v_pk_min_f16 v97, v10, v2
	v_pk_add_f16 v2, v7, v27
	v_pk_min_f16 v10, v71, s12 op_sel_hi:[1,0]
	s_nop 0
	v_pk_min_f16 v96, v10, v2
	v_pk_add_f16 v2, v1, v27
	v_pk_min_f16 v10, v72, s12 op_sel_hi:[1,0]
	s_nop 0
	v_pk_min_f16 v95, v10, v2
	v_pk_add_f16 v2, v3, v27
	v_pk_min_f16 v10, v26, s12 op_sel_hi:[1,0]
	s_nop 0
	v_pk_min_f16 v93, v10, v2
	v_pk_add_f16 v2, v5, v21
	v_pk_min_f16 v10, v73, s12 op_sel_hi:[1,0]
	s_nop 0
	v_pk_min_f16 v92, v10, v2
	v_pk_add_f16 v2, v7, v21
	v_pk_min_f16 v10, v74, s12 op_sel_hi:[1,0]
	s_nop 0
	v_pk_min_f16 v91, v10, v2
	v_pk_add_f16 v2, v1, v21
	v_pk_min_f16 v10, v75, s12 op_sel_hi:[1,0]
	s_nop 0
	v_pk_min_f16 v90, v10, v2
	v_pk_add_f16 v2, v3, v21
	v_pk_min_f16 v10, v20, s12 op_sel_hi:[1,0]
	s_nop 0
	v_pk_min_f16 v87, v10, v2
	v_pk_add_f16 v2, v5, v23
	v_pk_min_f16 v10, v76, s12 op_sel_hi:[1,0]
	s_nop 0
	v_pk_min_f16 v86, v10, v2
	v_pk_add_f16 v2, v7, v23
	v_pk_min_f16 v10, v77, s12 op_sel_hi:[1,0]
	s_nop 0
	v_pk_min_f16 v85, v10, v2
	v_pk_add_f16 v2, v1, v23
	v_pk_min_f16 v10, v78, s12 op_sel_hi:[1,0]
	s_nop 0
	v_pk_min_f16 v84, v10, v2
	v_pk_add_f16 v2, v3, v23
	v_pk_min_f16 v10, v22, s12 op_sel_hi:[1,0]
	s_nop 0
	v_pk_min_f16 v83, v10, v2
	v_pk_add_f16 v2, v5, v17
	v_pk_min_f16 v10, v79, s12 op_sel_hi:[1,0]
	s_nop 0
	v_pk_min_f16 v82, v10, v2
	v_pk_add_f16 v2, v7, v17
	v_pk_min_f16 v10, v80, s12 op_sel_hi:[1,0]
	s_nop 0
	v_pk_min_f16 v81, v10, v2
	v_pk_add_f16 v2, v1, v17
	v_pk_min_f16 v10, v132, s12 op_sel_hi:[1,0]
	s_nop 0
	v_pk_min_f16 v80, v10, v2
	v_pk_add_f16 v2, v3, v17
	v_pk_min_f16 v10, v16, s12 op_sel_hi:[1,0]
	s_nop 0
	v_pk_min_f16 v79, v10, v2
	v_pk_add_f16 v2, v5, v19
	v_pk_min_f16 v10, v133, s12 op_sel_hi:[1,0]
	s_nop 0
	v_pk_min_f16 v78, v10, v2
	v_pk_add_f16 v2, v7, v19
	v_pk_min_f16 v10, v134, s12 op_sel_hi:[1,0]
	s_nop 0
	v_pk_min_f16 v77, v10, v2
	v_pk_add_f16 v2, v1, v19
	v_pk_min_f16 v10, v135, s12 op_sel_hi:[1,0]
	s_nop 0
	v_pk_min_f16 v76, v10, v2
	v_pk_add_f16 v2, v3, v19
	v_pk_min_f16 v10, v18, s12 op_sel_hi:[1,0]
	s_nop 0
	v_pk_min_f16 v75, v10, v2
	v_pk_add_f16 v2, v5, v13
	v_pk_min_f16 v10, v136, s12 op_sel_hi:[1,0]
	s_nop 0
	v_pk_min_f16 v74, v10, v2
	v_pk_add_f16 v2, v7, v13
	v_pk_min_f16 v10, v137, s12 op_sel_hi:[1,0]
	s_nop 0
	v_pk_min_f16 v73, v10, v2
	v_pk_add_f16 v2, v1, v13
	v_pk_min_f16 v10, v138, s12 op_sel_hi:[1,0]
	s_nop 0
	v_pk_min_f16 v72, v10, v2
	v_pk_add_f16 v2, v3, v13
	v_pk_min_f16 v10, v12, s12 op_sel_hi:[1,0]
	s_nop 0
	v_pk_min_f16 v71, v10, v2
	v_pk_add_f16 v2, v5, v15
	v_pk_min_f16 v10, v139, s12 op_sel_hi:[1,0]
	s_nop 0
	v_pk_min_f16 v70, v10, v2
	v_pk_add_f16 v2, v7, v15
	v_pk_min_f16 v10, v140, s12 op_sel_hi:[1,0]
	s_nop 0
	v_pk_min_f16 v69, v10, v2
	v_pk_add_f16 v2, v1, v15
	v_pk_min_f16 v10, v141, s12 op_sel_hi:[1,0]
	s_nop 0
	v_pk_min_f16 v68, v10, v2
	v_pk_add_f16 v2, v3, v15
	v_pk_min_f16 v10, v14, s12 op_sel_hi:[1,0]
	s_nop 0
	v_pk_min_f16 v67, v10, v2
	v_pk_add_f16 v2, v5, v9
	v_pk_min_f16 v10, v142, s12 op_sel_hi:[1,0]
	s_nop 0
	v_pk_min_f16 v66, v10, v2
	v_pk_add_f16 v2, v7, v9
	v_pk_min_f16 v10, v143, s12 op_sel_hi:[1,0]
	s_nop 0
	v_pk_min_f16 v65, v10, v2
	v_pk_add_f16 v2, v1, v9
	v_pk_min_f16 v10, v144, s12 op_sel_hi:[1,0]
	v_pk_add_f16 v1, v1, v11
	v_pk_min_f16 v64, v10, v2
	v_pk_add_f16 v2, v3, v9
	s_nop 0
	v_pk_min_f16 v62, v8, v2
	v_pk_add_f16 v2, v5, v11
	s_nop 0
	v_pk_min_f16 v61, v4, v2
	v_pk_add_f16 v2, v7, v11
	v_pk_min_f16 v4, v6, s12 op_sel_hi:[1,0]
	s_nop 0
	v_pk_min_f16 v59, v4, v2
	v_pk_min_f16 v2, v145, s12 op_sel_hi:[1,0]
	s_nop 0
	v_pk_min_f16 v60, v2, v1
	v_pk_add_f16 v1, v3, v11
	s_nop 0
	v_pk_min_f16 v63, v0, v1
	s_cbranch_scc1 .LBB213_36
; %bb.22:
	v_mov_b32_e32 v0, 0x400
	v_lshl_add_u32 v135, v88, 3, v0
	v_mov_b32_e32 v0, 0xc00
	v_lshl_add_u32 v136, v89, 3, v0
	v_and_b32_e32 v0, 3, v88
	v_lshlrev_b32_e32 v40, 1, v0
	v_mad_i64_i32 v[0:1], s[12:13], s22, v35, 0
	v_lshl_add_u64 v[42:43], v[0:1], 1, s[20:21]
	v_mad_i64_i32 v[0:1], s[12:13], s22, v34, 0
	v_lshl_add_u64 v[44:45], v[0:1], 1, s[20:21]
	v_mad_i64_i32 v[0:1], s[12:13], s24, v33, 0
	s_mov_b32 s17, 0x5040100
	v_lshl_add_u64 v[46:47], v[0:1], 1, s[18:19]
	v_mad_i64_i32 v[0:1], s[12:13], s24, v32, 0
	v_add_u32_e32 v132, 0x800, v113
	v_add_u32_e32 v133, 0x400, v113
	;; [unrolled: 1-line block ×3, first 2 shown]
	s_add_i32 s16, s16, -8
	v_perm_b32 v36, v37, v36, s17
	v_perm_b32 v139, v39, v38, s17
	v_mov_b32_e32 v41, 0
	v_lshl_add_u64 v[48:49], v[0:1], 1, s[18:19]
	s_mov_b32 s18, 0
	s_mov_b32 s19, 0xffff
	s_branch .LBB213_24
.LBB213_23:                             ;   in Loop: Header=BB213_24 Depth=1
	v_pk_add_f16 v50, v4, v36
	v_pk_max_f16 v51, v131, v131
	v_pk_max_f16 v52, v130, v130
	v_pk_min_f16 v50, v51, v50
	v_pk_add_f16 v51, v6, v36
	v_pk_max_f16 v53, v129, v129
	v_pk_min_f16 v51, v52, v51
	v_pk_add_f16 v52, v0, v36
	v_pk_add_f16 v36, v2, v36
	v_pk_min_f16 v52, v53, v52
	v_pk_max_f16 v53, v128, v128
	v_pk_max_f16 v54, v127, v127
	v_pk_min_f16 v36, v53, v36
	v_pk_add_f16 v53, v4, v38
	v_pk_max_f16 v55, v126, v126
	v_pk_min_f16 v53, v54, v53
	v_pk_add_f16 v54, v6, v38
	v_pk_max_f16 v124, v124, v124
	v_pk_min_f16 v54, v55, v54
	v_pk_add_f16 v55, v0, v38
	v_pk_add_f16 v38, v2, v38
	v_pk_max_f16 v123, v123, v123
	v_pk_min_f16 v38, v124, v38
	v_pk_add_f16 v124, v4, v32
	v_pk_max_f16 v122, v122, v122
	v_pk_min_f16 v123, v123, v124
	v_pk_add_f16 v124, v6, v32
	v_pk_max_f16 v120, v120, v120
	v_pk_min_f16 v122, v122, v124
	v_pk_add_f16 v124, v0, v32
	v_pk_add_f16 v32, v2, v32
	;; [unrolled: 10-line block ×13, first 2 shown]
	v_pk_max_f16 v66, v66, v66
	v_pk_min_f16 v14, v67, v14
	v_pk_add_f16 v67, v4, v8
	v_pk_max_f16 v65, v65, v65
	v_pk_min_f16 v66, v66, v67
	v_pk_add_f16 v67, v6, v8
	v_pk_add_f16 v4, v4, v10
	v_pk_min_f16 v65, v65, v67
	v_pk_add_f16 v67, v0, v8
	v_pk_add_f16 v8, v2, v8
	;; [unrolled: 1-line block ×3, first 2 shown]
	v_pk_max_f16 v59, v59, v59
	v_pk_add_f16 v0, v0, v10
	v_pk_add_f16 v2, v2, v10
	v_pk_max_f16 v10, v63, v63
	v_pk_min_f16 v6, v59, v6
	v_pk_max_f16 v59, v60, v60
	v_pk_min_f16 v2, v10, v2
	v_pk_add_f16 v10, v5, v37
	v_pk_min_f16 v0, v59, v0
	v_pk_min_f16 v59, v50, v10
	v_pk_add_f16 v10, v7, v37
	v_pk_max_f16 v61, v61, v61
	v_pk_min_f16 v60, v51, v10
	v_pk_add_f16 v10, v1, v37
	v_pk_min_f16 v4, v61, v4
	v_pk_min_f16 v61, v52, v10
	v_pk_add_f16 v10, v3, v37
	v_pk_max_f16 v62, v62, v62
	v_pk_min_f16 v37, v36, v10
	v_pk_add_f16 v10, v5, v39
	v_pk_max_f16 v125, v125, v125
	v_pk_min_f16 v8, v62, v8
	v_pk_min_f16 v62, v53, v10
	v_pk_add_f16 v10, v7, v39
	v_pk_min_f16 v55, v125, v55
	v_pk_min_f16 v54, v54, v10
	v_pk_add_f16 v10, v1, v39
	v_pk_max_f16 v121, v121, v121
	v_pk_min_f16 v55, v55, v10
	v_pk_add_f16 v10, v3, v39
	v_pk_min_f16 v121, v121, v124
	v_pk_min_f16 v38, v38, v10
	v_pk_add_f16 v10, v5, v33
	v_pk_max_f16 v64, v64, v64
	v_pk_min_f16 v39, v123, v10
	v_pk_add_f16 v10, v7, v33
	v_pk_max_f16 v68, v68, v68
	v_pk_min_f16 v63, v122, v10
	v_pk_add_f16 v10, v1, v33
	v_pk_min_f16 v64, v64, v67
	v_pk_min_f16 v67, v121, v10
	v_pk_add_f16 v10, v3, v33
	v_pk_max_f16 v72, v72, v72
	v_pk_min_f16 v68, v68, v71
	v_pk_min_f16 v71, v32, v10
	v_pk_add_f16 v10, v5, v35
	v_pk_max_f16 v117, v117, v117
	v_pk_max_f16 v76, v76, v76
	v_pk_min_f16 v72, v72, v75
	v_pk_min_f16 v75, v119, v10
	v_pk_add_f16 v10, v7, v35
	v_pk_min_f16 v117, v117, v120
	v_pk_max_f16 v80, v80, v80
	v_pk_min_f16 v76, v76, v79
	v_pk_min_f16 v79, v118, v10
	v_pk_add_f16 v10, v1, v35
	v_pk_max_f16 v84, v84, v84
	v_pk_min_f16 v80, v80, v83
	v_pk_min_f16 v83, v117, v10
	v_pk_add_f16 v10, v3, v35
	;; [unrolled: 4-line block ×3, first 2 shown]
	v_pk_max_f16 v110, v110, v110
	v_pk_max_f16 v95, v95, v95
	v_pk_min_f16 v90, v90, v93
	v_pk_min_f16 v93, v114, v10
	v_pk_add_f16 v10, v7, v29
	v_pk_min_f16 v110, v110, v116
	v_pk_max_f16 v101, v101, v101
	v_pk_min_f16 v95, v95, v99
	v_pk_min_f16 v99, v112, v10
	v_pk_add_f16 v10, v1, v29
	v_pk_max_f16 v105, v105, v105
	v_pk_min_f16 v101, v101, v104
	v_pk_min_f16 v104, v110, v10
	v_pk_add_f16 v10, v3, v29
	v_pk_min_f16 v105, v105, v109
	v_pk_min_f16 v109, v28, v10
	v_pk_add_f16 v10, v5, v31
	v_pk_max_f16 v61, v61, v61
	v_pk_min_f16 v108, v108, v10
	v_pk_add_f16 v10, v7, v31
	v_pk_max_f16 v38, v38, v38
	;; [unrolled: 3-line block ×4, first 2 shown]
	v_pk_min_f16 v139, v30, v10
	v_pk_add_f16 v10, v5, v25
	v_perm_b32 v36, v138, v137, s17
	v_pk_min_f16 v103, v103, v10
	v_pk_add_f16 v10, v7, v25
	v_pk_max_f16 v59, v59, v59
	v_pk_min_f16 v102, v102, v10
	v_pk_add_f16 v10, v1, v25
	v_pk_max_f16 v60, v60, v60
	;; [unrolled: 3-line block ×4, first 2 shown]
	v_pk_min_f16 v97, v97, v10
	v_pk_add_f16 v10, v7, v27
	s_add_i32 s18, s18, 8
	v_pk_min_f16 v96, v96, v10
	v_pk_add_f16 v10, v1, v27
	v_lshl_add_u64 v[42:43], v[42:43], 0, 16
	v_pk_min_f16 v95, v95, v10
	v_pk_add_f16 v10, v3, v27
	v_lshl_add_u64 v[44:45], v[44:45], 0, 16
	;; [unrolled: 3-line block ×3, first 2 shown]
	v_pk_min_f16 v92, v92, v10
	v_pk_add_f16 v10, v7, v21
	s_cmp_ge_i32 s18, s16
	v_pk_min_f16 v91, v91, v10
	v_pk_add_f16 v10, v1, v21
	v_lshl_add_u64 v[48:49], v[48:49], 0, 16
	v_pk_min_f16 v90, v90, v10
	v_pk_add_f16 v10, v3, v21
	s_nop 0
	v_pk_min_f16 v142, v20, v10
	v_pk_add_f16 v10, v5, v23
	s_nop 0
	;; [unrolled: 3-line block ×21, first 2 shown]
	v_pk_min_f16 v147, v14, v10
	v_pk_add_f16 v10, v5, v9
	v_pk_add_f16 v5, v5, v11
	v_pk_min_f16 v66, v66, v10
	v_pk_add_f16 v10, v7, v9
	v_pk_min_f16 v149, v4, v5
	v_pk_min_f16 v65, v65, v10
	v_pk_add_f16 v10, v1, v9
	v_pk_add_f16 v1, v1, v11
	;; [unrolled: 1-line block ×4, first 2 shown]
	v_pk_min_f16 v151, v0, v1
	v_pk_add_f16 v0, v3, v11
	v_pk_min_f16 v64, v64, v10
	v_pk_min_f16 v148, v8, v9
	;; [unrolled: 1-line block ×4, first 2 shown]
	ds_read2_b64 v[4:7], v100 offset1:32
	ds_read2_b64 v[0:3], v100 offset0:64 offset1:96
	ds_read2_b64 v[32:35], v115 offset1:8
	ds_read2_b64 v[50:53], v115 offset0:16 offset1:24
	ds_read2_b64 v[28:31], v115 offset0:32 offset1:40
	;; [unrolled: 1-line block ×7, first 2 shown]
	s_waitcnt lgkmcnt(7)
	v_pk_add_f16 v114, v0, v32
	v_pk_add_f16 v116, v4, v34
	;; [unrolled: 1-line block ×8, first 2 shown]
	s_waitcnt lgkmcnt(6)
	v_pk_add_f16 v119, v4, v50
	v_pk_add_f16 v120, v6, v50
	;; [unrolled: 1-line block ×9, first 2 shown]
	v_pk_min_f16 v61, v61, v114
	v_pk_min_f16 v34, v38, v34
	v_pk_add_f16 v138, v6, v52
	v_pk_add_f16 v122, v5, v33
	;; [unrolled: 1-line block ×8, first 2 shown]
	v_pk_min_f16 v129, v61, v124
	v_pk_min_f16 v32, v37, v32
	;; [unrolled: 1-line block ×3, first 2 shown]
	v_pk_max_f16 v35, v39, v39
	v_pk_max_f16 v39, v63, v63
	v_pk_min_f16 v50, v71, v50
	v_pk_max_f16 v71, v79, v79
	v_pk_add_f16 v137, v4, v52
	v_pk_add_f16 v167, v7, v53
	v_pk_min_f16 v128, v32, v33
	v_pk_max_f16 v33, v62, v62
	v_pk_min_f16 v39, v39, v120
	v_pk_max_f16 v63, v67, v67
	;; [unrolled: 2-line block ×3, first 2 shown]
	v_pk_min_f16 v71, v71, v138
	v_pk_add_f16 v153, v0, v52
	v_pk_add_f16 v166, v5, v53
	v_pk_min_f16 v59, v59, v110
	v_pk_min_f16 v60, v60, v112
	;; [unrolled: 1-line block ×9, first 2 shown]
	v_pk_max_f16 v71, v83, v83
	v_pk_add_f16 v52, v2, v52
	s_waitcnt lgkmcnt(5)
	v_pk_add_f16 v154, v4, v28
	v_pk_add_f16 v155, v6, v28
	;; [unrolled: 1-line block ×8, first 2 shown]
	s_waitcnt lgkmcnt(4)
	v_pk_add_f16 v160, v4, v24
	v_pk_add_f16 v161, v6, v24
	;; [unrolled: 1-line block ×6, first 2 shown]
	v_pk_min_f16 v131, v59, v122
	v_pk_add_f16 v59, v0, v26
	v_pk_add_f16 v26, v2, v26
	v_pk_min_f16 v130, v60, v123
	s_waitcnt lgkmcnt(3)
	v_pk_add_f16 v60, v4, v20
	v_pk_add_f16 v172, v6, v20
	v_pk_add_f16 v61, v0, v20
	v_pk_add_f16 v20, v2, v20
	v_pk_add_f16 v32, v4, v22
	v_pk_add_f16 v37, v6, v22
	v_pk_min_f16 v127, v33, v125
	v_pk_add_f16 v33, v0, v22
	v_pk_add_f16 v22, v2, v22
	v_pk_min_f16 v126, v54, v126
	s_waitcnt lgkmcnt(2)
	v_pk_add_f16 v54, v4, v16
	v_pk_add_f16 v62, v6, v16
	v_pk_min_f16 v125, v55, v162
	v_pk_add_f16 v55, v0, v16
	v_pk_add_f16 v16, v2, v16
	;; [unrolled: 1-line block ×4, first 2 shown]
	v_pk_min_f16 v123, v35, v163
	v_pk_add_f16 v35, v0, v18
	v_pk_add_f16 v18, v2, v18
	v_pk_min_f16 v122, v39, v164
	s_waitcnt lgkmcnt(1)
	v_pk_add_f16 v39, v4, v12
	v_pk_add_f16 v67, v6, v12
	v_pk_min_f16 v121, v63, v165
	v_pk_add_f16 v63, v0, v12
	v_pk_add_f16 v12, v2, v12
	;; [unrolled: 1-line block ×4, first 2 shown]
	v_pk_min_f16 v119, v51, v166
	v_pk_add_f16 v51, v0, v14
	v_pk_add_f16 v14, v2, v14
	s_waitcnt lgkmcnt(0)
	v_pk_add_f16 v138, v4, v8
	v_pk_min_f16 v71, v71, v153
	v_pk_add_f16 v153, v6, v8
	v_pk_add_f16 v162, v0, v8
	;; [unrolled: 1-line block ×7, first 2 shown]
	v_pk_max_f16 v10, v109, v109
	v_pk_add_f16 v168, v1, v53
	v_pk_min_f16 v10, v10, v28
	v_pk_add_f16 v28, v3, v29
	v_pk_min_f16 v117, v71, v168
	v_pk_min_f16 v109, v10, v28
	v_pk_max_f16 v28, v108, v108
	v_pk_add_f16 v10, v5, v31
	v_pk_min_f16 v28, v28, v157
	v_pk_max_f16 v71, v87, v87
	v_pk_min_f16 v108, v28, v10
	v_pk_max_f16 v28, v107, v107
	v_pk_add_f16 v53, v3, v53
	v_pk_min_f16 v52, v71, v52
	v_pk_add_f16 v10, v7, v31
	v_pk_min_f16 v28, v28, v158
	v_pk_min_f16 v116, v52, v53
	v_pk_max_f16 v52, v93, v93
	v_pk_min_f16 v107, v28, v10
	v_pk_max_f16 v28, v105, v105
	v_pk_min_f16 v52, v52, v154
	v_pk_add_f16 v53, v5, v29
	v_pk_add_f16 v10, v1, v31
	v_pk_min_f16 v28, v28, v159
	v_pk_min_f16 v114, v52, v53
	v_pk_max_f16 v52, v99, v99
	v_pk_min_f16 v105, v28, v10
	v_pk_max_f16 v28, v139, v139
	v_pk_min_f16 v52, v52, v155
	v_pk_add_f16 v53, v7, v29
	v_pk_add_f16 v10, v3, v31
	v_pk_min_f16 v28, v28, v30
	v_pk_min_f16 v112, v52, v53
	v_pk_max_f16 v52, v104, v104
	v_pk_min_f16 v104, v28, v10
	v_pk_max_f16 v28, v103, v103
	v_pk_add_f16 v10, v5, v25
	v_pk_min_f16 v28, v28, v160
	v_pk_add_f16 v53, v1, v29
	v_pk_min_f16 v103, v28, v10
	v_pk_max_f16 v28, v102, v102
	v_pk_add_f16 v10, v7, v25
	v_pk_min_f16 v28, v28, v161
	v_pk_min_f16 v52, v52, v156
	;; [unrolled: 1-line block ×3, first 2 shown]
	v_pk_max_f16 v28, v101, v101
	v_pk_add_f16 v10, v1, v25
	v_pk_min_f16 v28, v28, v169
	v_pk_min_f16 v110, v52, v53
	;; [unrolled: 1-line block ×3, first 2 shown]
	v_pk_add_f16 v10, v3, v25
	v_pk_max_f16 v25, v140, v140
	v_perm_b32 v139, v57, v56, s17
	v_pk_min_f16 v24, v25, v24
	ds_write_b16 v133, v111
	ds_write_b16_d16_hi v133, v111 offset:512
	ds_write_b16 v134, v56
	ds_write_b16 v134, v57 offset:512
	v_pk_min_f16 v99, v24, v10
	v_pk_max_f16 v24, v97, v97
	v_pk_add_f16 v10, v5, v27
	v_pk_min_f16 v24, v24, v170
	s_waitcnt lgkmcnt(0)
	v_pk_min_f16 v97, v24, v10
	v_pk_max_f16 v24, v96, v96
	v_pk_add_f16 v10, v7, v27
	v_pk_min_f16 v24, v24, v171
	s_barrier
	v_pk_min_f16 v96, v24, v10
	v_pk_max_f16 v24, v95, v95
	v_pk_add_f16 v10, v1, v27
	v_pk_min_f16 v24, v24, v59
	s_nop 0
	v_pk_min_f16 v95, v24, v10
	v_pk_max_f16 v24, v141, v141
	v_pk_add_f16 v10, v3, v27
	v_pk_min_f16 v24, v24, v26
	s_nop 0
	v_pk_min_f16 v93, v24, v10
	v_pk_max_f16 v24, v92, v92
	v_pk_add_f16 v10, v5, v21
	v_pk_min_f16 v24, v24, v60
	s_nop 0
	v_pk_min_f16 v92, v24, v10
	v_pk_max_f16 v24, v91, v91
	v_pk_add_f16 v10, v7, v21
	v_pk_min_f16 v24, v24, v172
	s_nop 0
	v_pk_min_f16 v91, v24, v10
	v_pk_max_f16 v24, v90, v90
	v_pk_add_f16 v10, v1, v21
	v_pk_min_f16 v24, v24, v61
	s_nop 0
	v_pk_min_f16 v90, v24, v10
	v_pk_add_f16 v10, v3, v21
	v_pk_max_f16 v21, v142, v142
	s_nop 0
	v_pk_min_f16 v20, v21, v20
	s_nop 0
	v_pk_min_f16 v87, v20, v10
	v_pk_max_f16 v20, v86, v86
	v_pk_add_f16 v10, v5, v23
	v_pk_min_f16 v20, v20, v32
	s_nop 0
	v_pk_min_f16 v86, v20, v10
	v_pk_max_f16 v20, v85, v85
	v_pk_add_f16 v10, v7, v23
	v_pk_min_f16 v20, v20, v37
	s_nop 0
	v_pk_min_f16 v85, v20, v10
	v_pk_max_f16 v20, v84, v84
	v_pk_add_f16 v10, v1, v23
	v_pk_min_f16 v20, v20, v33
	s_nop 0
	v_pk_min_f16 v84, v20, v10
	v_pk_max_f16 v20, v143, v143
	v_pk_add_f16 v10, v3, v23
	v_pk_min_f16 v20, v20, v22
	s_nop 0
	v_pk_min_f16 v83, v20, v10
	v_pk_max_f16 v20, v82, v82
	v_pk_add_f16 v10, v5, v17
	v_pk_min_f16 v20, v20, v54
	s_nop 0
	v_pk_min_f16 v82, v20, v10
	v_pk_max_f16 v20, v81, v81
	v_pk_add_f16 v10, v7, v17
	v_pk_min_f16 v20, v20, v62
	s_nop 0
	v_pk_min_f16 v81, v20, v10
	v_pk_max_f16 v20, v80, v80
	v_pk_add_f16 v10, v1, v17
	v_pk_min_f16 v20, v20, v55
	s_nop 0
	v_pk_min_f16 v80, v20, v10
	v_pk_add_f16 v10, v3, v17
	v_pk_max_f16 v17, v144, v144
	s_nop 0
	v_pk_min_f16 v16, v17, v16
	s_nop 0
	v_pk_min_f16 v79, v16, v10
	v_pk_max_f16 v16, v78, v78
	v_pk_add_f16 v10, v5, v19
	v_pk_min_f16 v16, v16, v34
	s_nop 0
	v_pk_min_f16 v78, v16, v10
	v_pk_max_f16 v16, v77, v77
	v_pk_add_f16 v10, v7, v19
	v_pk_min_f16 v16, v16, v38
	s_nop 0
	;; [unrolled: 41-line block ×3, first 2 shown]
	v_pk_min_f16 v69, v12, v10
	v_pk_max_f16 v12, v68, v68
	v_pk_add_f16 v10, v1, v15
	v_pk_min_f16 v12, v12, v51
	s_nop 0
	v_pk_min_f16 v68, v12, v10
	v_pk_max_f16 v12, v147, v147
	v_pk_add_f16 v10, v3, v15
	v_pk_min_f16 v12, v12, v14
	s_nop 0
	v_pk_min_f16 v67, v12, v10
	v_pk_max_f16 v12, v66, v66
	v_pk_add_f16 v10, v5, v9
	v_pk_min_f16 v12, v12, v138
	v_pk_add_f16 v5, v5, v11
	v_pk_min_f16 v66, v12, v10
	v_pk_max_f16 v12, v65, v65
	v_pk_add_f16 v10, v7, v9
	v_pk_min_f16 v12, v12, v153
	s_nop 0
	v_pk_min_f16 v65, v12, v10
	v_pk_max_f16 v12, v64, v64
	v_pk_add_f16 v10, v1, v9
	v_pk_min_f16 v12, v12, v162
	v_pk_add_f16 v9, v3, v9
	v_pk_min_f16 v64, v12, v10
	v_pk_max_f16 v10, v148, v148
	v_pk_add_f16 v1, v1, v11
	v_pk_min_f16 v8, v10, v8
	s_nop 0
	v_pk_min_f16 v62, v8, v9
	v_pk_max_f16 v8, v149, v149
	s_nop 0
	v_pk_min_f16 v4, v8, v4
	s_nop 0
	v_pk_min_f16 v61, v4, v5
	v_pk_max_f16 v5, v150, v150
	v_pk_add_f16 v4, v7, v11
	v_pk_min_f16 v5, v5, v6
	s_nop 0
	v_pk_min_f16 v59, v5, v4
	v_pk_max_f16 v4, v151, v151
	s_nop 0
	v_pk_min_f16 v0, v4, v0
	s_nop 0
	v_pk_min_f16 v60, v0, v1
	v_pk_max_f16 v1, v152, v152
	v_pk_add_f16 v0, v3, v11
	v_pk_min_f16 v1, v1, v2
	s_nop 0
	v_pk_min_f16 v63, v1, v0
	s_cbranch_scc1 .LBB213_36
.LBB213_24:                             ; =>This Inner Loop Header: Depth=1
	s_and_b64 vcc, exec, s[6:7]
	v_lshl_add_u64 v[56:57], v[48:49], 0, v[40:41]
	v_mov_b32_e32 v0, 0
	s_cbranch_vccnz .LBB213_26
; %bb.25:                               ;   in Loop: Header=BB213_24 Depth=1
	flat_load_ushort v0, v[56:57] offset:16
	s_waitcnt vmcnt(0) lgkmcnt(0)
	v_mul_f16_e32 v0, v94, v0
.LBB213_26:                             ;   in Loop: Header=BB213_24 Depth=1
	v_bfi_b32 v0, s19, v0, v106
	s_mov_b64 s[12:13], -1
	s_mov_b64 vcc, s[4:5]
                                        ; implicit-def: $vgpr106
                                        ; implicit-def: $vgpr137
	s_cbranch_vccz .LBB213_28
; %bb.27:                               ;   in Loop: Header=BB213_24 Depth=1
	v_and_b32_e32 v106, 0xffff, v0
	v_and_b32_e32 v137, 0xffff0000, v36
	s_mov_b64 s[12:13], 0
.LBB213_28:                             ;   in Loop: Header=BB213_24 Depth=1
	v_mov_b32_e32 v140, 0
	s_andn2_b64 vcc, exec, s[12:13]
	v_lshl_add_u64 v[54:55], v[46:47], 0, v[40:41]
	v_lshl_add_u64 v[52:53], v[44:45], 0, v[40:41]
	;; [unrolled: 1-line block ×3, first 2 shown]
	v_mov_b32_e32 v138, 0
	s_cbranch_vccnz .LBB213_30
; %bb.29:                               ;   in Loop: Header=BB213_24 Depth=1
	flat_load_ushort v1, v[54:55] offset:16
	flat_load_ushort v2, v[52:53] offset:16
	;; [unrolled: 1-line block ×3, first 2 shown]
	s_waitcnt vmcnt(0) lgkmcnt(0)
	v_mul_f16_e32 v1, v94, v1
	v_mul_f16_e32 v2, v94, v2
	v_perm_b32 v106, v1, v0, s17
	v_bfi_b32 v137, s19, v2, v36
	v_mul_f16_e32 v138, v94, v3
.LBB213_30:                             ;   in Loop: Header=BB213_24 Depth=1
	ds_read2_b64 v[4:7], v135 offset1:32
	ds_read2_b64 v[0:3], v135 offset0:64 offset1:96
	ds_read2_b64 v[36:39], v136 offset1:8
	ds_read2_b64 v[32:35], v136 offset0:16 offset1:24
	ds_read2_b64 v[28:31], v136 offset0:32 offset1:40
	;; [unrolled: 1-line block ×7, first 2 shown]
	s_and_b64 vcc, exec, s[6:7]
	ds_write_b16 v113, v106
	ds_write_b16_d16_hi v113, v106 offset:512
	ds_write_b16 v132, v137
	ds_write_b16 v132, v138 offset:512
	s_waitcnt lgkmcnt(0)
	s_barrier
	s_cbranch_vccnz .LBB213_32
; %bb.31:                               ;   in Loop: Header=BB213_24 Depth=1
	flat_load_ushort v56, v[56:57] offset:24
	s_waitcnt vmcnt(0) lgkmcnt(0)
	v_mul_f16_e32 v140, v94, v56
.LBB213_32:                             ;   in Loop: Header=BB213_24 Depth=1
	v_bfi_b32 v140, s19, v140, v111
	s_mov_b64 s[12:13], -1
	s_mov_b64 vcc, s[4:5]
                                        ; implicit-def: $vgpr111
                                        ; implicit-def: $vgpr56
	s_cbranch_vccz .LBB213_34
; %bb.33:                               ;   in Loop: Header=BB213_24 Depth=1
	v_and_b32_e32 v111, 0xffff, v140
	v_and_b32_e32 v56, 0xffff0000, v139
	s_mov_b64 s[12:13], 0
.LBB213_34:                             ;   in Loop: Header=BB213_24 Depth=1
	s_andn2_b64 vcc, exec, s[12:13]
	v_mov_b32_e32 v57, 0
	s_cbranch_vccnz .LBB213_23
; %bb.35:                               ;   in Loop: Header=BB213_24 Depth=1
	flat_load_ushort v54, v[54:55] offset:24
	s_nop 0
	flat_load_ushort v52, v[52:53] offset:24
	s_nop 0
	flat_load_ushort v50, v[50:51] offset:24
	s_waitcnt vmcnt(0) lgkmcnt(0)
	v_mul_f16_e32 v51, v94, v54
	v_mul_f16_e32 v52, v94, v52
	v_perm_b32 v111, v51, v140, s17
	v_bfi_b32 v56, s19, v52, v139
	v_mul_f16_e32 v57, v94, v50
	s_branch .LBB213_23
.LBB213_36:
	s_load_dword s6, s[0:1], 0x58
	ds_read_b64 v[38:39], v100 offset:1024
	ds_read_b64 v[46:47], v98 offset:3072
	v_add_u32_e32 v52, s15, v89
	v_cmp_neq_f16_e64 s[4:5], 0, v58
	v_add_u32_e32 v36, s14, v88
	s_waitcnt lgkmcnt(0)
	v_mad_i64_i32 v[0:1], s[12:13], v52, s6, 0
	v_ashrrev_i32_e32 v37, 31, v36
	v_lshl_add_u64 v[48:49], v[0:1], 1, s[10:11]
	v_mov_b32_e32 v42, 0
	s_and_b64 vcc, exec, s[4:5]
	v_mov_b32_e32 v43, 0
	s_cbranch_vccz .LBB213_38
; %bb.37:
	v_lshl_add_u64 v[0:1], v[36:37], 1, v[48:49]
	flat_load_ushort v0, v[0:1]
	s_waitcnt vmcnt(0) lgkmcnt(0)
	v_mul_f16_e32 v0, v58, v0
	v_cvt_f32_f16_e32 v43, v0
.LBB213_38:
	v_pk_add_f16 v40, v38, v46
	v_max_f16_e32 v41, v131, v131
	v_pk_add_f16 v45, v39, v47
	v_min_f16_e32 v44, v41, v40
	v_lshrrev_b32_e32 v41, 16, v131
	v_lshrrev_b32_e32 v40, 16, v40
	;; [unrolled: 1-line block ×3, first 2 shown]
	v_add_u32_e32 v4, 0x800, v98
	v_min3_f16 v50, v41, v40, v50
	ds_read2_b64 v[0:3], v100 offset0:160 offset1:192
	ds_read_b64 v[32:33], v100 offset:1792
	ds_read2_b64 v[28:31], v4 offset0:136 offset1:144
	ds_read2_b64 v[24:27], v4 offset0:152 offset1:160
	;; [unrolled: 1-line block ×4, first 2 shown]
	s_load_dword s7, s[0:1], 0x70
	s_load_dwordx2 s[12:13], s[0:1], 0x78
	v_min3_f16 v44, v44, v45, v50
	v_cvt_f32_f16_e32 v53, v44
	ds_read2_b64 v[12:15], v4 offset0:200 offset1:208
	ds_read2_b64 v[8:11], v4 offset0:216 offset1:224
	;; [unrolled: 1-line block ×3, first 2 shown]
	ds_read_b64 v[34:35], v98 offset:4032
	v_max_f32_e32 v43, v43, v43
	s_waitcnt lgkmcnt(0)
	s_lshl_b64 s[0:1], s[12:13], 1
	v_min_f32_e32 v43, v43, v53
	s_add_u32 s2, s2, s0
	v_cvt_f16_f32_e32 v43, v43
	s_addc_u32 s3, s3, s1
	v_mad_i64_i32 v[44:45], s[0:1], v52, s7, 0
	v_add_u32_e32 v40, 32, v36
	v_lshl_add_u64 v[50:51], v[44:45], 1, s[2:3]
	v_cndmask_b32_e64 v53, 0, 1, s[4:5]
	v_ashrrev_i32_e32 v41, 31, v40
	v_lshl_add_u64 v[44:45], v[36:37], 1, v[50:51]
	v_cmp_ne_u32_e64 s[0:1], 1, v53
	s_andn2_b64 vcc, exec, s[4:5]
	flat_store_short v[44:45], v43
	s_cbranch_vccnz .LBB213_40
; %bb.39:
	v_lshl_add_u64 v[42:43], v[40:41], 1, v[48:49]
	flat_load_ushort v42, v[42:43]
	s_waitcnt vmcnt(0) lgkmcnt(0)
	v_mul_f16_e32 v42, v58, v42
	v_cvt_f32_f16_e32 v42, v42
.LBB213_40:
	v_pk_add_f16 v43, v0, v46
	v_max_f16_e32 v44, v130, v130
	v_pk_add_f16 v53, v1, v47
	v_min_f16_e32 v44, v44, v43
	v_lshrrev_b32_e32 v45, 16, v130
	v_lshrrev_b32_e32 v43, 16, v43
	;; [unrolled: 1-line block ×3, first 2 shown]
	v_min3_f16 v43, v45, v43, v54
	v_min3_f16 v43, v44, v53, v43
	v_cvt_f32_f16_e32 v43, v43
	v_max_f32_e32 v42, v42, v42
	v_lshl_add_u64 v[44:45], v[40:41], 1, v[50:51]
	s_and_b64 vcc, exec, s[0:1]
	v_min_f32_e32 v42, v42, v43
	v_cvt_f16_f32_e32 v53, v42
	v_add_u32_e32 v42, 64, v36
	v_ashrrev_i32_e32 v43, 31, v42
	flat_store_short v[44:45], v53
	v_mov_b32_e32 v53, 0
	v_mov_b32_e32 v45, 0
	s_cbranch_vccnz .LBB213_42
; %bb.41:
	v_lshl_add_u64 v[44:45], v[42:43], 1, v[48:49]
	flat_load_ushort v44, v[44:45]
	s_waitcnt vmcnt(0) lgkmcnt(0)
	v_mul_f16_e32 v44, v58, v44
	v_cvt_f32_f16_e32 v45, v44
.LBB213_42:
	v_pk_add_f16 v44, v2, v46
	v_max_f16_e32 v54, v129, v129
	v_pk_add_f16 v56, v3, v47
	v_min_f16_e32 v54, v54, v44
	v_lshrrev_b32_e32 v55, 16, v129
	v_lshrrev_b32_e32 v44, 16, v44
	;; [unrolled: 1-line block ×3, first 2 shown]
	v_min3_f16 v44, v55, v44, v57
	v_min3_f16 v44, v54, v56, v44
	v_cvt_f32_f16_e32 v54, v44
	v_max_f32_e32 v45, v45, v45
	v_add_u32_e32 v44, 0x60, v36
	s_and_b64 vcc, exec, s[0:1]
	v_min_f32_e32 v45, v45, v54
	v_cvt_f16_f32_e32 v56, v45
	v_ashrrev_i32_e32 v45, 31, v44
	v_lshl_add_u64 v[54:55], v[42:43], 1, v[50:51]
	flat_store_short v[54:55], v56
	s_cbranch_vccnz .LBB213_44
; %bb.43:
	v_lshl_add_u64 v[48:49], v[44:45], 1, v[48:49]
	flat_load_ushort v48, v[48:49]
	s_waitcnt vmcnt(0) lgkmcnt(0)
	v_mul_f16_e32 v48, v58, v48
	v_cvt_f32_f16_e32 v53, v48
.LBB213_44:
	v_pk_add_f16 v46, v32, v46
	v_max_f16_e32 v48, v128, v128
	v_pk_add_f16 v47, v33, v47
	v_min_f16_e32 v48, v48, v46
	v_lshrrev_b32_e32 v49, 16, v128
	v_lshrrev_b32_e32 v46, 16, v46
	;; [unrolled: 1-line block ×3, first 2 shown]
	v_min3_f16 v46, v49, v46, v54
	v_min3_f16 v46, v48, v47, v46
	v_cvt_f32_f16_e32 v46, v46
	v_max_f32_e32 v47, v53, v53
	s_and_b64 vcc, exec, s[0:1]
	v_mov_b32_e32 v49, 0
	v_min_f32_e32 v46, v47, v46
	v_cvt_f16_f32_e32 v48, v46
	v_lshl_add_u64 v[46:47], v[44:45], 1, v[50:51]
	v_mov_b32_e32 v50, 0
	flat_store_short v[46:47], v48
	v_add_u32_e32 v48, 8, v52
	v_mad_i64_i32 v[46:47], s[4:5], v48, s6, 0
	v_lshl_add_u64 v[46:47], v[46:47], 1, s[10:11]
	s_cbranch_vccnz .LBB213_46
; %bb.45:
	v_lshl_add_u64 v[54:55], v[36:37], 1, v[46:47]
	flat_load_ushort v49, v[54:55]
	s_waitcnt vmcnt(0) lgkmcnt(0)
	v_mul_f16_e32 v49, v58, v49
	v_cvt_f32_f16_e32 v49, v49
.LBB213_46:
	v_pk_add_f16 v51, v38, v28
	v_max_f16_e32 v53, v127, v127
	v_pk_add_f16 v55, v39, v29
	v_min_f16_e32 v53, v53, v51
	v_lshrrev_b32_e32 v54, 16, v127
	v_lshrrev_b32_e32 v51, 16, v51
	;; [unrolled: 1-line block ×3, first 2 shown]
	v_min3_f16 v51, v54, v51, v56
	v_min3_f16 v51, v53, v55, v51
	v_cvt_f32_f16_e32 v51, v51
	v_mad_i64_i32 v[54:55], s[4:5], v48, s7, 0
	v_max_f32_e32 v48, v49, v49
	v_min_f32_e32 v48, v48, v51
	v_cvt_f16_f32_e32 v51, v48
	v_lshl_add_u64 v[48:49], v[54:55], 1, s[2:3]
	v_lshl_add_u64 v[54:55], v[36:37], 1, v[48:49]
	s_and_b64 vcc, exec, s[0:1]
	flat_store_short v[54:55], v51
	s_cbranch_vccnz .LBB213_48
; %bb.47:
	v_lshl_add_u64 v[50:51], v[40:41], 1, v[46:47]
	flat_load_ushort v50, v[50:51]
	s_waitcnt vmcnt(0) lgkmcnt(0)
	v_mul_f16_e32 v50, v58, v50
	v_cvt_f32_f16_e32 v50, v50
.LBB213_48:
	v_pk_add_f16 v51, v0, v28
	v_max_f16_e32 v53, v126, v126
	v_pk_add_f16 v55, v1, v29
	v_min_f16_e32 v53, v53, v51
	v_lshrrev_b32_e32 v54, 16, v126
	v_lshrrev_b32_e32 v51, 16, v51
	;; [unrolled: 1-line block ×3, first 2 shown]
	v_min3_f16 v51, v54, v51, v56
	v_min3_f16 v51, v53, v55, v51
	v_cvt_f32_f16_e32 v51, v51
	v_max_f32_e32 v50, v50, v50
	s_and_b64 vcc, exec, s[0:1]
	v_min_f32_e32 v50, v50, v51
	v_cvt_f16_f32_e32 v53, v50
	v_lshl_add_u64 v[50:51], v[40:41], 1, v[48:49]
	flat_store_short v[50:51], v53
	v_mov_b32_e32 v50, 0
	v_mov_b32_e32 v51, 0
	s_cbranch_vccnz .LBB213_50
; %bb.49:
	v_lshl_add_u64 v[54:55], v[42:43], 1, v[46:47]
	flat_load_ushort v51, v[54:55]
	s_waitcnt vmcnt(0) lgkmcnt(0)
	v_mul_f16_e32 v51, v58, v51
	v_cvt_f32_f16_e32 v51, v51
.LBB213_50:
	v_pk_add_f16 v53, v2, v28
	v_max_f16_e32 v54, v125, v125
	v_pk_add_f16 v56, v3, v29
	v_min_f16_e32 v54, v54, v53
	v_lshrrev_b32_e32 v55, 16, v125
	v_lshrrev_b32_e32 v53, 16, v53
	v_lshrrev_b32_e32 v57, 16, v56
	v_min3_f16 v53, v55, v53, v57
	v_min3_f16 v53, v54, v56, v53
	v_cvt_f32_f16_e32 v53, v53
	v_max_f32_e32 v51, v51, v51
	v_lshl_add_u64 v[54:55], v[42:43], 1, v[48:49]
	s_and_b64 vcc, exec, s[0:1]
	v_min_f32_e32 v51, v51, v53
	v_cvt_f16_f32_e32 v51, v51
	flat_store_short v[54:55], v51
	s_cbranch_vccnz .LBB213_52
; %bb.51:
	v_lshl_add_u64 v[46:47], v[44:45], 1, v[46:47]
	flat_load_ushort v46, v[46:47]
	s_waitcnt vmcnt(0) lgkmcnt(0)
	v_mul_f16_e32 v46, v58, v46
	v_cvt_f32_f16_e32 v50, v46
.LBB213_52:
	v_pk_add_f16 v28, v32, v28
	v_max_f16_e32 v46, v124, v124
	v_pk_add_f16 v29, v33, v29
	v_min_f16_e32 v46, v46, v28
	v_lshrrev_b32_e32 v47, 16, v124
	v_lshrrev_b32_e32 v28, 16, v28
	;; [unrolled: 1-line block ×3, first 2 shown]
	v_min3_f16 v28, v47, v28, v51
	v_min3_f16 v28, v46, v29, v28
	v_cvt_f32_f16_e32 v28, v28
	v_max_f32_e32 v29, v50, v50
	s_and_b64 vcc, exec, s[0:1]
	v_mov_b32_e32 v47, 0
	v_min_f32_e32 v28, v29, v28
	v_cvt_f16_f32_e32 v46, v28
	v_lshl_add_u64 v[28:29], v[44:45], 1, v[48:49]
	v_mov_b32_e32 v48, 0
	flat_store_short v[28:29], v46
	v_add_u32_e32 v46, 16, v52
	v_mad_i64_i32 v[28:29], s[4:5], v46, s6, 0
	v_lshl_add_u64 v[28:29], v[28:29], 1, s[10:11]
	s_cbranch_vccnz .LBB213_54
; %bb.53:
	v_lshl_add_u64 v[50:51], v[36:37], 1, v[28:29]
	flat_load_ushort v47, v[50:51]
	s_waitcnt vmcnt(0) lgkmcnt(0)
	v_mul_f16_e32 v47, v58, v47
	v_cvt_f32_f16_e32 v47, v47
.LBB213_54:
	v_pk_add_f16 v49, v38, v30
	v_max_f16_e32 v50, v123, v123
	v_pk_add_f16 v53, v39, v31
	v_min_f16_e32 v50, v50, v49
	v_lshrrev_b32_e32 v51, 16, v123
	v_lshrrev_b32_e32 v49, 16, v49
	;; [unrolled: 1-line block ×3, first 2 shown]
	v_min3_f16 v49, v51, v49, v54
	v_min3_f16 v49, v50, v53, v49
	v_cvt_f32_f16_e32 v49, v49
	v_mad_i64_i32 v[50:51], s[4:5], v46, s7, 0
	v_max_f32_e32 v46, v47, v47
	v_min_f32_e32 v46, v46, v49
	v_cvt_f16_f32_e32 v49, v46
	v_lshl_add_u64 v[46:47], v[50:51], 1, s[2:3]
	v_lshl_add_u64 v[50:51], v[36:37], 1, v[46:47]
	s_and_b64 vcc, exec, s[0:1]
	flat_store_short v[50:51], v49
	s_cbranch_vccnz .LBB213_56
; %bb.55:
	v_lshl_add_u64 v[48:49], v[40:41], 1, v[28:29]
	flat_load_ushort v48, v[48:49]
	s_waitcnt vmcnt(0) lgkmcnt(0)
	v_mul_f16_e32 v48, v58, v48
	v_cvt_f32_f16_e32 v48, v48
.LBB213_56:
	v_pk_add_f16 v49, v0, v30
	v_max_f16_e32 v50, v122, v122
	v_pk_add_f16 v53, v1, v31
	v_min_f16_e32 v50, v50, v49
	v_lshrrev_b32_e32 v51, 16, v122
	v_lshrrev_b32_e32 v49, 16, v49
	;; [unrolled: 1-line block ×3, first 2 shown]
	v_min3_f16 v49, v51, v49, v54
	v_min3_f16 v49, v50, v53, v49
	v_cvt_f32_f16_e32 v49, v49
	v_max_f32_e32 v48, v48, v48
	s_and_b64 vcc, exec, s[0:1]
	v_min_f32_e32 v48, v48, v49
	v_cvt_f16_f32_e32 v50, v48
	v_lshl_add_u64 v[48:49], v[40:41], 1, v[46:47]
	flat_store_short v[48:49], v50
	v_mov_b32_e32 v48, 0
	v_mov_b32_e32 v49, 0
	s_cbranch_vccnz .LBB213_58
; %bb.57:
	v_lshl_add_u64 v[50:51], v[42:43], 1, v[28:29]
	flat_load_ushort v49, v[50:51]
	s_waitcnt vmcnt(0) lgkmcnt(0)
	v_mul_f16_e32 v49, v58, v49
	v_cvt_f32_f16_e32 v49, v49
.LBB213_58:
	v_pk_add_f16 v50, v2, v30
	v_max_f16_e32 v51, v121, v121
	v_pk_add_f16 v54, v3, v31
	v_min_f16_e32 v51, v51, v50
	v_lshrrev_b32_e32 v53, 16, v121
	v_lshrrev_b32_e32 v50, 16, v50
	;; [unrolled: 1-line block ×3, first 2 shown]
	v_min3_f16 v50, v53, v50, v55
	v_min3_f16 v50, v51, v54, v50
	v_cvt_f32_f16_e32 v50, v50
	v_max_f32_e32 v49, v49, v49
	s_and_b64 vcc, exec, s[0:1]
	v_min_f32_e32 v49, v49, v50
	v_cvt_f16_f32_e32 v49, v49
	v_lshl_add_u64 v[50:51], v[42:43], 1, v[46:47]
	flat_store_short v[50:51], v49
	s_cbranch_vccnz .LBB213_60
; %bb.59:
	v_lshl_add_u64 v[28:29], v[44:45], 1, v[28:29]
	flat_load_ushort v28, v[28:29]
	s_waitcnt vmcnt(0) lgkmcnt(0)
	v_mul_f16_e32 v28, v58, v28
	v_cvt_f32_f16_e32 v48, v28
.LBB213_60:
	v_pk_add_f16 v28, v32, v30
	v_max_f16_e32 v29, v120, v120
	v_pk_add_f16 v31, v33, v31
	v_min_f16_e32 v29, v29, v28
	v_lshrrev_b32_e32 v30, 16, v120
	v_lshrrev_b32_e32 v28, 16, v28
	;; [unrolled: 1-line block ×3, first 2 shown]
	v_min3_f16 v28, v30, v28, v49
	v_min3_f16 v28, v29, v31, v28
	v_cvt_f32_f16_e32 v28, v28
	v_max_f32_e32 v29, v48, v48
	s_and_b64 vcc, exec, s[0:1]
	v_mov_b32_e32 v31, 0
	v_min_f32_e32 v28, v29, v28
	v_cvt_f16_f32_e32 v30, v28
	v_lshl_add_u64 v[28:29], v[44:45], 1, v[46:47]
	v_mov_b32_e32 v46, 0
	flat_store_short v[28:29], v30
	v_add_u32_e32 v30, 24, v52
	v_mad_i64_i32 v[28:29], s[4:5], v30, s6, 0
	v_lshl_add_u64 v[28:29], v[28:29], 1, s[10:11]
	s_cbranch_vccnz .LBB213_62
; %bb.61:
	v_lshl_add_u64 v[48:49], v[36:37], 1, v[28:29]
	flat_load_ushort v31, v[48:49]
	s_waitcnt vmcnt(0) lgkmcnt(0)
	v_mul_f16_e32 v31, v58, v31
	v_cvt_f32_f16_e32 v31, v31
.LBB213_62:
	v_pk_add_f16 v47, v38, v24
	v_max_f16_e32 v48, v119, v119
	v_pk_add_f16 v50, v39, v25
	v_min_f16_e32 v48, v48, v47
	v_lshrrev_b32_e32 v49, 16, v119
	v_lshrrev_b32_e32 v47, 16, v47
	;; [unrolled: 1-line block ×3, first 2 shown]
	v_min3_f16 v47, v49, v47, v51
	v_min3_f16 v47, v48, v50, v47
	v_cvt_f32_f16_e32 v47, v47
	v_mad_i64_i32 v[48:49], s[4:5], v30, s7, 0
	v_max_f32_e32 v30, v31, v31
	v_min_f32_e32 v30, v30, v47
	v_cvt_f16_f32_e32 v47, v30
	v_lshl_add_u64 v[30:31], v[48:49], 1, s[2:3]
	v_lshl_add_u64 v[48:49], v[36:37], 1, v[30:31]
	s_and_b64 vcc, exec, s[0:1]
	flat_store_short v[48:49], v47
	s_cbranch_vccnz .LBB213_64
; %bb.63:
	v_lshl_add_u64 v[46:47], v[40:41], 1, v[28:29]
	flat_load_ushort v46, v[46:47]
	s_waitcnt vmcnt(0) lgkmcnt(0)
	v_mul_f16_e32 v46, v58, v46
	v_cvt_f32_f16_e32 v46, v46
.LBB213_64:
	v_pk_add_f16 v47, v0, v24
	v_max_f16_e32 v48, v118, v118
	v_pk_add_f16 v50, v1, v25
	v_min_f16_e32 v48, v48, v47
	v_lshrrev_b32_e32 v49, 16, v118
	v_lshrrev_b32_e32 v47, 16, v47
	;; [unrolled: 1-line block ×3, first 2 shown]
	v_min3_f16 v47, v49, v47, v51
	v_min3_f16 v47, v48, v50, v47
	v_cvt_f32_f16_e32 v47, v47
	v_max_f32_e32 v46, v46, v46
	s_and_b64 vcc, exec, s[0:1]
	v_min_f32_e32 v46, v46, v47
	v_cvt_f16_f32_e32 v48, v46
	v_lshl_add_u64 v[46:47], v[40:41], 1, v[30:31]
	flat_store_short v[46:47], v48
	v_mov_b32_e32 v46, 0
	v_mov_b32_e32 v47, 0
	s_cbranch_vccnz .LBB213_66
; %bb.65:
	v_lshl_add_u64 v[48:49], v[42:43], 1, v[28:29]
	flat_load_ushort v47, v[48:49]
	s_waitcnt vmcnt(0) lgkmcnt(0)
	v_mul_f16_e32 v47, v58, v47
	v_cvt_f32_f16_e32 v47, v47
.LBB213_66:
	v_pk_add_f16 v48, v2, v24
	v_max_f16_e32 v49, v117, v117
	v_pk_add_f16 v51, v3, v25
	v_min_f16_e32 v49, v49, v48
	v_lshrrev_b32_e32 v50, 16, v117
	v_lshrrev_b32_e32 v48, 16, v48
	;; [unrolled: 1-line block ×3, first 2 shown]
	v_min3_f16 v48, v50, v48, v53
	v_min3_f16 v48, v49, v51, v48
	v_cvt_f32_f16_e32 v48, v48
	v_max_f32_e32 v47, v47, v47
	s_and_b64 vcc, exec, s[0:1]
	v_min_f32_e32 v47, v47, v48
	v_cvt_f16_f32_e32 v47, v47
	v_lshl_add_u64 v[48:49], v[42:43], 1, v[30:31]
	flat_store_short v[48:49], v47
	s_cbranch_vccnz .LBB213_68
; %bb.67:
	v_lshl_add_u64 v[28:29], v[44:45], 1, v[28:29]
	flat_load_ushort v28, v[28:29]
	s_waitcnt vmcnt(0) lgkmcnt(0)
	v_mul_f16_e32 v28, v58, v28
	v_cvt_f32_f16_e32 v46, v28
.LBB213_68:
	v_pk_add_f16 v24, v32, v24
	v_max_f16_e32 v28, v116, v116
	v_pk_add_f16 v25, v33, v25
	v_min_f16_e32 v28, v28, v24
	v_lshrrev_b32_e32 v29, 16, v116
	v_lshrrev_b32_e32 v24, 16, v24
	;; [unrolled: 1-line block ×3, first 2 shown]
	v_min3_f16 v24, v29, v24, v47
	v_min3_f16 v24, v28, v25, v24
	v_cvt_f32_f16_e32 v24, v24
	v_max_f32_e32 v25, v46, v46
	s_and_b64 vcc, exec, s[0:1]
	v_mov_b32_e32 v29, 0
	v_min_f32_e32 v24, v25, v24
	v_cvt_f16_f32_e32 v28, v24
	v_lshl_add_u64 v[24:25], v[44:45], 1, v[30:31]
	v_mov_b32_e32 v30, 0
	flat_store_short v[24:25], v28
	v_add_u32_e32 v28, 32, v52
	v_mad_i64_i32 v[24:25], s[4:5], v28, s6, 0
	v_lshl_add_u64 v[24:25], v[24:25], 1, s[10:11]
	s_cbranch_vccnz .LBB213_70
; %bb.69:
	v_lshl_add_u64 v[46:47], v[36:37], 1, v[24:25]
	flat_load_ushort v29, v[46:47]
	s_waitcnt vmcnt(0) lgkmcnt(0)
	v_mul_f16_e32 v29, v58, v29
	v_cvt_f32_f16_e32 v29, v29
.LBB213_70:
	v_pk_add_f16 v31, v38, v26
	v_max_f16_e32 v46, v114, v114
	v_pk_add_f16 v48, v39, v27
	v_min_f16_e32 v46, v46, v31
	v_lshrrev_b32_e32 v47, 16, v114
	v_lshrrev_b32_e32 v31, 16, v31
	v_lshrrev_b32_e32 v49, 16, v48
	v_min3_f16 v31, v47, v31, v49
	v_min3_f16 v31, v46, v48, v31
	v_cvt_f32_f16_e32 v31, v31
	v_mad_i64_i32 v[46:47], s[4:5], v28, s7, 0
	v_max_f32_e32 v28, v29, v29
	v_min_f32_e32 v28, v28, v31
	v_cvt_f16_f32_e32 v31, v28
	v_lshl_add_u64 v[28:29], v[46:47], 1, s[2:3]
	v_lshl_add_u64 v[46:47], v[36:37], 1, v[28:29]
	s_and_b64 vcc, exec, s[0:1]
	flat_store_short v[46:47], v31
	s_cbranch_vccnz .LBB213_72
; %bb.71:
	v_lshl_add_u64 v[30:31], v[40:41], 1, v[24:25]
	flat_load_ushort v30, v[30:31]
	s_waitcnt vmcnt(0) lgkmcnt(0)
	v_mul_f16_e32 v30, v58, v30
	v_cvt_f32_f16_e32 v30, v30
.LBB213_72:
	v_pk_add_f16 v31, v0, v26
	v_max_f16_e32 v46, v112, v112
	v_pk_add_f16 v48, v1, v27
	v_min_f16_e32 v46, v46, v31
	v_lshrrev_b32_e32 v47, 16, v112
	v_lshrrev_b32_e32 v31, 16, v31
	;; [unrolled: 1-line block ×3, first 2 shown]
	v_min3_f16 v31, v47, v31, v49
	v_min3_f16 v31, v46, v48, v31
	v_cvt_f32_f16_e32 v31, v31
	v_max_f32_e32 v30, v30, v30
	s_and_b64 vcc, exec, s[0:1]
	v_min_f32_e32 v30, v30, v31
	v_cvt_f16_f32_e32 v46, v30
	v_lshl_add_u64 v[30:31], v[40:41], 1, v[28:29]
	flat_store_short v[30:31], v46
	v_mov_b32_e32 v30, 0
	v_mov_b32_e32 v31, 0
	s_cbranch_vccnz .LBB213_74
; %bb.73:
	v_lshl_add_u64 v[46:47], v[42:43], 1, v[24:25]
	flat_load_ushort v31, v[46:47]
	s_waitcnt vmcnt(0) lgkmcnt(0)
	v_mul_f16_e32 v31, v58, v31
	v_cvt_f32_f16_e32 v31, v31
.LBB213_74:
	v_pk_add_f16 v46, v2, v26
	v_max_f16_e32 v47, v110, v110
	v_pk_add_f16 v49, v3, v27
	v_min_f16_e32 v47, v47, v46
	v_lshrrev_b32_e32 v48, 16, v110
	v_lshrrev_b32_e32 v46, 16, v46
	;; [unrolled: 1-line block ×3, first 2 shown]
	v_min3_f16 v46, v48, v46, v50
	v_min3_f16 v46, v47, v49, v46
	v_cvt_f32_f16_e32 v46, v46
	v_max_f32_e32 v31, v31, v31
	s_and_b64 vcc, exec, s[0:1]
	v_min_f32_e32 v31, v31, v46
	v_cvt_f16_f32_e32 v31, v31
	v_lshl_add_u64 v[46:47], v[42:43], 1, v[28:29]
	flat_store_short v[46:47], v31
	s_cbranch_vccnz .LBB213_76
; %bb.75:
	v_lshl_add_u64 v[24:25], v[44:45], 1, v[24:25]
	flat_load_ushort v24, v[24:25]
	s_waitcnt vmcnt(0) lgkmcnt(0)
	v_mul_f16_e32 v24, v58, v24
	v_cvt_f32_f16_e32 v30, v24
.LBB213_76:
	v_pk_add_f16 v24, v32, v26
	v_max_f16_e32 v25, v109, v109
	v_pk_add_f16 v27, v33, v27
	v_min_f16_e32 v25, v25, v24
	v_lshrrev_b32_e32 v26, 16, v109
	v_lshrrev_b32_e32 v24, 16, v24
	;; [unrolled: 1-line block ×3, first 2 shown]
	v_min3_f16 v24, v26, v24, v31
	v_min3_f16 v24, v25, v27, v24
	v_cvt_f32_f16_e32 v24, v24
	v_max_f32_e32 v25, v30, v30
	s_and_b64 vcc, exec, s[0:1]
	v_mov_b32_e32 v27, 0
	v_min_f32_e32 v24, v25, v24
	v_cvt_f16_f32_e32 v26, v24
	v_lshl_add_u64 v[24:25], v[44:45], 1, v[28:29]
	v_mov_b32_e32 v28, 0
	flat_store_short v[24:25], v26
	v_add_u32_e32 v26, 40, v52
	v_mad_i64_i32 v[24:25], s[4:5], v26, s6, 0
	v_lshl_add_u64 v[24:25], v[24:25], 1, s[10:11]
	s_cbranch_vccnz .LBB213_78
; %bb.77:
	v_lshl_add_u64 v[30:31], v[36:37], 1, v[24:25]
	flat_load_ushort v27, v[30:31]
	s_waitcnt vmcnt(0) lgkmcnt(0)
	v_mul_f16_e32 v27, v58, v27
	v_cvt_f32_f16_e32 v27, v27
.LBB213_78:
	v_pk_add_f16 v29, v38, v20
	v_max_f16_e32 v30, v108, v108
	v_pk_add_f16 v46, v39, v21
	v_min_f16_e32 v30, v30, v29
	v_lshrrev_b32_e32 v31, 16, v108
	v_lshrrev_b32_e32 v29, 16, v29
	;; [unrolled: 1-line block ×3, first 2 shown]
	v_min3_f16 v29, v31, v29, v47
	v_min3_f16 v29, v30, v46, v29
	v_cvt_f32_f16_e32 v29, v29
	v_mad_i64_i32 v[30:31], s[4:5], v26, s7, 0
	v_max_f32_e32 v26, v27, v27
	v_min_f32_e32 v26, v26, v29
	v_cvt_f16_f32_e32 v29, v26
	v_lshl_add_u64 v[26:27], v[30:31], 1, s[2:3]
	v_lshl_add_u64 v[30:31], v[36:37], 1, v[26:27]
	s_and_b64 vcc, exec, s[0:1]
	flat_store_short v[30:31], v29
	s_cbranch_vccnz .LBB213_80
; %bb.79:
	v_lshl_add_u64 v[28:29], v[40:41], 1, v[24:25]
	flat_load_ushort v28, v[28:29]
	s_waitcnt vmcnt(0) lgkmcnt(0)
	v_mul_f16_e32 v28, v58, v28
	v_cvt_f32_f16_e32 v28, v28
.LBB213_80:
	v_pk_add_f16 v29, v0, v20
	v_max_f16_e32 v30, v107, v107
	v_pk_add_f16 v46, v1, v21
	v_min_f16_e32 v30, v30, v29
	v_lshrrev_b32_e32 v31, 16, v107
	v_lshrrev_b32_e32 v29, 16, v29
	;; [unrolled: 1-line block ×3, first 2 shown]
	v_min3_f16 v29, v31, v29, v47
	v_min3_f16 v29, v30, v46, v29
	v_cvt_f32_f16_e32 v29, v29
	v_max_f32_e32 v28, v28, v28
	s_and_b64 vcc, exec, s[0:1]
	v_min_f32_e32 v28, v28, v29
	v_cvt_f16_f32_e32 v30, v28
	v_lshl_add_u64 v[28:29], v[40:41], 1, v[26:27]
	flat_store_short v[28:29], v30
	v_mov_b32_e32 v28, 0
	v_mov_b32_e32 v29, 0
	s_cbranch_vccnz .LBB213_82
; %bb.81:
	v_lshl_add_u64 v[30:31], v[42:43], 1, v[24:25]
	flat_load_ushort v29, v[30:31]
	s_waitcnt vmcnt(0) lgkmcnt(0)
	v_mul_f16_e32 v29, v58, v29
	v_cvt_f32_f16_e32 v29, v29
.LBB213_82:
	v_pk_add_f16 v30, v2, v20
	v_max_f16_e32 v31, v105, v105
	v_pk_add_f16 v47, v3, v21
	v_min_f16_e32 v31, v31, v30
	v_lshrrev_b32_e32 v46, 16, v105
	v_lshrrev_b32_e32 v30, 16, v30
	;; [unrolled: 1-line block ×3, first 2 shown]
	v_min3_f16 v30, v46, v30, v48
	v_min3_f16 v30, v31, v47, v30
	v_cvt_f32_f16_e32 v30, v30
	v_max_f32_e32 v29, v29, v29
	s_and_b64 vcc, exec, s[0:1]
	v_min_f32_e32 v29, v29, v30
	v_cvt_f16_f32_e32 v29, v29
	v_lshl_add_u64 v[30:31], v[42:43], 1, v[26:27]
	flat_store_short v[30:31], v29
	s_cbranch_vccnz .LBB213_84
; %bb.83:
	v_lshl_add_u64 v[24:25], v[44:45], 1, v[24:25]
	flat_load_ushort v24, v[24:25]
	s_waitcnt vmcnt(0) lgkmcnt(0)
	v_mul_f16_e32 v24, v58, v24
	v_cvt_f32_f16_e32 v28, v24
.LBB213_84:
	v_pk_add_f16 v20, v32, v20
	v_max_f16_e32 v24, v104, v104
	v_pk_add_f16 v21, v33, v21
	v_min_f16_e32 v24, v24, v20
	v_lshrrev_b32_e32 v25, 16, v104
	v_lshrrev_b32_e32 v20, 16, v20
	;; [unrolled: 1-line block ×3, first 2 shown]
	v_min3_f16 v20, v25, v20, v29
	v_min3_f16 v20, v24, v21, v20
	v_cvt_f32_f16_e32 v20, v20
	v_max_f32_e32 v21, v28, v28
	s_and_b64 vcc, exec, s[0:1]
	v_mov_b32_e32 v25, 0
	v_min_f32_e32 v20, v21, v20
	v_cvt_f16_f32_e32 v24, v20
	v_lshl_add_u64 v[20:21], v[44:45], 1, v[26:27]
	v_mov_b32_e32 v26, 0
	flat_store_short v[20:21], v24
	v_add_u32_e32 v24, 48, v52
	v_mad_i64_i32 v[20:21], s[4:5], v24, s6, 0
	v_lshl_add_u64 v[20:21], v[20:21], 1, s[10:11]
	s_cbranch_vccnz .LBB213_86
; %bb.85:
	v_lshl_add_u64 v[28:29], v[36:37], 1, v[20:21]
	flat_load_ushort v25, v[28:29]
	s_waitcnt vmcnt(0) lgkmcnt(0)
	v_mul_f16_e32 v25, v58, v25
	v_cvt_f32_f16_e32 v25, v25
.LBB213_86:
	v_pk_add_f16 v27, v38, v22
	v_max_f16_e32 v28, v103, v103
	v_pk_add_f16 v30, v39, v23
	v_min_f16_e32 v28, v28, v27
	v_lshrrev_b32_e32 v29, 16, v103
	v_lshrrev_b32_e32 v27, 16, v27
	;; [unrolled: 1-line block ×3, first 2 shown]
	v_min3_f16 v27, v29, v27, v31
	v_min3_f16 v27, v28, v30, v27
	v_cvt_f32_f16_e32 v27, v27
	v_mad_i64_i32 v[28:29], s[4:5], v24, s7, 0
	v_max_f32_e32 v24, v25, v25
	v_min_f32_e32 v24, v24, v27
	v_cvt_f16_f32_e32 v27, v24
	v_lshl_add_u64 v[24:25], v[28:29], 1, s[2:3]
	v_lshl_add_u64 v[28:29], v[36:37], 1, v[24:25]
	s_and_b64 vcc, exec, s[0:1]
	flat_store_short v[28:29], v27
	s_cbranch_vccnz .LBB213_88
; %bb.87:
	v_lshl_add_u64 v[26:27], v[40:41], 1, v[20:21]
	flat_load_ushort v26, v[26:27]
	s_waitcnt vmcnt(0) lgkmcnt(0)
	v_mul_f16_e32 v26, v58, v26
	v_cvt_f32_f16_e32 v26, v26
.LBB213_88:
	v_pk_add_f16 v27, v0, v22
	v_max_f16_e32 v28, v102, v102
	v_pk_add_f16 v30, v1, v23
	v_min_f16_e32 v28, v28, v27
	v_lshrrev_b32_e32 v29, 16, v102
	v_lshrrev_b32_e32 v27, 16, v27
	;; [unrolled: 1-line block ×3, first 2 shown]
	v_min3_f16 v27, v29, v27, v31
	v_min3_f16 v27, v28, v30, v27
	v_cvt_f32_f16_e32 v27, v27
	v_max_f32_e32 v26, v26, v26
	s_and_b64 vcc, exec, s[0:1]
	v_min_f32_e32 v26, v26, v27
	v_cvt_f16_f32_e32 v28, v26
	v_lshl_add_u64 v[26:27], v[40:41], 1, v[24:25]
	flat_store_short v[26:27], v28
	v_mov_b32_e32 v26, 0
	v_mov_b32_e32 v27, 0
	s_cbranch_vccnz .LBB213_90
; %bb.89:
	v_lshl_add_u64 v[28:29], v[42:43], 1, v[20:21]
	flat_load_ushort v27, v[28:29]
	s_waitcnt vmcnt(0) lgkmcnt(0)
	v_mul_f16_e32 v27, v58, v27
	v_cvt_f32_f16_e32 v27, v27
.LBB213_90:
	v_pk_add_f16 v28, v2, v22
	v_max_f16_e32 v29, v101, v101
	v_pk_add_f16 v31, v3, v23
	v_min_f16_e32 v29, v29, v28
	v_lshrrev_b32_e32 v30, 16, v101
	v_lshrrev_b32_e32 v28, 16, v28
	;; [unrolled: 1-line block ×3, first 2 shown]
	v_min3_f16 v28, v30, v28, v46
	v_min3_f16 v28, v29, v31, v28
	v_cvt_f32_f16_e32 v28, v28
	v_max_f32_e32 v27, v27, v27
	s_and_b64 vcc, exec, s[0:1]
	v_min_f32_e32 v27, v27, v28
	v_cvt_f16_f32_e32 v27, v27
	v_lshl_add_u64 v[28:29], v[42:43], 1, v[24:25]
	flat_store_short v[28:29], v27
	s_cbranch_vccnz .LBB213_92
; %bb.91:
	v_lshl_add_u64 v[20:21], v[44:45], 1, v[20:21]
	flat_load_ushort v20, v[20:21]
	s_waitcnt vmcnt(0) lgkmcnt(0)
	v_mul_f16_e32 v20, v58, v20
	v_cvt_f32_f16_e32 v26, v20
.LBB213_92:
	v_pk_add_f16 v20, v32, v22
	v_max_f16_e32 v21, v99, v99
	v_pk_add_f16 v23, v33, v23
	v_min_f16_e32 v21, v21, v20
	v_lshrrev_b32_e32 v22, 16, v99
	v_lshrrev_b32_e32 v20, 16, v20
	v_lshrrev_b32_e32 v27, 16, v23
	v_min3_f16 v20, v22, v20, v27
	v_min3_f16 v20, v21, v23, v20
	v_cvt_f32_f16_e32 v20, v20
	v_max_f32_e32 v21, v26, v26
	s_and_b64 vcc, exec, s[0:1]
	v_mov_b32_e32 v23, 0
	v_min_f32_e32 v20, v21, v20
	v_cvt_f16_f32_e32 v22, v20
	v_lshl_add_u64 v[20:21], v[44:45], 1, v[24:25]
	v_mov_b32_e32 v24, 0
	flat_store_short v[20:21], v22
	v_add_u32_e32 v22, 56, v52
	v_mad_i64_i32 v[20:21], s[4:5], v22, s6, 0
	v_lshl_add_u64 v[20:21], v[20:21], 1, s[10:11]
	s_cbranch_vccnz .LBB213_94
; %bb.93:
	v_lshl_add_u64 v[26:27], v[36:37], 1, v[20:21]
	flat_load_ushort v23, v[26:27]
	s_waitcnt vmcnt(0) lgkmcnt(0)
	v_mul_f16_e32 v23, v58, v23
	v_cvt_f32_f16_e32 v23, v23
.LBB213_94:
	v_pk_add_f16 v25, v38, v16
	v_max_f16_e32 v26, v97, v97
	v_pk_add_f16 v28, v39, v17
	v_min_f16_e32 v26, v26, v25
	v_lshrrev_b32_e32 v27, 16, v97
	v_lshrrev_b32_e32 v25, 16, v25
	;; [unrolled: 1-line block ×3, first 2 shown]
	v_min3_f16 v25, v27, v25, v29
	v_min3_f16 v25, v26, v28, v25
	v_cvt_f32_f16_e32 v25, v25
	v_mad_i64_i32 v[26:27], s[4:5], v22, s7, 0
	v_max_f32_e32 v22, v23, v23
	v_min_f32_e32 v22, v22, v25
	v_cvt_f16_f32_e32 v25, v22
	v_lshl_add_u64 v[22:23], v[26:27], 1, s[2:3]
	v_lshl_add_u64 v[26:27], v[36:37], 1, v[22:23]
	s_and_b64 vcc, exec, s[0:1]
	flat_store_short v[26:27], v25
	s_cbranch_vccnz .LBB213_96
; %bb.95:
	v_lshl_add_u64 v[24:25], v[40:41], 1, v[20:21]
	flat_load_ushort v24, v[24:25]
	s_waitcnt vmcnt(0) lgkmcnt(0)
	v_mul_f16_e32 v24, v58, v24
	v_cvt_f32_f16_e32 v24, v24
.LBB213_96:
	v_pk_add_f16 v25, v0, v16
	v_max_f16_e32 v26, v96, v96
	v_pk_add_f16 v28, v1, v17
	v_min_f16_e32 v26, v26, v25
	v_lshrrev_b32_e32 v27, 16, v96
	v_lshrrev_b32_e32 v25, 16, v25
	;; [unrolled: 1-line block ×3, first 2 shown]
	v_min3_f16 v25, v27, v25, v29
	v_min3_f16 v25, v26, v28, v25
	v_cvt_f32_f16_e32 v25, v25
	v_max_f32_e32 v24, v24, v24
	s_and_b64 vcc, exec, s[0:1]
	v_min_f32_e32 v24, v24, v25
	v_cvt_f16_f32_e32 v26, v24
	v_lshl_add_u64 v[24:25], v[40:41], 1, v[22:23]
	flat_store_short v[24:25], v26
	v_mov_b32_e32 v24, 0
	v_mov_b32_e32 v25, 0
	s_cbranch_vccnz .LBB213_98
; %bb.97:
	v_lshl_add_u64 v[26:27], v[42:43], 1, v[20:21]
	flat_load_ushort v25, v[26:27]
	s_waitcnt vmcnt(0) lgkmcnt(0)
	v_mul_f16_e32 v25, v58, v25
	v_cvt_f32_f16_e32 v25, v25
.LBB213_98:
	v_pk_add_f16 v26, v2, v16
	v_max_f16_e32 v27, v95, v95
	v_pk_add_f16 v29, v3, v17
	v_min_f16_e32 v27, v27, v26
	v_lshrrev_b32_e32 v28, 16, v95
	v_lshrrev_b32_e32 v26, 16, v26
	;; [unrolled: 1-line block ×3, first 2 shown]
	v_min3_f16 v26, v28, v26, v30
	v_min3_f16 v26, v27, v29, v26
	v_cvt_f32_f16_e32 v26, v26
	v_max_f32_e32 v25, v25, v25
	s_and_b64 vcc, exec, s[0:1]
	v_min_f32_e32 v25, v25, v26
	v_cvt_f16_f32_e32 v25, v25
	v_lshl_add_u64 v[26:27], v[42:43], 1, v[22:23]
	flat_store_short v[26:27], v25
	s_cbranch_vccnz .LBB213_100
; %bb.99:
	v_lshl_add_u64 v[20:21], v[44:45], 1, v[20:21]
	flat_load_ushort v20, v[20:21]
	s_waitcnt vmcnt(0) lgkmcnt(0)
	v_mul_f16_e32 v20, v58, v20
	v_cvt_f32_f16_e32 v24, v20
.LBB213_100:
	v_pk_add_f16 v16, v32, v16
	v_max_f16_e32 v20, v93, v93
	v_pk_add_f16 v17, v33, v17
	v_min_f16_e32 v20, v20, v16
	v_lshrrev_b32_e32 v21, 16, v93
	v_lshrrev_b32_e32 v16, 16, v16
	;; [unrolled: 1-line block ×3, first 2 shown]
	v_min3_f16 v16, v21, v16, v25
	v_min3_f16 v16, v20, v17, v16
	v_cvt_f32_f16_e32 v16, v16
	v_max_f32_e32 v17, v24, v24
	s_and_b64 vcc, exec, s[0:1]
	v_mov_b32_e32 v21, 0
	v_min_f32_e32 v16, v17, v16
	v_cvt_f16_f32_e32 v20, v16
	v_lshl_add_u64 v[16:17], v[44:45], 1, v[22:23]
	v_mov_b32_e32 v22, 0
	flat_store_short v[16:17], v20
	v_add_u32_e32 v20, 64, v52
	v_mad_i64_i32 v[16:17], s[4:5], v20, s6, 0
	v_lshl_add_u64 v[16:17], v[16:17], 1, s[10:11]
	s_cbranch_vccnz .LBB213_102
; %bb.101:
	v_lshl_add_u64 v[24:25], v[36:37], 1, v[16:17]
	flat_load_ushort v21, v[24:25]
	s_waitcnt vmcnt(0) lgkmcnt(0)
	v_mul_f16_e32 v21, v58, v21
	v_cvt_f32_f16_e32 v21, v21
.LBB213_102:
	v_pk_add_f16 v23, v38, v18
	v_max_f16_e32 v24, v92, v92
	v_pk_add_f16 v26, v39, v19
	v_min_f16_e32 v24, v24, v23
	v_lshrrev_b32_e32 v25, 16, v92
	v_lshrrev_b32_e32 v23, 16, v23
	;; [unrolled: 1-line block ×3, first 2 shown]
	v_min3_f16 v23, v25, v23, v27
	v_min3_f16 v23, v24, v26, v23
	v_cvt_f32_f16_e32 v23, v23
	v_mad_i64_i32 v[24:25], s[4:5], v20, s7, 0
	v_max_f32_e32 v20, v21, v21
	v_min_f32_e32 v20, v20, v23
	v_cvt_f16_f32_e32 v23, v20
	v_lshl_add_u64 v[20:21], v[24:25], 1, s[2:3]
	v_lshl_add_u64 v[24:25], v[36:37], 1, v[20:21]
	s_and_b64 vcc, exec, s[0:1]
	flat_store_short v[24:25], v23
	s_cbranch_vccnz .LBB213_104
; %bb.103:
	v_lshl_add_u64 v[22:23], v[40:41], 1, v[16:17]
	flat_load_ushort v22, v[22:23]
	s_waitcnt vmcnt(0) lgkmcnt(0)
	v_mul_f16_e32 v22, v58, v22
	v_cvt_f32_f16_e32 v22, v22
.LBB213_104:
	v_pk_add_f16 v23, v0, v18
	v_max_f16_e32 v24, v91, v91
	v_pk_add_f16 v26, v1, v19
	v_min_f16_e32 v24, v24, v23
	v_lshrrev_b32_e32 v25, 16, v91
	v_lshrrev_b32_e32 v23, 16, v23
	;; [unrolled: 1-line block ×3, first 2 shown]
	v_min3_f16 v23, v25, v23, v27
	v_min3_f16 v23, v24, v26, v23
	v_cvt_f32_f16_e32 v23, v23
	v_max_f32_e32 v22, v22, v22
	s_and_b64 vcc, exec, s[0:1]
	v_min_f32_e32 v22, v22, v23
	v_cvt_f16_f32_e32 v24, v22
	v_lshl_add_u64 v[22:23], v[40:41], 1, v[20:21]
	flat_store_short v[22:23], v24
	v_mov_b32_e32 v22, 0
	v_mov_b32_e32 v23, 0
	s_cbranch_vccnz .LBB213_106
; %bb.105:
	v_lshl_add_u64 v[24:25], v[42:43], 1, v[16:17]
	flat_load_ushort v23, v[24:25]
	s_waitcnt vmcnt(0) lgkmcnt(0)
	v_mul_f16_e32 v23, v58, v23
	v_cvt_f32_f16_e32 v23, v23
.LBB213_106:
	v_pk_add_f16 v24, v2, v18
	v_max_f16_e32 v25, v90, v90
	v_pk_add_f16 v27, v3, v19
	v_min_f16_e32 v25, v25, v24
	v_lshrrev_b32_e32 v26, 16, v90
	v_lshrrev_b32_e32 v24, 16, v24
	;; [unrolled: 1-line block ×3, first 2 shown]
	v_min3_f16 v24, v26, v24, v28
	v_min3_f16 v24, v25, v27, v24
	v_cvt_f32_f16_e32 v24, v24
	v_max_f32_e32 v23, v23, v23
	s_and_b64 vcc, exec, s[0:1]
	v_min_f32_e32 v23, v23, v24
	v_cvt_f16_f32_e32 v23, v23
	v_lshl_add_u64 v[24:25], v[42:43], 1, v[20:21]
	flat_store_short v[24:25], v23
	s_cbranch_vccnz .LBB213_108
; %bb.107:
	v_lshl_add_u64 v[16:17], v[44:45], 1, v[16:17]
	flat_load_ushort v16, v[16:17]
	s_waitcnt vmcnt(0) lgkmcnt(0)
	v_mul_f16_e32 v16, v58, v16
	v_cvt_f32_f16_e32 v22, v16
.LBB213_108:
	v_pk_add_f16 v16, v32, v18
	v_max_f16_e32 v17, v87, v87
	v_pk_add_f16 v19, v33, v19
	v_min_f16_e32 v17, v17, v16
	v_lshrrev_b32_e32 v18, 16, v87
	v_lshrrev_b32_e32 v16, 16, v16
	;; [unrolled: 1-line block ×3, first 2 shown]
	v_min3_f16 v16, v18, v16, v23
	v_min3_f16 v16, v17, v19, v16
	v_cvt_f32_f16_e32 v16, v16
	v_max_f32_e32 v17, v22, v22
	s_and_b64 vcc, exec, s[0:1]
	v_mov_b32_e32 v19, 0
	v_min_f32_e32 v16, v17, v16
	v_cvt_f16_f32_e32 v18, v16
	v_lshl_add_u64 v[16:17], v[44:45], 1, v[20:21]
	v_mov_b32_e32 v20, 0
	flat_store_short v[16:17], v18
	v_add_u32_e32 v18, 0x48, v52
	v_mad_i64_i32 v[16:17], s[4:5], v18, s6, 0
	v_lshl_add_u64 v[16:17], v[16:17], 1, s[10:11]
	s_cbranch_vccnz .LBB213_110
; %bb.109:
	v_lshl_add_u64 v[22:23], v[36:37], 1, v[16:17]
	flat_load_ushort v19, v[22:23]
	s_waitcnt vmcnt(0) lgkmcnt(0)
	v_mul_f16_e32 v19, v58, v19
	v_cvt_f32_f16_e32 v19, v19
.LBB213_110:
	v_pk_add_f16 v21, v38, v12
	v_max_f16_e32 v22, v86, v86
	v_pk_add_f16 v24, v39, v13
	v_min_f16_e32 v22, v22, v21
	v_lshrrev_b32_e32 v23, 16, v86
	v_lshrrev_b32_e32 v21, 16, v21
	;; [unrolled: 1-line block ×3, first 2 shown]
	v_min3_f16 v21, v23, v21, v25
	v_min3_f16 v21, v22, v24, v21
	v_cvt_f32_f16_e32 v21, v21
	v_mad_i64_i32 v[22:23], s[4:5], v18, s7, 0
	v_max_f32_e32 v18, v19, v19
	v_min_f32_e32 v18, v18, v21
	v_cvt_f16_f32_e32 v21, v18
	v_lshl_add_u64 v[18:19], v[22:23], 1, s[2:3]
	v_lshl_add_u64 v[22:23], v[36:37], 1, v[18:19]
	s_and_b64 vcc, exec, s[0:1]
	flat_store_short v[22:23], v21
	s_cbranch_vccnz .LBB213_112
; %bb.111:
	v_lshl_add_u64 v[20:21], v[40:41], 1, v[16:17]
	flat_load_ushort v20, v[20:21]
	s_waitcnt vmcnt(0) lgkmcnt(0)
	v_mul_f16_e32 v20, v58, v20
	v_cvt_f32_f16_e32 v20, v20
.LBB213_112:
	v_pk_add_f16 v21, v0, v12
	v_max_f16_e32 v22, v85, v85
	v_pk_add_f16 v24, v1, v13
	v_min_f16_e32 v22, v22, v21
	v_lshrrev_b32_e32 v23, 16, v85
	v_lshrrev_b32_e32 v21, 16, v21
	;; [unrolled: 1-line block ×3, first 2 shown]
	v_min3_f16 v21, v23, v21, v25
	v_min3_f16 v21, v22, v24, v21
	v_cvt_f32_f16_e32 v21, v21
	v_max_f32_e32 v20, v20, v20
	s_and_b64 vcc, exec, s[0:1]
	v_min_f32_e32 v20, v20, v21
	v_cvt_f16_f32_e32 v22, v20
	v_lshl_add_u64 v[20:21], v[40:41], 1, v[18:19]
	flat_store_short v[20:21], v22
	v_mov_b32_e32 v20, 0
	v_mov_b32_e32 v21, 0
	s_cbranch_vccnz .LBB213_114
; %bb.113:
	v_lshl_add_u64 v[22:23], v[42:43], 1, v[16:17]
	flat_load_ushort v21, v[22:23]
	s_waitcnt vmcnt(0) lgkmcnt(0)
	v_mul_f16_e32 v21, v58, v21
	v_cvt_f32_f16_e32 v21, v21
.LBB213_114:
	v_pk_add_f16 v22, v2, v12
	v_max_f16_e32 v23, v84, v84
	v_pk_add_f16 v25, v3, v13
	v_min_f16_e32 v23, v23, v22
	v_lshrrev_b32_e32 v24, 16, v84
	v_lshrrev_b32_e32 v22, 16, v22
	;; [unrolled: 1-line block ×3, first 2 shown]
	v_min3_f16 v22, v24, v22, v26
	v_min3_f16 v22, v23, v25, v22
	v_cvt_f32_f16_e32 v22, v22
	v_max_f32_e32 v21, v21, v21
	s_and_b64 vcc, exec, s[0:1]
	v_min_f32_e32 v21, v21, v22
	v_cvt_f16_f32_e32 v21, v21
	v_lshl_add_u64 v[22:23], v[42:43], 1, v[18:19]
	flat_store_short v[22:23], v21
	s_cbranch_vccnz .LBB213_116
; %bb.115:
	v_lshl_add_u64 v[16:17], v[44:45], 1, v[16:17]
	flat_load_ushort v16, v[16:17]
	s_waitcnt vmcnt(0) lgkmcnt(0)
	v_mul_f16_e32 v16, v58, v16
	v_cvt_f32_f16_e32 v20, v16
.LBB213_116:
	v_pk_add_f16 v12, v32, v12
	v_max_f16_e32 v16, v83, v83
	v_pk_add_f16 v13, v33, v13
	v_min_f16_e32 v16, v16, v12
	v_lshrrev_b32_e32 v17, 16, v83
	v_lshrrev_b32_e32 v12, 16, v12
	;; [unrolled: 1-line block ×3, first 2 shown]
	v_min3_f16 v12, v17, v12, v21
	v_min3_f16 v12, v16, v13, v12
	v_cvt_f32_f16_e32 v12, v12
	v_max_f32_e32 v13, v20, v20
	s_and_b64 vcc, exec, s[0:1]
	v_mov_b32_e32 v17, 0
	v_min_f32_e32 v12, v13, v12
	v_cvt_f16_f32_e32 v16, v12
	v_lshl_add_u64 v[12:13], v[44:45], 1, v[18:19]
	v_mov_b32_e32 v18, 0
	flat_store_short v[12:13], v16
	v_add_u32_e32 v16, 0x50, v52
	v_mad_i64_i32 v[12:13], s[4:5], v16, s6, 0
	v_lshl_add_u64 v[12:13], v[12:13], 1, s[10:11]
	s_cbranch_vccnz .LBB213_118
; %bb.117:
	v_lshl_add_u64 v[20:21], v[36:37], 1, v[12:13]
	flat_load_ushort v17, v[20:21]
	s_waitcnt vmcnt(0) lgkmcnt(0)
	v_mul_f16_e32 v17, v58, v17
	v_cvt_f32_f16_e32 v17, v17
.LBB213_118:
	v_pk_add_f16 v19, v38, v14
	v_max_f16_e32 v20, v82, v82
	v_pk_add_f16 v22, v39, v15
	v_min_f16_e32 v20, v20, v19
	v_lshrrev_b32_e32 v21, 16, v82
	v_lshrrev_b32_e32 v19, 16, v19
	;; [unrolled: 1-line block ×3, first 2 shown]
	v_min3_f16 v19, v21, v19, v23
	v_min3_f16 v19, v20, v22, v19
	v_cvt_f32_f16_e32 v19, v19
	v_mad_i64_i32 v[20:21], s[4:5], v16, s7, 0
	v_max_f32_e32 v16, v17, v17
	v_min_f32_e32 v16, v16, v19
	v_cvt_f16_f32_e32 v19, v16
	v_lshl_add_u64 v[16:17], v[20:21], 1, s[2:3]
	v_lshl_add_u64 v[20:21], v[36:37], 1, v[16:17]
	s_and_b64 vcc, exec, s[0:1]
	flat_store_short v[20:21], v19
	s_cbranch_vccnz .LBB213_120
; %bb.119:
	v_lshl_add_u64 v[18:19], v[40:41], 1, v[12:13]
	flat_load_ushort v18, v[18:19]
	s_waitcnt vmcnt(0) lgkmcnt(0)
	v_mul_f16_e32 v18, v58, v18
	v_cvt_f32_f16_e32 v18, v18
.LBB213_120:
	v_pk_add_f16 v19, v0, v14
	v_max_f16_e32 v20, v81, v81
	v_pk_add_f16 v22, v1, v15
	v_min_f16_e32 v20, v20, v19
	v_lshrrev_b32_e32 v21, 16, v81
	v_lshrrev_b32_e32 v19, 16, v19
	;; [unrolled: 1-line block ×3, first 2 shown]
	v_min3_f16 v19, v21, v19, v23
	v_min3_f16 v19, v20, v22, v19
	v_cvt_f32_f16_e32 v19, v19
	v_max_f32_e32 v18, v18, v18
	s_and_b64 vcc, exec, s[0:1]
	v_min_f32_e32 v18, v18, v19
	v_cvt_f16_f32_e32 v20, v18
	v_lshl_add_u64 v[18:19], v[40:41], 1, v[16:17]
	flat_store_short v[18:19], v20
	v_mov_b32_e32 v18, 0
	v_mov_b32_e32 v19, 0
	s_cbranch_vccnz .LBB213_122
; %bb.121:
	v_lshl_add_u64 v[20:21], v[42:43], 1, v[12:13]
	flat_load_ushort v19, v[20:21]
	s_waitcnt vmcnt(0) lgkmcnt(0)
	v_mul_f16_e32 v19, v58, v19
	v_cvt_f32_f16_e32 v19, v19
.LBB213_122:
	v_pk_add_f16 v20, v2, v14
	v_max_f16_e32 v21, v80, v80
	v_pk_add_f16 v23, v3, v15
	v_min_f16_e32 v21, v21, v20
	v_lshrrev_b32_e32 v22, 16, v80
	v_lshrrev_b32_e32 v20, 16, v20
	;; [unrolled: 1-line block ×3, first 2 shown]
	v_min3_f16 v20, v22, v20, v24
	v_min3_f16 v20, v21, v23, v20
	v_cvt_f32_f16_e32 v20, v20
	v_max_f32_e32 v19, v19, v19
	s_and_b64 vcc, exec, s[0:1]
	v_min_f32_e32 v19, v19, v20
	v_cvt_f16_f32_e32 v19, v19
	v_lshl_add_u64 v[20:21], v[42:43], 1, v[16:17]
	flat_store_short v[20:21], v19
	s_cbranch_vccnz .LBB213_124
; %bb.123:
	v_lshl_add_u64 v[12:13], v[44:45], 1, v[12:13]
	flat_load_ushort v12, v[12:13]
	s_waitcnt vmcnt(0) lgkmcnt(0)
	v_mul_f16_e32 v12, v58, v12
	v_cvt_f32_f16_e32 v18, v12
.LBB213_124:
	v_pk_add_f16 v12, v32, v14
	v_max_f16_e32 v13, v79, v79
	v_pk_add_f16 v15, v33, v15
	v_min_f16_e32 v13, v13, v12
	v_lshrrev_b32_e32 v14, 16, v79
	v_lshrrev_b32_e32 v12, 16, v12
	;; [unrolled: 1-line block ×3, first 2 shown]
	v_min3_f16 v12, v14, v12, v19
	v_min3_f16 v12, v13, v15, v12
	v_cvt_f32_f16_e32 v12, v12
	v_max_f32_e32 v13, v18, v18
	s_and_b64 vcc, exec, s[0:1]
	v_mov_b32_e32 v15, 0
	v_min_f32_e32 v12, v13, v12
	v_cvt_f16_f32_e32 v14, v12
	v_lshl_add_u64 v[12:13], v[44:45], 1, v[16:17]
	v_mov_b32_e32 v16, 0
	flat_store_short v[12:13], v14
	v_add_u32_e32 v14, 0x58, v52
	v_mad_i64_i32 v[12:13], s[4:5], v14, s6, 0
	v_lshl_add_u64 v[12:13], v[12:13], 1, s[10:11]
	s_cbranch_vccnz .LBB213_126
; %bb.125:
	v_lshl_add_u64 v[18:19], v[36:37], 1, v[12:13]
	flat_load_ushort v15, v[18:19]
	s_waitcnt vmcnt(0) lgkmcnt(0)
	v_mul_f16_e32 v15, v58, v15
	v_cvt_f32_f16_e32 v15, v15
.LBB213_126:
	v_pk_add_f16 v17, v38, v8
	v_max_f16_e32 v18, v78, v78
	v_pk_add_f16 v20, v39, v9
	v_min_f16_e32 v18, v18, v17
	v_lshrrev_b32_e32 v19, 16, v78
	v_lshrrev_b32_e32 v17, 16, v17
	;; [unrolled: 1-line block ×3, first 2 shown]
	v_min3_f16 v17, v19, v17, v21
	v_min3_f16 v17, v18, v20, v17
	v_cvt_f32_f16_e32 v17, v17
	v_mad_i64_i32 v[18:19], s[4:5], v14, s7, 0
	v_max_f32_e32 v14, v15, v15
	v_min_f32_e32 v14, v14, v17
	v_cvt_f16_f32_e32 v17, v14
	v_lshl_add_u64 v[14:15], v[18:19], 1, s[2:3]
	v_lshl_add_u64 v[18:19], v[36:37], 1, v[14:15]
	s_and_b64 vcc, exec, s[0:1]
	flat_store_short v[18:19], v17
	s_cbranch_vccnz .LBB213_128
; %bb.127:
	v_lshl_add_u64 v[16:17], v[40:41], 1, v[12:13]
	flat_load_ushort v16, v[16:17]
	s_waitcnt vmcnt(0) lgkmcnt(0)
	v_mul_f16_e32 v16, v58, v16
	v_cvt_f32_f16_e32 v16, v16
.LBB213_128:
	v_pk_add_f16 v17, v0, v8
	v_max_f16_e32 v18, v77, v77
	v_pk_add_f16 v20, v1, v9
	v_min_f16_e32 v18, v18, v17
	v_lshrrev_b32_e32 v19, 16, v77
	v_lshrrev_b32_e32 v17, 16, v17
	;; [unrolled: 1-line block ×3, first 2 shown]
	v_min3_f16 v17, v19, v17, v21
	v_min3_f16 v17, v18, v20, v17
	v_cvt_f32_f16_e32 v17, v17
	v_max_f32_e32 v16, v16, v16
	s_and_b64 vcc, exec, s[0:1]
	v_min_f32_e32 v16, v16, v17
	v_cvt_f16_f32_e32 v18, v16
	v_lshl_add_u64 v[16:17], v[40:41], 1, v[14:15]
	flat_store_short v[16:17], v18
	v_mov_b32_e32 v16, 0
	v_mov_b32_e32 v17, 0
	s_cbranch_vccnz .LBB213_130
; %bb.129:
	v_lshl_add_u64 v[18:19], v[42:43], 1, v[12:13]
	flat_load_ushort v17, v[18:19]
	s_waitcnt vmcnt(0) lgkmcnt(0)
	v_mul_f16_e32 v17, v58, v17
	v_cvt_f32_f16_e32 v17, v17
.LBB213_130:
	v_pk_add_f16 v18, v2, v8
	v_max_f16_e32 v19, v76, v76
	v_pk_add_f16 v21, v3, v9
	v_min_f16_e32 v19, v19, v18
	v_lshrrev_b32_e32 v20, 16, v76
	v_lshrrev_b32_e32 v18, 16, v18
	;; [unrolled: 1-line block ×3, first 2 shown]
	v_min3_f16 v18, v20, v18, v22
	v_min3_f16 v18, v19, v21, v18
	v_cvt_f32_f16_e32 v18, v18
	v_max_f32_e32 v17, v17, v17
	s_and_b64 vcc, exec, s[0:1]
	v_min_f32_e32 v17, v17, v18
	v_cvt_f16_f32_e32 v17, v17
	v_lshl_add_u64 v[18:19], v[42:43], 1, v[14:15]
	flat_store_short v[18:19], v17
	s_cbranch_vccnz .LBB213_132
; %bb.131:
	v_lshl_add_u64 v[12:13], v[44:45], 1, v[12:13]
	flat_load_ushort v12, v[12:13]
	s_waitcnt vmcnt(0) lgkmcnt(0)
	v_mul_f16_e32 v12, v58, v12
	v_cvt_f32_f16_e32 v16, v12
.LBB213_132:
	v_pk_add_f16 v8, v32, v8
	v_max_f16_e32 v12, v75, v75
	v_pk_add_f16 v9, v33, v9
	v_min_f16_e32 v12, v12, v8
	v_lshrrev_b32_e32 v13, 16, v75
	v_lshrrev_b32_e32 v8, 16, v8
	;; [unrolled: 1-line block ×3, first 2 shown]
	v_min3_f16 v8, v13, v8, v17
	v_min3_f16 v8, v12, v9, v8
	v_cvt_f32_f16_e32 v8, v8
	v_max_f32_e32 v9, v16, v16
	s_and_b64 vcc, exec, s[0:1]
	v_mov_b32_e32 v13, 0
	v_min_f32_e32 v8, v9, v8
	v_cvt_f16_f32_e32 v12, v8
	v_lshl_add_u64 v[8:9], v[44:45], 1, v[14:15]
	v_mov_b32_e32 v14, 0
	flat_store_short v[8:9], v12
	v_add_u32_e32 v12, 0x60, v52
	v_mad_i64_i32 v[8:9], s[4:5], v12, s6, 0
	v_lshl_add_u64 v[8:9], v[8:9], 1, s[10:11]
	s_cbranch_vccnz .LBB213_134
; %bb.133:
	v_lshl_add_u64 v[16:17], v[36:37], 1, v[8:9]
	flat_load_ushort v13, v[16:17]
	s_waitcnt vmcnt(0) lgkmcnt(0)
	v_mul_f16_e32 v13, v58, v13
	v_cvt_f32_f16_e32 v13, v13
.LBB213_134:
	v_pk_add_f16 v15, v38, v10
	v_max_f16_e32 v16, v74, v74
	v_pk_add_f16 v18, v39, v11
	v_min_f16_e32 v16, v16, v15
	v_lshrrev_b32_e32 v17, 16, v74
	v_lshrrev_b32_e32 v15, 16, v15
	;; [unrolled: 1-line block ×3, first 2 shown]
	v_min3_f16 v15, v17, v15, v19
	v_min3_f16 v15, v16, v18, v15
	v_cvt_f32_f16_e32 v15, v15
	v_mad_i64_i32 v[16:17], s[4:5], v12, s7, 0
	v_max_f32_e32 v12, v13, v13
	v_min_f32_e32 v12, v12, v15
	v_cvt_f16_f32_e32 v15, v12
	v_lshl_add_u64 v[12:13], v[16:17], 1, s[2:3]
	v_lshl_add_u64 v[16:17], v[36:37], 1, v[12:13]
	s_and_b64 vcc, exec, s[0:1]
	flat_store_short v[16:17], v15
	s_cbranch_vccnz .LBB213_136
; %bb.135:
	v_lshl_add_u64 v[14:15], v[40:41], 1, v[8:9]
	flat_load_ushort v14, v[14:15]
	s_waitcnt vmcnt(0) lgkmcnt(0)
	v_mul_f16_e32 v14, v58, v14
	v_cvt_f32_f16_e32 v14, v14
.LBB213_136:
	v_pk_add_f16 v15, v0, v10
	v_max_f16_e32 v16, v73, v73
	v_pk_add_f16 v18, v1, v11
	v_min_f16_e32 v16, v16, v15
	v_lshrrev_b32_e32 v17, 16, v73
	v_lshrrev_b32_e32 v15, 16, v15
	;; [unrolled: 1-line block ×3, first 2 shown]
	v_min3_f16 v15, v17, v15, v19
	v_min3_f16 v15, v16, v18, v15
	v_cvt_f32_f16_e32 v15, v15
	v_max_f32_e32 v14, v14, v14
	s_and_b64 vcc, exec, s[0:1]
	v_min_f32_e32 v14, v14, v15
	v_cvt_f16_f32_e32 v16, v14
	v_lshl_add_u64 v[14:15], v[40:41], 1, v[12:13]
	flat_store_short v[14:15], v16
	v_mov_b32_e32 v14, 0
	v_mov_b32_e32 v15, 0
	s_cbranch_vccnz .LBB213_138
; %bb.137:
	v_lshl_add_u64 v[16:17], v[42:43], 1, v[8:9]
	flat_load_ushort v15, v[16:17]
	s_waitcnt vmcnt(0) lgkmcnt(0)
	v_mul_f16_e32 v15, v58, v15
	v_cvt_f32_f16_e32 v15, v15
.LBB213_138:
	v_pk_add_f16 v16, v2, v10
	v_max_f16_e32 v17, v72, v72
	v_pk_add_f16 v19, v3, v11
	v_min_f16_e32 v17, v17, v16
	v_lshrrev_b32_e32 v18, 16, v72
	v_lshrrev_b32_e32 v16, 16, v16
	;; [unrolled: 1-line block ×3, first 2 shown]
	v_min3_f16 v16, v18, v16, v20
	v_min3_f16 v16, v17, v19, v16
	v_cvt_f32_f16_e32 v16, v16
	v_max_f32_e32 v15, v15, v15
	s_and_b64 vcc, exec, s[0:1]
	v_min_f32_e32 v15, v15, v16
	v_cvt_f16_f32_e32 v15, v15
	v_lshl_add_u64 v[16:17], v[42:43], 1, v[12:13]
	flat_store_short v[16:17], v15
	s_cbranch_vccnz .LBB213_140
; %bb.139:
	v_lshl_add_u64 v[8:9], v[44:45], 1, v[8:9]
	flat_load_ushort v8, v[8:9]
	s_waitcnt vmcnt(0) lgkmcnt(0)
	v_mul_f16_e32 v8, v58, v8
	v_cvt_f32_f16_e32 v14, v8
.LBB213_140:
	v_pk_add_f16 v8, v32, v10
	v_max_f16_e32 v9, v71, v71
	v_pk_add_f16 v11, v33, v11
	v_min_f16_e32 v9, v9, v8
	v_lshrrev_b32_e32 v10, 16, v71
	v_lshrrev_b32_e32 v8, 16, v8
	v_lshrrev_b32_e32 v15, 16, v11
	v_min3_f16 v8, v10, v8, v15
	v_min3_f16 v8, v9, v11, v8
	v_cvt_f32_f16_e32 v8, v8
	v_max_f32_e32 v9, v14, v14
	s_and_b64 vcc, exec, s[0:1]
	v_mov_b32_e32 v11, 0
	v_min_f32_e32 v8, v9, v8
	v_cvt_f16_f32_e32 v10, v8
	v_lshl_add_u64 v[8:9], v[44:45], 1, v[12:13]
	v_mov_b32_e32 v12, 0
	flat_store_short v[8:9], v10
	v_add_u32_e32 v10, 0x68, v52
	v_mad_i64_i32 v[8:9], s[4:5], v10, s6, 0
	v_lshl_add_u64 v[8:9], v[8:9], 1, s[10:11]
	s_cbranch_vccnz .LBB213_142
; %bb.141:
	v_lshl_add_u64 v[14:15], v[36:37], 1, v[8:9]
	flat_load_ushort v11, v[14:15]
	s_waitcnt vmcnt(0) lgkmcnt(0)
	v_mul_f16_e32 v11, v58, v11
	v_cvt_f32_f16_e32 v11, v11
.LBB213_142:
	v_pk_add_f16 v13, v38, v4
	v_max_f16_e32 v14, v70, v70
	v_pk_add_f16 v16, v39, v5
	v_min_f16_e32 v14, v14, v13
	v_lshrrev_b32_e32 v15, 16, v70
	v_lshrrev_b32_e32 v13, 16, v13
	;; [unrolled: 1-line block ×3, first 2 shown]
	v_min3_f16 v13, v15, v13, v17
	v_min3_f16 v13, v14, v16, v13
	v_cvt_f32_f16_e32 v13, v13
	v_mad_i64_i32 v[14:15], s[4:5], v10, s7, 0
	v_max_f32_e32 v10, v11, v11
	v_min_f32_e32 v10, v10, v13
	v_cvt_f16_f32_e32 v13, v10
	v_lshl_add_u64 v[10:11], v[14:15], 1, s[2:3]
	v_lshl_add_u64 v[14:15], v[36:37], 1, v[10:11]
	s_and_b64 vcc, exec, s[0:1]
	flat_store_short v[14:15], v13
	s_cbranch_vccnz .LBB213_144
; %bb.143:
	v_lshl_add_u64 v[12:13], v[40:41], 1, v[8:9]
	flat_load_ushort v12, v[12:13]
	s_waitcnt vmcnt(0) lgkmcnt(0)
	v_mul_f16_e32 v12, v58, v12
	v_cvt_f32_f16_e32 v12, v12
.LBB213_144:
	v_pk_add_f16 v13, v0, v4
	v_max_f16_e32 v14, v69, v69
	v_pk_add_f16 v16, v1, v5
	v_min_f16_e32 v14, v14, v13
	v_lshrrev_b32_e32 v15, 16, v69
	v_lshrrev_b32_e32 v13, 16, v13
	;; [unrolled: 1-line block ×3, first 2 shown]
	v_min3_f16 v13, v15, v13, v17
	v_min3_f16 v13, v14, v16, v13
	v_cvt_f32_f16_e32 v13, v13
	v_max_f32_e32 v12, v12, v12
	s_and_b64 vcc, exec, s[0:1]
	v_min_f32_e32 v12, v12, v13
	v_cvt_f16_f32_e32 v14, v12
	v_lshl_add_u64 v[12:13], v[40:41], 1, v[10:11]
	flat_store_short v[12:13], v14
	v_mov_b32_e32 v12, 0
	v_mov_b32_e32 v13, 0
	s_cbranch_vccnz .LBB213_146
; %bb.145:
	v_lshl_add_u64 v[14:15], v[42:43], 1, v[8:9]
	flat_load_ushort v13, v[14:15]
	s_waitcnt vmcnt(0) lgkmcnt(0)
	v_mul_f16_e32 v13, v58, v13
	v_cvt_f32_f16_e32 v13, v13
.LBB213_146:
	v_pk_add_f16 v14, v2, v4
	v_max_f16_e32 v15, v68, v68
	v_pk_add_f16 v17, v3, v5
	v_min_f16_e32 v15, v15, v14
	v_lshrrev_b32_e32 v16, 16, v68
	v_lshrrev_b32_e32 v14, 16, v14
	;; [unrolled: 1-line block ×3, first 2 shown]
	v_min3_f16 v14, v16, v14, v18
	v_min3_f16 v14, v15, v17, v14
	v_cvt_f32_f16_e32 v14, v14
	v_max_f32_e32 v13, v13, v13
	s_and_b64 vcc, exec, s[0:1]
	v_min_f32_e32 v13, v13, v14
	v_cvt_f16_f32_e32 v13, v13
	v_lshl_add_u64 v[14:15], v[42:43], 1, v[10:11]
	flat_store_short v[14:15], v13
	s_cbranch_vccnz .LBB213_148
; %bb.147:
	v_lshl_add_u64 v[8:9], v[44:45], 1, v[8:9]
	flat_load_ushort v8, v[8:9]
	s_waitcnt vmcnt(0) lgkmcnt(0)
	v_mul_f16_e32 v8, v58, v8
	v_cvt_f32_f16_e32 v12, v8
.LBB213_148:
	v_pk_add_f16 v4, v32, v4
	v_max_f16_e32 v8, v67, v67
	v_pk_add_f16 v5, v33, v5
	v_min_f16_e32 v8, v8, v4
	v_lshrrev_b32_e32 v9, 16, v67
	v_lshrrev_b32_e32 v4, 16, v4
	;; [unrolled: 1-line block ×3, first 2 shown]
	v_min3_f16 v4, v9, v4, v13
	v_min3_f16 v4, v8, v5, v4
	v_cvt_f32_f16_e32 v4, v4
	v_max_f32_e32 v5, v12, v12
	s_and_b64 vcc, exec, s[0:1]
	v_mov_b32_e32 v9, 0
	v_min_f32_e32 v4, v5, v4
	v_cvt_f16_f32_e32 v8, v4
	v_lshl_add_u64 v[4:5], v[44:45], 1, v[10:11]
	v_mov_b32_e32 v10, 0
	flat_store_short v[4:5], v8
	v_add_u32_e32 v8, 0x70, v52
	v_mad_i64_i32 v[4:5], s[4:5], v8, s6, 0
	v_lshl_add_u64 v[4:5], v[4:5], 1, s[10:11]
	s_cbranch_vccnz .LBB213_150
; %bb.149:
	v_lshl_add_u64 v[12:13], v[36:37], 1, v[4:5]
	flat_load_ushort v9, v[12:13]
	s_waitcnt vmcnt(0) lgkmcnt(0)
	v_mul_f16_e32 v9, v58, v9
	v_cvt_f32_f16_e32 v9, v9
.LBB213_150:
	v_pk_add_f16 v11, v38, v6
	v_max_f16_e32 v12, v66, v66
	v_pk_add_f16 v14, v39, v7
	v_min_f16_e32 v12, v12, v11
	v_lshrrev_b32_e32 v13, 16, v66
	v_lshrrev_b32_e32 v11, 16, v11
	;; [unrolled: 1-line block ×3, first 2 shown]
	v_min3_f16 v11, v13, v11, v15
	v_min3_f16 v11, v12, v14, v11
	v_cvt_f32_f16_e32 v11, v11
	v_mad_i64_i32 v[12:13], s[4:5], v8, s7, 0
	v_max_f32_e32 v8, v9, v9
	v_min_f32_e32 v8, v8, v11
	v_cvt_f16_f32_e32 v11, v8
	v_lshl_add_u64 v[8:9], v[12:13], 1, s[2:3]
	v_lshl_add_u64 v[12:13], v[36:37], 1, v[8:9]
	s_and_b64 vcc, exec, s[0:1]
	flat_store_short v[12:13], v11
	s_cbranch_vccnz .LBB213_152
; %bb.151:
	v_lshl_add_u64 v[10:11], v[40:41], 1, v[4:5]
	flat_load_ushort v10, v[10:11]
	s_waitcnt vmcnt(0) lgkmcnt(0)
	v_mul_f16_e32 v10, v58, v10
	v_cvt_f32_f16_e32 v10, v10
.LBB213_152:
	v_pk_add_f16 v11, v0, v6
	v_max_f16_e32 v12, v65, v65
	v_pk_add_f16 v14, v1, v7
	v_min_f16_e32 v12, v12, v11
	v_lshrrev_b32_e32 v13, 16, v65
	v_lshrrev_b32_e32 v11, 16, v11
	;; [unrolled: 1-line block ×3, first 2 shown]
	v_min3_f16 v11, v13, v11, v15
	v_min3_f16 v11, v12, v14, v11
	v_cvt_f32_f16_e32 v11, v11
	v_max_f32_e32 v10, v10, v10
	s_and_b64 vcc, exec, s[0:1]
	v_min_f32_e32 v10, v10, v11
	v_cvt_f16_f32_e32 v12, v10
	v_lshl_add_u64 v[10:11], v[40:41], 1, v[8:9]
	flat_store_short v[10:11], v12
	v_mov_b32_e32 v10, 0
	v_mov_b32_e32 v11, 0
	s_cbranch_vccnz .LBB213_154
; %bb.153:
	v_lshl_add_u64 v[12:13], v[42:43], 1, v[4:5]
	flat_load_ushort v11, v[12:13]
	s_waitcnt vmcnt(0) lgkmcnt(0)
	v_mul_f16_e32 v11, v58, v11
	v_cvt_f32_f16_e32 v11, v11
.LBB213_154:
	v_pk_add_f16 v12, v2, v6
	v_max_f16_e32 v13, v64, v64
	v_pk_add_f16 v15, v3, v7
	v_min_f16_e32 v13, v13, v12
	v_lshrrev_b32_e32 v14, 16, v64
	v_lshrrev_b32_e32 v12, 16, v12
	;; [unrolled: 1-line block ×3, first 2 shown]
	v_min3_f16 v12, v14, v12, v16
	v_min3_f16 v12, v13, v15, v12
	v_cvt_f32_f16_e32 v12, v12
	v_max_f32_e32 v11, v11, v11
	s_and_b64 vcc, exec, s[0:1]
	v_min_f32_e32 v11, v11, v12
	v_cvt_f16_f32_e32 v11, v11
	v_lshl_add_u64 v[12:13], v[42:43], 1, v[8:9]
	flat_store_short v[12:13], v11
	s_cbranch_vccnz .LBB213_156
; %bb.155:
	v_lshl_add_u64 v[4:5], v[44:45], 1, v[4:5]
	flat_load_ushort v4, v[4:5]
	s_waitcnt vmcnt(0) lgkmcnt(0)
	v_mul_f16_e32 v4, v58, v4
	v_cvt_f32_f16_e32 v10, v4
.LBB213_156:
	v_pk_add_f16 v4, v32, v6
	v_max_f16_e32 v5, v62, v62
	v_pk_add_f16 v7, v33, v7
	v_min_f16_e32 v5, v5, v4
	v_lshrrev_b32_e32 v6, 16, v62
	v_lshrrev_b32_e32 v4, 16, v4
	;; [unrolled: 1-line block ×3, first 2 shown]
	v_min3_f16 v4, v6, v4, v11
	v_min3_f16 v4, v5, v7, v4
	v_cvt_f32_f16_e32 v4, v4
	v_max_f32_e32 v5, v10, v10
	s_and_b64 vcc, exec, s[0:1]
	v_mov_b32_e32 v7, 0
	v_min_f32_e32 v4, v5, v4
	v_cvt_f16_f32_e32 v6, v4
	v_lshl_add_u64 v[4:5], v[44:45], 1, v[8:9]
	v_mov_b32_e32 v8, 0
	flat_store_short v[4:5], v6
	v_add_u32_e32 v6, 0x78, v52
	v_mad_i64_i32 v[4:5], s[4:5], v6, s6, 0
	v_lshl_add_u64 v[4:5], v[4:5], 1, s[10:11]
	s_cbranch_vccnz .LBB213_158
; %bb.157:
	v_lshl_add_u64 v[10:11], v[36:37], 1, v[4:5]
	flat_load_ushort v7, v[10:11]
	s_waitcnt vmcnt(0) lgkmcnt(0)
	v_mul_f16_e32 v7, v58, v7
	v_cvt_f32_f16_e32 v7, v7
.LBB213_158:
	v_pk_add_f16 v9, v38, v34
	v_max_f16_e32 v10, v61, v61
	v_pk_add_f16 v12, v39, v35
	v_min_f16_e32 v10, v10, v9
	v_lshrrev_b32_e32 v11, 16, v61
	v_lshrrev_b32_e32 v9, 16, v9
	;; [unrolled: 1-line block ×3, first 2 shown]
	v_min3_f16 v9, v11, v9, v13
	v_min3_f16 v9, v10, v12, v9
	v_cvt_f32_f16_e32 v9, v9
	v_mad_i64_i32 v[10:11], s[4:5], v6, s7, 0
	v_max_f32_e32 v6, v7, v7
	v_min_f32_e32 v6, v6, v9
	v_cvt_f16_f32_e32 v9, v6
	v_lshl_add_u64 v[6:7], v[10:11], 1, s[2:3]
	v_lshl_add_u64 v[10:11], v[36:37], 1, v[6:7]
	s_and_b64 vcc, exec, s[0:1]
	flat_store_short v[10:11], v9
	s_cbranch_vccnz .LBB213_160
; %bb.159:
	v_lshl_add_u64 v[8:9], v[40:41], 1, v[4:5]
	flat_load_ushort v8, v[8:9]
	s_waitcnt vmcnt(0) lgkmcnt(0)
	v_mul_f16_e32 v8, v58, v8
	v_cvt_f32_f16_e32 v8, v8
.LBB213_160:
	v_pk_add_f16 v0, v0, v34
	v_max_f16_e32 v9, v59, v59
	v_pk_add_f16 v1, v1, v35
	v_min_f16_e32 v9, v9, v0
	v_lshrrev_b32_e32 v10, 16, v59
	v_lshrrev_b32_e32 v0, 16, v0
	;; [unrolled: 1-line block ×3, first 2 shown]
	v_min3_f16 v0, v10, v0, v11
	v_min3_f16 v0, v9, v1, v0
	v_cvt_f32_f16_e32 v0, v0
	v_max_f32_e32 v8, v8, v8
	v_pk_add_f16 v1, v2, v34
	v_max_f16_e32 v2, v60, v60
	v_min_f32_e32 v0, v8, v0
	v_cvt_f16_f32_e32 v8, v0
	v_pk_add_f16 v3, v3, v35
	v_min_f16_e32 v2, v2, v1
	v_lshrrev_b32_e32 v9, 16, v60
	v_lshrrev_b32_e32 v1, 16, v1
	;; [unrolled: 1-line block ×3, first 2 shown]
	v_min3_f16 v9, v9, v1, v0
	v_lshl_add_u64 v[0:1], v[40:41], 1, v[6:7]
	flat_store_short v[0:1], v8
	v_min3_f16 v0, v2, v3, v9
	s_mov_b64 s[0:1], -1
	s_mov_b64 vcc, s[8:9]
	s_cbranch_vccz .LBB213_162
; %bb.161:
	v_cvt_f32_f16_e32 v1, v0
	v_lshl_add_u64 v[2:3], v[42:43], 1, v[6:7]
	s_mov_b64 s[0:1], 0
	v_min_f32_e32 v1, 0, v1
	v_cvt_f16_f32_e32 v1, v1
	flat_store_short v[2:3], v1
.LBB213_162:
	s_andn2_b64 vcc, exec, s[0:1]
	v_mov_b32_e32 v1, 0
	s_cbranch_vccnz .LBB213_164
; %bb.163:
	v_lshlrev_b64 v[2:3], 1, v[42:43]
	v_lshl_add_u64 v[8:9], v[4:5], 0, v[2:3]
	flat_load_ushort v8, v[8:9]
	v_max_f16_e32 v9, v0, v0
	v_lshl_add_u64 v[0:1], v[6:7], 0, v[2:3]
	s_waitcnt vmcnt(0) lgkmcnt(0)
	v_mul_f16_e32 v2, v58, v8
	v_min_f16_e32 v2, v2, v9
	flat_store_short v[0:1], v2
	v_lshl_add_u64 v[0:1], v[44:45], 1, v[4:5]
	flat_load_ushort v0, v[0:1]
	s_waitcnt vmcnt(0) lgkmcnt(0)
	v_mul_f16_e32 v0, v58, v0
	v_cvt_f32_f16_e32 v1, v0
.LBB213_164:
	v_pk_add_f16 v0, v32, v34
	v_max_f16_e32 v2, v63, v63
	v_pk_add_f16 v3, v33, v35
	v_min_f16_e32 v2, v2, v0
	v_lshrrev_b32_e32 v4, 16, v63
	v_lshrrev_b32_e32 v0, 16, v0
	;; [unrolled: 1-line block ×3, first 2 shown]
	v_min3_f16 v0, v4, v0, v5
	v_min3_f16 v0, v2, v3, v0
	v_cvt_f32_f16_e32 v0, v0
	v_max_f32_e32 v1, v1, v1
	v_min_f32_e32 v0, v1, v0
	v_cvt_f16_f32_e32 v2, v0
	v_lshl_add_u64 v[0:1], v[44:45], 1, v[6:7]
	flat_store_short v[0:1], v2
	s_endpgm
	.section	.rodata,"a",@progbits
	.p2align	6, 0x0
	.amdhsa_kernel _ZN12_GLOBAL__N_120geam_min_plus_kernelIDF16_Dv2_DF16_S1_Li32ELi8ELi128ELi128ELi4ELi4ELi64ELi4ELi64ELc84ELc78ELb0ELb0ELb1EPKDF16_KS3_KPDF16_EEviiiT16_PT17_ilS9_ilS7_S9_ilPT18_ili26rocblas_geam_ex_operation_
		.amdhsa_group_segment_fixed_size 4096
		.amdhsa_private_segment_fixed_size 0
		.amdhsa_kernarg_size 136
		.amdhsa_user_sgpr_count 2
		.amdhsa_user_sgpr_dispatch_ptr 0
		.amdhsa_user_sgpr_queue_ptr 0
		.amdhsa_user_sgpr_kernarg_segment_ptr 1
		.amdhsa_user_sgpr_dispatch_id 0
		.amdhsa_user_sgpr_kernarg_preload_length 0
		.amdhsa_user_sgpr_kernarg_preload_offset 0
		.amdhsa_user_sgpr_private_segment_size 0
		.amdhsa_uses_dynamic_stack 0
		.amdhsa_enable_private_segment 0
		.amdhsa_system_sgpr_workgroup_id_x 1
		.amdhsa_system_sgpr_workgroup_id_y 0
		.amdhsa_system_sgpr_workgroup_id_z 1
		.amdhsa_system_sgpr_workgroup_info 0
		.amdhsa_system_vgpr_workitem_id 1
		.amdhsa_next_free_vgpr 173
		.amdhsa_next_free_sgpr 26
		.amdhsa_accum_offset 176
		.amdhsa_reserve_vcc 1
		.amdhsa_float_round_mode_32 0
		.amdhsa_float_round_mode_16_64 0
		.amdhsa_float_denorm_mode_32 3
		.amdhsa_float_denorm_mode_16_64 3
		.amdhsa_dx10_clamp 1
		.amdhsa_ieee_mode 1
		.amdhsa_fp16_overflow 0
		.amdhsa_tg_split 0
		.amdhsa_exception_fp_ieee_invalid_op 0
		.amdhsa_exception_fp_denorm_src 0
		.amdhsa_exception_fp_ieee_div_zero 0
		.amdhsa_exception_fp_ieee_overflow 0
		.amdhsa_exception_fp_ieee_underflow 0
		.amdhsa_exception_fp_ieee_inexact 0
		.amdhsa_exception_int_div_zero 0
	.end_amdhsa_kernel
	.section	.text._ZN12_GLOBAL__N_120geam_min_plus_kernelIDF16_Dv2_DF16_S1_Li32ELi8ELi128ELi128ELi4ELi4ELi64ELi4ELi64ELc84ELc78ELb0ELb0ELb1EPKDF16_KS3_KPDF16_EEviiiT16_PT17_ilS9_ilS7_S9_ilPT18_ili26rocblas_geam_ex_operation_,"axG",@progbits,_ZN12_GLOBAL__N_120geam_min_plus_kernelIDF16_Dv2_DF16_S1_Li32ELi8ELi128ELi128ELi4ELi4ELi64ELi4ELi64ELc84ELc78ELb0ELb0ELb1EPKDF16_KS3_KPDF16_EEviiiT16_PT17_ilS9_ilS7_S9_ilPT18_ili26rocblas_geam_ex_operation_,comdat
.Lfunc_end213:
	.size	_ZN12_GLOBAL__N_120geam_min_plus_kernelIDF16_Dv2_DF16_S1_Li32ELi8ELi128ELi128ELi4ELi4ELi64ELi4ELi64ELc84ELc78ELb0ELb0ELb1EPKDF16_KS3_KPDF16_EEviiiT16_PT17_ilS9_ilS7_S9_ilPT18_ili26rocblas_geam_ex_operation_, .Lfunc_end213-_ZN12_GLOBAL__N_120geam_min_plus_kernelIDF16_Dv2_DF16_S1_Li32ELi8ELi128ELi128ELi4ELi4ELi64ELi4ELi64ELc84ELc78ELb0ELb0ELb1EPKDF16_KS3_KPDF16_EEviiiT16_PT17_ilS9_ilS7_S9_ilPT18_ili26rocblas_geam_ex_operation_
                                        ; -- End function
	.set _ZN12_GLOBAL__N_120geam_min_plus_kernelIDF16_Dv2_DF16_S1_Li32ELi8ELi128ELi128ELi4ELi4ELi64ELi4ELi64ELc84ELc78ELb0ELb0ELb1EPKDF16_KS3_KPDF16_EEviiiT16_PT17_ilS9_ilS7_S9_ilPT18_ili26rocblas_geam_ex_operation_.num_vgpr, 173
	.set _ZN12_GLOBAL__N_120geam_min_plus_kernelIDF16_Dv2_DF16_S1_Li32ELi8ELi128ELi128ELi4ELi4ELi64ELi4ELi64ELc84ELc78ELb0ELb0ELb1EPKDF16_KS3_KPDF16_EEviiiT16_PT17_ilS9_ilS7_S9_ilPT18_ili26rocblas_geam_ex_operation_.num_agpr, 0
	.set _ZN12_GLOBAL__N_120geam_min_plus_kernelIDF16_Dv2_DF16_S1_Li32ELi8ELi128ELi128ELi4ELi4ELi64ELi4ELi64ELc84ELc78ELb0ELb0ELb1EPKDF16_KS3_KPDF16_EEviiiT16_PT17_ilS9_ilS7_S9_ilPT18_ili26rocblas_geam_ex_operation_.numbered_sgpr, 26
	.set _ZN12_GLOBAL__N_120geam_min_plus_kernelIDF16_Dv2_DF16_S1_Li32ELi8ELi128ELi128ELi4ELi4ELi64ELi4ELi64ELc84ELc78ELb0ELb0ELb1EPKDF16_KS3_KPDF16_EEviiiT16_PT17_ilS9_ilS7_S9_ilPT18_ili26rocblas_geam_ex_operation_.num_named_barrier, 0
	.set _ZN12_GLOBAL__N_120geam_min_plus_kernelIDF16_Dv2_DF16_S1_Li32ELi8ELi128ELi128ELi4ELi4ELi64ELi4ELi64ELc84ELc78ELb0ELb0ELb1EPKDF16_KS3_KPDF16_EEviiiT16_PT17_ilS9_ilS7_S9_ilPT18_ili26rocblas_geam_ex_operation_.private_seg_size, 0
	.set _ZN12_GLOBAL__N_120geam_min_plus_kernelIDF16_Dv2_DF16_S1_Li32ELi8ELi128ELi128ELi4ELi4ELi64ELi4ELi64ELc84ELc78ELb0ELb0ELb1EPKDF16_KS3_KPDF16_EEviiiT16_PT17_ilS9_ilS7_S9_ilPT18_ili26rocblas_geam_ex_operation_.uses_vcc, 1
	.set _ZN12_GLOBAL__N_120geam_min_plus_kernelIDF16_Dv2_DF16_S1_Li32ELi8ELi128ELi128ELi4ELi4ELi64ELi4ELi64ELc84ELc78ELb0ELb0ELb1EPKDF16_KS3_KPDF16_EEviiiT16_PT17_ilS9_ilS7_S9_ilPT18_ili26rocblas_geam_ex_operation_.uses_flat_scratch, 0
	.set _ZN12_GLOBAL__N_120geam_min_plus_kernelIDF16_Dv2_DF16_S1_Li32ELi8ELi128ELi128ELi4ELi4ELi64ELi4ELi64ELc84ELc78ELb0ELb0ELb1EPKDF16_KS3_KPDF16_EEviiiT16_PT17_ilS9_ilS7_S9_ilPT18_ili26rocblas_geam_ex_operation_.has_dyn_sized_stack, 0
	.set _ZN12_GLOBAL__N_120geam_min_plus_kernelIDF16_Dv2_DF16_S1_Li32ELi8ELi128ELi128ELi4ELi4ELi64ELi4ELi64ELc84ELc78ELb0ELb0ELb1EPKDF16_KS3_KPDF16_EEviiiT16_PT17_ilS9_ilS7_S9_ilPT18_ili26rocblas_geam_ex_operation_.has_recursion, 0
	.set _ZN12_GLOBAL__N_120geam_min_plus_kernelIDF16_Dv2_DF16_S1_Li32ELi8ELi128ELi128ELi4ELi4ELi64ELi4ELi64ELc84ELc78ELb0ELb0ELb1EPKDF16_KS3_KPDF16_EEviiiT16_PT17_ilS9_ilS7_S9_ilPT18_ili26rocblas_geam_ex_operation_.has_indirect_call, 0
	.section	.AMDGPU.csdata,"",@progbits
; Kernel info:
; codeLenInByte = 18440
; TotalNumSgprs: 32
; NumVgprs: 173
; NumAgprs: 0
; TotalNumVgprs: 173
; ScratchSize: 0
; MemoryBound: 0
; FloatMode: 240
; IeeeMode: 1
; LDSByteSize: 4096 bytes/workgroup (compile time only)
; SGPRBlocks: 3
; VGPRBlocks: 21
; NumSGPRsForWavesPerEU: 32
; NumVGPRsForWavesPerEU: 173
; AccumOffset: 176
; Occupancy: 2
; WaveLimiterHint : 1
; COMPUTE_PGM_RSRC2:SCRATCH_EN: 0
; COMPUTE_PGM_RSRC2:USER_SGPR: 2
; COMPUTE_PGM_RSRC2:TRAP_HANDLER: 0
; COMPUTE_PGM_RSRC2:TGID_X_EN: 1
; COMPUTE_PGM_RSRC2:TGID_Y_EN: 0
; COMPUTE_PGM_RSRC2:TGID_Z_EN: 1
; COMPUTE_PGM_RSRC2:TIDIG_COMP_CNT: 1
; COMPUTE_PGM_RSRC3_GFX90A:ACCUM_OFFSET: 43
; COMPUTE_PGM_RSRC3_GFX90A:TG_SPLIT: 0
	.section	.text._ZN12_GLOBAL__N_120geam_min_plus_kernelIDF16_Dv2_DF16_S1_Li32ELi8ELi128ELi128ELi4ELi4ELi64ELi4ELi64ELc84ELc78ELb1ELb0ELb1EDF16_KPKDF16_KPDF16_EEviiiT16_PT17_ilS9_ilS7_S9_ilPT18_ili26rocblas_geam_ex_operation_,"axG",@progbits,_ZN12_GLOBAL__N_120geam_min_plus_kernelIDF16_Dv2_DF16_S1_Li32ELi8ELi128ELi128ELi4ELi4ELi64ELi4ELi64ELc84ELc78ELb1ELb0ELb1EDF16_KPKDF16_KPDF16_EEviiiT16_PT17_ilS9_ilS7_S9_ilPT18_ili26rocblas_geam_ex_operation_,comdat
	.globl	_ZN12_GLOBAL__N_120geam_min_plus_kernelIDF16_Dv2_DF16_S1_Li32ELi8ELi128ELi128ELi4ELi4ELi64ELi4ELi64ELc84ELc78ELb1ELb0ELb1EDF16_KPKDF16_KPDF16_EEviiiT16_PT17_ilS9_ilS7_S9_ilPT18_ili26rocblas_geam_ex_operation_ ; -- Begin function _ZN12_GLOBAL__N_120geam_min_plus_kernelIDF16_Dv2_DF16_S1_Li32ELi8ELi128ELi128ELi4ELi4ELi64ELi4ELi64ELc84ELc78ELb1ELb0ELb1EDF16_KPKDF16_KPDF16_EEviiiT16_PT17_ilS9_ilS7_S9_ilPT18_ili26rocblas_geam_ex_operation_
	.p2align	8
	.type	_ZN12_GLOBAL__N_120geam_min_plus_kernelIDF16_Dv2_DF16_S1_Li32ELi8ELi128ELi128ELi4ELi4ELi64ELi4ELi64ELc84ELc78ELb1ELb0ELb1EDF16_KPKDF16_KPDF16_EEviiiT16_PT17_ilS9_ilS7_S9_ilPT18_ili26rocblas_geam_ex_operation_,@function
_ZN12_GLOBAL__N_120geam_min_plus_kernelIDF16_Dv2_DF16_S1_Li32ELi8ELi128ELi128ELi4ELi4ELi64ELi4ELi64ELc84ELc78ELb1ELb0ELb1EDF16_KPKDF16_KPDF16_EEviiiT16_PT17_ilS9_ilS7_S9_ilPT18_ili26rocblas_geam_ex_operation_: ; @_ZN12_GLOBAL__N_120geam_min_plus_kernelIDF16_Dv2_DF16_S1_Li32ELi8ELi128ELi128ELi4ELi4ELi64ELi4ELi64ELc84ELc78ELb1ELb0ELb1EDF16_KPKDF16_KPDF16_EEviiiT16_PT17_ilS9_ilS7_S9_ilPT18_ili26rocblas_geam_ex_operation_
; %bb.0:
	s_load_dwordx2 s[14:15], s[0:1], 0x8
	s_load_dwordx4 s[4:7], s[0:1], 0x20
	s_mov_b32 s8, s3
	s_mov_b32 s9, 0
	s_waitcnt lgkmcnt(0)
	v_cmp_eq_f16_e64 s[10:11], s15, 0
	s_and_b64 vcc, exec, s[10:11]
	s_cbranch_vccnz .LBB214_3
; %bb.1:
	s_load_dwordx2 s[12:13], s[0:1], 0x10
	s_lshl_b64 s[16:17], s[8:9], 3
	s_waitcnt lgkmcnt(0)
	s_add_u32 s12, s12, s16
	s_addc_u32 s13, s13, s17
	s_load_dwordx2 s[12:13], s[12:13], 0x0
	s_lshl_b64 s[4:5], s[4:5], 1
	s_waitcnt lgkmcnt(0)
	s_add_u32 s16, s12, s4
	s_addc_u32 s17, s13, s5
	s_andn2_b64 vcc, exec, s[10:11]
	s_cbranch_vccnz .LBB214_4
.LBB214_2:
	s_mov_b32 s21, 0
	s_mov_b32 s20, s8
	s_mov_b64 s[12:13], 0
	s_mov_b64 s[18:19], 0
	s_cbranch_execz .LBB214_5
	s_branch .LBB214_6
.LBB214_3:
	s_mov_b64 s[16:17], 0
	s_andn2_b64 vcc, exec, s[10:11]
	s_cbranch_vccz .LBB214_2
.LBB214_4:
	s_mov_b64 s[20:21], s[8:9]
	s_mov_b64 s[12:13], 0
	;; [unrolled: 1-line block ×3, first 2 shown]
.LBB214_5:
	s_lshl_b64 s[8:9], s[8:9], 3
	s_add_u32 s6, s6, s8
	s_load_dwordx2 s[4:5], s[0:1], 0x38
	s_addc_u32 s7, s7, s9
	s_load_dwordx2 s[6:7], s[6:7], 0x0
	s_waitcnt lgkmcnt(0)
	s_lshl_b64 s[4:5], s[4:5], 1
	s_add_u32 s18, s6, s4
	s_addc_u32 s19, s7, s5
.LBB214_6:
	s_load_dword s15, s[0:1], 0x40
	s_load_dwordx4 s[8:11], s[0:1], 0x58
	s_waitcnt lgkmcnt(0)
	v_cmp_eq_f16_e64 s[4:5], s15, 0
	s_and_b64 s[4:5], exec, s[4:5]
	s_mov_b64 vcc, s[4:5]
	s_cbranch_vccnz .LBB214_8
; %bb.7:
	s_load_dwordx2 s[6:7], s[0:1], 0x48
	s_lshl_b64 s[12:13], s[20:21], 3
	s_waitcnt lgkmcnt(0)
	s_add_u32 s6, s6, s12
	s_addc_u32 s7, s7, s13
	s_load_dwordx2 s[6:7], s[6:7], 0x0
	s_lshl_b64 s[8:9], s[8:9], 1
	s_waitcnt lgkmcnt(0)
	s_add_u32 s12, s6, s8
	s_addc_u32 s13, s7, s9
.LBB214_8:
	s_load_dword s3, s[0:1], 0x0
	s_load_dword s22, s[0:1], 0x18
	;; [unrolled: 1-line block ×3, first 2 shown]
	s_lshl_b64 s[6:7], s[20:21], 3
	s_add_u32 s6, s10, s6
	s_addc_u32 s7, s11, s7
	s_waitcnt lgkmcnt(0)
	s_add_i32 s3, s3, -1
	s_ashr_i32 s8, s3, 31
	s_lshr_b32 s8, s8, 25
	s_add_i32 s3, s3, s8
	s_ashr_i32 s3, s3, 7
	s_add_i32 s8, s3, 1
	v_cvt_f32_u32_e32 v1, s8
	s_not_b32 s3, s3
	v_and_b32_e32 v72, 0x3ff, v0
	v_bfe_u32 v73, v0, 10, 10
	v_rcp_iflag_f32_e32 v1, v1
	v_lshl_add_u32 v2, v73, 5, v72
	v_lshrrev_b32_e32 v8, 2, v2
	v_lshlrev_b32_e32 v0, 1, v0
	v_mul_f32_e32 v1, 0x4f7ffffe, v1
	v_cvt_u32_f32_e32 v1, v1
	v_and_b32_e32 v40, 6, v0
	v_mov_b32_e32 v41, 0
	v_lshl_or_b32 v87, v8, 3, v40
	v_readfirstlane_b32 s9, v1
	s_mul_i32 s3, s3, s9
	s_mul_hi_u32 s3, s9, s3
	s_add_i32 s9, s9, s3
	s_mul_hi_u32 s3, s2, s9
	s_mul_i32 s9, s3, s8
	s_sub_i32 s9, s2, s9
	s_add_i32 s10, s3, 1
	s_sub_i32 s11, s9, s8
	s_cmp_ge_u32 s9, s8
	s_cselect_b32 s3, s10, s3
	s_cselect_b32 s9, s11, s9
	s_add_i32 s10, s3, 1
	s_cmp_ge_u32 s9, s8
	s_cselect_b32 s3, s10, s3
	s_mul_i32 s9, s3, s8
	s_sub_i32 s2, s2, s9
	s_lshl_b32 s9, s2, 7
	s_lshl_b32 s8, s3, 7
	v_add_u32_e32 v4, s9, v8
	v_mad_i64_i32 v[32:33], s[2:3], v4, s22, 0
	v_add_u32_e32 v4, 64, v4
	v_add_u32_e32 v9, s8, v8
	v_mad_i64_i32 v[34:35], s[2:3], v4, s22, 0
	v_lshl_add_u64 v[4:5], s[18:19], 0, v[40:41]
	v_mad_i64_i32 v[36:37], s[2:3], v9, s23, 0
	v_add_u32_e32 v9, 64, v9
	v_lshl_add_u64 v[0:1], s[16:17], 0, v[40:41]
	v_lshl_add_u64 v[6:7], v[36:37], 1, v[4:5]
	v_mad_i64_i32 v[38:39], s[2:3], v9, s23, 0
	v_lshl_add_u64 v[2:3], v[32:33], 1, v[0:1]
	v_lshl_add_u64 v[0:1], v[34:35], 1, v[0:1]
	;; [unrolled: 1-line block ×3, first 2 shown]
	flat_load_ushort v9, v[6:7]
	flat_load_ushort v10, v[4:5]
	;; [unrolled: 1-line block ×4, first 2 shown]
	s_load_dwordx2 s[2:3], s[6:7], 0x0
	flat_load_ushort v40, v[4:5] offset:8
	flat_load_ushort v42, v[6:7] offset:8
	;; [unrolled: 1-line block ×4, first 2 shown]
	v_lshlrev_b32_e32 v78, 3, v72
	v_lshlrev_b32_e32 v76, 3, v73
	v_add_u32_e32 v85, 0x800, v76
	s_movk_i32 s6, 0x7c00
	s_cmp_lt_i32 s14, 9
	s_waitcnt vmcnt(0) lgkmcnt(0)
	ds_write_b16 v87, v9 offset:2048
	ds_write_b16 v87, v10 offset:2560
	ds_write_b16 v87, v11
	ds_write_b16 v87, v12 offset:512
	s_waitcnt lgkmcnt(0)
	s_barrier
	ds_read2_b64 v[4:7], v78 offset1:32
	ds_read2_b64 v[0:3], v78 offset0:64 offset1:96
	ds_read2_b64 v[46:49], v85 offset1:8
	ds_read2_b64 v[50:53], v85 offset0:16 offset1:24
	ds_read2_b64 v[28:31], v85 offset0:32 offset1:40
	;; [unrolled: 1-line block ×7, first 2 shown]
	s_waitcnt lgkmcnt(7)
	v_pk_add_f16 v45, v4, v46
	v_pk_add_f16 v54, v6, v46
	v_pk_add_f16 v55, v0, v46
	v_pk_add_f16 v46, v2, v46
	v_pk_add_f16 v56, v4, v48
	v_pk_add_f16 v57, v6, v48
	v_pk_add_f16 v58, v0, v48
	v_pk_add_f16 v48, v2, v48
	s_waitcnt lgkmcnt(6)
	v_pk_add_f16 v59, v4, v50
	v_pk_add_f16 v60, v6, v50
	v_pk_add_f16 v61, v0, v50
	v_pk_add_f16 v50, v2, v50
	v_pk_add_f16 v62, v4, v52
	v_pk_add_f16 v63, v6, v52
	v_pk_add_f16 v64, v0, v52
	v_pk_add_f16 v52, v2, v52
	;; [unrolled: 9-line block ×8, first 2 shown]
	v_pk_add_f16 v2, v5, v47
	v_pk_min_f16 v10, v45, s6 op_sel_hi:[1,0]
	v_pk_min_f16 v8, v8, s6 op_sel_hi:[1,0]
	v_pk_min_f16 v132, v10, v2
	v_pk_add_f16 v2, v7, v47
	v_pk_min_f16 v10, v54, s6 op_sel_hi:[1,0]
	v_pk_min_f16 v4, v4, s6 op_sel_hi:[1,0]
	v_pk_min_f16 v131, v10, v2
	;; [unrolled: 4-line block ×3, first 2 shown]
	v_pk_add_f16 v2, v3, v47
	v_pk_min_f16 v10, v46, s6 op_sel_hi:[1,0]
	ds_write_b16 v87, v44 offset:1024
	ds_write_b16 v87, v43 offset:1536
	;; [unrolled: 1-line block ×4, first 2 shown]
	v_pk_min_f16 v129, v10, v2
	v_pk_add_f16 v2, v5, v49
	v_pk_min_f16 v10, v56, s6 op_sel_hi:[1,0]
	s_waitcnt lgkmcnt(0)
	v_pk_min_f16 v128, v10, v2
	v_pk_add_f16 v2, v7, v49
	v_pk_min_f16 v10, v57, s6 op_sel_hi:[1,0]
	s_barrier
	v_pk_min_f16 v127, v10, v2
	v_pk_add_f16 v2, v1, v49
	v_pk_min_f16 v10, v58, s6 op_sel_hi:[1,0]
	s_nop 0
	v_pk_min_f16 v126, v10, v2
	v_pk_add_f16 v2, v3, v49
	v_pk_min_f16 v10, v48, s6 op_sel_hi:[1,0]
	s_nop 0
	;; [unrolled: 4-line block ×52, first 2 shown]
	v_pk_min_f16 v64, v10, v2
	v_pk_add_f16 v2, v1, v9
	v_pk_min_f16 v10, v142, s6 op_sel_hi:[1,0]
	v_pk_add_f16 v1, v1, v11
	v_pk_min_f16 v63, v10, v2
	v_pk_add_f16 v2, v3, v9
	s_nop 0
	v_pk_min_f16 v62, v8, v2
	v_pk_add_f16 v2, v5, v11
	s_nop 0
	v_pk_min_f16 v61, v4, v2
	v_pk_add_f16 v2, v7, v11
	v_pk_min_f16 v4, v6, s6 op_sel_hi:[1,0]
	s_nop 0
	v_pk_min_f16 v60, v4, v2
	v_pk_min_f16 v2, v143, s6 op_sel_hi:[1,0]
	s_nop 0
	v_pk_min_f16 v58, v2, v1
	v_pk_add_f16 v1, v3, v11
	s_nop 0
	v_pk_min_f16 v59, v0, v1
	s_cbranch_scc1 .LBB214_11
; %bb.9:
	v_mov_b32_e32 v0, 0x400
	v_lshl_add_u32 v110, v72, 3, v0
	v_mov_b32_e32 v0, 0xc00
	v_lshl_add_u32 v111, v73, 3, v0
	v_and_b32_e32 v0, 3, v72
	v_add_u32_e32 v107, 0x800, v87
	v_add_u32_e32 v108, 0x400, v87
	;; [unrolled: 1-line block ×3, first 2 shown]
	s_add_i32 s6, s14, -8
	v_lshlrev_b32_e32 v40, 1, v0
	v_lshl_add_u64 v[42:43], v[38:39], 1, s[18:19]
	v_lshl_add_u64 v[44:45], v[36:37], 1, s[18:19]
	;; [unrolled: 1-line block ×4, first 2 shown]
	s_mov_b32 s7, 0
.LBB214_10:                             ; =>This Inner Loop Header: Depth=1
	v_lshl_add_u64 v[52:53], v[48:49], 0, v[40:41]
	v_lshl_add_u64 v[50:51], v[46:47], 0, v[40:41]
	v_lshl_add_u64 v[54:55], v[44:45], 0, v[40:41]
	v_lshl_add_u64 v[56:57], v[42:43], 0, v[40:41]
	ds_read2_b64 v[4:7], v110 offset1:32
	ds_read2_b64 v[0:3], v110 offset0:64 offset1:96
	ds_read2_b64 v[36:39], v111 offset1:8
	ds_read2_b64 v[32:35], v111 offset0:16 offset1:24
	ds_read2_b64 v[28:31], v111 offset0:32 offset1:40
	;; [unrolled: 1-line block ×7, first 2 shown]
	flat_load_ushort v133, v[52:53] offset:16
	flat_load_ushort v134, v[50:51] offset:16
	;; [unrolled: 1-line block ×4, first 2 shown]
	v_pk_max_f16 v132, v132, v132
	v_pk_max_f16 v131, v131, v131
	;; [unrolled: 1-line block ×31, first 2 shown]
	s_waitcnt lgkmcnt(0)
	v_pk_add_f16 v137, v4, v36
	v_pk_add_f16 v138, v6, v36
	;; [unrolled: 1-line block ×44, first 2 shown]
	s_waitcnt vmcnt(0)
	ds_write_b16 v87, v133
	ds_write_b16 v87, v134 offset:512
	ds_write_b16 v107, v135
	ds_write_b16 v107, v136 offset:512
	s_waitcnt lgkmcnt(0)
	s_barrier
	flat_load_ushort v52, v[52:53] offset:24
	s_nop 0
	flat_load_ushort v53, v[50:51] offset:24
	flat_load_ushort v133, v[54:55] offset:24
	;; [unrolled: 1-line block ×3, first 2 shown]
	v_pk_add_f16 v170, v4, v18
	v_pk_add_f16 v171, v6, v18
	v_pk_add_f16 v172, v0, v18
	v_pk_add_f16 v18, v2, v18
	v_pk_add_f16 v173, v4, v12
	v_pk_add_f16 v174, v6, v12
	v_pk_add_f16 v175, v0, v12
	v_pk_add_f16 v12, v2, v12
	v_pk_add_f16 v176, v4, v14
	v_pk_add_f16 v177, v6, v14
	v_pk_add_f16 v178, v0, v14
	v_pk_add_f16 v14, v2, v14
	v_pk_add_f16 v179, v4, v8
	v_pk_add_f16 v180, v6, v8
	v_pk_add_f16 v181, v0, v8
	v_pk_add_f16 v8, v2, v8
	v_pk_add_f16 v4, v4, v10
	v_pk_add_f16 v6, v6, v10
	v_pk_add_f16 v0, v0, v10
	v_pk_add_f16 v2, v2, v10
	v_pk_add_f16 v10, v5, v37
	v_pk_add_f16 v182, v7, v37
	v_pk_add_f16 v183, v1, v37
	v_pk_add_f16 v37, v3, v37
	v_pk_add_f16 v184, v5, v39
	v_pk_add_f16 v185, v7, v39
	v_pk_add_f16 v186, v1, v39
	v_pk_add_f16 v39, v3, v39
	v_pk_add_f16 v187, v5, v33
	v_pk_add_f16 v188, v7, v33
	v_pk_add_f16 v189, v1, v33
	v_pk_add_f16 v33, v3, v33
	v_pk_add_f16 v190, v5, v35
	v_pk_add_f16 v191, v7, v35
	v_pk_add_f16 v192, v1, v35
	v_pk_add_f16 v35, v3, v35
	v_pk_add_f16 v193, v5, v29
	v_pk_add_f16 v194, v7, v29
	v_pk_add_f16 v195, v1, v29
	v_pk_add_f16 v29, v3, v29
	v_pk_add_f16 v196, v5, v31
	v_pk_add_f16 v197, v7, v31
	v_pk_add_f16 v198, v1, v31
	v_pk_add_f16 v31, v3, v31
	v_pk_add_f16 v199, v5, v25
	v_pk_add_f16 v200, v7, v25
	v_pk_add_f16 v201, v1, v25
	v_pk_add_f16 v25, v3, v25
	v_pk_add_f16 v202, v5, v27
	v_pk_add_f16 v203, v7, v27
	v_pk_add_f16 v204, v1, v27
	v_pk_add_f16 v27, v3, v27
	v_pk_add_f16 v205, v5, v21
	v_pk_add_f16 v206, v7, v21
	v_pk_add_f16 v207, v1, v21
	v_pk_add_f16 v21, v3, v21
	v_pk_add_f16 v208, v5, v23
	v_pk_add_f16 v209, v7, v23
	v_pk_add_f16 v210, v1, v23
	v_pk_add_f16 v23, v3, v23
	v_pk_add_f16 v211, v5, v17
	v_pk_add_f16 v212, v7, v17
	v_pk_add_f16 v213, v1, v17
	v_pk_add_f16 v17, v3, v17
	v_pk_add_f16 v214, v5, v19
	v_pk_add_f16 v215, v7, v19
	v_pk_add_f16 v216, v1, v19
	v_pk_add_f16 v19, v3, v19
	v_pk_add_f16 v217, v5, v13
	v_pk_add_f16 v218, v7, v13
	v_pk_add_f16 v219, v1, v13
	v_pk_add_f16 v13, v3, v13
	v_pk_add_f16 v220, v5, v15
	v_pk_add_f16 v221, v7, v15
	v_pk_add_f16 v222, v1, v15
	v_pk_add_f16 v15, v3, v15
	v_pk_add_f16 v223, v5, v9
	v_pk_add_f16 v224, v7, v9
	v_pk_add_f16 v225, v1, v9
	v_pk_add_f16 v9, v3, v9
	v_pk_add_f16 v5, v5, v11
	v_pk_add_f16 v7, v7, v11
	v_pk_add_f16 v1, v1, v11
	v_pk_add_f16 v3, v3, v11
	v_pk_min_f16 v11, v132, v137
	v_pk_min_f16 v131, v131, v138
	;; [unrolled: 1-line block ×62, first 2 shown]
	ds_read2_b64 v[0:3], v78 offset1:32
	ds_read2_b64 v[4:7], v78 offset0:64 offset1:96
	ds_read2_b64 v[8:11], v85 offset1:8
	ds_read2_b64 v[12:15], v85 offset0:16 offset1:24
	ds_read2_b64 v[16:19], v85 offset0:32 offset1:40
	;; [unrolled: 1-line block ×7, first 2 shown]
	v_pk_max_f16 v116, v116, v116
	v_pk_max_f16 v115, v115, v115
	;; [unrolled: 1-line block ×33, first 2 shown]
	v_pk_min_f16 v116, v116, v149
	v_pk_min_f16 v115, v115, v150
	v_pk_min_f16 v114, v114, v151
	v_pk_min_f16 v112, v112, v152
	v_pk_min_f16 v106, v106, v153
	v_pk_min_f16 v105, v105, v154
	v_pk_min_f16 v103, v103, v155
	v_pk_min_f16 v102, v102, v156
	v_pk_min_f16 v101, v101, v157
	v_pk_min_f16 v99, v99, v158
	v_pk_min_f16 v98, v98, v159
	v_pk_min_f16 v97, v97, v160
	v_pk_min_f16 v95, v95, v161
	v_pk_min_f16 v94, v94, v162
	v_pk_min_f16 v93, v93, v163
	v_pk_min_f16 v91, v91, v164
	v_pk_min_f16 v90, v90, v165
	v_pk_min_f16 v89, v89, v166
	v_pk_min_f16 v86, v86, v167
	v_pk_min_f16 v84, v84, v168
	v_pk_min_f16 v83, v83, v169
	v_pk_min_f16 v81, v81, v170
	v_pk_min_f16 v80, v80, v171
	v_pk_min_f16 v79, v79, v172
	v_pk_min_f16 v75, v75, v173
	v_pk_min_f16 v74, v74, v174
	v_pk_min_f16 v71, v71, v175
	v_pk_min_f16 v69, v69, v176
	v_pk_min_f16 v68, v68, v177
	v_pk_min_f16 v67, v67, v178
	v_pk_min_f16 v65, v65, v179
	v_pk_min_f16 v64, v64, v180
	v_pk_min_f16 v63, v63, v181
	v_pk_min_f16 v116, v116, v193
	v_pk_min_f16 v115, v115, v194
	v_pk_min_f16 v114, v114, v195
	v_pk_min_f16 v112, v112, v196
	v_pk_min_f16 v106, v106, v197
	v_pk_min_f16 v105, v105, v198
	v_pk_min_f16 v103, v103, v199
	v_pk_min_f16 v102, v102, v200
	v_pk_min_f16 v101, v101, v201
	v_pk_min_f16 v99, v99, v202
	v_pk_min_f16 v98, v98, v203
	v_pk_min_f16 v97, v97, v204
	v_pk_min_f16 v95, v95, v205
	v_pk_min_f16 v94, v94, v206
	v_pk_min_f16 v93, v93, v207
	v_pk_min_f16 v91, v91, v208
	v_pk_min_f16 v90, v90, v209
	v_pk_min_f16 v89, v89, v210
	v_pk_min_f16 v86, v86, v211
	v_pk_min_f16 v84, v84, v212
	v_pk_min_f16 v83, v83, v213
	v_pk_min_f16 v81, v81, v214
	v_pk_min_f16 v80, v80, v215
	v_pk_min_f16 v79, v79, v216
	v_pk_min_f16 v75, v75, v217
	v_pk_min_f16 v74, v74, v218
	v_pk_min_f16 v71, v71, v219
	v_pk_min_f16 v69, v69, v220
	v_pk_min_f16 v68, v68, v221
	v_pk_min_f16 v67, v67, v222
	v_pk_min_f16 v65, v65, v223
	v_pk_min_f16 v64, v64, v224
	v_pk_min_f16 v63, v63, v225
	s_waitcnt lgkmcnt(0)
	v_pk_add_f16 v50, v0, v8
	v_pk_add_f16 v51, v2, v8
	;; [unrolled: 1-line block ×64, first 2 shown]
	s_add_i32 s7, s7, 8
	v_pk_add_f16 v38, v1, v9
	v_pk_add_f16 v174, v3, v9
	;; [unrolled: 1-line block ×64, first 2 shown]
	v_pk_min_f16 v39, v58, v50
	v_pk_min_f16 v50, v59, v51
	;; [unrolled: 1-line block ×64, first 2 shown]
	v_lshl_add_u64 v[42:43], v[42:43], 0, 16
	v_lshl_add_u64 v[44:45], v[44:45], 0, 16
	;; [unrolled: 1-line block ×4, first 2 shown]
	s_cmp_ge_i32 s7, s6
	v_pk_min_f16 v132, v39, v38
	v_pk_min_f16 v131, v50, v174
	;; [unrolled: 1-line block ×64, first 2 shown]
	s_waitcnt vmcnt(0)
	ds_write_b16 v108, v52
	ds_write_b16 v108, v53 offset:512
	ds_write_b16 v109, v133
	ds_write_b16 v109, v134 offset:512
	s_waitcnt lgkmcnt(0)
	s_barrier
	s_cbranch_scc0 .LBB214_10
.LBB214_11:
	s_load_dword s10, s[0:1], 0x50
	ds_read_b64 v[38:39], v78 offset:1024
	ds_read_b64 v[46:47], v76 offset:3072
	v_add_u32_e32 v52, s8, v73
	v_cmp_neq_f16_e64 s[6:7], s15, 0
	v_add_u32_e32 v36, s9, v72
	s_waitcnt lgkmcnt(0)
	v_mad_i64_i32 v[0:1], s[8:9], v52, s10, 0
	v_ashrrev_i32_e32 v37, 31, v36
	v_lshl_add_u64 v[48:49], v[0:1], 1, s[12:13]
	v_mov_b32_e32 v42, 0
	s_and_b64 vcc, exec, s[6:7]
	v_mov_b32_e32 v43, 0
	s_cbranch_vccz .LBB214_13
; %bb.12:
	v_lshl_add_u64 v[0:1], v[36:37], 1, v[48:49]
	flat_load_ushort v0, v[0:1]
	s_waitcnt vmcnt(0) lgkmcnt(0)
	v_mul_f16_e32 v0, s15, v0
	v_cvt_f32_f16_e32 v43, v0
.LBB214_13:
	v_pk_add_f16 v40, v38, v46
	v_max_f16_e32 v41, v132, v132
	v_pk_add_f16 v45, v39, v47
	v_min_f16_e32 v44, v41, v40
	v_lshrrev_b32_e32 v41, 16, v132
	v_lshrrev_b32_e32 v40, 16, v40
	;; [unrolled: 1-line block ×3, first 2 shown]
	v_add_u32_e32 v4, 0x800, v76
	v_min3_f16 v50, v41, v40, v50
	ds_read2_b64 v[0:3], v78 offset0:160 offset1:192
	ds_read_b64 v[32:33], v78 offset:1792
	ds_read2_b64 v[28:31], v4 offset0:136 offset1:144
	ds_read2_b64 v[24:27], v4 offset0:152 offset1:160
	;; [unrolled: 1-line block ×4, first 2 shown]
	s_load_dword s8, s[0:1], 0x68
	s_load_dwordx2 s[16:17], s[0:1], 0x70
	v_min3_f16 v44, v44, v45, v50
	v_cvt_f32_f16_e32 v53, v44
	ds_read2_b64 v[12:15], v4 offset0:200 offset1:208
	ds_read2_b64 v[8:11], v4 offset0:216 offset1:224
	;; [unrolled: 1-line block ×3, first 2 shown]
	ds_read_b64 v[34:35], v76 offset:4032
	v_max_f32_e32 v43, v43, v43
	s_waitcnt lgkmcnt(0)
	s_lshl_b64 s[0:1], s[16:17], 1
	v_min_f32_e32 v43, v43, v53
	s_add_u32 s2, s2, s0
	v_cvt_f16_f32_e32 v43, v43
	s_addc_u32 s3, s3, s1
	v_mad_i64_i32 v[44:45], s[0:1], v52, s8, 0
	v_add_u32_e32 v40, 32, v36
	v_lshl_add_u64 v[50:51], v[44:45], 1, s[2:3]
	v_cndmask_b32_e64 v53, 0, 1, s[6:7]
	v_ashrrev_i32_e32 v41, 31, v40
	v_lshl_add_u64 v[44:45], v[36:37], 1, v[50:51]
	v_cmp_ne_u32_e64 s[0:1], 1, v53
	s_andn2_b64 vcc, exec, s[6:7]
	flat_store_short v[44:45], v43
	s_cbranch_vccnz .LBB214_15
; %bb.14:
	v_lshl_add_u64 v[42:43], v[40:41], 1, v[48:49]
	flat_load_ushort v42, v[42:43]
	s_waitcnt vmcnt(0) lgkmcnt(0)
	v_mul_f16_e32 v42, s15, v42
	v_cvt_f32_f16_e32 v42, v42
.LBB214_15:
	v_pk_add_f16 v43, v0, v46
	v_max_f16_e32 v44, v131, v131
	v_pk_add_f16 v53, v1, v47
	v_min_f16_e32 v44, v44, v43
	v_lshrrev_b32_e32 v45, 16, v131
	v_lshrrev_b32_e32 v43, 16, v43
	v_lshrrev_b32_e32 v54, 16, v53
	v_min3_f16 v43, v45, v43, v54
	v_min3_f16 v43, v44, v53, v43
	v_cvt_f32_f16_e32 v43, v43
	v_max_f32_e32 v42, v42, v42
	v_lshl_add_u64 v[44:45], v[40:41], 1, v[50:51]
	s_and_b64 vcc, exec, s[0:1]
	v_min_f32_e32 v42, v42, v43
	v_cvt_f16_f32_e32 v53, v42
	v_add_u32_e32 v42, 64, v36
	v_ashrrev_i32_e32 v43, 31, v42
	flat_store_short v[44:45], v53
	v_mov_b32_e32 v53, 0
	v_mov_b32_e32 v45, 0
	s_cbranch_vccnz .LBB214_17
; %bb.16:
	v_lshl_add_u64 v[44:45], v[42:43], 1, v[48:49]
	flat_load_ushort v44, v[44:45]
	s_waitcnt vmcnt(0) lgkmcnt(0)
	v_mul_f16_e32 v44, s15, v44
	v_cvt_f32_f16_e32 v45, v44
.LBB214_17:
	v_pk_add_f16 v44, v2, v46
	v_max_f16_e32 v54, v130, v130
	v_pk_add_f16 v56, v3, v47
	v_min_f16_e32 v54, v54, v44
	v_lshrrev_b32_e32 v55, 16, v130
	v_lshrrev_b32_e32 v44, 16, v44
	;; [unrolled: 1-line block ×3, first 2 shown]
	v_min3_f16 v44, v55, v44, v57
	v_min3_f16 v44, v54, v56, v44
	v_cvt_f32_f16_e32 v54, v44
	v_max_f32_e32 v45, v45, v45
	v_add_u32_e32 v44, 0x60, v36
	s_and_b64 vcc, exec, s[0:1]
	v_min_f32_e32 v45, v45, v54
	v_cvt_f16_f32_e32 v56, v45
	v_ashrrev_i32_e32 v45, 31, v44
	v_lshl_add_u64 v[54:55], v[42:43], 1, v[50:51]
	flat_store_short v[54:55], v56
	s_cbranch_vccnz .LBB214_19
; %bb.18:
	v_lshl_add_u64 v[48:49], v[44:45], 1, v[48:49]
	flat_load_ushort v48, v[48:49]
	s_waitcnt vmcnt(0) lgkmcnt(0)
	v_mul_f16_e32 v48, s15, v48
	v_cvt_f32_f16_e32 v53, v48
.LBB214_19:
	v_pk_add_f16 v46, v32, v46
	v_max_f16_e32 v48, v129, v129
	v_pk_add_f16 v47, v33, v47
	v_min_f16_e32 v48, v48, v46
	v_lshrrev_b32_e32 v49, 16, v129
	v_lshrrev_b32_e32 v46, 16, v46
	;; [unrolled: 1-line block ×3, first 2 shown]
	v_min3_f16 v46, v49, v46, v54
	v_min3_f16 v46, v48, v47, v46
	v_cvt_f32_f16_e32 v46, v46
	v_max_f32_e32 v47, v53, v53
	s_and_b64 vcc, exec, s[0:1]
	v_mov_b32_e32 v49, 0
	v_min_f32_e32 v46, v47, v46
	v_cvt_f16_f32_e32 v48, v46
	v_lshl_add_u64 v[46:47], v[44:45], 1, v[50:51]
	v_mov_b32_e32 v50, 0
	flat_store_short v[46:47], v48
	v_add_u32_e32 v48, 8, v52
	v_mad_i64_i32 v[46:47], s[6:7], v48, s10, 0
	v_lshl_add_u64 v[46:47], v[46:47], 1, s[12:13]
	s_cbranch_vccnz .LBB214_21
; %bb.20:
	v_lshl_add_u64 v[54:55], v[36:37], 1, v[46:47]
	flat_load_ushort v49, v[54:55]
	s_waitcnt vmcnt(0) lgkmcnt(0)
	v_mul_f16_e32 v49, s15, v49
	v_cvt_f32_f16_e32 v49, v49
.LBB214_21:
	v_pk_add_f16 v51, v38, v28
	v_max_f16_e32 v53, v128, v128
	v_pk_add_f16 v55, v39, v29
	v_min_f16_e32 v53, v53, v51
	v_lshrrev_b32_e32 v54, 16, v128
	v_lshrrev_b32_e32 v51, 16, v51
	;; [unrolled: 1-line block ×3, first 2 shown]
	v_min3_f16 v51, v54, v51, v56
	v_min3_f16 v51, v53, v55, v51
	v_cvt_f32_f16_e32 v51, v51
	v_mad_i64_i32 v[54:55], s[6:7], v48, s8, 0
	v_max_f32_e32 v48, v49, v49
	v_min_f32_e32 v48, v48, v51
	v_cvt_f16_f32_e32 v51, v48
	v_lshl_add_u64 v[48:49], v[54:55], 1, s[2:3]
	v_lshl_add_u64 v[54:55], v[36:37], 1, v[48:49]
	s_and_b64 vcc, exec, s[0:1]
	flat_store_short v[54:55], v51
	s_cbranch_vccnz .LBB214_23
; %bb.22:
	v_lshl_add_u64 v[50:51], v[40:41], 1, v[46:47]
	flat_load_ushort v50, v[50:51]
	s_waitcnt vmcnt(0) lgkmcnt(0)
	v_mul_f16_e32 v50, s15, v50
	v_cvt_f32_f16_e32 v50, v50
.LBB214_23:
	v_pk_add_f16 v51, v0, v28
	v_max_f16_e32 v53, v127, v127
	v_pk_add_f16 v55, v1, v29
	v_min_f16_e32 v53, v53, v51
	v_lshrrev_b32_e32 v54, 16, v127
	v_lshrrev_b32_e32 v51, 16, v51
	;; [unrolled: 1-line block ×3, first 2 shown]
	v_min3_f16 v51, v54, v51, v56
	v_min3_f16 v51, v53, v55, v51
	v_cvt_f32_f16_e32 v51, v51
	v_max_f32_e32 v50, v50, v50
	s_and_b64 vcc, exec, s[0:1]
	v_min_f32_e32 v50, v50, v51
	v_cvt_f16_f32_e32 v53, v50
	v_lshl_add_u64 v[50:51], v[40:41], 1, v[48:49]
	flat_store_short v[50:51], v53
	v_mov_b32_e32 v50, 0
	v_mov_b32_e32 v51, 0
	s_cbranch_vccnz .LBB214_25
; %bb.24:
	v_lshl_add_u64 v[54:55], v[42:43], 1, v[46:47]
	flat_load_ushort v51, v[54:55]
	s_waitcnt vmcnt(0) lgkmcnt(0)
	v_mul_f16_e32 v51, s15, v51
	v_cvt_f32_f16_e32 v51, v51
.LBB214_25:
	v_pk_add_f16 v53, v2, v28
	v_max_f16_e32 v54, v126, v126
	v_pk_add_f16 v56, v3, v29
	v_min_f16_e32 v54, v54, v53
	v_lshrrev_b32_e32 v55, 16, v126
	v_lshrrev_b32_e32 v53, 16, v53
	v_lshrrev_b32_e32 v57, 16, v56
	v_min3_f16 v53, v55, v53, v57
	v_min3_f16 v53, v54, v56, v53
	v_cvt_f32_f16_e32 v53, v53
	v_max_f32_e32 v51, v51, v51
	v_lshl_add_u64 v[54:55], v[42:43], 1, v[48:49]
	s_and_b64 vcc, exec, s[0:1]
	v_min_f32_e32 v51, v51, v53
	v_cvt_f16_f32_e32 v51, v51
	flat_store_short v[54:55], v51
	s_cbranch_vccnz .LBB214_27
; %bb.26:
	v_lshl_add_u64 v[46:47], v[44:45], 1, v[46:47]
	flat_load_ushort v46, v[46:47]
	s_waitcnt vmcnt(0) lgkmcnt(0)
	v_mul_f16_e32 v46, s15, v46
	v_cvt_f32_f16_e32 v50, v46
.LBB214_27:
	v_pk_add_f16 v28, v32, v28
	v_max_f16_e32 v46, v125, v125
	v_pk_add_f16 v29, v33, v29
	v_min_f16_e32 v46, v46, v28
	v_lshrrev_b32_e32 v47, 16, v125
	v_lshrrev_b32_e32 v28, 16, v28
	;; [unrolled: 1-line block ×3, first 2 shown]
	v_min3_f16 v28, v47, v28, v51
	v_min3_f16 v28, v46, v29, v28
	v_cvt_f32_f16_e32 v28, v28
	v_max_f32_e32 v29, v50, v50
	s_and_b64 vcc, exec, s[0:1]
	v_mov_b32_e32 v47, 0
	v_min_f32_e32 v28, v29, v28
	v_cvt_f16_f32_e32 v46, v28
	v_lshl_add_u64 v[28:29], v[44:45], 1, v[48:49]
	v_mov_b32_e32 v48, 0
	flat_store_short v[28:29], v46
	v_add_u32_e32 v46, 16, v52
	v_mad_i64_i32 v[28:29], s[6:7], v46, s10, 0
	v_lshl_add_u64 v[28:29], v[28:29], 1, s[12:13]
	s_cbranch_vccnz .LBB214_29
; %bb.28:
	v_lshl_add_u64 v[50:51], v[36:37], 1, v[28:29]
	flat_load_ushort v47, v[50:51]
	s_waitcnt vmcnt(0) lgkmcnt(0)
	v_mul_f16_e32 v47, s15, v47
	v_cvt_f32_f16_e32 v47, v47
.LBB214_29:
	v_pk_add_f16 v49, v38, v30
	v_max_f16_e32 v50, v124, v124
	v_pk_add_f16 v53, v39, v31
	v_min_f16_e32 v50, v50, v49
	v_lshrrev_b32_e32 v51, 16, v124
	v_lshrrev_b32_e32 v49, 16, v49
	;; [unrolled: 1-line block ×3, first 2 shown]
	v_min3_f16 v49, v51, v49, v54
	v_min3_f16 v49, v50, v53, v49
	v_cvt_f32_f16_e32 v49, v49
	v_mad_i64_i32 v[50:51], s[6:7], v46, s8, 0
	v_max_f32_e32 v46, v47, v47
	v_min_f32_e32 v46, v46, v49
	v_cvt_f16_f32_e32 v49, v46
	v_lshl_add_u64 v[46:47], v[50:51], 1, s[2:3]
	v_lshl_add_u64 v[50:51], v[36:37], 1, v[46:47]
	s_and_b64 vcc, exec, s[0:1]
	flat_store_short v[50:51], v49
	s_cbranch_vccnz .LBB214_31
; %bb.30:
	v_lshl_add_u64 v[48:49], v[40:41], 1, v[28:29]
	flat_load_ushort v48, v[48:49]
	s_waitcnt vmcnt(0) lgkmcnt(0)
	v_mul_f16_e32 v48, s15, v48
	v_cvt_f32_f16_e32 v48, v48
.LBB214_31:
	v_pk_add_f16 v49, v0, v30
	v_max_f16_e32 v50, v123, v123
	v_pk_add_f16 v53, v1, v31
	v_min_f16_e32 v50, v50, v49
	v_lshrrev_b32_e32 v51, 16, v123
	v_lshrrev_b32_e32 v49, 16, v49
	;; [unrolled: 1-line block ×3, first 2 shown]
	v_min3_f16 v49, v51, v49, v54
	v_min3_f16 v49, v50, v53, v49
	v_cvt_f32_f16_e32 v49, v49
	v_max_f32_e32 v48, v48, v48
	s_and_b64 vcc, exec, s[0:1]
	v_min_f32_e32 v48, v48, v49
	v_cvt_f16_f32_e32 v50, v48
	v_lshl_add_u64 v[48:49], v[40:41], 1, v[46:47]
	flat_store_short v[48:49], v50
	v_mov_b32_e32 v48, 0
	v_mov_b32_e32 v49, 0
	s_cbranch_vccnz .LBB214_33
; %bb.32:
	v_lshl_add_u64 v[50:51], v[42:43], 1, v[28:29]
	flat_load_ushort v49, v[50:51]
	s_waitcnt vmcnt(0) lgkmcnt(0)
	v_mul_f16_e32 v49, s15, v49
	v_cvt_f32_f16_e32 v49, v49
.LBB214_33:
	v_pk_add_f16 v50, v2, v30
	v_max_f16_e32 v51, v122, v122
	v_pk_add_f16 v54, v3, v31
	v_min_f16_e32 v51, v51, v50
	v_lshrrev_b32_e32 v53, 16, v122
	v_lshrrev_b32_e32 v50, 16, v50
	;; [unrolled: 1-line block ×3, first 2 shown]
	v_min3_f16 v50, v53, v50, v55
	v_min3_f16 v50, v51, v54, v50
	v_cvt_f32_f16_e32 v50, v50
	v_max_f32_e32 v49, v49, v49
	s_and_b64 vcc, exec, s[0:1]
	v_min_f32_e32 v49, v49, v50
	v_cvt_f16_f32_e32 v49, v49
	v_lshl_add_u64 v[50:51], v[42:43], 1, v[46:47]
	flat_store_short v[50:51], v49
	s_cbranch_vccnz .LBB214_35
; %bb.34:
	v_lshl_add_u64 v[28:29], v[44:45], 1, v[28:29]
	flat_load_ushort v28, v[28:29]
	s_waitcnt vmcnt(0) lgkmcnt(0)
	v_mul_f16_e32 v28, s15, v28
	v_cvt_f32_f16_e32 v48, v28
.LBB214_35:
	v_pk_add_f16 v28, v32, v30
	v_max_f16_e32 v29, v121, v121
	v_pk_add_f16 v31, v33, v31
	v_min_f16_e32 v29, v29, v28
	v_lshrrev_b32_e32 v30, 16, v121
	v_lshrrev_b32_e32 v28, 16, v28
	v_lshrrev_b32_e32 v49, 16, v31
	v_min3_f16 v28, v30, v28, v49
	v_min3_f16 v28, v29, v31, v28
	v_cvt_f32_f16_e32 v28, v28
	v_max_f32_e32 v29, v48, v48
	s_and_b64 vcc, exec, s[0:1]
	v_mov_b32_e32 v31, 0
	v_min_f32_e32 v28, v29, v28
	v_cvt_f16_f32_e32 v30, v28
	v_lshl_add_u64 v[28:29], v[44:45], 1, v[46:47]
	v_mov_b32_e32 v46, 0
	flat_store_short v[28:29], v30
	v_add_u32_e32 v30, 24, v52
	v_mad_i64_i32 v[28:29], s[6:7], v30, s10, 0
	v_lshl_add_u64 v[28:29], v[28:29], 1, s[12:13]
	s_cbranch_vccnz .LBB214_37
; %bb.36:
	v_lshl_add_u64 v[48:49], v[36:37], 1, v[28:29]
	flat_load_ushort v31, v[48:49]
	s_waitcnt vmcnt(0) lgkmcnt(0)
	v_mul_f16_e32 v31, s15, v31
	v_cvt_f32_f16_e32 v31, v31
.LBB214_37:
	v_pk_add_f16 v47, v38, v24
	v_max_f16_e32 v48, v120, v120
	v_pk_add_f16 v50, v39, v25
	v_min_f16_e32 v48, v48, v47
	v_lshrrev_b32_e32 v49, 16, v120
	v_lshrrev_b32_e32 v47, 16, v47
	;; [unrolled: 1-line block ×3, first 2 shown]
	v_min3_f16 v47, v49, v47, v51
	v_min3_f16 v47, v48, v50, v47
	v_cvt_f32_f16_e32 v47, v47
	v_mad_i64_i32 v[48:49], s[6:7], v30, s8, 0
	v_max_f32_e32 v30, v31, v31
	v_min_f32_e32 v30, v30, v47
	v_cvt_f16_f32_e32 v47, v30
	v_lshl_add_u64 v[30:31], v[48:49], 1, s[2:3]
	v_lshl_add_u64 v[48:49], v[36:37], 1, v[30:31]
	s_and_b64 vcc, exec, s[0:1]
	flat_store_short v[48:49], v47
	s_cbranch_vccnz .LBB214_39
; %bb.38:
	v_lshl_add_u64 v[46:47], v[40:41], 1, v[28:29]
	flat_load_ushort v46, v[46:47]
	s_waitcnt vmcnt(0) lgkmcnt(0)
	v_mul_f16_e32 v46, s15, v46
	v_cvt_f32_f16_e32 v46, v46
.LBB214_39:
	v_pk_add_f16 v47, v0, v24
	v_max_f16_e32 v48, v119, v119
	v_pk_add_f16 v50, v1, v25
	v_min_f16_e32 v48, v48, v47
	v_lshrrev_b32_e32 v49, 16, v119
	v_lshrrev_b32_e32 v47, 16, v47
	;; [unrolled: 1-line block ×3, first 2 shown]
	v_min3_f16 v47, v49, v47, v51
	v_min3_f16 v47, v48, v50, v47
	v_cvt_f32_f16_e32 v47, v47
	v_max_f32_e32 v46, v46, v46
	s_and_b64 vcc, exec, s[0:1]
	v_min_f32_e32 v46, v46, v47
	v_cvt_f16_f32_e32 v48, v46
	v_lshl_add_u64 v[46:47], v[40:41], 1, v[30:31]
	flat_store_short v[46:47], v48
	v_mov_b32_e32 v46, 0
	v_mov_b32_e32 v47, 0
	s_cbranch_vccnz .LBB214_41
; %bb.40:
	v_lshl_add_u64 v[48:49], v[42:43], 1, v[28:29]
	flat_load_ushort v47, v[48:49]
	s_waitcnt vmcnt(0) lgkmcnt(0)
	v_mul_f16_e32 v47, s15, v47
	v_cvt_f32_f16_e32 v47, v47
.LBB214_41:
	v_pk_add_f16 v48, v2, v24
	v_max_f16_e32 v49, v118, v118
	v_pk_add_f16 v51, v3, v25
	v_min_f16_e32 v49, v49, v48
	v_lshrrev_b32_e32 v50, 16, v118
	v_lshrrev_b32_e32 v48, 16, v48
	;; [unrolled: 1-line block ×3, first 2 shown]
	v_min3_f16 v48, v50, v48, v53
	v_min3_f16 v48, v49, v51, v48
	v_cvt_f32_f16_e32 v48, v48
	v_max_f32_e32 v47, v47, v47
	s_and_b64 vcc, exec, s[0:1]
	v_min_f32_e32 v47, v47, v48
	v_cvt_f16_f32_e32 v47, v47
	v_lshl_add_u64 v[48:49], v[42:43], 1, v[30:31]
	flat_store_short v[48:49], v47
	s_cbranch_vccnz .LBB214_43
; %bb.42:
	v_lshl_add_u64 v[28:29], v[44:45], 1, v[28:29]
	flat_load_ushort v28, v[28:29]
	s_waitcnt vmcnt(0) lgkmcnt(0)
	v_mul_f16_e32 v28, s15, v28
	v_cvt_f32_f16_e32 v46, v28
.LBB214_43:
	v_pk_add_f16 v24, v32, v24
	v_max_f16_e32 v28, v117, v117
	v_pk_add_f16 v25, v33, v25
	v_min_f16_e32 v28, v28, v24
	v_lshrrev_b32_e32 v29, 16, v117
	v_lshrrev_b32_e32 v24, 16, v24
	;; [unrolled: 1-line block ×3, first 2 shown]
	v_min3_f16 v24, v29, v24, v47
	v_min3_f16 v24, v28, v25, v24
	v_cvt_f32_f16_e32 v24, v24
	v_max_f32_e32 v25, v46, v46
	s_and_b64 vcc, exec, s[0:1]
	v_mov_b32_e32 v29, 0
	v_min_f32_e32 v24, v25, v24
	v_cvt_f16_f32_e32 v28, v24
	v_lshl_add_u64 v[24:25], v[44:45], 1, v[30:31]
	v_mov_b32_e32 v30, 0
	flat_store_short v[24:25], v28
	v_add_u32_e32 v28, 32, v52
	v_mad_i64_i32 v[24:25], s[6:7], v28, s10, 0
	v_lshl_add_u64 v[24:25], v[24:25], 1, s[12:13]
	s_cbranch_vccnz .LBB214_45
; %bb.44:
	v_lshl_add_u64 v[46:47], v[36:37], 1, v[24:25]
	flat_load_ushort v29, v[46:47]
	s_waitcnt vmcnt(0) lgkmcnt(0)
	v_mul_f16_e32 v29, s15, v29
	v_cvt_f32_f16_e32 v29, v29
.LBB214_45:
	v_pk_add_f16 v31, v38, v26
	v_max_f16_e32 v46, v116, v116
	v_pk_add_f16 v48, v39, v27
	v_min_f16_e32 v46, v46, v31
	v_lshrrev_b32_e32 v47, 16, v116
	v_lshrrev_b32_e32 v31, 16, v31
	;; [unrolled: 1-line block ×3, first 2 shown]
	v_min3_f16 v31, v47, v31, v49
	v_min3_f16 v31, v46, v48, v31
	v_cvt_f32_f16_e32 v31, v31
	v_mad_i64_i32 v[46:47], s[6:7], v28, s8, 0
	v_max_f32_e32 v28, v29, v29
	v_min_f32_e32 v28, v28, v31
	v_cvt_f16_f32_e32 v31, v28
	v_lshl_add_u64 v[28:29], v[46:47], 1, s[2:3]
	v_lshl_add_u64 v[46:47], v[36:37], 1, v[28:29]
	s_and_b64 vcc, exec, s[0:1]
	flat_store_short v[46:47], v31
	s_cbranch_vccnz .LBB214_47
; %bb.46:
	v_lshl_add_u64 v[30:31], v[40:41], 1, v[24:25]
	flat_load_ushort v30, v[30:31]
	s_waitcnt vmcnt(0) lgkmcnt(0)
	v_mul_f16_e32 v30, s15, v30
	v_cvt_f32_f16_e32 v30, v30
.LBB214_47:
	v_pk_add_f16 v31, v0, v26
	v_max_f16_e32 v46, v115, v115
	v_pk_add_f16 v48, v1, v27
	v_min_f16_e32 v46, v46, v31
	v_lshrrev_b32_e32 v47, 16, v115
	v_lshrrev_b32_e32 v31, 16, v31
	;; [unrolled: 1-line block ×3, first 2 shown]
	v_min3_f16 v31, v47, v31, v49
	v_min3_f16 v31, v46, v48, v31
	v_cvt_f32_f16_e32 v31, v31
	v_max_f32_e32 v30, v30, v30
	s_and_b64 vcc, exec, s[0:1]
	v_min_f32_e32 v30, v30, v31
	v_cvt_f16_f32_e32 v46, v30
	v_lshl_add_u64 v[30:31], v[40:41], 1, v[28:29]
	flat_store_short v[30:31], v46
	v_mov_b32_e32 v30, 0
	v_mov_b32_e32 v31, 0
	s_cbranch_vccnz .LBB214_49
; %bb.48:
	v_lshl_add_u64 v[46:47], v[42:43], 1, v[24:25]
	flat_load_ushort v31, v[46:47]
	s_waitcnt vmcnt(0) lgkmcnt(0)
	v_mul_f16_e32 v31, s15, v31
	v_cvt_f32_f16_e32 v31, v31
.LBB214_49:
	v_pk_add_f16 v46, v2, v26
	v_max_f16_e32 v47, v114, v114
	v_pk_add_f16 v49, v3, v27
	v_min_f16_e32 v47, v47, v46
	v_lshrrev_b32_e32 v48, 16, v114
	v_lshrrev_b32_e32 v46, 16, v46
	;; [unrolled: 1-line block ×3, first 2 shown]
	v_min3_f16 v46, v48, v46, v50
	v_min3_f16 v46, v47, v49, v46
	v_cvt_f32_f16_e32 v46, v46
	v_max_f32_e32 v31, v31, v31
	s_and_b64 vcc, exec, s[0:1]
	v_min_f32_e32 v31, v31, v46
	v_cvt_f16_f32_e32 v31, v31
	v_lshl_add_u64 v[46:47], v[42:43], 1, v[28:29]
	flat_store_short v[46:47], v31
	s_cbranch_vccnz .LBB214_51
; %bb.50:
	v_lshl_add_u64 v[24:25], v[44:45], 1, v[24:25]
	flat_load_ushort v24, v[24:25]
	s_waitcnt vmcnt(0) lgkmcnt(0)
	v_mul_f16_e32 v24, s15, v24
	v_cvt_f32_f16_e32 v30, v24
.LBB214_51:
	v_pk_add_f16 v24, v32, v26
	v_max_f16_e32 v25, v113, v113
	v_pk_add_f16 v27, v33, v27
	v_min_f16_e32 v25, v25, v24
	v_lshrrev_b32_e32 v26, 16, v113
	v_lshrrev_b32_e32 v24, 16, v24
	;; [unrolled: 1-line block ×3, first 2 shown]
	v_min3_f16 v24, v26, v24, v31
	v_min3_f16 v24, v25, v27, v24
	v_cvt_f32_f16_e32 v24, v24
	v_max_f32_e32 v25, v30, v30
	s_and_b64 vcc, exec, s[0:1]
	v_mov_b32_e32 v27, 0
	v_min_f32_e32 v24, v25, v24
	v_cvt_f16_f32_e32 v26, v24
	v_lshl_add_u64 v[24:25], v[44:45], 1, v[28:29]
	v_mov_b32_e32 v28, 0
	flat_store_short v[24:25], v26
	v_add_u32_e32 v26, 40, v52
	v_mad_i64_i32 v[24:25], s[6:7], v26, s10, 0
	v_lshl_add_u64 v[24:25], v[24:25], 1, s[12:13]
	s_cbranch_vccnz .LBB214_53
; %bb.52:
	v_lshl_add_u64 v[30:31], v[36:37], 1, v[24:25]
	flat_load_ushort v27, v[30:31]
	s_waitcnt vmcnt(0) lgkmcnt(0)
	v_mul_f16_e32 v27, s15, v27
	v_cvt_f32_f16_e32 v27, v27
.LBB214_53:
	v_pk_add_f16 v29, v38, v20
	v_max_f16_e32 v30, v112, v112
	v_pk_add_f16 v46, v39, v21
	v_min_f16_e32 v30, v30, v29
	v_lshrrev_b32_e32 v31, 16, v112
	v_lshrrev_b32_e32 v29, 16, v29
	;; [unrolled: 1-line block ×3, first 2 shown]
	v_min3_f16 v29, v31, v29, v47
	v_min3_f16 v29, v30, v46, v29
	v_cvt_f32_f16_e32 v29, v29
	v_mad_i64_i32 v[30:31], s[6:7], v26, s8, 0
	v_max_f32_e32 v26, v27, v27
	v_min_f32_e32 v26, v26, v29
	v_cvt_f16_f32_e32 v29, v26
	v_lshl_add_u64 v[26:27], v[30:31], 1, s[2:3]
	v_lshl_add_u64 v[30:31], v[36:37], 1, v[26:27]
	s_and_b64 vcc, exec, s[0:1]
	flat_store_short v[30:31], v29
	s_cbranch_vccnz .LBB214_55
; %bb.54:
	v_lshl_add_u64 v[28:29], v[40:41], 1, v[24:25]
	flat_load_ushort v28, v[28:29]
	s_waitcnt vmcnt(0) lgkmcnt(0)
	v_mul_f16_e32 v28, s15, v28
	v_cvt_f32_f16_e32 v28, v28
.LBB214_55:
	v_pk_add_f16 v29, v0, v20
	v_max_f16_e32 v30, v106, v106
	v_pk_add_f16 v46, v1, v21
	v_min_f16_e32 v30, v30, v29
	v_lshrrev_b32_e32 v31, 16, v106
	v_lshrrev_b32_e32 v29, 16, v29
	;; [unrolled: 1-line block ×3, first 2 shown]
	v_min3_f16 v29, v31, v29, v47
	v_min3_f16 v29, v30, v46, v29
	v_cvt_f32_f16_e32 v29, v29
	v_max_f32_e32 v28, v28, v28
	s_and_b64 vcc, exec, s[0:1]
	v_min_f32_e32 v28, v28, v29
	v_cvt_f16_f32_e32 v30, v28
	v_lshl_add_u64 v[28:29], v[40:41], 1, v[26:27]
	flat_store_short v[28:29], v30
	v_mov_b32_e32 v28, 0
	v_mov_b32_e32 v29, 0
	s_cbranch_vccnz .LBB214_57
; %bb.56:
	v_lshl_add_u64 v[30:31], v[42:43], 1, v[24:25]
	flat_load_ushort v29, v[30:31]
	s_waitcnt vmcnt(0) lgkmcnt(0)
	v_mul_f16_e32 v29, s15, v29
	v_cvt_f32_f16_e32 v29, v29
.LBB214_57:
	v_pk_add_f16 v30, v2, v20
	v_max_f16_e32 v31, v105, v105
	v_pk_add_f16 v47, v3, v21
	v_min_f16_e32 v31, v31, v30
	v_lshrrev_b32_e32 v46, 16, v105
	v_lshrrev_b32_e32 v30, 16, v30
	;; [unrolled: 1-line block ×3, first 2 shown]
	v_min3_f16 v30, v46, v30, v48
	v_min3_f16 v30, v31, v47, v30
	v_cvt_f32_f16_e32 v30, v30
	v_max_f32_e32 v29, v29, v29
	s_and_b64 vcc, exec, s[0:1]
	v_min_f32_e32 v29, v29, v30
	v_cvt_f16_f32_e32 v29, v29
	v_lshl_add_u64 v[30:31], v[42:43], 1, v[26:27]
	flat_store_short v[30:31], v29
	s_cbranch_vccnz .LBB214_59
; %bb.58:
	v_lshl_add_u64 v[24:25], v[44:45], 1, v[24:25]
	flat_load_ushort v24, v[24:25]
	s_waitcnt vmcnt(0) lgkmcnt(0)
	v_mul_f16_e32 v24, s15, v24
	v_cvt_f32_f16_e32 v28, v24
.LBB214_59:
	v_pk_add_f16 v20, v32, v20
	v_max_f16_e32 v24, v104, v104
	v_pk_add_f16 v21, v33, v21
	v_min_f16_e32 v24, v24, v20
	v_lshrrev_b32_e32 v25, 16, v104
	v_lshrrev_b32_e32 v20, 16, v20
	;; [unrolled: 1-line block ×3, first 2 shown]
	v_min3_f16 v20, v25, v20, v29
	v_min3_f16 v20, v24, v21, v20
	v_cvt_f32_f16_e32 v20, v20
	v_max_f32_e32 v21, v28, v28
	s_and_b64 vcc, exec, s[0:1]
	v_mov_b32_e32 v25, 0
	v_min_f32_e32 v20, v21, v20
	v_cvt_f16_f32_e32 v24, v20
	v_lshl_add_u64 v[20:21], v[44:45], 1, v[26:27]
	v_mov_b32_e32 v26, 0
	flat_store_short v[20:21], v24
	v_add_u32_e32 v24, 48, v52
	v_mad_i64_i32 v[20:21], s[6:7], v24, s10, 0
	v_lshl_add_u64 v[20:21], v[20:21], 1, s[12:13]
	s_cbranch_vccnz .LBB214_61
; %bb.60:
	v_lshl_add_u64 v[28:29], v[36:37], 1, v[20:21]
	flat_load_ushort v25, v[28:29]
	s_waitcnt vmcnt(0) lgkmcnt(0)
	v_mul_f16_e32 v25, s15, v25
	v_cvt_f32_f16_e32 v25, v25
.LBB214_61:
	v_pk_add_f16 v27, v38, v22
	v_max_f16_e32 v28, v103, v103
	v_pk_add_f16 v30, v39, v23
	v_min_f16_e32 v28, v28, v27
	v_lshrrev_b32_e32 v29, 16, v103
	v_lshrrev_b32_e32 v27, 16, v27
	;; [unrolled: 1-line block ×3, first 2 shown]
	v_min3_f16 v27, v29, v27, v31
	v_min3_f16 v27, v28, v30, v27
	v_cvt_f32_f16_e32 v27, v27
	v_mad_i64_i32 v[28:29], s[6:7], v24, s8, 0
	v_max_f32_e32 v24, v25, v25
	v_min_f32_e32 v24, v24, v27
	v_cvt_f16_f32_e32 v27, v24
	v_lshl_add_u64 v[24:25], v[28:29], 1, s[2:3]
	v_lshl_add_u64 v[28:29], v[36:37], 1, v[24:25]
	s_and_b64 vcc, exec, s[0:1]
	flat_store_short v[28:29], v27
	s_cbranch_vccnz .LBB214_63
; %bb.62:
	v_lshl_add_u64 v[26:27], v[40:41], 1, v[20:21]
	flat_load_ushort v26, v[26:27]
	s_waitcnt vmcnt(0) lgkmcnt(0)
	v_mul_f16_e32 v26, s15, v26
	v_cvt_f32_f16_e32 v26, v26
.LBB214_63:
	v_pk_add_f16 v27, v0, v22
	v_max_f16_e32 v28, v102, v102
	v_pk_add_f16 v30, v1, v23
	v_min_f16_e32 v28, v28, v27
	v_lshrrev_b32_e32 v29, 16, v102
	v_lshrrev_b32_e32 v27, 16, v27
	;; [unrolled: 1-line block ×3, first 2 shown]
	v_min3_f16 v27, v29, v27, v31
	v_min3_f16 v27, v28, v30, v27
	v_cvt_f32_f16_e32 v27, v27
	v_max_f32_e32 v26, v26, v26
	s_and_b64 vcc, exec, s[0:1]
	v_min_f32_e32 v26, v26, v27
	v_cvt_f16_f32_e32 v28, v26
	v_lshl_add_u64 v[26:27], v[40:41], 1, v[24:25]
	flat_store_short v[26:27], v28
	v_mov_b32_e32 v26, 0
	v_mov_b32_e32 v27, 0
	s_cbranch_vccnz .LBB214_65
; %bb.64:
	v_lshl_add_u64 v[28:29], v[42:43], 1, v[20:21]
	flat_load_ushort v27, v[28:29]
	s_waitcnt vmcnt(0) lgkmcnt(0)
	v_mul_f16_e32 v27, s15, v27
	v_cvt_f32_f16_e32 v27, v27
.LBB214_65:
	v_pk_add_f16 v28, v2, v22
	v_max_f16_e32 v29, v101, v101
	v_pk_add_f16 v31, v3, v23
	v_min_f16_e32 v29, v29, v28
	v_lshrrev_b32_e32 v30, 16, v101
	v_lshrrev_b32_e32 v28, 16, v28
	;; [unrolled: 1-line block ×3, first 2 shown]
	v_min3_f16 v28, v30, v28, v46
	v_min3_f16 v28, v29, v31, v28
	v_cvt_f32_f16_e32 v28, v28
	v_max_f32_e32 v27, v27, v27
	s_and_b64 vcc, exec, s[0:1]
	v_min_f32_e32 v27, v27, v28
	v_cvt_f16_f32_e32 v27, v27
	v_lshl_add_u64 v[28:29], v[42:43], 1, v[24:25]
	flat_store_short v[28:29], v27
	s_cbranch_vccnz .LBB214_67
; %bb.66:
	v_lshl_add_u64 v[20:21], v[44:45], 1, v[20:21]
	flat_load_ushort v20, v[20:21]
	s_waitcnt vmcnt(0) lgkmcnt(0)
	v_mul_f16_e32 v20, s15, v20
	v_cvt_f32_f16_e32 v26, v20
.LBB214_67:
	v_pk_add_f16 v20, v32, v22
	v_max_f16_e32 v21, v100, v100
	v_pk_add_f16 v23, v33, v23
	v_min_f16_e32 v21, v21, v20
	v_lshrrev_b32_e32 v22, 16, v100
	v_lshrrev_b32_e32 v20, 16, v20
	;; [unrolled: 1-line block ×3, first 2 shown]
	v_min3_f16 v20, v22, v20, v27
	v_min3_f16 v20, v21, v23, v20
	v_cvt_f32_f16_e32 v20, v20
	v_max_f32_e32 v21, v26, v26
	s_and_b64 vcc, exec, s[0:1]
	v_mov_b32_e32 v23, 0
	v_min_f32_e32 v20, v21, v20
	v_cvt_f16_f32_e32 v22, v20
	v_lshl_add_u64 v[20:21], v[44:45], 1, v[24:25]
	v_mov_b32_e32 v24, 0
	flat_store_short v[20:21], v22
	v_add_u32_e32 v22, 56, v52
	v_mad_i64_i32 v[20:21], s[6:7], v22, s10, 0
	v_lshl_add_u64 v[20:21], v[20:21], 1, s[12:13]
	s_cbranch_vccnz .LBB214_69
; %bb.68:
	v_lshl_add_u64 v[26:27], v[36:37], 1, v[20:21]
	flat_load_ushort v23, v[26:27]
	s_waitcnt vmcnt(0) lgkmcnt(0)
	v_mul_f16_e32 v23, s15, v23
	v_cvt_f32_f16_e32 v23, v23
.LBB214_69:
	v_pk_add_f16 v25, v38, v16
	v_max_f16_e32 v26, v99, v99
	v_pk_add_f16 v28, v39, v17
	v_min_f16_e32 v26, v26, v25
	v_lshrrev_b32_e32 v27, 16, v99
	v_lshrrev_b32_e32 v25, 16, v25
	;; [unrolled: 1-line block ×3, first 2 shown]
	v_min3_f16 v25, v27, v25, v29
	v_min3_f16 v25, v26, v28, v25
	v_cvt_f32_f16_e32 v25, v25
	v_mad_i64_i32 v[26:27], s[6:7], v22, s8, 0
	v_max_f32_e32 v22, v23, v23
	v_min_f32_e32 v22, v22, v25
	v_cvt_f16_f32_e32 v25, v22
	v_lshl_add_u64 v[22:23], v[26:27], 1, s[2:3]
	v_lshl_add_u64 v[26:27], v[36:37], 1, v[22:23]
	s_and_b64 vcc, exec, s[0:1]
	flat_store_short v[26:27], v25
	s_cbranch_vccnz .LBB214_71
; %bb.70:
	v_lshl_add_u64 v[24:25], v[40:41], 1, v[20:21]
	flat_load_ushort v24, v[24:25]
	s_waitcnt vmcnt(0) lgkmcnt(0)
	v_mul_f16_e32 v24, s15, v24
	v_cvt_f32_f16_e32 v24, v24
.LBB214_71:
	v_pk_add_f16 v25, v0, v16
	v_max_f16_e32 v26, v98, v98
	v_pk_add_f16 v28, v1, v17
	v_min_f16_e32 v26, v26, v25
	v_lshrrev_b32_e32 v27, 16, v98
	v_lshrrev_b32_e32 v25, 16, v25
	;; [unrolled: 1-line block ×3, first 2 shown]
	v_min3_f16 v25, v27, v25, v29
	v_min3_f16 v25, v26, v28, v25
	v_cvt_f32_f16_e32 v25, v25
	v_max_f32_e32 v24, v24, v24
	s_and_b64 vcc, exec, s[0:1]
	v_min_f32_e32 v24, v24, v25
	v_cvt_f16_f32_e32 v26, v24
	v_lshl_add_u64 v[24:25], v[40:41], 1, v[22:23]
	flat_store_short v[24:25], v26
	v_mov_b32_e32 v24, 0
	v_mov_b32_e32 v25, 0
	s_cbranch_vccnz .LBB214_73
; %bb.72:
	v_lshl_add_u64 v[26:27], v[42:43], 1, v[20:21]
	flat_load_ushort v25, v[26:27]
	s_waitcnt vmcnt(0) lgkmcnt(0)
	v_mul_f16_e32 v25, s15, v25
	v_cvt_f32_f16_e32 v25, v25
.LBB214_73:
	v_pk_add_f16 v26, v2, v16
	v_max_f16_e32 v27, v97, v97
	v_pk_add_f16 v29, v3, v17
	v_min_f16_e32 v27, v27, v26
	v_lshrrev_b32_e32 v28, 16, v97
	v_lshrrev_b32_e32 v26, 16, v26
	;; [unrolled: 1-line block ×3, first 2 shown]
	v_min3_f16 v26, v28, v26, v30
	v_min3_f16 v26, v27, v29, v26
	v_cvt_f32_f16_e32 v26, v26
	v_max_f32_e32 v25, v25, v25
	s_and_b64 vcc, exec, s[0:1]
	v_min_f32_e32 v25, v25, v26
	v_cvt_f16_f32_e32 v25, v25
	v_lshl_add_u64 v[26:27], v[42:43], 1, v[22:23]
	flat_store_short v[26:27], v25
	s_cbranch_vccnz .LBB214_75
; %bb.74:
	v_lshl_add_u64 v[20:21], v[44:45], 1, v[20:21]
	flat_load_ushort v20, v[20:21]
	s_waitcnt vmcnt(0) lgkmcnt(0)
	v_mul_f16_e32 v20, s15, v20
	v_cvt_f32_f16_e32 v24, v20
.LBB214_75:
	v_pk_add_f16 v16, v32, v16
	v_max_f16_e32 v20, v96, v96
	v_pk_add_f16 v17, v33, v17
	v_min_f16_e32 v20, v20, v16
	v_lshrrev_b32_e32 v21, 16, v96
	v_lshrrev_b32_e32 v16, 16, v16
	v_lshrrev_b32_e32 v25, 16, v17
	v_min3_f16 v16, v21, v16, v25
	v_min3_f16 v16, v20, v17, v16
	v_cvt_f32_f16_e32 v16, v16
	v_max_f32_e32 v17, v24, v24
	s_and_b64 vcc, exec, s[0:1]
	v_mov_b32_e32 v21, 0
	v_min_f32_e32 v16, v17, v16
	v_cvt_f16_f32_e32 v20, v16
	v_lshl_add_u64 v[16:17], v[44:45], 1, v[22:23]
	v_mov_b32_e32 v22, 0
	flat_store_short v[16:17], v20
	v_add_u32_e32 v20, 64, v52
	v_mad_i64_i32 v[16:17], s[6:7], v20, s10, 0
	v_lshl_add_u64 v[16:17], v[16:17], 1, s[12:13]
	s_cbranch_vccnz .LBB214_77
; %bb.76:
	v_lshl_add_u64 v[24:25], v[36:37], 1, v[16:17]
	flat_load_ushort v21, v[24:25]
	s_waitcnt vmcnt(0) lgkmcnt(0)
	v_mul_f16_e32 v21, s15, v21
	v_cvt_f32_f16_e32 v21, v21
.LBB214_77:
	v_pk_add_f16 v23, v38, v18
	v_max_f16_e32 v24, v95, v95
	v_pk_add_f16 v26, v39, v19
	v_min_f16_e32 v24, v24, v23
	v_lshrrev_b32_e32 v25, 16, v95
	v_lshrrev_b32_e32 v23, 16, v23
	;; [unrolled: 1-line block ×3, first 2 shown]
	v_min3_f16 v23, v25, v23, v27
	v_min3_f16 v23, v24, v26, v23
	v_cvt_f32_f16_e32 v23, v23
	v_mad_i64_i32 v[24:25], s[6:7], v20, s8, 0
	v_max_f32_e32 v20, v21, v21
	v_min_f32_e32 v20, v20, v23
	v_cvt_f16_f32_e32 v23, v20
	v_lshl_add_u64 v[20:21], v[24:25], 1, s[2:3]
	v_lshl_add_u64 v[24:25], v[36:37], 1, v[20:21]
	s_and_b64 vcc, exec, s[0:1]
	flat_store_short v[24:25], v23
	s_cbranch_vccnz .LBB214_79
; %bb.78:
	v_lshl_add_u64 v[22:23], v[40:41], 1, v[16:17]
	flat_load_ushort v22, v[22:23]
	s_waitcnt vmcnt(0) lgkmcnt(0)
	v_mul_f16_e32 v22, s15, v22
	v_cvt_f32_f16_e32 v22, v22
.LBB214_79:
	v_pk_add_f16 v23, v0, v18
	v_max_f16_e32 v24, v94, v94
	v_pk_add_f16 v26, v1, v19
	v_min_f16_e32 v24, v24, v23
	v_lshrrev_b32_e32 v25, 16, v94
	v_lshrrev_b32_e32 v23, 16, v23
	;; [unrolled: 1-line block ×3, first 2 shown]
	v_min3_f16 v23, v25, v23, v27
	v_min3_f16 v23, v24, v26, v23
	v_cvt_f32_f16_e32 v23, v23
	v_max_f32_e32 v22, v22, v22
	s_and_b64 vcc, exec, s[0:1]
	v_min_f32_e32 v22, v22, v23
	v_cvt_f16_f32_e32 v24, v22
	v_lshl_add_u64 v[22:23], v[40:41], 1, v[20:21]
	flat_store_short v[22:23], v24
	v_mov_b32_e32 v22, 0
	v_mov_b32_e32 v23, 0
	s_cbranch_vccnz .LBB214_81
; %bb.80:
	v_lshl_add_u64 v[24:25], v[42:43], 1, v[16:17]
	flat_load_ushort v23, v[24:25]
	s_waitcnt vmcnt(0) lgkmcnt(0)
	v_mul_f16_e32 v23, s15, v23
	v_cvt_f32_f16_e32 v23, v23
.LBB214_81:
	v_pk_add_f16 v24, v2, v18
	v_max_f16_e32 v25, v93, v93
	v_pk_add_f16 v27, v3, v19
	v_min_f16_e32 v25, v25, v24
	v_lshrrev_b32_e32 v26, 16, v93
	v_lshrrev_b32_e32 v24, 16, v24
	;; [unrolled: 1-line block ×3, first 2 shown]
	v_min3_f16 v24, v26, v24, v28
	v_min3_f16 v24, v25, v27, v24
	v_cvt_f32_f16_e32 v24, v24
	v_max_f32_e32 v23, v23, v23
	s_and_b64 vcc, exec, s[0:1]
	v_min_f32_e32 v23, v23, v24
	v_cvt_f16_f32_e32 v23, v23
	v_lshl_add_u64 v[24:25], v[42:43], 1, v[20:21]
	flat_store_short v[24:25], v23
	s_cbranch_vccnz .LBB214_83
; %bb.82:
	v_lshl_add_u64 v[16:17], v[44:45], 1, v[16:17]
	flat_load_ushort v16, v[16:17]
	s_waitcnt vmcnt(0) lgkmcnt(0)
	v_mul_f16_e32 v16, s15, v16
	v_cvt_f32_f16_e32 v22, v16
.LBB214_83:
	v_pk_add_f16 v16, v32, v18
	v_max_f16_e32 v17, v92, v92
	v_pk_add_f16 v19, v33, v19
	v_min_f16_e32 v17, v17, v16
	v_lshrrev_b32_e32 v18, 16, v92
	v_lshrrev_b32_e32 v16, 16, v16
	;; [unrolled: 1-line block ×3, first 2 shown]
	v_min3_f16 v16, v18, v16, v23
	v_min3_f16 v16, v17, v19, v16
	v_cvt_f32_f16_e32 v16, v16
	v_max_f32_e32 v17, v22, v22
	s_and_b64 vcc, exec, s[0:1]
	v_mov_b32_e32 v19, 0
	v_min_f32_e32 v16, v17, v16
	v_cvt_f16_f32_e32 v18, v16
	v_lshl_add_u64 v[16:17], v[44:45], 1, v[20:21]
	v_mov_b32_e32 v20, 0
	flat_store_short v[16:17], v18
	v_add_u32_e32 v18, 0x48, v52
	v_mad_i64_i32 v[16:17], s[6:7], v18, s10, 0
	v_lshl_add_u64 v[16:17], v[16:17], 1, s[12:13]
	s_cbranch_vccnz .LBB214_85
; %bb.84:
	v_lshl_add_u64 v[22:23], v[36:37], 1, v[16:17]
	flat_load_ushort v19, v[22:23]
	s_waitcnt vmcnt(0) lgkmcnt(0)
	v_mul_f16_e32 v19, s15, v19
	v_cvt_f32_f16_e32 v19, v19
.LBB214_85:
	v_pk_add_f16 v21, v38, v12
	v_max_f16_e32 v22, v91, v91
	v_pk_add_f16 v24, v39, v13
	v_min_f16_e32 v22, v22, v21
	v_lshrrev_b32_e32 v23, 16, v91
	v_lshrrev_b32_e32 v21, 16, v21
	v_lshrrev_b32_e32 v25, 16, v24
	v_min3_f16 v21, v23, v21, v25
	v_min3_f16 v21, v22, v24, v21
	v_cvt_f32_f16_e32 v21, v21
	v_mad_i64_i32 v[22:23], s[6:7], v18, s8, 0
	v_max_f32_e32 v18, v19, v19
	v_min_f32_e32 v18, v18, v21
	v_cvt_f16_f32_e32 v21, v18
	v_lshl_add_u64 v[18:19], v[22:23], 1, s[2:3]
	v_lshl_add_u64 v[22:23], v[36:37], 1, v[18:19]
	s_and_b64 vcc, exec, s[0:1]
	flat_store_short v[22:23], v21
	s_cbranch_vccnz .LBB214_87
; %bb.86:
	v_lshl_add_u64 v[20:21], v[40:41], 1, v[16:17]
	flat_load_ushort v20, v[20:21]
	s_waitcnt vmcnt(0) lgkmcnt(0)
	v_mul_f16_e32 v20, s15, v20
	v_cvt_f32_f16_e32 v20, v20
.LBB214_87:
	v_pk_add_f16 v21, v0, v12
	v_max_f16_e32 v22, v90, v90
	v_pk_add_f16 v24, v1, v13
	v_min_f16_e32 v22, v22, v21
	v_lshrrev_b32_e32 v23, 16, v90
	v_lshrrev_b32_e32 v21, 16, v21
	;; [unrolled: 1-line block ×3, first 2 shown]
	v_min3_f16 v21, v23, v21, v25
	v_min3_f16 v21, v22, v24, v21
	v_cvt_f32_f16_e32 v21, v21
	v_max_f32_e32 v20, v20, v20
	s_and_b64 vcc, exec, s[0:1]
	v_min_f32_e32 v20, v20, v21
	v_cvt_f16_f32_e32 v22, v20
	v_lshl_add_u64 v[20:21], v[40:41], 1, v[18:19]
	flat_store_short v[20:21], v22
	v_mov_b32_e32 v20, 0
	v_mov_b32_e32 v21, 0
	s_cbranch_vccnz .LBB214_89
; %bb.88:
	v_lshl_add_u64 v[22:23], v[42:43], 1, v[16:17]
	flat_load_ushort v21, v[22:23]
	s_waitcnt vmcnt(0) lgkmcnt(0)
	v_mul_f16_e32 v21, s15, v21
	v_cvt_f32_f16_e32 v21, v21
.LBB214_89:
	v_pk_add_f16 v22, v2, v12
	v_max_f16_e32 v23, v89, v89
	v_pk_add_f16 v25, v3, v13
	v_min_f16_e32 v23, v23, v22
	v_lshrrev_b32_e32 v24, 16, v89
	v_lshrrev_b32_e32 v22, 16, v22
	;; [unrolled: 1-line block ×3, first 2 shown]
	v_min3_f16 v22, v24, v22, v26
	v_min3_f16 v22, v23, v25, v22
	v_cvt_f32_f16_e32 v22, v22
	v_max_f32_e32 v21, v21, v21
	s_and_b64 vcc, exec, s[0:1]
	v_min_f32_e32 v21, v21, v22
	v_cvt_f16_f32_e32 v21, v21
	v_lshl_add_u64 v[22:23], v[42:43], 1, v[18:19]
	flat_store_short v[22:23], v21
	s_cbranch_vccnz .LBB214_91
; %bb.90:
	v_lshl_add_u64 v[16:17], v[44:45], 1, v[16:17]
	flat_load_ushort v16, v[16:17]
	s_waitcnt vmcnt(0) lgkmcnt(0)
	v_mul_f16_e32 v16, s15, v16
	v_cvt_f32_f16_e32 v20, v16
.LBB214_91:
	v_pk_add_f16 v12, v32, v12
	v_max_f16_e32 v16, v88, v88
	v_pk_add_f16 v13, v33, v13
	v_min_f16_e32 v16, v16, v12
	v_lshrrev_b32_e32 v17, 16, v88
	v_lshrrev_b32_e32 v12, 16, v12
	;; [unrolled: 1-line block ×3, first 2 shown]
	v_min3_f16 v12, v17, v12, v21
	v_min3_f16 v12, v16, v13, v12
	v_cvt_f32_f16_e32 v12, v12
	v_max_f32_e32 v13, v20, v20
	s_and_b64 vcc, exec, s[0:1]
	v_mov_b32_e32 v17, 0
	v_min_f32_e32 v12, v13, v12
	v_cvt_f16_f32_e32 v16, v12
	v_lshl_add_u64 v[12:13], v[44:45], 1, v[18:19]
	v_mov_b32_e32 v18, 0
	flat_store_short v[12:13], v16
	v_add_u32_e32 v16, 0x50, v52
	v_mad_i64_i32 v[12:13], s[6:7], v16, s10, 0
	v_lshl_add_u64 v[12:13], v[12:13], 1, s[12:13]
	s_cbranch_vccnz .LBB214_93
; %bb.92:
	v_lshl_add_u64 v[20:21], v[36:37], 1, v[12:13]
	flat_load_ushort v17, v[20:21]
	s_waitcnt vmcnt(0) lgkmcnt(0)
	v_mul_f16_e32 v17, s15, v17
	v_cvt_f32_f16_e32 v17, v17
.LBB214_93:
	v_pk_add_f16 v19, v38, v14
	v_max_f16_e32 v20, v86, v86
	v_pk_add_f16 v22, v39, v15
	v_min_f16_e32 v20, v20, v19
	v_lshrrev_b32_e32 v21, 16, v86
	v_lshrrev_b32_e32 v19, 16, v19
	;; [unrolled: 1-line block ×3, first 2 shown]
	v_min3_f16 v19, v21, v19, v23
	v_min3_f16 v19, v20, v22, v19
	v_cvt_f32_f16_e32 v19, v19
	v_mad_i64_i32 v[20:21], s[6:7], v16, s8, 0
	v_max_f32_e32 v16, v17, v17
	v_min_f32_e32 v16, v16, v19
	v_cvt_f16_f32_e32 v19, v16
	v_lshl_add_u64 v[16:17], v[20:21], 1, s[2:3]
	v_lshl_add_u64 v[20:21], v[36:37], 1, v[16:17]
	s_and_b64 vcc, exec, s[0:1]
	flat_store_short v[20:21], v19
	s_cbranch_vccnz .LBB214_95
; %bb.94:
	v_lshl_add_u64 v[18:19], v[40:41], 1, v[12:13]
	flat_load_ushort v18, v[18:19]
	s_waitcnt vmcnt(0) lgkmcnt(0)
	v_mul_f16_e32 v18, s15, v18
	v_cvt_f32_f16_e32 v18, v18
.LBB214_95:
	v_pk_add_f16 v19, v0, v14
	v_max_f16_e32 v20, v84, v84
	v_pk_add_f16 v22, v1, v15
	v_min_f16_e32 v20, v20, v19
	v_lshrrev_b32_e32 v21, 16, v84
	v_lshrrev_b32_e32 v19, 16, v19
	v_lshrrev_b32_e32 v23, 16, v22
	v_min3_f16 v19, v21, v19, v23
	v_min3_f16 v19, v20, v22, v19
	v_cvt_f32_f16_e32 v19, v19
	v_max_f32_e32 v18, v18, v18
	s_and_b64 vcc, exec, s[0:1]
	v_min_f32_e32 v18, v18, v19
	v_cvt_f16_f32_e32 v20, v18
	v_lshl_add_u64 v[18:19], v[40:41], 1, v[16:17]
	flat_store_short v[18:19], v20
	v_mov_b32_e32 v18, 0
	v_mov_b32_e32 v19, 0
	s_cbranch_vccnz .LBB214_97
; %bb.96:
	v_lshl_add_u64 v[20:21], v[42:43], 1, v[12:13]
	flat_load_ushort v19, v[20:21]
	s_waitcnt vmcnt(0) lgkmcnt(0)
	v_mul_f16_e32 v19, s15, v19
	v_cvt_f32_f16_e32 v19, v19
.LBB214_97:
	v_pk_add_f16 v20, v2, v14
	v_max_f16_e32 v21, v83, v83
	v_pk_add_f16 v23, v3, v15
	v_min_f16_e32 v21, v21, v20
	v_lshrrev_b32_e32 v22, 16, v83
	v_lshrrev_b32_e32 v20, 16, v20
	;; [unrolled: 1-line block ×3, first 2 shown]
	v_min3_f16 v20, v22, v20, v24
	v_min3_f16 v20, v21, v23, v20
	v_cvt_f32_f16_e32 v20, v20
	v_max_f32_e32 v19, v19, v19
	s_and_b64 vcc, exec, s[0:1]
	v_min_f32_e32 v19, v19, v20
	v_cvt_f16_f32_e32 v19, v19
	v_lshl_add_u64 v[20:21], v[42:43], 1, v[16:17]
	flat_store_short v[20:21], v19
	s_cbranch_vccnz .LBB214_99
; %bb.98:
	v_lshl_add_u64 v[12:13], v[44:45], 1, v[12:13]
	flat_load_ushort v12, v[12:13]
	s_waitcnt vmcnt(0) lgkmcnt(0)
	v_mul_f16_e32 v12, s15, v12
	v_cvt_f32_f16_e32 v18, v12
.LBB214_99:
	v_pk_add_f16 v12, v32, v14
	v_max_f16_e32 v13, v82, v82
	v_pk_add_f16 v15, v33, v15
	v_min_f16_e32 v13, v13, v12
	v_lshrrev_b32_e32 v14, 16, v82
	v_lshrrev_b32_e32 v12, 16, v12
	;; [unrolled: 1-line block ×3, first 2 shown]
	v_min3_f16 v12, v14, v12, v19
	v_min3_f16 v12, v13, v15, v12
	v_cvt_f32_f16_e32 v12, v12
	v_max_f32_e32 v13, v18, v18
	s_and_b64 vcc, exec, s[0:1]
	v_mov_b32_e32 v15, 0
	v_min_f32_e32 v12, v13, v12
	v_cvt_f16_f32_e32 v14, v12
	v_lshl_add_u64 v[12:13], v[44:45], 1, v[16:17]
	v_mov_b32_e32 v16, 0
	flat_store_short v[12:13], v14
	v_add_u32_e32 v14, 0x58, v52
	v_mad_i64_i32 v[12:13], s[6:7], v14, s10, 0
	v_lshl_add_u64 v[12:13], v[12:13], 1, s[12:13]
	s_cbranch_vccnz .LBB214_101
; %bb.100:
	v_lshl_add_u64 v[18:19], v[36:37], 1, v[12:13]
	flat_load_ushort v15, v[18:19]
	s_waitcnt vmcnt(0) lgkmcnt(0)
	v_mul_f16_e32 v15, s15, v15
	v_cvt_f32_f16_e32 v15, v15
.LBB214_101:
	v_pk_add_f16 v17, v38, v8
	v_max_f16_e32 v18, v81, v81
	v_pk_add_f16 v20, v39, v9
	v_min_f16_e32 v18, v18, v17
	v_lshrrev_b32_e32 v19, 16, v81
	v_lshrrev_b32_e32 v17, 16, v17
	;; [unrolled: 1-line block ×3, first 2 shown]
	v_min3_f16 v17, v19, v17, v21
	v_min3_f16 v17, v18, v20, v17
	v_cvt_f32_f16_e32 v17, v17
	v_mad_i64_i32 v[18:19], s[6:7], v14, s8, 0
	v_max_f32_e32 v14, v15, v15
	v_min_f32_e32 v14, v14, v17
	v_cvt_f16_f32_e32 v17, v14
	v_lshl_add_u64 v[14:15], v[18:19], 1, s[2:3]
	v_lshl_add_u64 v[18:19], v[36:37], 1, v[14:15]
	s_and_b64 vcc, exec, s[0:1]
	flat_store_short v[18:19], v17
	s_cbranch_vccnz .LBB214_103
; %bb.102:
	v_lshl_add_u64 v[16:17], v[40:41], 1, v[12:13]
	flat_load_ushort v16, v[16:17]
	s_waitcnt vmcnt(0) lgkmcnt(0)
	v_mul_f16_e32 v16, s15, v16
	v_cvt_f32_f16_e32 v16, v16
.LBB214_103:
	v_pk_add_f16 v17, v0, v8
	v_max_f16_e32 v18, v80, v80
	v_pk_add_f16 v20, v1, v9
	v_min_f16_e32 v18, v18, v17
	v_lshrrev_b32_e32 v19, 16, v80
	v_lshrrev_b32_e32 v17, 16, v17
	;; [unrolled: 1-line block ×3, first 2 shown]
	v_min3_f16 v17, v19, v17, v21
	v_min3_f16 v17, v18, v20, v17
	v_cvt_f32_f16_e32 v17, v17
	v_max_f32_e32 v16, v16, v16
	s_and_b64 vcc, exec, s[0:1]
	v_min_f32_e32 v16, v16, v17
	v_cvt_f16_f32_e32 v18, v16
	v_lshl_add_u64 v[16:17], v[40:41], 1, v[14:15]
	flat_store_short v[16:17], v18
	v_mov_b32_e32 v16, 0
	v_mov_b32_e32 v17, 0
	s_cbranch_vccnz .LBB214_105
; %bb.104:
	v_lshl_add_u64 v[18:19], v[42:43], 1, v[12:13]
	flat_load_ushort v17, v[18:19]
	s_waitcnt vmcnt(0) lgkmcnt(0)
	v_mul_f16_e32 v17, s15, v17
	v_cvt_f32_f16_e32 v17, v17
.LBB214_105:
	v_pk_add_f16 v18, v2, v8
	v_max_f16_e32 v19, v79, v79
	v_pk_add_f16 v21, v3, v9
	v_min_f16_e32 v19, v19, v18
	v_lshrrev_b32_e32 v20, 16, v79
	v_lshrrev_b32_e32 v18, 16, v18
	;; [unrolled: 1-line block ×3, first 2 shown]
	v_min3_f16 v18, v20, v18, v22
	v_min3_f16 v18, v19, v21, v18
	v_cvt_f32_f16_e32 v18, v18
	v_max_f32_e32 v17, v17, v17
	s_and_b64 vcc, exec, s[0:1]
	v_min_f32_e32 v17, v17, v18
	v_cvt_f16_f32_e32 v17, v17
	v_lshl_add_u64 v[18:19], v[42:43], 1, v[14:15]
	flat_store_short v[18:19], v17
	s_cbranch_vccnz .LBB214_107
; %bb.106:
	v_lshl_add_u64 v[12:13], v[44:45], 1, v[12:13]
	flat_load_ushort v12, v[12:13]
	s_waitcnt vmcnt(0) lgkmcnt(0)
	v_mul_f16_e32 v12, s15, v12
	v_cvt_f32_f16_e32 v16, v12
.LBB214_107:
	v_pk_add_f16 v8, v32, v8
	v_max_f16_e32 v12, v77, v77
	v_pk_add_f16 v9, v33, v9
	v_min_f16_e32 v12, v12, v8
	v_lshrrev_b32_e32 v13, 16, v77
	v_lshrrev_b32_e32 v8, 16, v8
	;; [unrolled: 1-line block ×3, first 2 shown]
	v_min3_f16 v8, v13, v8, v17
	v_min3_f16 v8, v12, v9, v8
	v_cvt_f32_f16_e32 v8, v8
	v_max_f32_e32 v9, v16, v16
	s_and_b64 vcc, exec, s[0:1]
	v_mov_b32_e32 v13, 0
	v_min_f32_e32 v8, v9, v8
	v_cvt_f16_f32_e32 v12, v8
	v_lshl_add_u64 v[8:9], v[44:45], 1, v[14:15]
	v_mov_b32_e32 v14, 0
	flat_store_short v[8:9], v12
	v_add_u32_e32 v12, 0x60, v52
	v_mad_i64_i32 v[8:9], s[6:7], v12, s10, 0
	v_lshl_add_u64 v[8:9], v[8:9], 1, s[12:13]
	s_cbranch_vccnz .LBB214_109
; %bb.108:
	v_lshl_add_u64 v[16:17], v[36:37], 1, v[8:9]
	flat_load_ushort v13, v[16:17]
	s_waitcnt vmcnt(0) lgkmcnt(0)
	v_mul_f16_e32 v13, s15, v13
	v_cvt_f32_f16_e32 v13, v13
.LBB214_109:
	v_pk_add_f16 v15, v38, v10
	v_max_f16_e32 v16, v75, v75
	v_pk_add_f16 v18, v39, v11
	v_min_f16_e32 v16, v16, v15
	v_lshrrev_b32_e32 v17, 16, v75
	v_lshrrev_b32_e32 v15, 16, v15
	;; [unrolled: 1-line block ×3, first 2 shown]
	v_min3_f16 v15, v17, v15, v19
	v_min3_f16 v15, v16, v18, v15
	v_cvt_f32_f16_e32 v15, v15
	v_mad_i64_i32 v[16:17], s[6:7], v12, s8, 0
	v_max_f32_e32 v12, v13, v13
	v_min_f32_e32 v12, v12, v15
	v_cvt_f16_f32_e32 v15, v12
	v_lshl_add_u64 v[12:13], v[16:17], 1, s[2:3]
	v_lshl_add_u64 v[16:17], v[36:37], 1, v[12:13]
	s_and_b64 vcc, exec, s[0:1]
	flat_store_short v[16:17], v15
	s_cbranch_vccnz .LBB214_111
; %bb.110:
	v_lshl_add_u64 v[14:15], v[40:41], 1, v[8:9]
	flat_load_ushort v14, v[14:15]
	s_waitcnt vmcnt(0) lgkmcnt(0)
	v_mul_f16_e32 v14, s15, v14
	v_cvt_f32_f16_e32 v14, v14
.LBB214_111:
	v_pk_add_f16 v15, v0, v10
	v_max_f16_e32 v16, v74, v74
	v_pk_add_f16 v18, v1, v11
	v_min_f16_e32 v16, v16, v15
	v_lshrrev_b32_e32 v17, 16, v74
	v_lshrrev_b32_e32 v15, 16, v15
	;; [unrolled: 1-line block ×3, first 2 shown]
	v_min3_f16 v15, v17, v15, v19
	v_min3_f16 v15, v16, v18, v15
	v_cvt_f32_f16_e32 v15, v15
	v_max_f32_e32 v14, v14, v14
	s_and_b64 vcc, exec, s[0:1]
	v_min_f32_e32 v14, v14, v15
	v_cvt_f16_f32_e32 v16, v14
	v_lshl_add_u64 v[14:15], v[40:41], 1, v[12:13]
	flat_store_short v[14:15], v16
	v_mov_b32_e32 v14, 0
	v_mov_b32_e32 v15, 0
	s_cbranch_vccnz .LBB214_113
; %bb.112:
	v_lshl_add_u64 v[16:17], v[42:43], 1, v[8:9]
	flat_load_ushort v15, v[16:17]
	s_waitcnt vmcnt(0) lgkmcnt(0)
	v_mul_f16_e32 v15, s15, v15
	v_cvt_f32_f16_e32 v15, v15
.LBB214_113:
	v_pk_add_f16 v16, v2, v10
	v_max_f16_e32 v17, v71, v71
	v_pk_add_f16 v19, v3, v11
	v_min_f16_e32 v17, v17, v16
	v_lshrrev_b32_e32 v18, 16, v71
	v_lshrrev_b32_e32 v16, 16, v16
	;; [unrolled: 1-line block ×3, first 2 shown]
	v_min3_f16 v16, v18, v16, v20
	v_min3_f16 v16, v17, v19, v16
	v_cvt_f32_f16_e32 v16, v16
	v_max_f32_e32 v15, v15, v15
	s_and_b64 vcc, exec, s[0:1]
	v_min_f32_e32 v15, v15, v16
	v_cvt_f16_f32_e32 v15, v15
	v_lshl_add_u64 v[16:17], v[42:43], 1, v[12:13]
	flat_store_short v[16:17], v15
	s_cbranch_vccnz .LBB214_115
; %bb.114:
	v_lshl_add_u64 v[8:9], v[44:45], 1, v[8:9]
	flat_load_ushort v8, v[8:9]
	s_waitcnt vmcnt(0) lgkmcnt(0)
	v_mul_f16_e32 v8, s15, v8
	v_cvt_f32_f16_e32 v14, v8
.LBB214_115:
	v_pk_add_f16 v8, v32, v10
	v_max_f16_e32 v9, v70, v70
	v_pk_add_f16 v11, v33, v11
	v_min_f16_e32 v9, v9, v8
	v_lshrrev_b32_e32 v10, 16, v70
	v_lshrrev_b32_e32 v8, 16, v8
	;; [unrolled: 1-line block ×3, first 2 shown]
	v_min3_f16 v8, v10, v8, v15
	v_min3_f16 v8, v9, v11, v8
	v_cvt_f32_f16_e32 v8, v8
	v_max_f32_e32 v9, v14, v14
	s_and_b64 vcc, exec, s[0:1]
	v_mov_b32_e32 v11, 0
	v_min_f32_e32 v8, v9, v8
	v_cvt_f16_f32_e32 v10, v8
	v_lshl_add_u64 v[8:9], v[44:45], 1, v[12:13]
	v_mov_b32_e32 v12, 0
	flat_store_short v[8:9], v10
	v_add_u32_e32 v10, 0x68, v52
	v_mad_i64_i32 v[8:9], s[6:7], v10, s10, 0
	v_lshl_add_u64 v[8:9], v[8:9], 1, s[12:13]
	s_cbranch_vccnz .LBB214_117
; %bb.116:
	v_lshl_add_u64 v[14:15], v[36:37], 1, v[8:9]
	flat_load_ushort v11, v[14:15]
	s_waitcnt vmcnt(0) lgkmcnt(0)
	v_mul_f16_e32 v11, s15, v11
	v_cvt_f32_f16_e32 v11, v11
.LBB214_117:
	v_pk_add_f16 v13, v38, v4
	v_max_f16_e32 v14, v69, v69
	v_pk_add_f16 v16, v39, v5
	v_min_f16_e32 v14, v14, v13
	v_lshrrev_b32_e32 v15, 16, v69
	v_lshrrev_b32_e32 v13, 16, v13
	;; [unrolled: 1-line block ×3, first 2 shown]
	v_min3_f16 v13, v15, v13, v17
	v_min3_f16 v13, v14, v16, v13
	v_cvt_f32_f16_e32 v13, v13
	v_mad_i64_i32 v[14:15], s[6:7], v10, s8, 0
	v_max_f32_e32 v10, v11, v11
	v_min_f32_e32 v10, v10, v13
	v_cvt_f16_f32_e32 v13, v10
	v_lshl_add_u64 v[10:11], v[14:15], 1, s[2:3]
	v_lshl_add_u64 v[14:15], v[36:37], 1, v[10:11]
	s_and_b64 vcc, exec, s[0:1]
	flat_store_short v[14:15], v13
	s_cbranch_vccnz .LBB214_119
; %bb.118:
	v_lshl_add_u64 v[12:13], v[40:41], 1, v[8:9]
	flat_load_ushort v12, v[12:13]
	s_waitcnt vmcnt(0) lgkmcnt(0)
	v_mul_f16_e32 v12, s15, v12
	v_cvt_f32_f16_e32 v12, v12
.LBB214_119:
	v_pk_add_f16 v13, v0, v4
	v_max_f16_e32 v14, v68, v68
	v_pk_add_f16 v16, v1, v5
	v_min_f16_e32 v14, v14, v13
	v_lshrrev_b32_e32 v15, 16, v68
	v_lshrrev_b32_e32 v13, 16, v13
	;; [unrolled: 1-line block ×3, first 2 shown]
	v_min3_f16 v13, v15, v13, v17
	v_min3_f16 v13, v14, v16, v13
	v_cvt_f32_f16_e32 v13, v13
	v_max_f32_e32 v12, v12, v12
	s_and_b64 vcc, exec, s[0:1]
	v_min_f32_e32 v12, v12, v13
	v_cvt_f16_f32_e32 v14, v12
	v_lshl_add_u64 v[12:13], v[40:41], 1, v[10:11]
	flat_store_short v[12:13], v14
	v_mov_b32_e32 v12, 0
	v_mov_b32_e32 v13, 0
	s_cbranch_vccnz .LBB214_121
; %bb.120:
	v_lshl_add_u64 v[14:15], v[42:43], 1, v[8:9]
	flat_load_ushort v13, v[14:15]
	s_waitcnt vmcnt(0) lgkmcnt(0)
	v_mul_f16_e32 v13, s15, v13
	v_cvt_f32_f16_e32 v13, v13
.LBB214_121:
	v_pk_add_f16 v14, v2, v4
	v_max_f16_e32 v15, v67, v67
	v_pk_add_f16 v17, v3, v5
	v_min_f16_e32 v15, v15, v14
	v_lshrrev_b32_e32 v16, 16, v67
	v_lshrrev_b32_e32 v14, 16, v14
	;; [unrolled: 1-line block ×3, first 2 shown]
	v_min3_f16 v14, v16, v14, v18
	v_min3_f16 v14, v15, v17, v14
	v_cvt_f32_f16_e32 v14, v14
	v_max_f32_e32 v13, v13, v13
	s_and_b64 vcc, exec, s[0:1]
	v_min_f32_e32 v13, v13, v14
	v_cvt_f16_f32_e32 v13, v13
	v_lshl_add_u64 v[14:15], v[42:43], 1, v[10:11]
	flat_store_short v[14:15], v13
	s_cbranch_vccnz .LBB214_123
; %bb.122:
	v_lshl_add_u64 v[8:9], v[44:45], 1, v[8:9]
	flat_load_ushort v8, v[8:9]
	s_waitcnt vmcnt(0) lgkmcnt(0)
	v_mul_f16_e32 v8, s15, v8
	v_cvt_f32_f16_e32 v12, v8
.LBB214_123:
	v_pk_add_f16 v4, v32, v4
	v_max_f16_e32 v8, v66, v66
	v_pk_add_f16 v5, v33, v5
	v_min_f16_e32 v8, v8, v4
	v_lshrrev_b32_e32 v9, 16, v66
	v_lshrrev_b32_e32 v4, 16, v4
	;; [unrolled: 1-line block ×3, first 2 shown]
	v_min3_f16 v4, v9, v4, v13
	v_min3_f16 v4, v8, v5, v4
	v_cvt_f32_f16_e32 v4, v4
	v_max_f32_e32 v5, v12, v12
	s_and_b64 vcc, exec, s[0:1]
	v_mov_b32_e32 v9, 0
	v_min_f32_e32 v4, v5, v4
	v_cvt_f16_f32_e32 v8, v4
	v_lshl_add_u64 v[4:5], v[44:45], 1, v[10:11]
	v_mov_b32_e32 v10, 0
	flat_store_short v[4:5], v8
	v_add_u32_e32 v8, 0x70, v52
	v_mad_i64_i32 v[4:5], s[6:7], v8, s10, 0
	v_lshl_add_u64 v[4:5], v[4:5], 1, s[12:13]
	s_cbranch_vccnz .LBB214_125
; %bb.124:
	v_lshl_add_u64 v[12:13], v[36:37], 1, v[4:5]
	flat_load_ushort v9, v[12:13]
	s_waitcnt vmcnt(0) lgkmcnt(0)
	v_mul_f16_e32 v9, s15, v9
	v_cvt_f32_f16_e32 v9, v9
.LBB214_125:
	v_pk_add_f16 v11, v38, v6
	v_max_f16_e32 v12, v65, v65
	v_pk_add_f16 v14, v39, v7
	v_min_f16_e32 v12, v12, v11
	v_lshrrev_b32_e32 v13, 16, v65
	v_lshrrev_b32_e32 v11, 16, v11
	v_lshrrev_b32_e32 v15, 16, v14
	v_min3_f16 v11, v13, v11, v15
	v_min3_f16 v11, v12, v14, v11
	v_cvt_f32_f16_e32 v11, v11
	v_mad_i64_i32 v[12:13], s[6:7], v8, s8, 0
	v_max_f32_e32 v8, v9, v9
	v_min_f32_e32 v8, v8, v11
	v_cvt_f16_f32_e32 v11, v8
	v_lshl_add_u64 v[8:9], v[12:13], 1, s[2:3]
	v_lshl_add_u64 v[12:13], v[36:37], 1, v[8:9]
	s_and_b64 vcc, exec, s[0:1]
	flat_store_short v[12:13], v11
	s_cbranch_vccnz .LBB214_127
; %bb.126:
	v_lshl_add_u64 v[10:11], v[40:41], 1, v[4:5]
	flat_load_ushort v10, v[10:11]
	s_waitcnt vmcnt(0) lgkmcnt(0)
	v_mul_f16_e32 v10, s15, v10
	v_cvt_f32_f16_e32 v10, v10
.LBB214_127:
	v_pk_add_f16 v11, v0, v6
	v_max_f16_e32 v12, v64, v64
	v_pk_add_f16 v14, v1, v7
	v_min_f16_e32 v12, v12, v11
	v_lshrrev_b32_e32 v13, 16, v64
	v_lshrrev_b32_e32 v11, 16, v11
	;; [unrolled: 1-line block ×3, first 2 shown]
	v_min3_f16 v11, v13, v11, v15
	v_min3_f16 v11, v12, v14, v11
	v_cvt_f32_f16_e32 v11, v11
	v_max_f32_e32 v10, v10, v10
	s_and_b64 vcc, exec, s[0:1]
	v_min_f32_e32 v10, v10, v11
	v_cvt_f16_f32_e32 v12, v10
	v_lshl_add_u64 v[10:11], v[40:41], 1, v[8:9]
	flat_store_short v[10:11], v12
	v_mov_b32_e32 v10, 0
	v_mov_b32_e32 v11, 0
	s_cbranch_vccnz .LBB214_129
; %bb.128:
	v_lshl_add_u64 v[12:13], v[42:43], 1, v[4:5]
	flat_load_ushort v11, v[12:13]
	s_waitcnt vmcnt(0) lgkmcnt(0)
	v_mul_f16_e32 v11, s15, v11
	v_cvt_f32_f16_e32 v11, v11
.LBB214_129:
	v_pk_add_f16 v12, v2, v6
	v_max_f16_e32 v13, v63, v63
	v_pk_add_f16 v15, v3, v7
	v_min_f16_e32 v13, v13, v12
	v_lshrrev_b32_e32 v14, 16, v63
	v_lshrrev_b32_e32 v12, 16, v12
	;; [unrolled: 1-line block ×3, first 2 shown]
	v_min3_f16 v12, v14, v12, v16
	v_min3_f16 v12, v13, v15, v12
	v_cvt_f32_f16_e32 v12, v12
	v_max_f32_e32 v11, v11, v11
	s_and_b64 vcc, exec, s[0:1]
	v_min_f32_e32 v11, v11, v12
	v_cvt_f16_f32_e32 v11, v11
	v_lshl_add_u64 v[12:13], v[42:43], 1, v[8:9]
	flat_store_short v[12:13], v11
	s_cbranch_vccnz .LBB214_131
; %bb.130:
	v_lshl_add_u64 v[4:5], v[44:45], 1, v[4:5]
	flat_load_ushort v4, v[4:5]
	s_waitcnt vmcnt(0) lgkmcnt(0)
	v_mul_f16_e32 v4, s15, v4
	v_cvt_f32_f16_e32 v10, v4
.LBB214_131:
	v_pk_add_f16 v4, v32, v6
	v_max_f16_e32 v5, v62, v62
	v_pk_add_f16 v7, v33, v7
	v_min_f16_e32 v5, v5, v4
	v_lshrrev_b32_e32 v6, 16, v62
	v_lshrrev_b32_e32 v4, 16, v4
	;; [unrolled: 1-line block ×3, first 2 shown]
	v_min3_f16 v4, v6, v4, v11
	v_min3_f16 v4, v5, v7, v4
	v_cvt_f32_f16_e32 v4, v4
	v_max_f32_e32 v5, v10, v10
	s_and_b64 vcc, exec, s[0:1]
	v_mov_b32_e32 v7, 0
	v_min_f32_e32 v4, v5, v4
	v_cvt_f16_f32_e32 v6, v4
	v_lshl_add_u64 v[4:5], v[44:45], 1, v[8:9]
	v_mov_b32_e32 v8, 0
	flat_store_short v[4:5], v6
	v_add_u32_e32 v6, 0x78, v52
	v_mad_i64_i32 v[4:5], s[6:7], v6, s10, 0
	v_lshl_add_u64 v[4:5], v[4:5], 1, s[12:13]
	s_cbranch_vccnz .LBB214_133
; %bb.132:
	v_lshl_add_u64 v[10:11], v[36:37], 1, v[4:5]
	flat_load_ushort v7, v[10:11]
	s_waitcnt vmcnt(0) lgkmcnt(0)
	v_mul_f16_e32 v7, s15, v7
	v_cvt_f32_f16_e32 v7, v7
.LBB214_133:
	v_pk_add_f16 v9, v38, v34
	v_max_f16_e32 v10, v61, v61
	v_pk_add_f16 v12, v39, v35
	v_min_f16_e32 v10, v10, v9
	v_lshrrev_b32_e32 v11, 16, v61
	v_lshrrev_b32_e32 v9, 16, v9
	;; [unrolled: 1-line block ×3, first 2 shown]
	v_min3_f16 v9, v11, v9, v13
	v_min3_f16 v9, v10, v12, v9
	v_cvt_f32_f16_e32 v9, v9
	v_mad_i64_i32 v[10:11], s[6:7], v6, s8, 0
	v_max_f32_e32 v6, v7, v7
	v_min_f32_e32 v6, v6, v9
	v_cvt_f16_f32_e32 v9, v6
	v_lshl_add_u64 v[6:7], v[10:11], 1, s[2:3]
	v_lshl_add_u64 v[10:11], v[36:37], 1, v[6:7]
	s_and_b64 vcc, exec, s[0:1]
	flat_store_short v[10:11], v9
	s_cbranch_vccnz .LBB214_135
; %bb.134:
	v_lshl_add_u64 v[8:9], v[40:41], 1, v[4:5]
	flat_load_ushort v8, v[8:9]
	s_waitcnt vmcnt(0) lgkmcnt(0)
	v_mul_f16_e32 v8, s15, v8
	v_cvt_f32_f16_e32 v8, v8
.LBB214_135:
	v_pk_add_f16 v0, v0, v34
	v_max_f16_e32 v9, v60, v60
	v_pk_add_f16 v1, v1, v35
	v_min_f16_e32 v9, v9, v0
	v_lshrrev_b32_e32 v10, 16, v60
	v_lshrrev_b32_e32 v0, 16, v0
	;; [unrolled: 1-line block ×3, first 2 shown]
	v_min3_f16 v0, v10, v0, v11
	v_min3_f16 v0, v9, v1, v0
	v_cvt_f32_f16_e32 v0, v0
	v_max_f32_e32 v8, v8, v8
	v_pk_add_f16 v1, v2, v34
	v_max_f16_e32 v2, v58, v58
	v_min_f32_e32 v0, v8, v0
	v_cvt_f16_f32_e32 v8, v0
	v_pk_add_f16 v3, v3, v35
	v_min_f16_e32 v2, v2, v1
	v_lshrrev_b32_e32 v9, 16, v58
	v_lshrrev_b32_e32 v1, 16, v1
	;; [unrolled: 1-line block ×3, first 2 shown]
	v_min3_f16 v9, v9, v1, v0
	v_lshl_add_u64 v[0:1], v[40:41], 1, v[6:7]
	flat_store_short v[0:1], v8
	v_min3_f16 v0, v2, v3, v9
	s_mov_b64 s[0:1], -1
	s_mov_b64 vcc, s[4:5]
	s_cbranch_vccz .LBB214_137
; %bb.136:
	v_cvt_f32_f16_e32 v1, v0
	v_lshl_add_u64 v[2:3], v[42:43], 1, v[6:7]
	s_mov_b64 s[0:1], 0
	v_min_f32_e32 v1, 0, v1
	v_cvt_f16_f32_e32 v1, v1
	flat_store_short v[2:3], v1
.LBB214_137:
	s_andn2_b64 vcc, exec, s[0:1]
	v_mov_b32_e32 v1, 0
	s_cbranch_vccnz .LBB214_139
; %bb.138:
	v_lshlrev_b64 v[2:3], 1, v[42:43]
	v_lshl_add_u64 v[8:9], v[4:5], 0, v[2:3]
	flat_load_ushort v8, v[8:9]
	v_max_f16_e32 v9, v0, v0
	v_lshl_add_u64 v[0:1], v[6:7], 0, v[2:3]
	s_waitcnt vmcnt(0) lgkmcnt(0)
	v_mul_f16_e32 v2, s15, v8
	v_min_f16_e32 v2, v2, v9
	flat_store_short v[0:1], v2
	v_lshl_add_u64 v[0:1], v[44:45], 1, v[4:5]
	flat_load_ushort v0, v[0:1]
	s_waitcnt vmcnt(0) lgkmcnt(0)
	v_mul_f16_e32 v0, s15, v0
	v_cvt_f32_f16_e32 v1, v0
.LBB214_139:
	v_pk_add_f16 v0, v32, v34
	v_max_f16_e32 v2, v59, v59
	v_pk_add_f16 v3, v33, v35
	v_min_f16_e32 v2, v2, v0
	v_lshrrev_b32_e32 v4, 16, v59
	v_lshrrev_b32_e32 v0, 16, v0
	;; [unrolled: 1-line block ×3, first 2 shown]
	v_min3_f16 v0, v4, v0, v5
	v_min3_f16 v0, v2, v3, v0
	v_cvt_f32_f16_e32 v0, v0
	v_max_f32_e32 v1, v1, v1
	v_min_f32_e32 v0, v1, v0
	v_cvt_f16_f32_e32 v2, v0
	v_lshl_add_u64 v[0:1], v[44:45], 1, v[6:7]
	flat_store_short v[0:1], v2
	s_endpgm
	.section	.rodata,"a",@progbits
	.p2align	6, 0x0
	.amdhsa_kernel _ZN12_GLOBAL__N_120geam_min_plus_kernelIDF16_Dv2_DF16_S1_Li32ELi8ELi128ELi128ELi4ELi4ELi64ELi4ELi64ELc84ELc78ELb1ELb0ELb1EDF16_KPKDF16_KPDF16_EEviiiT16_PT17_ilS9_ilS7_S9_ilPT18_ili26rocblas_geam_ex_operation_
		.amdhsa_group_segment_fixed_size 4096
		.amdhsa_private_segment_fixed_size 0
		.amdhsa_kernarg_size 128
		.amdhsa_user_sgpr_count 2
		.amdhsa_user_sgpr_dispatch_ptr 0
		.amdhsa_user_sgpr_queue_ptr 0
		.amdhsa_user_sgpr_kernarg_segment_ptr 1
		.amdhsa_user_sgpr_dispatch_id 0
		.amdhsa_user_sgpr_kernarg_preload_length 0
		.amdhsa_user_sgpr_kernarg_preload_offset 0
		.amdhsa_user_sgpr_private_segment_size 0
		.amdhsa_uses_dynamic_stack 0
		.amdhsa_enable_private_segment 0
		.amdhsa_system_sgpr_workgroup_id_x 1
		.amdhsa_system_sgpr_workgroup_id_y 0
		.amdhsa_system_sgpr_workgroup_id_z 1
		.amdhsa_system_sgpr_workgroup_info 0
		.amdhsa_system_vgpr_workitem_id 1
		.amdhsa_next_free_vgpr 226
		.amdhsa_next_free_sgpr 24
		.amdhsa_accum_offset 228
		.amdhsa_reserve_vcc 1
		.amdhsa_float_round_mode_32 0
		.amdhsa_float_round_mode_16_64 0
		.amdhsa_float_denorm_mode_32 3
		.amdhsa_float_denorm_mode_16_64 3
		.amdhsa_dx10_clamp 1
		.amdhsa_ieee_mode 1
		.amdhsa_fp16_overflow 0
		.amdhsa_tg_split 0
		.amdhsa_exception_fp_ieee_invalid_op 0
		.amdhsa_exception_fp_denorm_src 0
		.amdhsa_exception_fp_ieee_div_zero 0
		.amdhsa_exception_fp_ieee_overflow 0
		.amdhsa_exception_fp_ieee_underflow 0
		.amdhsa_exception_fp_ieee_inexact 0
		.amdhsa_exception_int_div_zero 0
	.end_amdhsa_kernel
	.section	.text._ZN12_GLOBAL__N_120geam_min_plus_kernelIDF16_Dv2_DF16_S1_Li32ELi8ELi128ELi128ELi4ELi4ELi64ELi4ELi64ELc84ELc78ELb1ELb0ELb1EDF16_KPKDF16_KPDF16_EEviiiT16_PT17_ilS9_ilS7_S9_ilPT18_ili26rocblas_geam_ex_operation_,"axG",@progbits,_ZN12_GLOBAL__N_120geam_min_plus_kernelIDF16_Dv2_DF16_S1_Li32ELi8ELi128ELi128ELi4ELi4ELi64ELi4ELi64ELc84ELc78ELb1ELb0ELb1EDF16_KPKDF16_KPDF16_EEviiiT16_PT17_ilS9_ilS7_S9_ilPT18_ili26rocblas_geam_ex_operation_,comdat
.Lfunc_end214:
	.size	_ZN12_GLOBAL__N_120geam_min_plus_kernelIDF16_Dv2_DF16_S1_Li32ELi8ELi128ELi128ELi4ELi4ELi64ELi4ELi64ELc84ELc78ELb1ELb0ELb1EDF16_KPKDF16_KPDF16_EEviiiT16_PT17_ilS9_ilS7_S9_ilPT18_ili26rocblas_geam_ex_operation_, .Lfunc_end214-_ZN12_GLOBAL__N_120geam_min_plus_kernelIDF16_Dv2_DF16_S1_Li32ELi8ELi128ELi128ELi4ELi4ELi64ELi4ELi64ELc84ELc78ELb1ELb0ELb1EDF16_KPKDF16_KPDF16_EEviiiT16_PT17_ilS9_ilS7_S9_ilPT18_ili26rocblas_geam_ex_operation_
                                        ; -- End function
	.set _ZN12_GLOBAL__N_120geam_min_plus_kernelIDF16_Dv2_DF16_S1_Li32ELi8ELi128ELi128ELi4ELi4ELi64ELi4ELi64ELc84ELc78ELb1ELb0ELb1EDF16_KPKDF16_KPDF16_EEviiiT16_PT17_ilS9_ilS7_S9_ilPT18_ili26rocblas_geam_ex_operation_.num_vgpr, 226
	.set _ZN12_GLOBAL__N_120geam_min_plus_kernelIDF16_Dv2_DF16_S1_Li32ELi8ELi128ELi128ELi4ELi4ELi64ELi4ELi64ELc84ELc78ELb1ELb0ELb1EDF16_KPKDF16_KPDF16_EEviiiT16_PT17_ilS9_ilS7_S9_ilPT18_ili26rocblas_geam_ex_operation_.num_agpr, 0
	.set _ZN12_GLOBAL__N_120geam_min_plus_kernelIDF16_Dv2_DF16_S1_Li32ELi8ELi128ELi128ELi4ELi4ELi64ELi4ELi64ELc84ELc78ELb1ELb0ELb1EDF16_KPKDF16_KPDF16_EEviiiT16_PT17_ilS9_ilS7_S9_ilPT18_ili26rocblas_geam_ex_operation_.numbered_sgpr, 24
	.set _ZN12_GLOBAL__N_120geam_min_plus_kernelIDF16_Dv2_DF16_S1_Li32ELi8ELi128ELi128ELi4ELi4ELi64ELi4ELi64ELc84ELc78ELb1ELb0ELb1EDF16_KPKDF16_KPDF16_EEviiiT16_PT17_ilS9_ilS7_S9_ilPT18_ili26rocblas_geam_ex_operation_.num_named_barrier, 0
	.set _ZN12_GLOBAL__N_120geam_min_plus_kernelIDF16_Dv2_DF16_S1_Li32ELi8ELi128ELi128ELi4ELi4ELi64ELi4ELi64ELc84ELc78ELb1ELb0ELb1EDF16_KPKDF16_KPDF16_EEviiiT16_PT17_ilS9_ilS7_S9_ilPT18_ili26rocblas_geam_ex_operation_.private_seg_size, 0
	.set _ZN12_GLOBAL__N_120geam_min_plus_kernelIDF16_Dv2_DF16_S1_Li32ELi8ELi128ELi128ELi4ELi4ELi64ELi4ELi64ELc84ELc78ELb1ELb0ELb1EDF16_KPKDF16_KPDF16_EEviiiT16_PT17_ilS9_ilS7_S9_ilPT18_ili26rocblas_geam_ex_operation_.uses_vcc, 1
	.set _ZN12_GLOBAL__N_120geam_min_plus_kernelIDF16_Dv2_DF16_S1_Li32ELi8ELi128ELi128ELi4ELi4ELi64ELi4ELi64ELc84ELc78ELb1ELb0ELb1EDF16_KPKDF16_KPDF16_EEviiiT16_PT17_ilS9_ilS7_S9_ilPT18_ili26rocblas_geam_ex_operation_.uses_flat_scratch, 0
	.set _ZN12_GLOBAL__N_120geam_min_plus_kernelIDF16_Dv2_DF16_S1_Li32ELi8ELi128ELi128ELi4ELi4ELi64ELi4ELi64ELc84ELc78ELb1ELb0ELb1EDF16_KPKDF16_KPDF16_EEviiiT16_PT17_ilS9_ilS7_S9_ilPT18_ili26rocblas_geam_ex_operation_.has_dyn_sized_stack, 0
	.set _ZN12_GLOBAL__N_120geam_min_plus_kernelIDF16_Dv2_DF16_S1_Li32ELi8ELi128ELi128ELi4ELi4ELi64ELi4ELi64ELc84ELc78ELb1ELb0ELb1EDF16_KPKDF16_KPDF16_EEviiiT16_PT17_ilS9_ilS7_S9_ilPT18_ili26rocblas_geam_ex_operation_.has_recursion, 0
	.set _ZN12_GLOBAL__N_120geam_min_plus_kernelIDF16_Dv2_DF16_S1_Li32ELi8ELi128ELi128ELi4ELi4ELi64ELi4ELi64ELc84ELc78ELb1ELb0ELb1EDF16_KPKDF16_KPDF16_EEviiiT16_PT17_ilS9_ilS7_S9_ilPT18_ili26rocblas_geam_ex_operation_.has_indirect_call, 0
	.section	.AMDGPU.csdata,"",@progbits
; Kernel info:
; codeLenInByte = 17052
; TotalNumSgprs: 30
; NumVgprs: 226
; NumAgprs: 0
; TotalNumVgprs: 226
; ScratchSize: 0
; MemoryBound: 0
; FloatMode: 240
; IeeeMode: 1
; LDSByteSize: 4096 bytes/workgroup (compile time only)
; SGPRBlocks: 3
; VGPRBlocks: 28
; NumSGPRsForWavesPerEU: 30
; NumVGPRsForWavesPerEU: 226
; AccumOffset: 228
; Occupancy: 2
; WaveLimiterHint : 1
; COMPUTE_PGM_RSRC2:SCRATCH_EN: 0
; COMPUTE_PGM_RSRC2:USER_SGPR: 2
; COMPUTE_PGM_RSRC2:TRAP_HANDLER: 0
; COMPUTE_PGM_RSRC2:TGID_X_EN: 1
; COMPUTE_PGM_RSRC2:TGID_Y_EN: 0
; COMPUTE_PGM_RSRC2:TGID_Z_EN: 1
; COMPUTE_PGM_RSRC2:TIDIG_COMP_CNT: 1
; COMPUTE_PGM_RSRC3_GFX90A:ACCUM_OFFSET: 56
; COMPUTE_PGM_RSRC3_GFX90A:TG_SPLIT: 0
	.section	.text._ZN12_GLOBAL__N_120geam_min_plus_kernelIDF16_Dv2_DF16_S1_Li32ELi8ELi128ELi128ELi4ELi4ELi64ELi4ELi64ELc84ELc78ELb0ELb0ELb1EDF16_KPKDF16_KPDF16_EEviiiT16_PT17_ilS9_ilS7_S9_ilPT18_ili26rocblas_geam_ex_operation_,"axG",@progbits,_ZN12_GLOBAL__N_120geam_min_plus_kernelIDF16_Dv2_DF16_S1_Li32ELi8ELi128ELi128ELi4ELi4ELi64ELi4ELi64ELc84ELc78ELb0ELb0ELb1EDF16_KPKDF16_KPDF16_EEviiiT16_PT17_ilS9_ilS7_S9_ilPT18_ili26rocblas_geam_ex_operation_,comdat
	.globl	_ZN12_GLOBAL__N_120geam_min_plus_kernelIDF16_Dv2_DF16_S1_Li32ELi8ELi128ELi128ELi4ELi4ELi64ELi4ELi64ELc84ELc78ELb0ELb0ELb1EDF16_KPKDF16_KPDF16_EEviiiT16_PT17_ilS9_ilS7_S9_ilPT18_ili26rocblas_geam_ex_operation_ ; -- Begin function _ZN12_GLOBAL__N_120geam_min_plus_kernelIDF16_Dv2_DF16_S1_Li32ELi8ELi128ELi128ELi4ELi4ELi64ELi4ELi64ELc84ELc78ELb0ELb0ELb1EDF16_KPKDF16_KPDF16_EEviiiT16_PT17_ilS9_ilS7_S9_ilPT18_ili26rocblas_geam_ex_operation_
	.p2align	8
	.type	_ZN12_GLOBAL__N_120geam_min_plus_kernelIDF16_Dv2_DF16_S1_Li32ELi8ELi128ELi128ELi4ELi4ELi64ELi4ELi64ELc84ELc78ELb0ELb0ELb1EDF16_KPKDF16_KPDF16_EEviiiT16_PT17_ilS9_ilS7_S9_ilPT18_ili26rocblas_geam_ex_operation_,@function
_ZN12_GLOBAL__N_120geam_min_plus_kernelIDF16_Dv2_DF16_S1_Li32ELi8ELi128ELi128ELi4ELi4ELi64ELi4ELi64ELc84ELc78ELb0ELb0ELb1EDF16_KPKDF16_KPDF16_EEviiiT16_PT17_ilS9_ilS7_S9_ilPT18_ili26rocblas_geam_ex_operation_: ; @_ZN12_GLOBAL__N_120geam_min_plus_kernelIDF16_Dv2_DF16_S1_Li32ELi8ELi128ELi128ELi4ELi4ELi64ELi4ELi64ELc84ELc78ELb0ELb0ELb1EDF16_KPKDF16_KPDF16_EEviiiT16_PT17_ilS9_ilS7_S9_ilPT18_ili26rocblas_geam_ex_operation_
; %bb.0:
	s_load_dwordx2 s[18:19], s[0:1], 0x8
	s_load_dwordx4 s[8:11], s[0:1], 0x20
	s_mov_b32 s6, s3
	s_mov_b32 s7, 0
	s_waitcnt lgkmcnt(0)
	v_cmp_eq_f16_e64 s[12:13], s19, 0
	s_and_b64 s[4:5], exec, s[12:13]
	s_mov_b64 vcc, s[4:5]
	s_cbranch_vccnz .LBB215_3
; %bb.1:
	s_load_dwordx2 s[14:15], s[0:1], 0x10
	s_lshl_b64 s[16:17], s[6:7], 3
	s_waitcnt lgkmcnt(0)
	s_add_u32 s14, s14, s16
	s_addc_u32 s15, s15, s17
	s_load_dwordx2 s[14:15], s[14:15], 0x0
	s_lshl_b64 s[8:9], s[8:9], 1
	s_waitcnt lgkmcnt(0)
	s_add_u32 s20, s14, s8
	s_addc_u32 s21, s15, s9
	s_andn2_b64 vcc, exec, s[12:13]
	s_cbranch_vccnz .LBB215_4
.LBB215_2:
	s_mov_b32 s27, 0
	s_mov_b32 s26, s6
	s_mov_b64 s[16:17], 0
	s_mov_b64 s[22:23], 0
	s_cbranch_execz .LBB215_5
	s_branch .LBB215_6
.LBB215_3:
	s_mov_b64 s[20:21], 0
	s_andn2_b64 vcc, exec, s[12:13]
	s_cbranch_vccz .LBB215_2
.LBB215_4:
	s_mov_b64 s[26:27], s[6:7]
	s_mov_b64 s[16:17], 0
	;; [unrolled: 1-line block ×3, first 2 shown]
.LBB215_5:
	s_lshl_b64 s[6:7], s[6:7], 3
	s_add_u32 s6, s10, s6
	s_load_dwordx2 s[8:9], s[0:1], 0x38
	s_addc_u32 s7, s11, s7
	s_load_dwordx2 s[6:7], s[6:7], 0x0
	s_waitcnt lgkmcnt(0)
	s_lshl_b64 s[8:9], s[8:9], 1
	s_add_u32 s22, s6, s8
	s_addc_u32 s23, s7, s9
.LBB215_6:
	s_load_dword s28, s[0:1], 0x40
	s_load_dwordx4 s[12:15], s[0:1], 0x58
	v_cmp_neq_f16_e64 s[24:25], s19, 0
	s_waitcnt lgkmcnt(0)
	v_cmp_eq_f16_e64 s[6:7], s28, 0
	s_and_b64 s[8:9], exec, s[6:7]
	s_mov_b64 vcc, s[8:9]
	s_cbranch_vccnz .LBB215_8
; %bb.7:
	s_load_dwordx2 s[6:7], s[0:1], 0x48
	s_lshl_b64 s[10:11], s[26:27], 3
	s_waitcnt lgkmcnt(0)
	s_add_u32 s6, s6, s10
	s_addc_u32 s7, s7, s11
	s_load_dwordx2 s[6:7], s[6:7], 0x0
	s_lshl_b64 s[10:11], s[12:13], 1
	s_waitcnt lgkmcnt(0)
	s_add_u32 s16, s6, s10
	s_addc_u32 s17, s7, s11
.LBB215_8:
	s_load_dword s3, s[0:1], 0x0
	s_load_dword s29, s[0:1], 0x18
	s_lshl_b64 s[6:7], s[26:27], 3
	s_add_u32 s10, s14, s6
	s_addc_u32 s11, s15, s7
	s_waitcnt lgkmcnt(0)
	s_add_i32 s3, s3, -1
	s_ashr_i32 s6, s3, 31
	s_lshr_b32 s6, s6, 25
	s_add_i32 s3, s3, s6
	s_ashr_i32 s3, s3, 7
	s_add_i32 s6, s3, 1
	v_cvt_f32_u32_e32 v1, s6
	v_and_b32_e32 v87, 0x3ff, v0
	v_bfe_u32 v88, v0, 10, 10
	v_and_b32_e32 v4, 3, v0
	v_rcp_iflag_f32_e32 v2, v1
	s_not_b32 s3, s3
	v_mov_b32_e32 v1, 0
	v_mul_f32_e32 v0, 0x4f7ffffe, v2
	v_cvt_u32_f32_e32 v0, v0
	v_lshl_add_u32 v2, v88, 5, v87
	v_lshrrev_b32_e32 v5, 2, v2
	v_cndmask_b32_e64 v2, 0, 1, s[24:25]
	v_readfirstlane_b32 s7, v0
	s_mul_i32 s3, s3, s7
	s_mul_hi_u32 s3, s7, s3
	s_add_i32 s7, s7, s3
	s_mul_hi_u32 s3, s2, s7
	s_mul_i32 s7, s3, s6
	s_sub_i32 s7, s2, s7
	s_add_i32 s12, s3, 1
	s_sub_i32 s13, s7, s6
	s_cmp_ge_u32 s7, s6
	s_cselect_b32 s3, s12, s3
	s_cselect_b32 s7, s13, s7
	s_add_i32 s12, s3, 1
	s_cmp_ge_u32 s7, s6
	s_cselect_b32 s3, s12, s3
	s_mul_i32 s6, s3, s6
	s_sub_i32 s2, s2, s6
	s_lshl_b32 s12, s2, 7
	v_lshlrev_b32_e32 v0, 1, v4
	v_add_u32_e32 v32, s12, v5
	v_cmp_ne_u32_e64 s[6:7], 1, v2
	s_andn2_b64 vcc, exec, s[24:25]
	v_lshl_add_u64 v[2:3], s[20:21], 0, v[0:1]
	s_cbranch_vccnz .LBB215_10
; %bb.9:
	v_mad_i64_i32 v[6:7], s[14:15], v32, s29, 0
	v_lshl_add_u64 v[6:7], v[6:7], 1, v[2:3]
	flat_load_ushort v1, v[6:7]
	s_waitcnt vmcnt(0) lgkmcnt(0)
	v_mul_f16_e32 v1, s19, v1
.LBB215_10:
	s_load_dword s24, s[0:1], 0x30
	s_lshl_b32 s13, s3, 7
	v_and_b32_e32 v7, 0xffff, v1
	s_mov_b64 vcc, s[4:5]
	s_cbranch_vccz .LBB215_12
; %bb.11:
	v_and_b32_e32 v105, 0xffff, v7
	s_mov_b64 s[2:3], 0
	s_branch .LBB215_13
.LBB215_12:
	s_mov_b64 s[2:3], -1
                                        ; implicit-def: $vgpr105
.LBB215_13:
	v_add_u32_e32 v34, s13, v5
	v_mov_b32_e32 v6, 0
	v_mov_b32_e32 v36, 0
	s_andn2_b64 vcc, exec, s[2:3]
	v_add_u32_e32 v33, 64, v32
	v_add_u32_e32 v35, 64, v34
	v_mov_b32_e32 v37, 0
	s_cbranch_vccnz .LBB215_15
; %bb.14:
	v_mad_i64_i32 v[8:9], s[2:3], v33, s29, 0
	v_lshl_add_u64 v[8:9], v[8:9], 1, v[2:3]
	v_mov_b32_e32 v1, 0
	flat_load_ushort v12, v[8:9]
	v_lshl_add_u64 v[8:9], s[22:23], 0, v[0:1]
	s_waitcnt lgkmcnt(0)
	v_mad_i64_i32 v[10:11], s[2:3], v34, s24, 0
	v_lshl_add_u64 v[10:11], v[10:11], 1, v[8:9]
	flat_load_ushort v1, v[10:11]
	v_mad_i64_i32 v[10:11], s[2:3], v35, s24, 0
	v_lshl_add_u64 v[8:9], v[10:11], 1, v[8:9]
	flat_load_ushort v8, v[8:9]
	s_mov_b32 s2, 0x5040100
	s_waitcnt vmcnt(0)
	v_mul_f16_e32 v9, s19, v12
	v_perm_b32 v105, v9, v7, s2
	s_waitcnt lgkmcnt(0)
	v_mul_f16_e32 v1, s19, v1
	v_pack_b32_f16 v36, v1, 0
	v_mul_f16_e32 v37, s19, v8
.LBB215_15:
	s_and_b64 vcc, exec, s[6:7]
	s_cbranch_vccnz .LBB215_17
; %bb.16:
	v_mad_i64_i32 v[6:7], s[2:3], v32, s29, 0
	v_lshl_add_u64 v[6:7], v[6:7], 1, v[2:3]
	flat_load_ushort v1, v[6:7] offset:8
	s_waitcnt vmcnt(0) lgkmcnt(0)
	v_mul_f16_e32 v6, s19, v1
.LBB215_17:
	v_and_b32_e32 v6, 0xffff, v6
	s_mov_b64 vcc, s[4:5]
	s_cbranch_vccz .LBB215_20
; %bb.18:
	v_and_b32_e32 v109, 0xffff, v6
	s_cbranch_execz .LBB215_21
; %bb.19:
	v_mov_b32_e32 v39, 0
	v_mov_b32_e32 v38, 0
	s_branch .LBB215_22
.LBB215_20:
                                        ; implicit-def: $vgpr109
.LBB215_21:
	v_mad_i64_i32 v[8:9], s[2:3], v33, s29, 0
	v_lshl_add_u64 v[2:3], v[8:9], 1, v[2:3]
	v_mov_b32_e32 v1, 0
	flat_load_ushort v7, v[2:3] offset:8
	v_lshl_add_u64 v[0:1], s[22:23], 0, v[0:1]
	s_waitcnt lgkmcnt(0)
	v_mad_i64_i32 v[2:3], s[2:3], v34, s24, 0
	v_lshl_add_u64 v[2:3], v[2:3], 1, v[0:1]
	flat_load_ushort v8, v[2:3] offset:8
	v_mad_i64_i32 v[2:3], s[2:3], v35, s24, 0
	v_lshl_add_u64 v[0:1], v[2:3], 1, v[0:1]
	flat_load_ushort v0, v[0:1] offset:8
	s_mov_b32 s2, 0x5040100
	s_waitcnt vmcnt(0)
	v_mul_f16_e32 v1, s19, v7
	v_perm_b32 v109, v1, v6, s2
	s_waitcnt lgkmcnt(0)
	v_mul_f16_e32 v1, s19, v8
	v_pack_b32_f16 v38, v1, 0
	v_mul_f16_e32 v39, s19, v0
.LBB215_22:
	v_lshlrev_b32_e32 v0, 3, v5
	v_lshlrev_b32_e32 v96, 3, v88
	v_lshl_or_b32 v111, v4, 1, v0
	v_lshlrev_b32_e32 v98, 3, v87
	v_add_u32_e32 v113, 0x800, v96
	s_load_dwordx2 s[2:3], s[10:11], 0x0
	ds_write_b16 v111, v105
	ds_write_b16_d16_hi v111, v105 offset:512
	ds_write_b16 v111, v36 offset:2048
	ds_write_b16 v111, v37 offset:2560
	s_waitcnt lgkmcnt(0)
	s_barrier
	ds_read2_b64 v[4:7], v98 offset1:32
	ds_read2_b64 v[0:3], v98 offset0:64 offset1:96
	ds_read2_b64 v[40:43], v113 offset1:8
	ds_read2_b64 v[44:47], v113 offset0:16 offset1:24
	ds_read2_b64 v[28:31], v113 offset0:32 offset1:40
	;; [unrolled: 1-line block ×7, first 2 shown]
	s_movk_i32 s10, 0x7c00
	s_cmp_lt_i32 s18, 9
	s_waitcnt lgkmcnt(7)
	v_pk_add_f16 v48, v4, v40
	v_pk_add_f16 v49, v6, v40
	v_pk_add_f16 v50, v0, v40
	v_pk_add_f16 v40, v2, v40
	v_pk_add_f16 v51, v4, v42
	v_pk_add_f16 v52, v6, v42
	v_pk_add_f16 v53, v0, v42
	v_pk_add_f16 v42, v2, v42
	s_waitcnt lgkmcnt(6)
	v_pk_add_f16 v54, v4, v44
	v_pk_add_f16 v55, v6, v44
	v_pk_add_f16 v56, v0, v44
	v_pk_add_f16 v44, v2, v44
	v_pk_add_f16 v57, v4, v46
	v_pk_add_f16 v58, v6, v46
	v_pk_add_f16 v59, v0, v46
	v_pk_add_f16 v46, v2, v46
	;; [unrolled: 9-line block ×8, first 2 shown]
	v_pk_add_f16 v2, v5, v41
	v_pk_min_f16 v10, v48, s10 op_sel_hi:[1,0]
	v_pk_min_f16 v8, v8, s10 op_sel_hi:[1,0]
	v_pk_min_f16 v129, v10, v2
	v_pk_add_f16 v2, v7, v41
	v_pk_min_f16 v10, v49, s10 op_sel_hi:[1,0]
	v_pk_min_f16 v4, v4, s10 op_sel_hi:[1,0]
	v_pk_min_f16 v128, v10, v2
	;; [unrolled: 4-line block ×3, first 2 shown]
	v_pk_add_f16 v2, v3, v41
	v_pk_min_f16 v10, v40, s10 op_sel_hi:[1,0]
	ds_write_b16 v111, v109 offset:1024
	ds_write_b16_d16_hi v111, v109 offset:1536
	ds_write_b16 v111, v38 offset:3072
	ds_write_b16 v111, v39 offset:3584
	v_pk_min_f16 v126, v10, v2
	v_pk_add_f16 v2, v5, v43
	v_pk_min_f16 v10, v51, s10 op_sel_hi:[1,0]
	s_waitcnt lgkmcnt(0)
	v_pk_min_f16 v125, v10, v2
	v_pk_add_f16 v2, v7, v43
	v_pk_min_f16 v10, v52, s10 op_sel_hi:[1,0]
	s_barrier
	v_pk_min_f16 v124, v10, v2
	v_pk_add_f16 v2, v1, v43
	v_pk_min_f16 v10, v53, s10 op_sel_hi:[1,0]
	s_nop 0
	v_pk_min_f16 v123, v10, v2
	v_pk_add_f16 v2, v3, v43
	v_pk_min_f16 v10, v42, s10 op_sel_hi:[1,0]
	s_nop 0
	;; [unrolled: 4-line block ×52, first 2 shown]
	v_pk_min_f16 v64, v10, v2
	v_pk_add_f16 v2, v1, v9
	v_pk_min_f16 v10, v142, s10 op_sel_hi:[1,0]
	v_pk_add_f16 v1, v1, v11
	v_pk_min_f16 v63, v10, v2
	v_pk_add_f16 v2, v3, v9
	s_nop 0
	v_pk_min_f16 v61, v8, v2
	v_pk_add_f16 v2, v5, v11
	s_nop 0
	v_pk_min_f16 v60, v4, v2
	v_pk_add_f16 v2, v7, v11
	v_pk_min_f16 v4, v6, s10 op_sel_hi:[1,0]
	s_nop 0
	v_pk_min_f16 v58, v4, v2
	v_pk_min_f16 v2, v143, s10 op_sel_hi:[1,0]
	s_nop 0
	v_pk_min_f16 v59, v2, v1
	v_pk_add_f16 v1, v3, v11
	s_nop 0
	v_pk_min_f16 v62, v0, v1
	s_cbranch_scc1 .LBB215_37
; %bb.23:
	v_mov_b32_e32 v0, 0x400
	v_lshl_add_u32 v133, v87, 3, v0
	v_mov_b32_e32 v0, 0xc00
	v_lshl_add_u32 v134, v88, 3, v0
	v_and_b32_e32 v0, 3, v87
	v_lshlrev_b32_e32 v40, 1, v0
	v_mad_i64_i32 v[0:1], s[10:11], s24, v35, 0
	v_lshl_add_u64 v[42:43], v[0:1], 1, s[22:23]
	v_mad_i64_i32 v[0:1], s[10:11], s24, v34, 0
	v_lshl_add_u64 v[44:45], v[0:1], 1, s[22:23]
	v_mad_i64_i32 v[0:1], s[10:11], s29, v33, 0
	s_mov_b32 s15, 0x5040100
	v_lshl_add_u64 v[46:47], v[0:1], 1, s[20:21]
	v_mad_i64_i32 v[0:1], s[10:11], s29, v32, 0
	v_add_u32_e32 v130, 0x800, v111
	v_add_u32_e32 v131, 0x400, v111
	;; [unrolled: 1-line block ×3, first 2 shown]
	s_add_i32 s14, s18, -8
	v_perm_b32 v36, v37, v36, s15
	v_perm_b32 v137, v39, v38, s15
	v_mov_b32_e32 v41, 0
	v_lshl_add_u64 v[48:49], v[0:1], 1, s[20:21]
	s_mov_b32 s18, 0
	s_mov_b32 s20, 0xffff
	s_branch .LBB215_25
.LBB215_24:                             ;   in Loop: Header=BB215_25 Depth=1
	v_pk_add_f16 v50, v4, v36
	v_pk_max_f16 v51, v129, v129
	v_pk_max_f16 v52, v128, v128
	v_pk_min_f16 v50, v51, v50
	v_pk_add_f16 v51, v6, v36
	v_pk_max_f16 v53, v127, v127
	v_pk_min_f16 v51, v52, v51
	v_pk_add_f16 v52, v0, v36
	v_pk_add_f16 v36, v2, v36
	v_pk_min_f16 v52, v53, v52
	v_pk_max_f16 v53, v126, v126
	v_pk_max_f16 v54, v125, v125
	v_pk_min_f16 v36, v53, v36
	v_pk_add_f16 v53, v4, v38
	v_pk_max_f16 v55, v124, v124
	v_pk_min_f16 v53, v54, v53
	v_pk_add_f16 v54, v6, v38
	v_pk_max_f16 v122, v122, v122
	v_pk_min_f16 v54, v55, v54
	v_pk_add_f16 v55, v0, v38
	v_pk_add_f16 v38, v2, v38
	v_pk_max_f16 v121, v121, v121
	v_pk_min_f16 v38, v122, v38
	v_pk_add_f16 v122, v4, v32
	v_pk_max_f16 v120, v120, v120
	v_pk_min_f16 v121, v121, v122
	v_pk_add_f16 v122, v6, v32
	v_pk_max_f16 v118, v118, v118
	v_pk_min_f16 v120, v120, v122
	v_pk_add_f16 v122, v0, v32
	v_pk_add_f16 v32, v2, v32
	;; [unrolled: 10-line block ×13, first 2 shown]
	v_pk_max_f16 v65, v65, v65
	v_pk_min_f16 v14, v66, v14
	v_pk_add_f16 v66, v4, v8
	v_pk_max_f16 v64, v64, v64
	v_pk_min_f16 v65, v65, v66
	v_pk_add_f16 v66, v6, v8
	v_pk_add_f16 v4, v4, v10
	v_pk_min_f16 v64, v64, v66
	v_pk_add_f16 v66, v0, v8
	v_pk_add_f16 v8, v2, v8
	;; [unrolled: 1-line block ×3, first 2 shown]
	v_pk_max_f16 v58, v58, v58
	v_pk_add_f16 v0, v0, v10
	v_pk_add_f16 v2, v2, v10
	v_pk_max_f16 v10, v62, v62
	v_pk_min_f16 v6, v58, v6
	v_pk_max_f16 v58, v59, v59
	v_pk_min_f16 v2, v10, v2
	v_pk_add_f16 v10, v5, v37
	v_pk_min_f16 v0, v58, v0
	v_pk_min_f16 v58, v50, v10
	v_pk_add_f16 v10, v7, v37
	v_pk_max_f16 v60, v60, v60
	v_pk_min_f16 v59, v51, v10
	v_pk_add_f16 v10, v1, v37
	v_pk_min_f16 v4, v60, v4
	v_pk_min_f16 v60, v52, v10
	v_pk_add_f16 v10, v3, v37
	v_pk_max_f16 v61, v61, v61
	v_pk_min_f16 v37, v36, v10
	v_pk_add_f16 v10, v5, v39
	v_pk_max_f16 v123, v123, v123
	v_pk_min_f16 v8, v61, v8
	v_pk_min_f16 v61, v53, v10
	v_pk_add_f16 v10, v7, v39
	v_pk_min_f16 v55, v123, v55
	v_pk_min_f16 v54, v54, v10
	v_pk_add_f16 v10, v1, v39
	v_pk_max_f16 v119, v119, v119
	v_pk_min_f16 v55, v55, v10
	v_pk_add_f16 v10, v3, v39
	v_pk_min_f16 v119, v119, v122
	v_pk_min_f16 v38, v38, v10
	v_pk_add_f16 v10, v5, v33
	v_pk_max_f16 v63, v63, v63
	v_pk_min_f16 v39, v121, v10
	v_pk_add_f16 v10, v7, v33
	v_pk_max_f16 v67, v67, v67
	v_pk_min_f16 v62, v120, v10
	v_pk_add_f16 v10, v1, v33
	v_pk_min_f16 v63, v63, v66
	v_pk_min_f16 v66, v119, v10
	v_pk_add_f16 v10, v3, v33
	v_pk_max_f16 v71, v71, v71
	v_pk_min_f16 v67, v67, v70
	v_pk_min_f16 v70, v32, v10
	v_pk_add_f16 v10, v5, v35
	v_pk_max_f16 v115, v115, v115
	v_pk_max_f16 v75, v75, v75
	v_pk_min_f16 v71, v71, v74
	v_pk_min_f16 v74, v117, v10
	v_pk_add_f16 v10, v7, v35
	v_pk_min_f16 v115, v115, v118
	v_pk_max_f16 v79, v79, v79
	v_pk_min_f16 v75, v75, v78
	v_pk_min_f16 v78, v116, v10
	v_pk_add_f16 v10, v1, v35
	v_pk_max_f16 v83, v83, v83
	v_pk_min_f16 v79, v79, v82
	v_pk_min_f16 v82, v115, v10
	v_pk_add_f16 v10, v3, v35
	;; [unrolled: 4-line block ×3, first 2 shown]
	v_pk_max_f16 v108, v108, v108
	v_pk_max_f16 v93, v93, v93
	v_pk_min_f16 v89, v89, v92
	v_pk_min_f16 v92, v112, v10
	v_pk_add_f16 v10, v7, v29
	v_pk_min_f16 v108, v108, v114
	v_pk_max_f16 v99, v99, v99
	v_pk_min_f16 v93, v93, v97
	v_pk_min_f16 v97, v110, v10
	v_pk_add_f16 v10, v1, v29
	v_pk_max_f16 v103, v103, v103
	v_pk_min_f16 v99, v99, v102
	v_pk_min_f16 v102, v108, v10
	v_pk_add_f16 v10, v3, v29
	v_pk_min_f16 v103, v103, v107
	v_pk_min_f16 v107, v28, v10
	v_pk_add_f16 v10, v5, v31
	v_pk_max_f16 v60, v60, v60
	v_pk_min_f16 v106, v106, v10
	v_pk_add_f16 v10, v7, v31
	v_pk_max_f16 v38, v38, v38
	;; [unrolled: 3-line block ×4, first 2 shown]
	v_pk_min_f16 v137, v30, v10
	v_pk_add_f16 v10, v5, v25
	v_perm_b32 v36, v136, v135, s15
	v_pk_min_f16 v101, v101, v10
	v_pk_add_f16 v10, v7, v25
	v_pk_max_f16 v58, v58, v58
	v_pk_min_f16 v100, v100, v10
	v_pk_add_f16 v10, v1, v25
	v_pk_max_f16 v59, v59, v59
	;; [unrolled: 3-line block ×4, first 2 shown]
	v_pk_min_f16 v95, v95, v10
	v_pk_add_f16 v10, v7, v27
	s_add_i32 s18, s18, 8
	v_pk_min_f16 v94, v94, v10
	v_pk_add_f16 v10, v1, v27
	v_lshl_add_u64 v[42:43], v[42:43], 0, 16
	v_pk_min_f16 v93, v93, v10
	v_pk_add_f16 v10, v3, v27
	v_lshl_add_u64 v[44:45], v[44:45], 0, 16
	;; [unrolled: 3-line block ×3, first 2 shown]
	v_pk_min_f16 v91, v91, v10
	v_pk_add_f16 v10, v7, v21
	s_cmp_ge_i32 s18, s14
	v_pk_min_f16 v90, v90, v10
	v_pk_add_f16 v10, v1, v21
	v_lshl_add_u64 v[48:49], v[48:49], 0, 16
	v_pk_min_f16 v89, v89, v10
	v_pk_add_f16 v10, v3, v21
	s_nop 0
	v_pk_min_f16 v140, v20, v10
	v_pk_add_f16 v10, v5, v23
	s_nop 0
	;; [unrolled: 3-line block ×21, first 2 shown]
	v_pk_min_f16 v145, v14, v10
	v_pk_add_f16 v10, v5, v9
	v_pk_add_f16 v5, v5, v11
	v_pk_min_f16 v65, v65, v10
	v_pk_add_f16 v10, v7, v9
	v_pk_min_f16 v147, v4, v5
	v_pk_min_f16 v64, v64, v10
	v_pk_add_f16 v10, v1, v9
	v_pk_add_f16 v1, v1, v11
	;; [unrolled: 1-line block ×4, first 2 shown]
	v_pk_min_f16 v149, v0, v1
	v_pk_add_f16 v0, v3, v11
	v_pk_min_f16 v63, v63, v10
	v_pk_min_f16 v146, v8, v9
	;; [unrolled: 1-line block ×4, first 2 shown]
	ds_read2_b64 v[4:7], v98 offset1:32
	ds_read2_b64 v[0:3], v98 offset0:64 offset1:96
	ds_read2_b64 v[32:35], v113 offset1:8
	ds_read2_b64 v[50:53], v113 offset0:16 offset1:24
	ds_read2_b64 v[28:31], v113 offset0:32 offset1:40
	ds_read2_b64 v[24:27], v113 offset0:48 offset1:56
	ds_read2_b64 v[20:23], v113 offset0:64 offset1:72
	ds_read2_b64 v[16:19], v113 offset0:80 offset1:88
	ds_read2_b64 v[12:15], v113 offset0:96 offset1:104
	ds_read2_b64 v[8:11], v113 offset0:112 offset1:120
	s_waitcnt lgkmcnt(7)
	v_pk_add_f16 v112, v0, v32
	v_pk_add_f16 v114, v4, v34
	;; [unrolled: 1-line block ×8, first 2 shown]
	s_waitcnt lgkmcnt(6)
	v_pk_add_f16 v117, v4, v50
	v_pk_add_f16 v118, v6, v50
	;; [unrolled: 1-line block ×9, first 2 shown]
	v_pk_min_f16 v60, v60, v112
	v_pk_min_f16 v34, v38, v34
	v_pk_add_f16 v136, v6, v52
	v_pk_add_f16 v120, v5, v33
	;; [unrolled: 1-line block ×8, first 2 shown]
	v_pk_min_f16 v127, v60, v122
	v_pk_min_f16 v32, v37, v32
	;; [unrolled: 1-line block ×3, first 2 shown]
	v_pk_max_f16 v35, v39, v39
	v_pk_max_f16 v39, v62, v62
	v_pk_min_f16 v50, v70, v50
	v_pk_max_f16 v70, v78, v78
	v_pk_add_f16 v135, v4, v52
	v_pk_add_f16 v165, v7, v53
	v_pk_min_f16 v126, v32, v33
	v_pk_max_f16 v33, v61, v61
	v_pk_min_f16 v39, v39, v118
	v_pk_max_f16 v62, v66, v66
	v_pk_min_f16 v118, v50, v51
	v_pk_max_f16 v51, v74, v74
	v_pk_min_f16 v70, v70, v136
	v_pk_add_f16 v151, v0, v52
	v_pk_add_f16 v164, v5, v53
	v_pk_min_f16 v58, v58, v108
	v_pk_min_f16 v59, v59, v110
	;; [unrolled: 1-line block ×9, first 2 shown]
	v_pk_max_f16 v70, v82, v82
	v_pk_add_f16 v52, v2, v52
	s_waitcnt lgkmcnt(5)
	v_pk_add_f16 v152, v4, v28
	v_pk_add_f16 v153, v6, v28
	;; [unrolled: 1-line block ×8, first 2 shown]
	s_waitcnt lgkmcnt(4)
	v_pk_add_f16 v158, v4, v24
	v_pk_add_f16 v159, v6, v24
	;; [unrolled: 1-line block ×6, first 2 shown]
	v_pk_min_f16 v129, v58, v120
	v_pk_add_f16 v58, v0, v26
	v_pk_add_f16 v26, v2, v26
	v_pk_min_f16 v128, v59, v121
	s_waitcnt lgkmcnt(3)
	v_pk_add_f16 v59, v4, v20
	v_pk_add_f16 v170, v6, v20
	v_pk_add_f16 v60, v0, v20
	v_pk_add_f16 v20, v2, v20
	v_pk_add_f16 v32, v4, v22
	v_pk_add_f16 v37, v6, v22
	v_pk_min_f16 v125, v33, v123
	v_pk_add_f16 v33, v0, v22
	v_pk_add_f16 v22, v2, v22
	v_pk_min_f16 v124, v54, v124
	s_waitcnt lgkmcnt(2)
	v_pk_add_f16 v54, v4, v16
	v_pk_add_f16 v61, v6, v16
	v_pk_min_f16 v123, v55, v160
	v_pk_add_f16 v55, v0, v16
	v_pk_add_f16 v16, v2, v16
	;; [unrolled: 1-line block ×4, first 2 shown]
	v_pk_min_f16 v121, v35, v161
	v_pk_add_f16 v35, v0, v18
	v_pk_add_f16 v18, v2, v18
	v_pk_min_f16 v120, v39, v162
	s_waitcnt lgkmcnt(1)
	v_pk_add_f16 v39, v4, v12
	v_pk_add_f16 v66, v6, v12
	v_pk_min_f16 v119, v62, v163
	v_pk_add_f16 v62, v0, v12
	v_pk_add_f16 v12, v2, v12
	;; [unrolled: 1-line block ×4, first 2 shown]
	v_pk_min_f16 v117, v51, v164
	v_pk_add_f16 v51, v0, v14
	v_pk_add_f16 v14, v2, v14
	s_waitcnt lgkmcnt(0)
	v_pk_add_f16 v136, v4, v8
	v_pk_min_f16 v70, v70, v151
	v_pk_add_f16 v151, v6, v8
	v_pk_add_f16 v160, v0, v8
	;; [unrolled: 1-line block ×7, first 2 shown]
	v_pk_max_f16 v10, v107, v107
	v_pk_add_f16 v166, v1, v53
	v_pk_min_f16 v10, v10, v28
	v_pk_add_f16 v28, v3, v29
	v_pk_min_f16 v115, v70, v166
	v_pk_min_f16 v107, v10, v28
	v_pk_max_f16 v28, v106, v106
	v_pk_add_f16 v10, v5, v31
	v_pk_min_f16 v28, v28, v155
	v_pk_max_f16 v70, v86, v86
	v_pk_min_f16 v106, v28, v10
	v_pk_max_f16 v28, v104, v104
	v_pk_add_f16 v53, v3, v53
	v_pk_min_f16 v52, v70, v52
	v_pk_add_f16 v10, v7, v31
	v_pk_min_f16 v28, v28, v156
	v_pk_min_f16 v114, v52, v53
	v_pk_max_f16 v52, v92, v92
	v_pk_min_f16 v104, v28, v10
	v_pk_max_f16 v28, v103, v103
	v_pk_min_f16 v52, v52, v152
	v_pk_add_f16 v53, v5, v29
	v_pk_add_f16 v10, v1, v31
	v_pk_min_f16 v28, v28, v157
	v_pk_min_f16 v112, v52, v53
	v_pk_max_f16 v52, v97, v97
	v_pk_min_f16 v103, v28, v10
	v_pk_max_f16 v28, v137, v137
	v_pk_min_f16 v52, v52, v153
	v_pk_add_f16 v53, v7, v29
	v_pk_add_f16 v10, v3, v31
	v_pk_min_f16 v28, v28, v30
	v_pk_min_f16 v110, v52, v53
	v_pk_max_f16 v52, v102, v102
	v_pk_min_f16 v102, v28, v10
	v_pk_max_f16 v28, v101, v101
	v_pk_add_f16 v10, v5, v25
	v_pk_min_f16 v28, v28, v158
	v_pk_add_f16 v53, v1, v29
	v_pk_min_f16 v101, v28, v10
	v_pk_max_f16 v28, v100, v100
	v_pk_add_f16 v10, v7, v25
	v_pk_min_f16 v28, v28, v159
	v_pk_min_f16 v52, v52, v154
	v_pk_min_f16 v100, v28, v10
	v_pk_max_f16 v28, v99, v99
	v_pk_add_f16 v10, v1, v25
	v_pk_min_f16 v28, v28, v167
	v_pk_min_f16 v108, v52, v53
	;; [unrolled: 1-line block ×3, first 2 shown]
	v_pk_add_f16 v10, v3, v25
	v_pk_max_f16 v25, v138, v138
	v_perm_b32 v137, v57, v56, s15
	v_pk_min_f16 v24, v25, v24
	ds_write_b16 v131, v109
	ds_write_b16_d16_hi v131, v109 offset:512
	ds_write_b16 v132, v56
	ds_write_b16 v132, v57 offset:512
	v_pk_min_f16 v97, v24, v10
	v_pk_max_f16 v24, v95, v95
	v_pk_add_f16 v10, v5, v27
	v_pk_min_f16 v24, v24, v168
	s_waitcnt lgkmcnt(0)
	v_pk_min_f16 v95, v24, v10
	v_pk_max_f16 v24, v94, v94
	v_pk_add_f16 v10, v7, v27
	v_pk_min_f16 v24, v24, v169
	s_barrier
	v_pk_min_f16 v94, v24, v10
	v_pk_max_f16 v24, v93, v93
	v_pk_add_f16 v10, v1, v27
	v_pk_min_f16 v24, v24, v58
	s_nop 0
	v_pk_min_f16 v93, v24, v10
	v_pk_max_f16 v24, v139, v139
	v_pk_add_f16 v10, v3, v27
	v_pk_min_f16 v24, v24, v26
	s_nop 0
	v_pk_min_f16 v92, v24, v10
	v_pk_max_f16 v24, v91, v91
	v_pk_add_f16 v10, v5, v21
	v_pk_min_f16 v24, v24, v59
	s_nop 0
	v_pk_min_f16 v91, v24, v10
	v_pk_max_f16 v24, v90, v90
	v_pk_add_f16 v10, v7, v21
	v_pk_min_f16 v24, v24, v170
	s_nop 0
	v_pk_min_f16 v90, v24, v10
	v_pk_max_f16 v24, v89, v89
	v_pk_add_f16 v10, v1, v21
	v_pk_min_f16 v24, v24, v60
	s_nop 0
	v_pk_min_f16 v89, v24, v10
	v_pk_add_f16 v10, v3, v21
	v_pk_max_f16 v21, v140, v140
	s_nop 0
	v_pk_min_f16 v20, v21, v20
	s_nop 0
	v_pk_min_f16 v86, v20, v10
	v_pk_max_f16 v20, v85, v85
	v_pk_add_f16 v10, v5, v23
	v_pk_min_f16 v20, v20, v32
	s_nop 0
	v_pk_min_f16 v85, v20, v10
	v_pk_max_f16 v20, v84, v84
	v_pk_add_f16 v10, v7, v23
	v_pk_min_f16 v20, v20, v37
	s_nop 0
	v_pk_min_f16 v84, v20, v10
	v_pk_max_f16 v20, v83, v83
	v_pk_add_f16 v10, v1, v23
	v_pk_min_f16 v20, v20, v33
	s_nop 0
	v_pk_min_f16 v83, v20, v10
	v_pk_max_f16 v20, v141, v141
	v_pk_add_f16 v10, v3, v23
	v_pk_min_f16 v20, v20, v22
	s_nop 0
	v_pk_min_f16 v82, v20, v10
	v_pk_max_f16 v20, v81, v81
	v_pk_add_f16 v10, v5, v17
	v_pk_min_f16 v20, v20, v54
	s_nop 0
	v_pk_min_f16 v81, v20, v10
	v_pk_max_f16 v20, v80, v80
	v_pk_add_f16 v10, v7, v17
	v_pk_min_f16 v20, v20, v61
	s_nop 0
	v_pk_min_f16 v80, v20, v10
	v_pk_max_f16 v20, v79, v79
	v_pk_add_f16 v10, v1, v17
	v_pk_min_f16 v20, v20, v55
	s_nop 0
	v_pk_min_f16 v79, v20, v10
	v_pk_add_f16 v10, v3, v17
	v_pk_max_f16 v17, v142, v142
	s_nop 0
	v_pk_min_f16 v16, v17, v16
	s_nop 0
	v_pk_min_f16 v78, v16, v10
	v_pk_max_f16 v16, v77, v77
	v_pk_add_f16 v10, v5, v19
	v_pk_min_f16 v16, v16, v34
	s_nop 0
	v_pk_min_f16 v77, v16, v10
	v_pk_max_f16 v16, v76, v76
	v_pk_add_f16 v10, v7, v19
	v_pk_min_f16 v16, v16, v38
	s_nop 0
	;; [unrolled: 41-line block ×3, first 2 shown]
	v_pk_min_f16 v68, v12, v10
	v_pk_max_f16 v12, v67, v67
	v_pk_add_f16 v10, v1, v15
	v_pk_min_f16 v12, v12, v51
	s_nop 0
	v_pk_min_f16 v67, v12, v10
	v_pk_max_f16 v12, v145, v145
	v_pk_add_f16 v10, v3, v15
	v_pk_min_f16 v12, v12, v14
	s_nop 0
	v_pk_min_f16 v66, v12, v10
	v_pk_max_f16 v12, v65, v65
	v_pk_add_f16 v10, v5, v9
	v_pk_min_f16 v12, v12, v136
	v_pk_add_f16 v5, v5, v11
	v_pk_min_f16 v65, v12, v10
	v_pk_max_f16 v12, v64, v64
	v_pk_add_f16 v10, v7, v9
	v_pk_min_f16 v12, v12, v151
	s_nop 0
	v_pk_min_f16 v64, v12, v10
	v_pk_max_f16 v12, v63, v63
	v_pk_add_f16 v10, v1, v9
	v_pk_min_f16 v12, v12, v160
	v_pk_add_f16 v9, v3, v9
	v_pk_min_f16 v63, v12, v10
	v_pk_max_f16 v10, v146, v146
	v_pk_add_f16 v1, v1, v11
	v_pk_min_f16 v8, v10, v8
	s_nop 0
	v_pk_min_f16 v61, v8, v9
	v_pk_max_f16 v8, v147, v147
	s_nop 0
	v_pk_min_f16 v4, v8, v4
	s_nop 0
	v_pk_min_f16 v60, v4, v5
	v_pk_max_f16 v5, v148, v148
	v_pk_add_f16 v4, v7, v11
	v_pk_min_f16 v5, v5, v6
	s_nop 0
	v_pk_min_f16 v58, v5, v4
	v_pk_max_f16 v4, v149, v149
	s_nop 0
	v_pk_min_f16 v0, v4, v0
	s_nop 0
	v_pk_min_f16 v59, v0, v1
	v_pk_max_f16 v1, v150, v150
	v_pk_add_f16 v0, v3, v11
	v_pk_min_f16 v1, v1, v2
	s_nop 0
	v_pk_min_f16 v62, v1, v0
	s_cbranch_scc1 .LBB215_37
.LBB215_25:                             ; =>This Inner Loop Header: Depth=1
	s_and_b64 vcc, exec, s[6:7]
	v_lshl_add_u64 v[56:57], v[48:49], 0, v[40:41]
	v_mov_b32_e32 v0, 0
	s_cbranch_vccnz .LBB215_27
; %bb.26:                               ;   in Loop: Header=BB215_25 Depth=1
	flat_load_ushort v0, v[56:57] offset:16
	s_waitcnt vmcnt(0) lgkmcnt(0)
	v_mul_f16_e32 v0, s19, v0
.LBB215_27:                             ;   in Loop: Header=BB215_25 Depth=1
	v_bfi_b32 v0, s20, v0, v105
	s_mov_b64 s[10:11], -1
	s_mov_b64 vcc, s[4:5]
                                        ; implicit-def: $vgpr105
                                        ; implicit-def: $vgpr135
	s_cbranch_vccz .LBB215_29
; %bb.28:                               ;   in Loop: Header=BB215_25 Depth=1
	v_and_b32_e32 v105, 0xffff, v0
	v_and_b32_e32 v135, 0xffff0000, v36
	s_mov_b64 s[10:11], 0
.LBB215_29:                             ;   in Loop: Header=BB215_25 Depth=1
	v_mov_b32_e32 v138, 0
	s_andn2_b64 vcc, exec, s[10:11]
	v_lshl_add_u64 v[54:55], v[46:47], 0, v[40:41]
	v_lshl_add_u64 v[52:53], v[44:45], 0, v[40:41]
	;; [unrolled: 1-line block ×3, first 2 shown]
	v_mov_b32_e32 v136, 0
	s_cbranch_vccnz .LBB215_31
; %bb.30:                               ;   in Loop: Header=BB215_25 Depth=1
	flat_load_ushort v1, v[54:55] offset:16
	flat_load_ushort v2, v[52:53] offset:16
	;; [unrolled: 1-line block ×3, first 2 shown]
	s_waitcnt vmcnt(0) lgkmcnt(0)
	v_mul_f16_e32 v1, s19, v1
	v_mul_f16_e32 v2, s19, v2
	v_perm_b32 v105, v1, v0, s15
	v_bfi_b32 v135, s20, v2, v36
	v_mul_f16_e32 v136, s19, v3
.LBB215_31:                             ;   in Loop: Header=BB215_25 Depth=1
	ds_read2_b64 v[4:7], v133 offset1:32
	ds_read2_b64 v[0:3], v133 offset0:64 offset1:96
	ds_read2_b64 v[36:39], v134 offset1:8
	ds_read2_b64 v[32:35], v134 offset0:16 offset1:24
	ds_read2_b64 v[28:31], v134 offset0:32 offset1:40
	;; [unrolled: 1-line block ×7, first 2 shown]
	s_and_b64 vcc, exec, s[6:7]
	ds_write_b16 v111, v105
	ds_write_b16_d16_hi v111, v105 offset:512
	ds_write_b16 v130, v135
	ds_write_b16 v130, v136 offset:512
	s_waitcnt lgkmcnt(0)
	s_barrier
	s_cbranch_vccnz .LBB215_33
; %bb.32:                               ;   in Loop: Header=BB215_25 Depth=1
	flat_load_ushort v56, v[56:57] offset:24
	s_waitcnt vmcnt(0) lgkmcnt(0)
	v_mul_f16_e32 v138, s19, v56
.LBB215_33:                             ;   in Loop: Header=BB215_25 Depth=1
	v_bfi_b32 v138, s20, v138, v109
	s_mov_b64 s[10:11], -1
	s_mov_b64 vcc, s[4:5]
                                        ; implicit-def: $vgpr109
                                        ; implicit-def: $vgpr56
	s_cbranch_vccz .LBB215_35
; %bb.34:                               ;   in Loop: Header=BB215_25 Depth=1
	v_and_b32_e32 v109, 0xffff, v138
	v_and_b32_e32 v56, 0xffff0000, v137
	s_mov_b64 s[10:11], 0
.LBB215_35:                             ;   in Loop: Header=BB215_25 Depth=1
	s_andn2_b64 vcc, exec, s[10:11]
	v_mov_b32_e32 v57, 0
	s_cbranch_vccnz .LBB215_24
; %bb.36:                               ;   in Loop: Header=BB215_25 Depth=1
	flat_load_ushort v54, v[54:55] offset:24
	s_nop 0
	flat_load_ushort v52, v[52:53] offset:24
	s_nop 0
	flat_load_ushort v50, v[50:51] offset:24
	s_waitcnt vmcnt(0) lgkmcnt(0)
	v_mul_f16_e32 v51, s19, v54
	v_mul_f16_e32 v52, s19, v52
	v_perm_b32 v109, v51, v138, s15
	v_bfi_b32 v56, s20, v52, v137
	v_mul_f16_e32 v57, s19, v50
	s_branch .LBB215_24
.LBB215_37:
	s_load_dword s6, s[0:1], 0x50
	ds_read_b64 v[38:39], v98 offset:1024
	ds_read_b64 v[46:47], v96 offset:3072
	v_add_u32_e32 v52, s13, v88
	v_cmp_neq_f16_e64 s[4:5], s28, 0
	v_add_u32_e32 v36, s12, v87
	s_waitcnt lgkmcnt(0)
	v_mad_i64_i32 v[0:1], s[10:11], v52, s6, 0
	v_ashrrev_i32_e32 v37, 31, v36
	v_lshl_add_u64 v[48:49], v[0:1], 1, s[16:17]
	v_mov_b32_e32 v42, 0
	s_and_b64 vcc, exec, s[4:5]
	v_mov_b32_e32 v43, 0
	s_cbranch_vccz .LBB215_39
; %bb.38:
	v_lshl_add_u64 v[0:1], v[36:37], 1, v[48:49]
	flat_load_ushort v0, v[0:1]
	s_waitcnt vmcnt(0) lgkmcnt(0)
	v_mul_f16_e32 v0, s28, v0
	v_cvt_f32_f16_e32 v43, v0
.LBB215_39:
	v_pk_add_f16 v40, v38, v46
	v_max_f16_e32 v41, v129, v129
	v_pk_add_f16 v45, v39, v47
	v_min_f16_e32 v44, v41, v40
	v_lshrrev_b32_e32 v41, 16, v129
	v_lshrrev_b32_e32 v40, 16, v40
	;; [unrolled: 1-line block ×3, first 2 shown]
	v_add_u32_e32 v4, 0x800, v96
	v_min3_f16 v50, v41, v40, v50
	ds_read2_b64 v[0:3], v98 offset0:160 offset1:192
	ds_read_b64 v[32:33], v98 offset:1792
	ds_read2_b64 v[28:31], v4 offset0:136 offset1:144
	ds_read2_b64 v[24:27], v4 offset0:152 offset1:160
	;; [unrolled: 1-line block ×4, first 2 shown]
	s_load_dword s7, s[0:1], 0x68
	s_load_dwordx2 s[10:11], s[0:1], 0x70
	v_min3_f16 v44, v44, v45, v50
	v_cvt_f32_f16_e32 v53, v44
	ds_read2_b64 v[12:15], v4 offset0:200 offset1:208
	ds_read2_b64 v[8:11], v4 offset0:216 offset1:224
	;; [unrolled: 1-line block ×3, first 2 shown]
	ds_read_b64 v[34:35], v96 offset:4032
	v_max_f32_e32 v43, v43, v43
	s_waitcnt lgkmcnt(0)
	s_lshl_b64 s[0:1], s[10:11], 1
	v_min_f32_e32 v43, v43, v53
	s_add_u32 s2, s2, s0
	v_cvt_f16_f32_e32 v43, v43
	s_addc_u32 s3, s3, s1
	v_mad_i64_i32 v[44:45], s[0:1], v52, s7, 0
	v_add_u32_e32 v40, 32, v36
	v_lshl_add_u64 v[50:51], v[44:45], 1, s[2:3]
	v_cndmask_b32_e64 v53, 0, 1, s[4:5]
	v_ashrrev_i32_e32 v41, 31, v40
	v_lshl_add_u64 v[44:45], v[36:37], 1, v[50:51]
	v_cmp_ne_u32_e64 s[0:1], 1, v53
	s_andn2_b64 vcc, exec, s[4:5]
	flat_store_short v[44:45], v43
	s_cbranch_vccnz .LBB215_41
; %bb.40:
	v_lshl_add_u64 v[42:43], v[40:41], 1, v[48:49]
	flat_load_ushort v42, v[42:43]
	s_waitcnt vmcnt(0) lgkmcnt(0)
	v_mul_f16_e32 v42, s28, v42
	v_cvt_f32_f16_e32 v42, v42
.LBB215_41:
	v_pk_add_f16 v43, v0, v46
	v_max_f16_e32 v44, v128, v128
	v_pk_add_f16 v53, v1, v47
	v_min_f16_e32 v44, v44, v43
	v_lshrrev_b32_e32 v45, 16, v128
	v_lshrrev_b32_e32 v43, 16, v43
	;; [unrolled: 1-line block ×3, first 2 shown]
	v_min3_f16 v43, v45, v43, v54
	v_min3_f16 v43, v44, v53, v43
	v_cvt_f32_f16_e32 v43, v43
	v_max_f32_e32 v42, v42, v42
	v_lshl_add_u64 v[44:45], v[40:41], 1, v[50:51]
	s_and_b64 vcc, exec, s[0:1]
	v_min_f32_e32 v42, v42, v43
	v_cvt_f16_f32_e32 v53, v42
	v_add_u32_e32 v42, 64, v36
	v_ashrrev_i32_e32 v43, 31, v42
	flat_store_short v[44:45], v53
	v_mov_b32_e32 v53, 0
	v_mov_b32_e32 v45, 0
	s_cbranch_vccnz .LBB215_43
; %bb.42:
	v_lshl_add_u64 v[44:45], v[42:43], 1, v[48:49]
	flat_load_ushort v44, v[44:45]
	s_waitcnt vmcnt(0) lgkmcnt(0)
	v_mul_f16_e32 v44, s28, v44
	v_cvt_f32_f16_e32 v45, v44
.LBB215_43:
	v_pk_add_f16 v44, v2, v46
	v_max_f16_e32 v54, v127, v127
	v_pk_add_f16 v56, v3, v47
	v_min_f16_e32 v54, v54, v44
	v_lshrrev_b32_e32 v55, 16, v127
	v_lshrrev_b32_e32 v44, 16, v44
	;; [unrolled: 1-line block ×3, first 2 shown]
	v_min3_f16 v44, v55, v44, v57
	v_min3_f16 v44, v54, v56, v44
	v_cvt_f32_f16_e32 v54, v44
	v_max_f32_e32 v45, v45, v45
	v_add_u32_e32 v44, 0x60, v36
	s_and_b64 vcc, exec, s[0:1]
	v_min_f32_e32 v45, v45, v54
	v_cvt_f16_f32_e32 v56, v45
	v_ashrrev_i32_e32 v45, 31, v44
	v_lshl_add_u64 v[54:55], v[42:43], 1, v[50:51]
	flat_store_short v[54:55], v56
	s_cbranch_vccnz .LBB215_45
; %bb.44:
	v_lshl_add_u64 v[48:49], v[44:45], 1, v[48:49]
	flat_load_ushort v48, v[48:49]
	s_waitcnt vmcnt(0) lgkmcnt(0)
	v_mul_f16_e32 v48, s28, v48
	v_cvt_f32_f16_e32 v53, v48
.LBB215_45:
	v_pk_add_f16 v46, v32, v46
	v_max_f16_e32 v48, v126, v126
	v_pk_add_f16 v47, v33, v47
	v_min_f16_e32 v48, v48, v46
	v_lshrrev_b32_e32 v49, 16, v126
	v_lshrrev_b32_e32 v46, 16, v46
	;; [unrolled: 1-line block ×3, first 2 shown]
	v_min3_f16 v46, v49, v46, v54
	v_min3_f16 v46, v48, v47, v46
	v_cvt_f32_f16_e32 v46, v46
	v_max_f32_e32 v47, v53, v53
	s_and_b64 vcc, exec, s[0:1]
	v_mov_b32_e32 v49, 0
	v_min_f32_e32 v46, v47, v46
	v_cvt_f16_f32_e32 v48, v46
	v_lshl_add_u64 v[46:47], v[44:45], 1, v[50:51]
	v_mov_b32_e32 v50, 0
	flat_store_short v[46:47], v48
	v_add_u32_e32 v48, 8, v52
	v_mad_i64_i32 v[46:47], s[4:5], v48, s6, 0
	v_lshl_add_u64 v[46:47], v[46:47], 1, s[16:17]
	s_cbranch_vccnz .LBB215_47
; %bb.46:
	v_lshl_add_u64 v[54:55], v[36:37], 1, v[46:47]
	flat_load_ushort v49, v[54:55]
	s_waitcnt vmcnt(0) lgkmcnt(0)
	v_mul_f16_e32 v49, s28, v49
	v_cvt_f32_f16_e32 v49, v49
.LBB215_47:
	v_pk_add_f16 v51, v38, v28
	v_max_f16_e32 v53, v125, v125
	v_pk_add_f16 v55, v39, v29
	v_min_f16_e32 v53, v53, v51
	v_lshrrev_b32_e32 v54, 16, v125
	v_lshrrev_b32_e32 v51, 16, v51
	;; [unrolled: 1-line block ×3, first 2 shown]
	v_min3_f16 v51, v54, v51, v56
	v_min3_f16 v51, v53, v55, v51
	v_cvt_f32_f16_e32 v51, v51
	v_mad_i64_i32 v[54:55], s[4:5], v48, s7, 0
	v_max_f32_e32 v48, v49, v49
	v_min_f32_e32 v48, v48, v51
	v_cvt_f16_f32_e32 v51, v48
	v_lshl_add_u64 v[48:49], v[54:55], 1, s[2:3]
	v_lshl_add_u64 v[54:55], v[36:37], 1, v[48:49]
	s_and_b64 vcc, exec, s[0:1]
	flat_store_short v[54:55], v51
	s_cbranch_vccnz .LBB215_49
; %bb.48:
	v_lshl_add_u64 v[50:51], v[40:41], 1, v[46:47]
	flat_load_ushort v50, v[50:51]
	s_waitcnt vmcnt(0) lgkmcnt(0)
	v_mul_f16_e32 v50, s28, v50
	v_cvt_f32_f16_e32 v50, v50
.LBB215_49:
	v_pk_add_f16 v51, v0, v28
	v_max_f16_e32 v53, v124, v124
	v_pk_add_f16 v55, v1, v29
	v_min_f16_e32 v53, v53, v51
	v_lshrrev_b32_e32 v54, 16, v124
	v_lshrrev_b32_e32 v51, 16, v51
	;; [unrolled: 1-line block ×3, first 2 shown]
	v_min3_f16 v51, v54, v51, v56
	v_min3_f16 v51, v53, v55, v51
	v_cvt_f32_f16_e32 v51, v51
	v_max_f32_e32 v50, v50, v50
	s_and_b64 vcc, exec, s[0:1]
	v_min_f32_e32 v50, v50, v51
	v_cvt_f16_f32_e32 v53, v50
	v_lshl_add_u64 v[50:51], v[40:41], 1, v[48:49]
	flat_store_short v[50:51], v53
	v_mov_b32_e32 v50, 0
	v_mov_b32_e32 v51, 0
	s_cbranch_vccnz .LBB215_51
; %bb.50:
	v_lshl_add_u64 v[54:55], v[42:43], 1, v[46:47]
	flat_load_ushort v51, v[54:55]
	s_waitcnt vmcnt(0) lgkmcnt(0)
	v_mul_f16_e32 v51, s28, v51
	v_cvt_f32_f16_e32 v51, v51
.LBB215_51:
	v_pk_add_f16 v53, v2, v28
	v_max_f16_e32 v54, v123, v123
	v_pk_add_f16 v56, v3, v29
	v_min_f16_e32 v54, v54, v53
	v_lshrrev_b32_e32 v55, 16, v123
	v_lshrrev_b32_e32 v53, 16, v53
	;; [unrolled: 1-line block ×3, first 2 shown]
	v_min3_f16 v53, v55, v53, v57
	v_min3_f16 v53, v54, v56, v53
	v_cvt_f32_f16_e32 v53, v53
	v_max_f32_e32 v51, v51, v51
	v_lshl_add_u64 v[54:55], v[42:43], 1, v[48:49]
	s_and_b64 vcc, exec, s[0:1]
	v_min_f32_e32 v51, v51, v53
	v_cvt_f16_f32_e32 v51, v51
	flat_store_short v[54:55], v51
	s_cbranch_vccnz .LBB215_53
; %bb.52:
	v_lshl_add_u64 v[46:47], v[44:45], 1, v[46:47]
	flat_load_ushort v46, v[46:47]
	s_waitcnt vmcnt(0) lgkmcnt(0)
	v_mul_f16_e32 v46, s28, v46
	v_cvt_f32_f16_e32 v50, v46
.LBB215_53:
	v_pk_add_f16 v28, v32, v28
	v_max_f16_e32 v46, v122, v122
	v_pk_add_f16 v29, v33, v29
	v_min_f16_e32 v46, v46, v28
	v_lshrrev_b32_e32 v47, 16, v122
	v_lshrrev_b32_e32 v28, 16, v28
	;; [unrolled: 1-line block ×3, first 2 shown]
	v_min3_f16 v28, v47, v28, v51
	v_min3_f16 v28, v46, v29, v28
	v_cvt_f32_f16_e32 v28, v28
	v_max_f32_e32 v29, v50, v50
	s_and_b64 vcc, exec, s[0:1]
	v_mov_b32_e32 v47, 0
	v_min_f32_e32 v28, v29, v28
	v_cvt_f16_f32_e32 v46, v28
	v_lshl_add_u64 v[28:29], v[44:45], 1, v[48:49]
	v_mov_b32_e32 v48, 0
	flat_store_short v[28:29], v46
	v_add_u32_e32 v46, 16, v52
	v_mad_i64_i32 v[28:29], s[4:5], v46, s6, 0
	v_lshl_add_u64 v[28:29], v[28:29], 1, s[16:17]
	s_cbranch_vccnz .LBB215_55
; %bb.54:
	v_lshl_add_u64 v[50:51], v[36:37], 1, v[28:29]
	flat_load_ushort v47, v[50:51]
	s_waitcnt vmcnt(0) lgkmcnt(0)
	v_mul_f16_e32 v47, s28, v47
	v_cvt_f32_f16_e32 v47, v47
.LBB215_55:
	v_pk_add_f16 v49, v38, v30
	v_max_f16_e32 v50, v121, v121
	v_pk_add_f16 v53, v39, v31
	v_min_f16_e32 v50, v50, v49
	v_lshrrev_b32_e32 v51, 16, v121
	v_lshrrev_b32_e32 v49, 16, v49
	;; [unrolled: 1-line block ×3, first 2 shown]
	v_min3_f16 v49, v51, v49, v54
	v_min3_f16 v49, v50, v53, v49
	v_cvt_f32_f16_e32 v49, v49
	v_mad_i64_i32 v[50:51], s[4:5], v46, s7, 0
	v_max_f32_e32 v46, v47, v47
	v_min_f32_e32 v46, v46, v49
	v_cvt_f16_f32_e32 v49, v46
	v_lshl_add_u64 v[46:47], v[50:51], 1, s[2:3]
	v_lshl_add_u64 v[50:51], v[36:37], 1, v[46:47]
	s_and_b64 vcc, exec, s[0:1]
	flat_store_short v[50:51], v49
	s_cbranch_vccnz .LBB215_57
; %bb.56:
	v_lshl_add_u64 v[48:49], v[40:41], 1, v[28:29]
	flat_load_ushort v48, v[48:49]
	s_waitcnt vmcnt(0) lgkmcnt(0)
	v_mul_f16_e32 v48, s28, v48
	v_cvt_f32_f16_e32 v48, v48
.LBB215_57:
	v_pk_add_f16 v49, v0, v30
	v_max_f16_e32 v50, v120, v120
	v_pk_add_f16 v53, v1, v31
	v_min_f16_e32 v50, v50, v49
	v_lshrrev_b32_e32 v51, 16, v120
	v_lshrrev_b32_e32 v49, 16, v49
	;; [unrolled: 1-line block ×3, first 2 shown]
	v_min3_f16 v49, v51, v49, v54
	v_min3_f16 v49, v50, v53, v49
	v_cvt_f32_f16_e32 v49, v49
	v_max_f32_e32 v48, v48, v48
	s_and_b64 vcc, exec, s[0:1]
	v_min_f32_e32 v48, v48, v49
	v_cvt_f16_f32_e32 v50, v48
	v_lshl_add_u64 v[48:49], v[40:41], 1, v[46:47]
	flat_store_short v[48:49], v50
	v_mov_b32_e32 v48, 0
	v_mov_b32_e32 v49, 0
	s_cbranch_vccnz .LBB215_59
; %bb.58:
	v_lshl_add_u64 v[50:51], v[42:43], 1, v[28:29]
	flat_load_ushort v49, v[50:51]
	s_waitcnt vmcnt(0) lgkmcnt(0)
	v_mul_f16_e32 v49, s28, v49
	v_cvt_f32_f16_e32 v49, v49
.LBB215_59:
	v_pk_add_f16 v50, v2, v30
	v_max_f16_e32 v51, v119, v119
	v_pk_add_f16 v54, v3, v31
	v_min_f16_e32 v51, v51, v50
	v_lshrrev_b32_e32 v53, 16, v119
	v_lshrrev_b32_e32 v50, 16, v50
	;; [unrolled: 1-line block ×3, first 2 shown]
	v_min3_f16 v50, v53, v50, v55
	v_min3_f16 v50, v51, v54, v50
	v_cvt_f32_f16_e32 v50, v50
	v_max_f32_e32 v49, v49, v49
	s_and_b64 vcc, exec, s[0:1]
	v_min_f32_e32 v49, v49, v50
	v_cvt_f16_f32_e32 v49, v49
	v_lshl_add_u64 v[50:51], v[42:43], 1, v[46:47]
	flat_store_short v[50:51], v49
	s_cbranch_vccnz .LBB215_61
; %bb.60:
	v_lshl_add_u64 v[28:29], v[44:45], 1, v[28:29]
	flat_load_ushort v28, v[28:29]
	s_waitcnt vmcnt(0) lgkmcnt(0)
	v_mul_f16_e32 v28, s28, v28
	v_cvt_f32_f16_e32 v48, v28
.LBB215_61:
	v_pk_add_f16 v28, v32, v30
	v_max_f16_e32 v29, v118, v118
	v_pk_add_f16 v31, v33, v31
	v_min_f16_e32 v29, v29, v28
	v_lshrrev_b32_e32 v30, 16, v118
	v_lshrrev_b32_e32 v28, 16, v28
	;; [unrolled: 1-line block ×3, first 2 shown]
	v_min3_f16 v28, v30, v28, v49
	v_min3_f16 v28, v29, v31, v28
	v_cvt_f32_f16_e32 v28, v28
	v_max_f32_e32 v29, v48, v48
	s_and_b64 vcc, exec, s[0:1]
	v_mov_b32_e32 v31, 0
	v_min_f32_e32 v28, v29, v28
	v_cvt_f16_f32_e32 v30, v28
	v_lshl_add_u64 v[28:29], v[44:45], 1, v[46:47]
	v_mov_b32_e32 v46, 0
	flat_store_short v[28:29], v30
	v_add_u32_e32 v30, 24, v52
	v_mad_i64_i32 v[28:29], s[4:5], v30, s6, 0
	v_lshl_add_u64 v[28:29], v[28:29], 1, s[16:17]
	s_cbranch_vccnz .LBB215_63
; %bb.62:
	v_lshl_add_u64 v[48:49], v[36:37], 1, v[28:29]
	flat_load_ushort v31, v[48:49]
	s_waitcnt vmcnt(0) lgkmcnt(0)
	v_mul_f16_e32 v31, s28, v31
	v_cvt_f32_f16_e32 v31, v31
.LBB215_63:
	v_pk_add_f16 v47, v38, v24
	v_max_f16_e32 v48, v117, v117
	v_pk_add_f16 v50, v39, v25
	v_min_f16_e32 v48, v48, v47
	v_lshrrev_b32_e32 v49, 16, v117
	v_lshrrev_b32_e32 v47, 16, v47
	;; [unrolled: 1-line block ×3, first 2 shown]
	v_min3_f16 v47, v49, v47, v51
	v_min3_f16 v47, v48, v50, v47
	v_cvt_f32_f16_e32 v47, v47
	v_mad_i64_i32 v[48:49], s[4:5], v30, s7, 0
	v_max_f32_e32 v30, v31, v31
	v_min_f32_e32 v30, v30, v47
	v_cvt_f16_f32_e32 v47, v30
	v_lshl_add_u64 v[30:31], v[48:49], 1, s[2:3]
	v_lshl_add_u64 v[48:49], v[36:37], 1, v[30:31]
	s_and_b64 vcc, exec, s[0:1]
	flat_store_short v[48:49], v47
	s_cbranch_vccnz .LBB215_65
; %bb.64:
	v_lshl_add_u64 v[46:47], v[40:41], 1, v[28:29]
	flat_load_ushort v46, v[46:47]
	s_waitcnt vmcnt(0) lgkmcnt(0)
	v_mul_f16_e32 v46, s28, v46
	v_cvt_f32_f16_e32 v46, v46
.LBB215_65:
	v_pk_add_f16 v47, v0, v24
	v_max_f16_e32 v48, v116, v116
	v_pk_add_f16 v50, v1, v25
	v_min_f16_e32 v48, v48, v47
	v_lshrrev_b32_e32 v49, 16, v116
	v_lshrrev_b32_e32 v47, 16, v47
	v_lshrrev_b32_e32 v51, 16, v50
	v_min3_f16 v47, v49, v47, v51
	v_min3_f16 v47, v48, v50, v47
	v_cvt_f32_f16_e32 v47, v47
	v_max_f32_e32 v46, v46, v46
	s_and_b64 vcc, exec, s[0:1]
	v_min_f32_e32 v46, v46, v47
	v_cvt_f16_f32_e32 v48, v46
	v_lshl_add_u64 v[46:47], v[40:41], 1, v[30:31]
	flat_store_short v[46:47], v48
	v_mov_b32_e32 v46, 0
	v_mov_b32_e32 v47, 0
	s_cbranch_vccnz .LBB215_67
; %bb.66:
	v_lshl_add_u64 v[48:49], v[42:43], 1, v[28:29]
	flat_load_ushort v47, v[48:49]
	s_waitcnt vmcnt(0) lgkmcnt(0)
	v_mul_f16_e32 v47, s28, v47
	v_cvt_f32_f16_e32 v47, v47
.LBB215_67:
	v_pk_add_f16 v48, v2, v24
	v_max_f16_e32 v49, v115, v115
	v_pk_add_f16 v51, v3, v25
	v_min_f16_e32 v49, v49, v48
	v_lshrrev_b32_e32 v50, 16, v115
	v_lshrrev_b32_e32 v48, 16, v48
	;; [unrolled: 1-line block ×3, first 2 shown]
	v_min3_f16 v48, v50, v48, v53
	v_min3_f16 v48, v49, v51, v48
	v_cvt_f32_f16_e32 v48, v48
	v_max_f32_e32 v47, v47, v47
	s_and_b64 vcc, exec, s[0:1]
	v_min_f32_e32 v47, v47, v48
	v_cvt_f16_f32_e32 v47, v47
	v_lshl_add_u64 v[48:49], v[42:43], 1, v[30:31]
	flat_store_short v[48:49], v47
	s_cbranch_vccnz .LBB215_69
; %bb.68:
	v_lshl_add_u64 v[28:29], v[44:45], 1, v[28:29]
	flat_load_ushort v28, v[28:29]
	s_waitcnt vmcnt(0) lgkmcnt(0)
	v_mul_f16_e32 v28, s28, v28
	v_cvt_f32_f16_e32 v46, v28
.LBB215_69:
	v_pk_add_f16 v24, v32, v24
	v_max_f16_e32 v28, v114, v114
	v_pk_add_f16 v25, v33, v25
	v_min_f16_e32 v28, v28, v24
	v_lshrrev_b32_e32 v29, 16, v114
	v_lshrrev_b32_e32 v24, 16, v24
	;; [unrolled: 1-line block ×3, first 2 shown]
	v_min3_f16 v24, v29, v24, v47
	v_min3_f16 v24, v28, v25, v24
	v_cvt_f32_f16_e32 v24, v24
	v_max_f32_e32 v25, v46, v46
	s_and_b64 vcc, exec, s[0:1]
	v_mov_b32_e32 v29, 0
	v_min_f32_e32 v24, v25, v24
	v_cvt_f16_f32_e32 v28, v24
	v_lshl_add_u64 v[24:25], v[44:45], 1, v[30:31]
	v_mov_b32_e32 v30, 0
	flat_store_short v[24:25], v28
	v_add_u32_e32 v28, 32, v52
	v_mad_i64_i32 v[24:25], s[4:5], v28, s6, 0
	v_lshl_add_u64 v[24:25], v[24:25], 1, s[16:17]
	s_cbranch_vccnz .LBB215_71
; %bb.70:
	v_lshl_add_u64 v[46:47], v[36:37], 1, v[24:25]
	flat_load_ushort v29, v[46:47]
	s_waitcnt vmcnt(0) lgkmcnt(0)
	v_mul_f16_e32 v29, s28, v29
	v_cvt_f32_f16_e32 v29, v29
.LBB215_71:
	v_pk_add_f16 v31, v38, v26
	v_max_f16_e32 v46, v112, v112
	v_pk_add_f16 v48, v39, v27
	v_min_f16_e32 v46, v46, v31
	v_lshrrev_b32_e32 v47, 16, v112
	v_lshrrev_b32_e32 v31, 16, v31
	v_lshrrev_b32_e32 v49, 16, v48
	v_min3_f16 v31, v47, v31, v49
	v_min3_f16 v31, v46, v48, v31
	v_cvt_f32_f16_e32 v31, v31
	v_mad_i64_i32 v[46:47], s[4:5], v28, s7, 0
	v_max_f32_e32 v28, v29, v29
	v_min_f32_e32 v28, v28, v31
	v_cvt_f16_f32_e32 v31, v28
	v_lshl_add_u64 v[28:29], v[46:47], 1, s[2:3]
	v_lshl_add_u64 v[46:47], v[36:37], 1, v[28:29]
	s_and_b64 vcc, exec, s[0:1]
	flat_store_short v[46:47], v31
	s_cbranch_vccnz .LBB215_73
; %bb.72:
	v_lshl_add_u64 v[30:31], v[40:41], 1, v[24:25]
	flat_load_ushort v30, v[30:31]
	s_waitcnt vmcnt(0) lgkmcnt(0)
	v_mul_f16_e32 v30, s28, v30
	v_cvt_f32_f16_e32 v30, v30
.LBB215_73:
	v_pk_add_f16 v31, v0, v26
	v_max_f16_e32 v46, v110, v110
	v_pk_add_f16 v48, v1, v27
	v_min_f16_e32 v46, v46, v31
	v_lshrrev_b32_e32 v47, 16, v110
	v_lshrrev_b32_e32 v31, 16, v31
	;; [unrolled: 1-line block ×3, first 2 shown]
	v_min3_f16 v31, v47, v31, v49
	v_min3_f16 v31, v46, v48, v31
	v_cvt_f32_f16_e32 v31, v31
	v_max_f32_e32 v30, v30, v30
	s_and_b64 vcc, exec, s[0:1]
	v_min_f32_e32 v30, v30, v31
	v_cvt_f16_f32_e32 v46, v30
	v_lshl_add_u64 v[30:31], v[40:41], 1, v[28:29]
	flat_store_short v[30:31], v46
	v_mov_b32_e32 v30, 0
	v_mov_b32_e32 v31, 0
	s_cbranch_vccnz .LBB215_75
; %bb.74:
	v_lshl_add_u64 v[46:47], v[42:43], 1, v[24:25]
	flat_load_ushort v31, v[46:47]
	s_waitcnt vmcnt(0) lgkmcnt(0)
	v_mul_f16_e32 v31, s28, v31
	v_cvt_f32_f16_e32 v31, v31
.LBB215_75:
	v_pk_add_f16 v46, v2, v26
	v_max_f16_e32 v47, v108, v108
	v_pk_add_f16 v49, v3, v27
	v_min_f16_e32 v47, v47, v46
	v_lshrrev_b32_e32 v48, 16, v108
	v_lshrrev_b32_e32 v46, 16, v46
	;; [unrolled: 1-line block ×3, first 2 shown]
	v_min3_f16 v46, v48, v46, v50
	v_min3_f16 v46, v47, v49, v46
	v_cvt_f32_f16_e32 v46, v46
	v_max_f32_e32 v31, v31, v31
	s_and_b64 vcc, exec, s[0:1]
	v_min_f32_e32 v31, v31, v46
	v_cvt_f16_f32_e32 v31, v31
	v_lshl_add_u64 v[46:47], v[42:43], 1, v[28:29]
	flat_store_short v[46:47], v31
	s_cbranch_vccnz .LBB215_77
; %bb.76:
	v_lshl_add_u64 v[24:25], v[44:45], 1, v[24:25]
	flat_load_ushort v24, v[24:25]
	s_waitcnt vmcnt(0) lgkmcnt(0)
	v_mul_f16_e32 v24, s28, v24
	v_cvt_f32_f16_e32 v30, v24
.LBB215_77:
	v_pk_add_f16 v24, v32, v26
	v_max_f16_e32 v25, v107, v107
	v_pk_add_f16 v27, v33, v27
	v_min_f16_e32 v25, v25, v24
	v_lshrrev_b32_e32 v26, 16, v107
	v_lshrrev_b32_e32 v24, 16, v24
	;; [unrolled: 1-line block ×3, first 2 shown]
	v_min3_f16 v24, v26, v24, v31
	v_min3_f16 v24, v25, v27, v24
	v_cvt_f32_f16_e32 v24, v24
	v_max_f32_e32 v25, v30, v30
	s_and_b64 vcc, exec, s[0:1]
	v_mov_b32_e32 v27, 0
	v_min_f32_e32 v24, v25, v24
	v_cvt_f16_f32_e32 v26, v24
	v_lshl_add_u64 v[24:25], v[44:45], 1, v[28:29]
	v_mov_b32_e32 v28, 0
	flat_store_short v[24:25], v26
	v_add_u32_e32 v26, 40, v52
	v_mad_i64_i32 v[24:25], s[4:5], v26, s6, 0
	v_lshl_add_u64 v[24:25], v[24:25], 1, s[16:17]
	s_cbranch_vccnz .LBB215_79
; %bb.78:
	v_lshl_add_u64 v[30:31], v[36:37], 1, v[24:25]
	flat_load_ushort v27, v[30:31]
	s_waitcnt vmcnt(0) lgkmcnt(0)
	v_mul_f16_e32 v27, s28, v27
	v_cvt_f32_f16_e32 v27, v27
.LBB215_79:
	v_pk_add_f16 v29, v38, v20
	v_max_f16_e32 v30, v106, v106
	v_pk_add_f16 v46, v39, v21
	v_min_f16_e32 v30, v30, v29
	v_lshrrev_b32_e32 v31, 16, v106
	v_lshrrev_b32_e32 v29, 16, v29
	;; [unrolled: 1-line block ×3, first 2 shown]
	v_min3_f16 v29, v31, v29, v47
	v_min3_f16 v29, v30, v46, v29
	v_cvt_f32_f16_e32 v29, v29
	v_mad_i64_i32 v[30:31], s[4:5], v26, s7, 0
	v_max_f32_e32 v26, v27, v27
	v_min_f32_e32 v26, v26, v29
	v_cvt_f16_f32_e32 v29, v26
	v_lshl_add_u64 v[26:27], v[30:31], 1, s[2:3]
	v_lshl_add_u64 v[30:31], v[36:37], 1, v[26:27]
	s_and_b64 vcc, exec, s[0:1]
	flat_store_short v[30:31], v29
	s_cbranch_vccnz .LBB215_81
; %bb.80:
	v_lshl_add_u64 v[28:29], v[40:41], 1, v[24:25]
	flat_load_ushort v28, v[28:29]
	s_waitcnt vmcnt(0) lgkmcnt(0)
	v_mul_f16_e32 v28, s28, v28
	v_cvt_f32_f16_e32 v28, v28
.LBB215_81:
	v_pk_add_f16 v29, v0, v20
	v_max_f16_e32 v30, v104, v104
	v_pk_add_f16 v46, v1, v21
	v_min_f16_e32 v30, v30, v29
	v_lshrrev_b32_e32 v31, 16, v104
	v_lshrrev_b32_e32 v29, 16, v29
	;; [unrolled: 1-line block ×3, first 2 shown]
	v_min3_f16 v29, v31, v29, v47
	v_min3_f16 v29, v30, v46, v29
	v_cvt_f32_f16_e32 v29, v29
	v_max_f32_e32 v28, v28, v28
	s_and_b64 vcc, exec, s[0:1]
	v_min_f32_e32 v28, v28, v29
	v_cvt_f16_f32_e32 v30, v28
	v_lshl_add_u64 v[28:29], v[40:41], 1, v[26:27]
	flat_store_short v[28:29], v30
	v_mov_b32_e32 v28, 0
	v_mov_b32_e32 v29, 0
	s_cbranch_vccnz .LBB215_83
; %bb.82:
	v_lshl_add_u64 v[30:31], v[42:43], 1, v[24:25]
	flat_load_ushort v29, v[30:31]
	s_waitcnt vmcnt(0) lgkmcnt(0)
	v_mul_f16_e32 v29, s28, v29
	v_cvt_f32_f16_e32 v29, v29
.LBB215_83:
	v_pk_add_f16 v30, v2, v20
	v_max_f16_e32 v31, v103, v103
	v_pk_add_f16 v47, v3, v21
	v_min_f16_e32 v31, v31, v30
	v_lshrrev_b32_e32 v46, 16, v103
	v_lshrrev_b32_e32 v30, 16, v30
	;; [unrolled: 1-line block ×3, first 2 shown]
	v_min3_f16 v30, v46, v30, v48
	v_min3_f16 v30, v31, v47, v30
	v_cvt_f32_f16_e32 v30, v30
	v_max_f32_e32 v29, v29, v29
	s_and_b64 vcc, exec, s[0:1]
	v_min_f32_e32 v29, v29, v30
	v_cvt_f16_f32_e32 v29, v29
	v_lshl_add_u64 v[30:31], v[42:43], 1, v[26:27]
	flat_store_short v[30:31], v29
	s_cbranch_vccnz .LBB215_85
; %bb.84:
	v_lshl_add_u64 v[24:25], v[44:45], 1, v[24:25]
	flat_load_ushort v24, v[24:25]
	s_waitcnt vmcnt(0) lgkmcnt(0)
	v_mul_f16_e32 v24, s28, v24
	v_cvt_f32_f16_e32 v28, v24
.LBB215_85:
	v_pk_add_f16 v20, v32, v20
	v_max_f16_e32 v24, v102, v102
	v_pk_add_f16 v21, v33, v21
	v_min_f16_e32 v24, v24, v20
	v_lshrrev_b32_e32 v25, 16, v102
	v_lshrrev_b32_e32 v20, 16, v20
	;; [unrolled: 1-line block ×3, first 2 shown]
	v_min3_f16 v20, v25, v20, v29
	v_min3_f16 v20, v24, v21, v20
	v_cvt_f32_f16_e32 v20, v20
	v_max_f32_e32 v21, v28, v28
	s_and_b64 vcc, exec, s[0:1]
	v_mov_b32_e32 v25, 0
	v_min_f32_e32 v20, v21, v20
	v_cvt_f16_f32_e32 v24, v20
	v_lshl_add_u64 v[20:21], v[44:45], 1, v[26:27]
	v_mov_b32_e32 v26, 0
	flat_store_short v[20:21], v24
	v_add_u32_e32 v24, 48, v52
	v_mad_i64_i32 v[20:21], s[4:5], v24, s6, 0
	v_lshl_add_u64 v[20:21], v[20:21], 1, s[16:17]
	s_cbranch_vccnz .LBB215_87
; %bb.86:
	v_lshl_add_u64 v[28:29], v[36:37], 1, v[20:21]
	flat_load_ushort v25, v[28:29]
	s_waitcnt vmcnt(0) lgkmcnt(0)
	v_mul_f16_e32 v25, s28, v25
	v_cvt_f32_f16_e32 v25, v25
.LBB215_87:
	v_pk_add_f16 v27, v38, v22
	v_max_f16_e32 v28, v101, v101
	v_pk_add_f16 v30, v39, v23
	v_min_f16_e32 v28, v28, v27
	v_lshrrev_b32_e32 v29, 16, v101
	v_lshrrev_b32_e32 v27, 16, v27
	;; [unrolled: 1-line block ×3, first 2 shown]
	v_min3_f16 v27, v29, v27, v31
	v_min3_f16 v27, v28, v30, v27
	v_cvt_f32_f16_e32 v27, v27
	v_mad_i64_i32 v[28:29], s[4:5], v24, s7, 0
	v_max_f32_e32 v24, v25, v25
	v_min_f32_e32 v24, v24, v27
	v_cvt_f16_f32_e32 v27, v24
	v_lshl_add_u64 v[24:25], v[28:29], 1, s[2:3]
	v_lshl_add_u64 v[28:29], v[36:37], 1, v[24:25]
	s_and_b64 vcc, exec, s[0:1]
	flat_store_short v[28:29], v27
	s_cbranch_vccnz .LBB215_89
; %bb.88:
	v_lshl_add_u64 v[26:27], v[40:41], 1, v[20:21]
	flat_load_ushort v26, v[26:27]
	s_waitcnt vmcnt(0) lgkmcnt(0)
	v_mul_f16_e32 v26, s28, v26
	v_cvt_f32_f16_e32 v26, v26
.LBB215_89:
	v_pk_add_f16 v27, v0, v22
	v_max_f16_e32 v28, v100, v100
	v_pk_add_f16 v30, v1, v23
	v_min_f16_e32 v28, v28, v27
	v_lshrrev_b32_e32 v29, 16, v100
	v_lshrrev_b32_e32 v27, 16, v27
	;; [unrolled: 1-line block ×3, first 2 shown]
	v_min3_f16 v27, v29, v27, v31
	v_min3_f16 v27, v28, v30, v27
	v_cvt_f32_f16_e32 v27, v27
	v_max_f32_e32 v26, v26, v26
	s_and_b64 vcc, exec, s[0:1]
	v_min_f32_e32 v26, v26, v27
	v_cvt_f16_f32_e32 v28, v26
	v_lshl_add_u64 v[26:27], v[40:41], 1, v[24:25]
	flat_store_short v[26:27], v28
	v_mov_b32_e32 v26, 0
	v_mov_b32_e32 v27, 0
	s_cbranch_vccnz .LBB215_91
; %bb.90:
	v_lshl_add_u64 v[28:29], v[42:43], 1, v[20:21]
	flat_load_ushort v27, v[28:29]
	s_waitcnt vmcnt(0) lgkmcnt(0)
	v_mul_f16_e32 v27, s28, v27
	v_cvt_f32_f16_e32 v27, v27
.LBB215_91:
	v_pk_add_f16 v28, v2, v22
	v_max_f16_e32 v29, v99, v99
	v_pk_add_f16 v31, v3, v23
	v_min_f16_e32 v29, v29, v28
	v_lshrrev_b32_e32 v30, 16, v99
	v_lshrrev_b32_e32 v28, 16, v28
	v_lshrrev_b32_e32 v46, 16, v31
	v_min3_f16 v28, v30, v28, v46
	v_min3_f16 v28, v29, v31, v28
	v_cvt_f32_f16_e32 v28, v28
	v_max_f32_e32 v27, v27, v27
	s_and_b64 vcc, exec, s[0:1]
	v_min_f32_e32 v27, v27, v28
	v_cvt_f16_f32_e32 v27, v27
	v_lshl_add_u64 v[28:29], v[42:43], 1, v[24:25]
	flat_store_short v[28:29], v27
	s_cbranch_vccnz .LBB215_93
; %bb.92:
	v_lshl_add_u64 v[20:21], v[44:45], 1, v[20:21]
	flat_load_ushort v20, v[20:21]
	s_waitcnt vmcnt(0) lgkmcnt(0)
	v_mul_f16_e32 v20, s28, v20
	v_cvt_f32_f16_e32 v26, v20
.LBB215_93:
	v_pk_add_f16 v20, v32, v22
	v_max_f16_e32 v21, v97, v97
	v_pk_add_f16 v23, v33, v23
	v_min_f16_e32 v21, v21, v20
	v_lshrrev_b32_e32 v22, 16, v97
	v_lshrrev_b32_e32 v20, 16, v20
	;; [unrolled: 1-line block ×3, first 2 shown]
	v_min3_f16 v20, v22, v20, v27
	v_min3_f16 v20, v21, v23, v20
	v_cvt_f32_f16_e32 v20, v20
	v_max_f32_e32 v21, v26, v26
	s_and_b64 vcc, exec, s[0:1]
	v_mov_b32_e32 v23, 0
	v_min_f32_e32 v20, v21, v20
	v_cvt_f16_f32_e32 v22, v20
	v_lshl_add_u64 v[20:21], v[44:45], 1, v[24:25]
	v_mov_b32_e32 v24, 0
	flat_store_short v[20:21], v22
	v_add_u32_e32 v22, 56, v52
	v_mad_i64_i32 v[20:21], s[4:5], v22, s6, 0
	v_lshl_add_u64 v[20:21], v[20:21], 1, s[16:17]
	s_cbranch_vccnz .LBB215_95
; %bb.94:
	v_lshl_add_u64 v[26:27], v[36:37], 1, v[20:21]
	flat_load_ushort v23, v[26:27]
	s_waitcnt vmcnt(0) lgkmcnt(0)
	v_mul_f16_e32 v23, s28, v23
	v_cvt_f32_f16_e32 v23, v23
.LBB215_95:
	v_pk_add_f16 v25, v38, v16
	v_max_f16_e32 v26, v95, v95
	v_pk_add_f16 v28, v39, v17
	v_min_f16_e32 v26, v26, v25
	v_lshrrev_b32_e32 v27, 16, v95
	v_lshrrev_b32_e32 v25, 16, v25
	;; [unrolled: 1-line block ×3, first 2 shown]
	v_min3_f16 v25, v27, v25, v29
	v_min3_f16 v25, v26, v28, v25
	v_cvt_f32_f16_e32 v25, v25
	v_mad_i64_i32 v[26:27], s[4:5], v22, s7, 0
	v_max_f32_e32 v22, v23, v23
	v_min_f32_e32 v22, v22, v25
	v_cvt_f16_f32_e32 v25, v22
	v_lshl_add_u64 v[22:23], v[26:27], 1, s[2:3]
	v_lshl_add_u64 v[26:27], v[36:37], 1, v[22:23]
	s_and_b64 vcc, exec, s[0:1]
	flat_store_short v[26:27], v25
	s_cbranch_vccnz .LBB215_97
; %bb.96:
	v_lshl_add_u64 v[24:25], v[40:41], 1, v[20:21]
	flat_load_ushort v24, v[24:25]
	s_waitcnt vmcnt(0) lgkmcnt(0)
	v_mul_f16_e32 v24, s28, v24
	v_cvt_f32_f16_e32 v24, v24
.LBB215_97:
	v_pk_add_f16 v25, v0, v16
	v_max_f16_e32 v26, v94, v94
	v_pk_add_f16 v28, v1, v17
	v_min_f16_e32 v26, v26, v25
	v_lshrrev_b32_e32 v27, 16, v94
	v_lshrrev_b32_e32 v25, 16, v25
	;; [unrolled: 1-line block ×3, first 2 shown]
	v_min3_f16 v25, v27, v25, v29
	v_min3_f16 v25, v26, v28, v25
	v_cvt_f32_f16_e32 v25, v25
	v_max_f32_e32 v24, v24, v24
	s_and_b64 vcc, exec, s[0:1]
	v_min_f32_e32 v24, v24, v25
	v_cvt_f16_f32_e32 v26, v24
	v_lshl_add_u64 v[24:25], v[40:41], 1, v[22:23]
	flat_store_short v[24:25], v26
	v_mov_b32_e32 v24, 0
	v_mov_b32_e32 v25, 0
	s_cbranch_vccnz .LBB215_99
; %bb.98:
	v_lshl_add_u64 v[26:27], v[42:43], 1, v[20:21]
	flat_load_ushort v25, v[26:27]
	s_waitcnt vmcnt(0) lgkmcnt(0)
	v_mul_f16_e32 v25, s28, v25
	v_cvt_f32_f16_e32 v25, v25
.LBB215_99:
	v_pk_add_f16 v26, v2, v16
	v_max_f16_e32 v27, v93, v93
	v_pk_add_f16 v29, v3, v17
	v_min_f16_e32 v27, v27, v26
	v_lshrrev_b32_e32 v28, 16, v93
	v_lshrrev_b32_e32 v26, 16, v26
	;; [unrolled: 1-line block ×3, first 2 shown]
	v_min3_f16 v26, v28, v26, v30
	v_min3_f16 v26, v27, v29, v26
	v_cvt_f32_f16_e32 v26, v26
	v_max_f32_e32 v25, v25, v25
	s_and_b64 vcc, exec, s[0:1]
	v_min_f32_e32 v25, v25, v26
	v_cvt_f16_f32_e32 v25, v25
	v_lshl_add_u64 v[26:27], v[42:43], 1, v[22:23]
	flat_store_short v[26:27], v25
	s_cbranch_vccnz .LBB215_101
; %bb.100:
	v_lshl_add_u64 v[20:21], v[44:45], 1, v[20:21]
	flat_load_ushort v20, v[20:21]
	s_waitcnt vmcnt(0) lgkmcnt(0)
	v_mul_f16_e32 v20, s28, v20
	v_cvt_f32_f16_e32 v24, v20
.LBB215_101:
	v_pk_add_f16 v16, v32, v16
	v_max_f16_e32 v20, v92, v92
	v_pk_add_f16 v17, v33, v17
	v_min_f16_e32 v20, v20, v16
	v_lshrrev_b32_e32 v21, 16, v92
	v_lshrrev_b32_e32 v16, 16, v16
	;; [unrolled: 1-line block ×3, first 2 shown]
	v_min3_f16 v16, v21, v16, v25
	v_min3_f16 v16, v20, v17, v16
	v_cvt_f32_f16_e32 v16, v16
	v_max_f32_e32 v17, v24, v24
	s_and_b64 vcc, exec, s[0:1]
	v_mov_b32_e32 v21, 0
	v_min_f32_e32 v16, v17, v16
	v_cvt_f16_f32_e32 v20, v16
	v_lshl_add_u64 v[16:17], v[44:45], 1, v[22:23]
	v_mov_b32_e32 v22, 0
	flat_store_short v[16:17], v20
	v_add_u32_e32 v20, 64, v52
	v_mad_i64_i32 v[16:17], s[4:5], v20, s6, 0
	v_lshl_add_u64 v[16:17], v[16:17], 1, s[16:17]
	s_cbranch_vccnz .LBB215_103
; %bb.102:
	v_lshl_add_u64 v[24:25], v[36:37], 1, v[16:17]
	flat_load_ushort v21, v[24:25]
	s_waitcnt vmcnt(0) lgkmcnt(0)
	v_mul_f16_e32 v21, s28, v21
	v_cvt_f32_f16_e32 v21, v21
.LBB215_103:
	v_pk_add_f16 v23, v38, v18
	v_max_f16_e32 v24, v91, v91
	v_pk_add_f16 v26, v39, v19
	v_min_f16_e32 v24, v24, v23
	v_lshrrev_b32_e32 v25, 16, v91
	v_lshrrev_b32_e32 v23, 16, v23
	v_lshrrev_b32_e32 v27, 16, v26
	v_min3_f16 v23, v25, v23, v27
	v_min3_f16 v23, v24, v26, v23
	v_cvt_f32_f16_e32 v23, v23
	v_mad_i64_i32 v[24:25], s[4:5], v20, s7, 0
	v_max_f32_e32 v20, v21, v21
	v_min_f32_e32 v20, v20, v23
	v_cvt_f16_f32_e32 v23, v20
	v_lshl_add_u64 v[20:21], v[24:25], 1, s[2:3]
	v_lshl_add_u64 v[24:25], v[36:37], 1, v[20:21]
	s_and_b64 vcc, exec, s[0:1]
	flat_store_short v[24:25], v23
	s_cbranch_vccnz .LBB215_105
; %bb.104:
	v_lshl_add_u64 v[22:23], v[40:41], 1, v[16:17]
	flat_load_ushort v22, v[22:23]
	s_waitcnt vmcnt(0) lgkmcnt(0)
	v_mul_f16_e32 v22, s28, v22
	v_cvt_f32_f16_e32 v22, v22
.LBB215_105:
	v_pk_add_f16 v23, v0, v18
	v_max_f16_e32 v24, v90, v90
	v_pk_add_f16 v26, v1, v19
	v_min_f16_e32 v24, v24, v23
	v_lshrrev_b32_e32 v25, 16, v90
	v_lshrrev_b32_e32 v23, 16, v23
	;; [unrolled: 1-line block ×3, first 2 shown]
	v_min3_f16 v23, v25, v23, v27
	v_min3_f16 v23, v24, v26, v23
	v_cvt_f32_f16_e32 v23, v23
	v_max_f32_e32 v22, v22, v22
	s_and_b64 vcc, exec, s[0:1]
	v_min_f32_e32 v22, v22, v23
	v_cvt_f16_f32_e32 v24, v22
	v_lshl_add_u64 v[22:23], v[40:41], 1, v[20:21]
	flat_store_short v[22:23], v24
	v_mov_b32_e32 v22, 0
	v_mov_b32_e32 v23, 0
	s_cbranch_vccnz .LBB215_107
; %bb.106:
	v_lshl_add_u64 v[24:25], v[42:43], 1, v[16:17]
	flat_load_ushort v23, v[24:25]
	s_waitcnt vmcnt(0) lgkmcnt(0)
	v_mul_f16_e32 v23, s28, v23
	v_cvt_f32_f16_e32 v23, v23
.LBB215_107:
	v_pk_add_f16 v24, v2, v18
	v_max_f16_e32 v25, v89, v89
	v_pk_add_f16 v27, v3, v19
	v_min_f16_e32 v25, v25, v24
	v_lshrrev_b32_e32 v26, 16, v89
	v_lshrrev_b32_e32 v24, 16, v24
	;; [unrolled: 1-line block ×3, first 2 shown]
	v_min3_f16 v24, v26, v24, v28
	v_min3_f16 v24, v25, v27, v24
	v_cvt_f32_f16_e32 v24, v24
	v_max_f32_e32 v23, v23, v23
	s_and_b64 vcc, exec, s[0:1]
	v_min_f32_e32 v23, v23, v24
	v_cvt_f16_f32_e32 v23, v23
	v_lshl_add_u64 v[24:25], v[42:43], 1, v[20:21]
	flat_store_short v[24:25], v23
	s_cbranch_vccnz .LBB215_109
; %bb.108:
	v_lshl_add_u64 v[16:17], v[44:45], 1, v[16:17]
	flat_load_ushort v16, v[16:17]
	s_waitcnt vmcnt(0) lgkmcnt(0)
	v_mul_f16_e32 v16, s28, v16
	v_cvt_f32_f16_e32 v22, v16
.LBB215_109:
	v_pk_add_f16 v16, v32, v18
	v_max_f16_e32 v17, v86, v86
	v_pk_add_f16 v19, v33, v19
	v_min_f16_e32 v17, v17, v16
	v_lshrrev_b32_e32 v18, 16, v86
	v_lshrrev_b32_e32 v16, 16, v16
	v_lshrrev_b32_e32 v23, 16, v19
	v_min3_f16 v16, v18, v16, v23
	v_min3_f16 v16, v17, v19, v16
	v_cvt_f32_f16_e32 v16, v16
	v_max_f32_e32 v17, v22, v22
	s_and_b64 vcc, exec, s[0:1]
	v_mov_b32_e32 v19, 0
	v_min_f32_e32 v16, v17, v16
	v_cvt_f16_f32_e32 v18, v16
	v_lshl_add_u64 v[16:17], v[44:45], 1, v[20:21]
	v_mov_b32_e32 v20, 0
	flat_store_short v[16:17], v18
	v_add_u32_e32 v18, 0x48, v52
	v_mad_i64_i32 v[16:17], s[4:5], v18, s6, 0
	v_lshl_add_u64 v[16:17], v[16:17], 1, s[16:17]
	s_cbranch_vccnz .LBB215_111
; %bb.110:
	v_lshl_add_u64 v[22:23], v[36:37], 1, v[16:17]
	flat_load_ushort v19, v[22:23]
	s_waitcnt vmcnt(0) lgkmcnt(0)
	v_mul_f16_e32 v19, s28, v19
	v_cvt_f32_f16_e32 v19, v19
.LBB215_111:
	v_pk_add_f16 v21, v38, v12
	v_max_f16_e32 v22, v85, v85
	v_pk_add_f16 v24, v39, v13
	v_min_f16_e32 v22, v22, v21
	v_lshrrev_b32_e32 v23, 16, v85
	v_lshrrev_b32_e32 v21, 16, v21
	;; [unrolled: 1-line block ×3, first 2 shown]
	v_min3_f16 v21, v23, v21, v25
	v_min3_f16 v21, v22, v24, v21
	v_cvt_f32_f16_e32 v21, v21
	v_mad_i64_i32 v[22:23], s[4:5], v18, s7, 0
	v_max_f32_e32 v18, v19, v19
	v_min_f32_e32 v18, v18, v21
	v_cvt_f16_f32_e32 v21, v18
	v_lshl_add_u64 v[18:19], v[22:23], 1, s[2:3]
	v_lshl_add_u64 v[22:23], v[36:37], 1, v[18:19]
	s_and_b64 vcc, exec, s[0:1]
	flat_store_short v[22:23], v21
	s_cbranch_vccnz .LBB215_113
; %bb.112:
	v_lshl_add_u64 v[20:21], v[40:41], 1, v[16:17]
	flat_load_ushort v20, v[20:21]
	s_waitcnt vmcnt(0) lgkmcnt(0)
	v_mul_f16_e32 v20, s28, v20
	v_cvt_f32_f16_e32 v20, v20
.LBB215_113:
	v_pk_add_f16 v21, v0, v12
	v_max_f16_e32 v22, v84, v84
	v_pk_add_f16 v24, v1, v13
	v_min_f16_e32 v22, v22, v21
	v_lshrrev_b32_e32 v23, 16, v84
	v_lshrrev_b32_e32 v21, 16, v21
	;; [unrolled: 1-line block ×3, first 2 shown]
	v_min3_f16 v21, v23, v21, v25
	v_min3_f16 v21, v22, v24, v21
	v_cvt_f32_f16_e32 v21, v21
	v_max_f32_e32 v20, v20, v20
	s_and_b64 vcc, exec, s[0:1]
	v_min_f32_e32 v20, v20, v21
	v_cvt_f16_f32_e32 v22, v20
	v_lshl_add_u64 v[20:21], v[40:41], 1, v[18:19]
	flat_store_short v[20:21], v22
	v_mov_b32_e32 v20, 0
	v_mov_b32_e32 v21, 0
	s_cbranch_vccnz .LBB215_115
; %bb.114:
	v_lshl_add_u64 v[22:23], v[42:43], 1, v[16:17]
	flat_load_ushort v21, v[22:23]
	s_waitcnt vmcnt(0) lgkmcnt(0)
	v_mul_f16_e32 v21, s28, v21
	v_cvt_f32_f16_e32 v21, v21
.LBB215_115:
	v_pk_add_f16 v22, v2, v12
	v_max_f16_e32 v23, v83, v83
	v_pk_add_f16 v25, v3, v13
	v_min_f16_e32 v23, v23, v22
	v_lshrrev_b32_e32 v24, 16, v83
	v_lshrrev_b32_e32 v22, 16, v22
	;; [unrolled: 1-line block ×3, first 2 shown]
	v_min3_f16 v22, v24, v22, v26
	v_min3_f16 v22, v23, v25, v22
	v_cvt_f32_f16_e32 v22, v22
	v_max_f32_e32 v21, v21, v21
	s_and_b64 vcc, exec, s[0:1]
	v_min_f32_e32 v21, v21, v22
	v_cvt_f16_f32_e32 v21, v21
	v_lshl_add_u64 v[22:23], v[42:43], 1, v[18:19]
	flat_store_short v[22:23], v21
	s_cbranch_vccnz .LBB215_117
; %bb.116:
	v_lshl_add_u64 v[16:17], v[44:45], 1, v[16:17]
	flat_load_ushort v16, v[16:17]
	s_waitcnt vmcnt(0) lgkmcnt(0)
	v_mul_f16_e32 v16, s28, v16
	v_cvt_f32_f16_e32 v20, v16
.LBB215_117:
	v_pk_add_f16 v12, v32, v12
	v_max_f16_e32 v16, v82, v82
	v_pk_add_f16 v13, v33, v13
	v_min_f16_e32 v16, v16, v12
	v_lshrrev_b32_e32 v17, 16, v82
	v_lshrrev_b32_e32 v12, 16, v12
	;; [unrolled: 1-line block ×3, first 2 shown]
	v_min3_f16 v12, v17, v12, v21
	v_min3_f16 v12, v16, v13, v12
	v_cvt_f32_f16_e32 v12, v12
	v_max_f32_e32 v13, v20, v20
	s_and_b64 vcc, exec, s[0:1]
	v_mov_b32_e32 v17, 0
	v_min_f32_e32 v12, v13, v12
	v_cvt_f16_f32_e32 v16, v12
	v_lshl_add_u64 v[12:13], v[44:45], 1, v[18:19]
	v_mov_b32_e32 v18, 0
	flat_store_short v[12:13], v16
	v_add_u32_e32 v16, 0x50, v52
	v_mad_i64_i32 v[12:13], s[4:5], v16, s6, 0
	v_lshl_add_u64 v[12:13], v[12:13], 1, s[16:17]
	s_cbranch_vccnz .LBB215_119
; %bb.118:
	v_lshl_add_u64 v[20:21], v[36:37], 1, v[12:13]
	flat_load_ushort v17, v[20:21]
	s_waitcnt vmcnt(0) lgkmcnt(0)
	v_mul_f16_e32 v17, s28, v17
	v_cvt_f32_f16_e32 v17, v17
.LBB215_119:
	v_pk_add_f16 v19, v38, v14
	v_max_f16_e32 v20, v81, v81
	v_pk_add_f16 v22, v39, v15
	v_min_f16_e32 v20, v20, v19
	v_lshrrev_b32_e32 v21, 16, v81
	v_lshrrev_b32_e32 v19, 16, v19
	;; [unrolled: 1-line block ×3, first 2 shown]
	v_min3_f16 v19, v21, v19, v23
	v_min3_f16 v19, v20, v22, v19
	v_cvt_f32_f16_e32 v19, v19
	v_mad_i64_i32 v[20:21], s[4:5], v16, s7, 0
	v_max_f32_e32 v16, v17, v17
	v_min_f32_e32 v16, v16, v19
	v_cvt_f16_f32_e32 v19, v16
	v_lshl_add_u64 v[16:17], v[20:21], 1, s[2:3]
	v_lshl_add_u64 v[20:21], v[36:37], 1, v[16:17]
	s_and_b64 vcc, exec, s[0:1]
	flat_store_short v[20:21], v19
	s_cbranch_vccnz .LBB215_121
; %bb.120:
	v_lshl_add_u64 v[18:19], v[40:41], 1, v[12:13]
	flat_load_ushort v18, v[18:19]
	s_waitcnt vmcnt(0) lgkmcnt(0)
	v_mul_f16_e32 v18, s28, v18
	v_cvt_f32_f16_e32 v18, v18
.LBB215_121:
	v_pk_add_f16 v19, v0, v14
	v_max_f16_e32 v20, v80, v80
	v_pk_add_f16 v22, v1, v15
	v_min_f16_e32 v20, v20, v19
	v_lshrrev_b32_e32 v21, 16, v80
	v_lshrrev_b32_e32 v19, 16, v19
	;; [unrolled: 1-line block ×3, first 2 shown]
	v_min3_f16 v19, v21, v19, v23
	v_min3_f16 v19, v20, v22, v19
	v_cvt_f32_f16_e32 v19, v19
	v_max_f32_e32 v18, v18, v18
	s_and_b64 vcc, exec, s[0:1]
	v_min_f32_e32 v18, v18, v19
	v_cvt_f16_f32_e32 v20, v18
	v_lshl_add_u64 v[18:19], v[40:41], 1, v[16:17]
	flat_store_short v[18:19], v20
	v_mov_b32_e32 v18, 0
	v_mov_b32_e32 v19, 0
	s_cbranch_vccnz .LBB215_123
; %bb.122:
	v_lshl_add_u64 v[20:21], v[42:43], 1, v[12:13]
	flat_load_ushort v19, v[20:21]
	s_waitcnt vmcnt(0) lgkmcnt(0)
	v_mul_f16_e32 v19, s28, v19
	v_cvt_f32_f16_e32 v19, v19
.LBB215_123:
	v_pk_add_f16 v20, v2, v14
	v_max_f16_e32 v21, v79, v79
	v_pk_add_f16 v23, v3, v15
	v_min_f16_e32 v21, v21, v20
	v_lshrrev_b32_e32 v22, 16, v79
	v_lshrrev_b32_e32 v20, 16, v20
	;; [unrolled: 1-line block ×3, first 2 shown]
	v_min3_f16 v20, v22, v20, v24
	v_min3_f16 v20, v21, v23, v20
	v_cvt_f32_f16_e32 v20, v20
	v_max_f32_e32 v19, v19, v19
	s_and_b64 vcc, exec, s[0:1]
	v_min_f32_e32 v19, v19, v20
	v_cvt_f16_f32_e32 v19, v19
	v_lshl_add_u64 v[20:21], v[42:43], 1, v[16:17]
	flat_store_short v[20:21], v19
	s_cbranch_vccnz .LBB215_125
; %bb.124:
	v_lshl_add_u64 v[12:13], v[44:45], 1, v[12:13]
	flat_load_ushort v12, v[12:13]
	s_waitcnt vmcnt(0) lgkmcnt(0)
	v_mul_f16_e32 v12, s28, v12
	v_cvt_f32_f16_e32 v18, v12
.LBB215_125:
	v_pk_add_f16 v12, v32, v14
	v_max_f16_e32 v13, v78, v78
	v_pk_add_f16 v15, v33, v15
	v_min_f16_e32 v13, v13, v12
	v_lshrrev_b32_e32 v14, 16, v78
	v_lshrrev_b32_e32 v12, 16, v12
	;; [unrolled: 1-line block ×3, first 2 shown]
	v_min3_f16 v12, v14, v12, v19
	v_min3_f16 v12, v13, v15, v12
	v_cvt_f32_f16_e32 v12, v12
	v_max_f32_e32 v13, v18, v18
	s_and_b64 vcc, exec, s[0:1]
	v_mov_b32_e32 v15, 0
	v_min_f32_e32 v12, v13, v12
	v_cvt_f16_f32_e32 v14, v12
	v_lshl_add_u64 v[12:13], v[44:45], 1, v[16:17]
	v_mov_b32_e32 v16, 0
	flat_store_short v[12:13], v14
	v_add_u32_e32 v14, 0x58, v52
	v_mad_i64_i32 v[12:13], s[4:5], v14, s6, 0
	v_lshl_add_u64 v[12:13], v[12:13], 1, s[16:17]
	s_cbranch_vccnz .LBB215_127
; %bb.126:
	v_lshl_add_u64 v[18:19], v[36:37], 1, v[12:13]
	flat_load_ushort v15, v[18:19]
	s_waitcnt vmcnt(0) lgkmcnt(0)
	v_mul_f16_e32 v15, s28, v15
	v_cvt_f32_f16_e32 v15, v15
.LBB215_127:
	v_pk_add_f16 v17, v38, v8
	v_max_f16_e32 v18, v77, v77
	v_pk_add_f16 v20, v39, v9
	v_min_f16_e32 v18, v18, v17
	v_lshrrev_b32_e32 v19, 16, v77
	v_lshrrev_b32_e32 v17, 16, v17
	;; [unrolled: 1-line block ×3, first 2 shown]
	v_min3_f16 v17, v19, v17, v21
	v_min3_f16 v17, v18, v20, v17
	v_cvt_f32_f16_e32 v17, v17
	v_mad_i64_i32 v[18:19], s[4:5], v14, s7, 0
	v_max_f32_e32 v14, v15, v15
	v_min_f32_e32 v14, v14, v17
	v_cvt_f16_f32_e32 v17, v14
	v_lshl_add_u64 v[14:15], v[18:19], 1, s[2:3]
	v_lshl_add_u64 v[18:19], v[36:37], 1, v[14:15]
	s_and_b64 vcc, exec, s[0:1]
	flat_store_short v[18:19], v17
	s_cbranch_vccnz .LBB215_129
; %bb.128:
	v_lshl_add_u64 v[16:17], v[40:41], 1, v[12:13]
	flat_load_ushort v16, v[16:17]
	s_waitcnt vmcnt(0) lgkmcnt(0)
	v_mul_f16_e32 v16, s28, v16
	v_cvt_f32_f16_e32 v16, v16
.LBB215_129:
	v_pk_add_f16 v17, v0, v8
	v_max_f16_e32 v18, v76, v76
	v_pk_add_f16 v20, v1, v9
	v_min_f16_e32 v18, v18, v17
	v_lshrrev_b32_e32 v19, 16, v76
	v_lshrrev_b32_e32 v17, 16, v17
	;; [unrolled: 1-line block ×3, first 2 shown]
	v_min3_f16 v17, v19, v17, v21
	v_min3_f16 v17, v18, v20, v17
	v_cvt_f32_f16_e32 v17, v17
	v_max_f32_e32 v16, v16, v16
	s_and_b64 vcc, exec, s[0:1]
	v_min_f32_e32 v16, v16, v17
	v_cvt_f16_f32_e32 v18, v16
	v_lshl_add_u64 v[16:17], v[40:41], 1, v[14:15]
	flat_store_short v[16:17], v18
	v_mov_b32_e32 v16, 0
	v_mov_b32_e32 v17, 0
	s_cbranch_vccnz .LBB215_131
; %bb.130:
	v_lshl_add_u64 v[18:19], v[42:43], 1, v[12:13]
	flat_load_ushort v17, v[18:19]
	s_waitcnt vmcnt(0) lgkmcnt(0)
	v_mul_f16_e32 v17, s28, v17
	v_cvt_f32_f16_e32 v17, v17
.LBB215_131:
	v_pk_add_f16 v18, v2, v8
	v_max_f16_e32 v19, v75, v75
	v_pk_add_f16 v21, v3, v9
	v_min_f16_e32 v19, v19, v18
	v_lshrrev_b32_e32 v20, 16, v75
	v_lshrrev_b32_e32 v18, 16, v18
	;; [unrolled: 1-line block ×3, first 2 shown]
	v_min3_f16 v18, v20, v18, v22
	v_min3_f16 v18, v19, v21, v18
	v_cvt_f32_f16_e32 v18, v18
	v_max_f32_e32 v17, v17, v17
	s_and_b64 vcc, exec, s[0:1]
	v_min_f32_e32 v17, v17, v18
	v_cvt_f16_f32_e32 v17, v17
	v_lshl_add_u64 v[18:19], v[42:43], 1, v[14:15]
	flat_store_short v[18:19], v17
	s_cbranch_vccnz .LBB215_133
; %bb.132:
	v_lshl_add_u64 v[12:13], v[44:45], 1, v[12:13]
	flat_load_ushort v12, v[12:13]
	s_waitcnt vmcnt(0) lgkmcnt(0)
	v_mul_f16_e32 v12, s28, v12
	v_cvt_f32_f16_e32 v16, v12
.LBB215_133:
	v_pk_add_f16 v8, v32, v8
	v_max_f16_e32 v12, v74, v74
	v_pk_add_f16 v9, v33, v9
	v_min_f16_e32 v12, v12, v8
	v_lshrrev_b32_e32 v13, 16, v74
	v_lshrrev_b32_e32 v8, 16, v8
	v_lshrrev_b32_e32 v17, 16, v9
	v_min3_f16 v8, v13, v8, v17
	v_min3_f16 v8, v12, v9, v8
	v_cvt_f32_f16_e32 v8, v8
	v_max_f32_e32 v9, v16, v16
	s_and_b64 vcc, exec, s[0:1]
	v_mov_b32_e32 v13, 0
	v_min_f32_e32 v8, v9, v8
	v_cvt_f16_f32_e32 v12, v8
	v_lshl_add_u64 v[8:9], v[44:45], 1, v[14:15]
	v_mov_b32_e32 v14, 0
	flat_store_short v[8:9], v12
	v_add_u32_e32 v12, 0x60, v52
	v_mad_i64_i32 v[8:9], s[4:5], v12, s6, 0
	v_lshl_add_u64 v[8:9], v[8:9], 1, s[16:17]
	s_cbranch_vccnz .LBB215_135
; %bb.134:
	v_lshl_add_u64 v[16:17], v[36:37], 1, v[8:9]
	flat_load_ushort v13, v[16:17]
	s_waitcnt vmcnt(0) lgkmcnt(0)
	v_mul_f16_e32 v13, s28, v13
	v_cvt_f32_f16_e32 v13, v13
.LBB215_135:
	v_pk_add_f16 v15, v38, v10
	v_max_f16_e32 v16, v73, v73
	v_pk_add_f16 v18, v39, v11
	v_min_f16_e32 v16, v16, v15
	v_lshrrev_b32_e32 v17, 16, v73
	v_lshrrev_b32_e32 v15, 16, v15
	;; [unrolled: 1-line block ×3, first 2 shown]
	v_min3_f16 v15, v17, v15, v19
	v_min3_f16 v15, v16, v18, v15
	v_cvt_f32_f16_e32 v15, v15
	v_mad_i64_i32 v[16:17], s[4:5], v12, s7, 0
	v_max_f32_e32 v12, v13, v13
	v_min_f32_e32 v12, v12, v15
	v_cvt_f16_f32_e32 v15, v12
	v_lshl_add_u64 v[12:13], v[16:17], 1, s[2:3]
	v_lshl_add_u64 v[16:17], v[36:37], 1, v[12:13]
	s_and_b64 vcc, exec, s[0:1]
	flat_store_short v[16:17], v15
	s_cbranch_vccnz .LBB215_137
; %bb.136:
	v_lshl_add_u64 v[14:15], v[40:41], 1, v[8:9]
	flat_load_ushort v14, v[14:15]
	s_waitcnt vmcnt(0) lgkmcnt(0)
	v_mul_f16_e32 v14, s28, v14
	v_cvt_f32_f16_e32 v14, v14
.LBB215_137:
	v_pk_add_f16 v15, v0, v10
	v_max_f16_e32 v16, v72, v72
	v_pk_add_f16 v18, v1, v11
	v_min_f16_e32 v16, v16, v15
	v_lshrrev_b32_e32 v17, 16, v72
	v_lshrrev_b32_e32 v15, 16, v15
	;; [unrolled: 1-line block ×3, first 2 shown]
	v_min3_f16 v15, v17, v15, v19
	v_min3_f16 v15, v16, v18, v15
	v_cvt_f32_f16_e32 v15, v15
	v_max_f32_e32 v14, v14, v14
	s_and_b64 vcc, exec, s[0:1]
	v_min_f32_e32 v14, v14, v15
	v_cvt_f16_f32_e32 v16, v14
	v_lshl_add_u64 v[14:15], v[40:41], 1, v[12:13]
	flat_store_short v[14:15], v16
	v_mov_b32_e32 v14, 0
	v_mov_b32_e32 v15, 0
	s_cbranch_vccnz .LBB215_139
; %bb.138:
	v_lshl_add_u64 v[16:17], v[42:43], 1, v[8:9]
	flat_load_ushort v15, v[16:17]
	s_waitcnt vmcnt(0) lgkmcnt(0)
	v_mul_f16_e32 v15, s28, v15
	v_cvt_f32_f16_e32 v15, v15
.LBB215_139:
	v_pk_add_f16 v16, v2, v10
	v_max_f16_e32 v17, v71, v71
	v_pk_add_f16 v19, v3, v11
	v_min_f16_e32 v17, v17, v16
	v_lshrrev_b32_e32 v18, 16, v71
	v_lshrrev_b32_e32 v16, 16, v16
	;; [unrolled: 1-line block ×3, first 2 shown]
	v_min3_f16 v16, v18, v16, v20
	v_min3_f16 v16, v17, v19, v16
	v_cvt_f32_f16_e32 v16, v16
	v_max_f32_e32 v15, v15, v15
	s_and_b64 vcc, exec, s[0:1]
	v_min_f32_e32 v15, v15, v16
	v_cvt_f16_f32_e32 v15, v15
	v_lshl_add_u64 v[16:17], v[42:43], 1, v[12:13]
	flat_store_short v[16:17], v15
	s_cbranch_vccnz .LBB215_141
; %bb.140:
	v_lshl_add_u64 v[8:9], v[44:45], 1, v[8:9]
	flat_load_ushort v8, v[8:9]
	s_waitcnt vmcnt(0) lgkmcnt(0)
	v_mul_f16_e32 v8, s28, v8
	v_cvt_f32_f16_e32 v14, v8
.LBB215_141:
	v_pk_add_f16 v8, v32, v10
	v_max_f16_e32 v9, v70, v70
	v_pk_add_f16 v11, v33, v11
	v_min_f16_e32 v9, v9, v8
	v_lshrrev_b32_e32 v10, 16, v70
	v_lshrrev_b32_e32 v8, 16, v8
	;; [unrolled: 1-line block ×3, first 2 shown]
	v_min3_f16 v8, v10, v8, v15
	v_min3_f16 v8, v9, v11, v8
	v_cvt_f32_f16_e32 v8, v8
	v_max_f32_e32 v9, v14, v14
	s_and_b64 vcc, exec, s[0:1]
	v_mov_b32_e32 v11, 0
	v_min_f32_e32 v8, v9, v8
	v_cvt_f16_f32_e32 v10, v8
	v_lshl_add_u64 v[8:9], v[44:45], 1, v[12:13]
	v_mov_b32_e32 v12, 0
	flat_store_short v[8:9], v10
	v_add_u32_e32 v10, 0x68, v52
	v_mad_i64_i32 v[8:9], s[4:5], v10, s6, 0
	v_lshl_add_u64 v[8:9], v[8:9], 1, s[16:17]
	s_cbranch_vccnz .LBB215_143
; %bb.142:
	v_lshl_add_u64 v[14:15], v[36:37], 1, v[8:9]
	flat_load_ushort v11, v[14:15]
	s_waitcnt vmcnt(0) lgkmcnt(0)
	v_mul_f16_e32 v11, s28, v11
	v_cvt_f32_f16_e32 v11, v11
.LBB215_143:
	v_pk_add_f16 v13, v38, v4
	v_max_f16_e32 v14, v69, v69
	v_pk_add_f16 v16, v39, v5
	v_min_f16_e32 v14, v14, v13
	v_lshrrev_b32_e32 v15, 16, v69
	v_lshrrev_b32_e32 v13, 16, v13
	;; [unrolled: 1-line block ×3, first 2 shown]
	v_min3_f16 v13, v15, v13, v17
	v_min3_f16 v13, v14, v16, v13
	v_cvt_f32_f16_e32 v13, v13
	v_mad_i64_i32 v[14:15], s[4:5], v10, s7, 0
	v_max_f32_e32 v10, v11, v11
	v_min_f32_e32 v10, v10, v13
	v_cvt_f16_f32_e32 v13, v10
	v_lshl_add_u64 v[10:11], v[14:15], 1, s[2:3]
	v_lshl_add_u64 v[14:15], v[36:37], 1, v[10:11]
	s_and_b64 vcc, exec, s[0:1]
	flat_store_short v[14:15], v13
	s_cbranch_vccnz .LBB215_145
; %bb.144:
	v_lshl_add_u64 v[12:13], v[40:41], 1, v[8:9]
	flat_load_ushort v12, v[12:13]
	s_waitcnt vmcnt(0) lgkmcnt(0)
	v_mul_f16_e32 v12, s28, v12
	v_cvt_f32_f16_e32 v12, v12
.LBB215_145:
	v_pk_add_f16 v13, v0, v4
	v_max_f16_e32 v14, v68, v68
	v_pk_add_f16 v16, v1, v5
	v_min_f16_e32 v14, v14, v13
	v_lshrrev_b32_e32 v15, 16, v68
	v_lshrrev_b32_e32 v13, 16, v13
	v_lshrrev_b32_e32 v17, 16, v16
	v_min3_f16 v13, v15, v13, v17
	v_min3_f16 v13, v14, v16, v13
	v_cvt_f32_f16_e32 v13, v13
	v_max_f32_e32 v12, v12, v12
	s_and_b64 vcc, exec, s[0:1]
	v_min_f32_e32 v12, v12, v13
	v_cvt_f16_f32_e32 v14, v12
	v_lshl_add_u64 v[12:13], v[40:41], 1, v[10:11]
	flat_store_short v[12:13], v14
	v_mov_b32_e32 v12, 0
	v_mov_b32_e32 v13, 0
	s_cbranch_vccnz .LBB215_147
; %bb.146:
	v_lshl_add_u64 v[14:15], v[42:43], 1, v[8:9]
	flat_load_ushort v13, v[14:15]
	s_waitcnt vmcnt(0) lgkmcnt(0)
	v_mul_f16_e32 v13, s28, v13
	v_cvt_f32_f16_e32 v13, v13
.LBB215_147:
	v_pk_add_f16 v14, v2, v4
	v_max_f16_e32 v15, v67, v67
	v_pk_add_f16 v17, v3, v5
	v_min_f16_e32 v15, v15, v14
	v_lshrrev_b32_e32 v16, 16, v67
	v_lshrrev_b32_e32 v14, 16, v14
	;; [unrolled: 1-line block ×3, first 2 shown]
	v_min3_f16 v14, v16, v14, v18
	v_min3_f16 v14, v15, v17, v14
	v_cvt_f32_f16_e32 v14, v14
	v_max_f32_e32 v13, v13, v13
	s_and_b64 vcc, exec, s[0:1]
	v_min_f32_e32 v13, v13, v14
	v_cvt_f16_f32_e32 v13, v13
	v_lshl_add_u64 v[14:15], v[42:43], 1, v[10:11]
	flat_store_short v[14:15], v13
	s_cbranch_vccnz .LBB215_149
; %bb.148:
	v_lshl_add_u64 v[8:9], v[44:45], 1, v[8:9]
	flat_load_ushort v8, v[8:9]
	s_waitcnt vmcnt(0) lgkmcnt(0)
	v_mul_f16_e32 v8, s28, v8
	v_cvt_f32_f16_e32 v12, v8
.LBB215_149:
	v_pk_add_f16 v4, v32, v4
	v_max_f16_e32 v8, v66, v66
	v_pk_add_f16 v5, v33, v5
	v_min_f16_e32 v8, v8, v4
	v_lshrrev_b32_e32 v9, 16, v66
	v_lshrrev_b32_e32 v4, 16, v4
	;; [unrolled: 1-line block ×3, first 2 shown]
	v_min3_f16 v4, v9, v4, v13
	v_min3_f16 v4, v8, v5, v4
	v_cvt_f32_f16_e32 v4, v4
	v_max_f32_e32 v5, v12, v12
	s_and_b64 vcc, exec, s[0:1]
	v_mov_b32_e32 v9, 0
	v_min_f32_e32 v4, v5, v4
	v_cvt_f16_f32_e32 v8, v4
	v_lshl_add_u64 v[4:5], v[44:45], 1, v[10:11]
	v_mov_b32_e32 v10, 0
	flat_store_short v[4:5], v8
	v_add_u32_e32 v8, 0x70, v52
	v_mad_i64_i32 v[4:5], s[4:5], v8, s6, 0
	v_lshl_add_u64 v[4:5], v[4:5], 1, s[16:17]
	s_cbranch_vccnz .LBB215_151
; %bb.150:
	v_lshl_add_u64 v[12:13], v[36:37], 1, v[4:5]
	flat_load_ushort v9, v[12:13]
	s_waitcnt vmcnt(0) lgkmcnt(0)
	v_mul_f16_e32 v9, s28, v9
	v_cvt_f32_f16_e32 v9, v9
.LBB215_151:
	v_pk_add_f16 v11, v38, v6
	v_max_f16_e32 v12, v65, v65
	v_pk_add_f16 v14, v39, v7
	v_min_f16_e32 v12, v12, v11
	v_lshrrev_b32_e32 v13, 16, v65
	v_lshrrev_b32_e32 v11, 16, v11
	;; [unrolled: 1-line block ×3, first 2 shown]
	v_min3_f16 v11, v13, v11, v15
	v_min3_f16 v11, v12, v14, v11
	v_cvt_f32_f16_e32 v11, v11
	v_mad_i64_i32 v[12:13], s[4:5], v8, s7, 0
	v_max_f32_e32 v8, v9, v9
	v_min_f32_e32 v8, v8, v11
	v_cvt_f16_f32_e32 v11, v8
	v_lshl_add_u64 v[8:9], v[12:13], 1, s[2:3]
	v_lshl_add_u64 v[12:13], v[36:37], 1, v[8:9]
	s_and_b64 vcc, exec, s[0:1]
	flat_store_short v[12:13], v11
	s_cbranch_vccnz .LBB215_153
; %bb.152:
	v_lshl_add_u64 v[10:11], v[40:41], 1, v[4:5]
	flat_load_ushort v10, v[10:11]
	s_waitcnt vmcnt(0) lgkmcnt(0)
	v_mul_f16_e32 v10, s28, v10
	v_cvt_f32_f16_e32 v10, v10
.LBB215_153:
	v_pk_add_f16 v11, v0, v6
	v_max_f16_e32 v12, v64, v64
	v_pk_add_f16 v14, v1, v7
	v_min_f16_e32 v12, v12, v11
	v_lshrrev_b32_e32 v13, 16, v64
	v_lshrrev_b32_e32 v11, 16, v11
	v_lshrrev_b32_e32 v15, 16, v14
	v_min3_f16 v11, v13, v11, v15
	v_min3_f16 v11, v12, v14, v11
	v_cvt_f32_f16_e32 v11, v11
	v_max_f32_e32 v10, v10, v10
	s_and_b64 vcc, exec, s[0:1]
	v_min_f32_e32 v10, v10, v11
	v_cvt_f16_f32_e32 v12, v10
	v_lshl_add_u64 v[10:11], v[40:41], 1, v[8:9]
	flat_store_short v[10:11], v12
	v_mov_b32_e32 v10, 0
	v_mov_b32_e32 v11, 0
	s_cbranch_vccnz .LBB215_155
; %bb.154:
	v_lshl_add_u64 v[12:13], v[42:43], 1, v[4:5]
	flat_load_ushort v11, v[12:13]
	s_waitcnt vmcnt(0) lgkmcnt(0)
	v_mul_f16_e32 v11, s28, v11
	v_cvt_f32_f16_e32 v11, v11
.LBB215_155:
	v_pk_add_f16 v12, v2, v6
	v_max_f16_e32 v13, v63, v63
	v_pk_add_f16 v15, v3, v7
	v_min_f16_e32 v13, v13, v12
	v_lshrrev_b32_e32 v14, 16, v63
	v_lshrrev_b32_e32 v12, 16, v12
	;; [unrolled: 1-line block ×3, first 2 shown]
	v_min3_f16 v12, v14, v12, v16
	v_min3_f16 v12, v13, v15, v12
	v_cvt_f32_f16_e32 v12, v12
	v_max_f32_e32 v11, v11, v11
	s_and_b64 vcc, exec, s[0:1]
	v_min_f32_e32 v11, v11, v12
	v_cvt_f16_f32_e32 v11, v11
	v_lshl_add_u64 v[12:13], v[42:43], 1, v[8:9]
	flat_store_short v[12:13], v11
	s_cbranch_vccnz .LBB215_157
; %bb.156:
	v_lshl_add_u64 v[4:5], v[44:45], 1, v[4:5]
	flat_load_ushort v4, v[4:5]
	s_waitcnt vmcnt(0) lgkmcnt(0)
	v_mul_f16_e32 v4, s28, v4
	v_cvt_f32_f16_e32 v10, v4
.LBB215_157:
	v_pk_add_f16 v4, v32, v6
	v_max_f16_e32 v5, v61, v61
	v_pk_add_f16 v7, v33, v7
	v_min_f16_e32 v5, v5, v4
	v_lshrrev_b32_e32 v6, 16, v61
	v_lshrrev_b32_e32 v4, 16, v4
	;; [unrolled: 1-line block ×3, first 2 shown]
	v_min3_f16 v4, v6, v4, v11
	v_min3_f16 v4, v5, v7, v4
	v_cvt_f32_f16_e32 v4, v4
	v_max_f32_e32 v5, v10, v10
	s_and_b64 vcc, exec, s[0:1]
	v_mov_b32_e32 v7, 0
	v_min_f32_e32 v4, v5, v4
	v_cvt_f16_f32_e32 v6, v4
	v_lshl_add_u64 v[4:5], v[44:45], 1, v[8:9]
	v_mov_b32_e32 v8, 0
	flat_store_short v[4:5], v6
	v_add_u32_e32 v6, 0x78, v52
	v_mad_i64_i32 v[4:5], s[4:5], v6, s6, 0
	v_lshl_add_u64 v[4:5], v[4:5], 1, s[16:17]
	s_cbranch_vccnz .LBB215_159
; %bb.158:
	v_lshl_add_u64 v[10:11], v[36:37], 1, v[4:5]
	flat_load_ushort v7, v[10:11]
	s_waitcnt vmcnt(0) lgkmcnt(0)
	v_mul_f16_e32 v7, s28, v7
	v_cvt_f32_f16_e32 v7, v7
.LBB215_159:
	v_pk_add_f16 v9, v38, v34
	v_max_f16_e32 v10, v60, v60
	v_pk_add_f16 v12, v39, v35
	v_min_f16_e32 v10, v10, v9
	v_lshrrev_b32_e32 v11, 16, v60
	v_lshrrev_b32_e32 v9, 16, v9
	;; [unrolled: 1-line block ×3, first 2 shown]
	v_min3_f16 v9, v11, v9, v13
	v_min3_f16 v9, v10, v12, v9
	v_cvt_f32_f16_e32 v9, v9
	v_mad_i64_i32 v[10:11], s[4:5], v6, s7, 0
	v_max_f32_e32 v6, v7, v7
	v_min_f32_e32 v6, v6, v9
	v_cvt_f16_f32_e32 v9, v6
	v_lshl_add_u64 v[6:7], v[10:11], 1, s[2:3]
	v_lshl_add_u64 v[10:11], v[36:37], 1, v[6:7]
	s_and_b64 vcc, exec, s[0:1]
	flat_store_short v[10:11], v9
	s_cbranch_vccnz .LBB215_161
; %bb.160:
	v_lshl_add_u64 v[8:9], v[40:41], 1, v[4:5]
	flat_load_ushort v8, v[8:9]
	s_waitcnt vmcnt(0) lgkmcnt(0)
	v_mul_f16_e32 v8, s28, v8
	v_cvt_f32_f16_e32 v8, v8
.LBB215_161:
	v_pk_add_f16 v0, v0, v34
	v_max_f16_e32 v9, v58, v58
	v_pk_add_f16 v1, v1, v35
	v_min_f16_e32 v9, v9, v0
	v_lshrrev_b32_e32 v10, 16, v58
	v_lshrrev_b32_e32 v0, 16, v0
	;; [unrolled: 1-line block ×3, first 2 shown]
	v_min3_f16 v0, v10, v0, v11
	v_min3_f16 v0, v9, v1, v0
	v_cvt_f32_f16_e32 v0, v0
	v_max_f32_e32 v8, v8, v8
	v_pk_add_f16 v1, v2, v34
	v_max_f16_e32 v2, v59, v59
	v_min_f32_e32 v0, v8, v0
	v_cvt_f16_f32_e32 v8, v0
	v_pk_add_f16 v3, v3, v35
	v_min_f16_e32 v2, v2, v1
	v_lshrrev_b32_e32 v9, 16, v59
	v_lshrrev_b32_e32 v1, 16, v1
	;; [unrolled: 1-line block ×3, first 2 shown]
	v_min3_f16 v9, v9, v1, v0
	v_lshl_add_u64 v[0:1], v[40:41], 1, v[6:7]
	flat_store_short v[0:1], v8
	v_min3_f16 v0, v2, v3, v9
	s_mov_b64 s[0:1], -1
	s_mov_b64 vcc, s[8:9]
	s_cbranch_vccz .LBB215_163
; %bb.162:
	v_cvt_f32_f16_e32 v1, v0
	v_lshl_add_u64 v[2:3], v[42:43], 1, v[6:7]
	s_mov_b64 s[0:1], 0
	v_min_f32_e32 v1, 0, v1
	v_cvt_f16_f32_e32 v1, v1
	flat_store_short v[2:3], v1
.LBB215_163:
	s_andn2_b64 vcc, exec, s[0:1]
	v_mov_b32_e32 v1, 0
	s_cbranch_vccnz .LBB215_165
; %bb.164:
	v_lshlrev_b64 v[2:3], 1, v[42:43]
	v_lshl_add_u64 v[8:9], v[4:5], 0, v[2:3]
	flat_load_ushort v8, v[8:9]
	v_max_f16_e32 v9, v0, v0
	v_lshl_add_u64 v[0:1], v[6:7], 0, v[2:3]
	s_waitcnt vmcnt(0) lgkmcnt(0)
	v_mul_f16_e32 v2, s28, v8
	v_min_f16_e32 v2, v2, v9
	flat_store_short v[0:1], v2
	v_lshl_add_u64 v[0:1], v[44:45], 1, v[4:5]
	flat_load_ushort v0, v[0:1]
	s_waitcnt vmcnt(0) lgkmcnt(0)
	v_mul_f16_e32 v0, s28, v0
	v_cvt_f32_f16_e32 v1, v0
.LBB215_165:
	v_pk_add_f16 v0, v32, v34
	v_max_f16_e32 v2, v62, v62
	v_pk_add_f16 v3, v33, v35
	v_min_f16_e32 v2, v2, v0
	v_lshrrev_b32_e32 v4, 16, v62
	v_lshrrev_b32_e32 v0, 16, v0
	;; [unrolled: 1-line block ×3, first 2 shown]
	v_min3_f16 v0, v4, v0, v5
	v_min3_f16 v0, v2, v3, v0
	v_cvt_f32_f16_e32 v0, v0
	v_max_f32_e32 v1, v1, v1
	v_min_f32_e32 v0, v1, v0
	v_cvt_f16_f32_e32 v2, v0
	v_lshl_add_u64 v[0:1], v[44:45], 1, v[6:7]
	flat_store_short v[0:1], v2
	s_endpgm
	.section	.rodata,"a",@progbits
	.p2align	6, 0x0
	.amdhsa_kernel _ZN12_GLOBAL__N_120geam_min_plus_kernelIDF16_Dv2_DF16_S1_Li32ELi8ELi128ELi128ELi4ELi4ELi64ELi4ELi64ELc84ELc78ELb0ELb0ELb1EDF16_KPKDF16_KPDF16_EEviiiT16_PT17_ilS9_ilS7_S9_ilPT18_ili26rocblas_geam_ex_operation_
		.amdhsa_group_segment_fixed_size 4096
		.amdhsa_private_segment_fixed_size 0
		.amdhsa_kernarg_size 128
		.amdhsa_user_sgpr_count 2
		.amdhsa_user_sgpr_dispatch_ptr 0
		.amdhsa_user_sgpr_queue_ptr 0
		.amdhsa_user_sgpr_kernarg_segment_ptr 1
		.amdhsa_user_sgpr_dispatch_id 0
		.amdhsa_user_sgpr_kernarg_preload_length 0
		.amdhsa_user_sgpr_kernarg_preload_offset 0
		.amdhsa_user_sgpr_private_segment_size 0
		.amdhsa_uses_dynamic_stack 0
		.amdhsa_enable_private_segment 0
		.amdhsa_system_sgpr_workgroup_id_x 1
		.amdhsa_system_sgpr_workgroup_id_y 0
		.amdhsa_system_sgpr_workgroup_id_z 1
		.amdhsa_system_sgpr_workgroup_info 0
		.amdhsa_system_vgpr_workitem_id 1
		.amdhsa_next_free_vgpr 171
		.amdhsa_next_free_sgpr 30
		.amdhsa_accum_offset 172
		.amdhsa_reserve_vcc 1
		.amdhsa_float_round_mode_32 0
		.amdhsa_float_round_mode_16_64 0
		.amdhsa_float_denorm_mode_32 3
		.amdhsa_float_denorm_mode_16_64 3
		.amdhsa_dx10_clamp 1
		.amdhsa_ieee_mode 1
		.amdhsa_fp16_overflow 0
		.amdhsa_tg_split 0
		.amdhsa_exception_fp_ieee_invalid_op 0
		.amdhsa_exception_fp_denorm_src 0
		.amdhsa_exception_fp_ieee_div_zero 0
		.amdhsa_exception_fp_ieee_overflow 0
		.amdhsa_exception_fp_ieee_underflow 0
		.amdhsa_exception_fp_ieee_inexact 0
		.amdhsa_exception_int_div_zero 0
	.end_amdhsa_kernel
	.section	.text._ZN12_GLOBAL__N_120geam_min_plus_kernelIDF16_Dv2_DF16_S1_Li32ELi8ELi128ELi128ELi4ELi4ELi64ELi4ELi64ELc84ELc78ELb0ELb0ELb1EDF16_KPKDF16_KPDF16_EEviiiT16_PT17_ilS9_ilS7_S9_ilPT18_ili26rocblas_geam_ex_operation_,"axG",@progbits,_ZN12_GLOBAL__N_120geam_min_plus_kernelIDF16_Dv2_DF16_S1_Li32ELi8ELi128ELi128ELi4ELi4ELi64ELi4ELi64ELc84ELc78ELb0ELb0ELb1EDF16_KPKDF16_KPDF16_EEviiiT16_PT17_ilS9_ilS7_S9_ilPT18_ili26rocblas_geam_ex_operation_,comdat
.Lfunc_end215:
	.size	_ZN12_GLOBAL__N_120geam_min_plus_kernelIDF16_Dv2_DF16_S1_Li32ELi8ELi128ELi128ELi4ELi4ELi64ELi4ELi64ELc84ELc78ELb0ELb0ELb1EDF16_KPKDF16_KPDF16_EEviiiT16_PT17_ilS9_ilS7_S9_ilPT18_ili26rocblas_geam_ex_operation_, .Lfunc_end215-_ZN12_GLOBAL__N_120geam_min_plus_kernelIDF16_Dv2_DF16_S1_Li32ELi8ELi128ELi128ELi4ELi4ELi64ELi4ELi64ELc84ELc78ELb0ELb0ELb1EDF16_KPKDF16_KPDF16_EEviiiT16_PT17_ilS9_ilS7_S9_ilPT18_ili26rocblas_geam_ex_operation_
                                        ; -- End function
	.set _ZN12_GLOBAL__N_120geam_min_plus_kernelIDF16_Dv2_DF16_S1_Li32ELi8ELi128ELi128ELi4ELi4ELi64ELi4ELi64ELc84ELc78ELb0ELb0ELb1EDF16_KPKDF16_KPDF16_EEviiiT16_PT17_ilS9_ilS7_S9_ilPT18_ili26rocblas_geam_ex_operation_.num_vgpr, 171
	.set _ZN12_GLOBAL__N_120geam_min_plus_kernelIDF16_Dv2_DF16_S1_Li32ELi8ELi128ELi128ELi4ELi4ELi64ELi4ELi64ELc84ELc78ELb0ELb0ELb1EDF16_KPKDF16_KPDF16_EEviiiT16_PT17_ilS9_ilS7_S9_ilPT18_ili26rocblas_geam_ex_operation_.num_agpr, 0
	.set _ZN12_GLOBAL__N_120geam_min_plus_kernelIDF16_Dv2_DF16_S1_Li32ELi8ELi128ELi128ELi4ELi4ELi64ELi4ELi64ELc84ELc78ELb0ELb0ELb1EDF16_KPKDF16_KPDF16_EEviiiT16_PT17_ilS9_ilS7_S9_ilPT18_ili26rocblas_geam_ex_operation_.numbered_sgpr, 30
	.set _ZN12_GLOBAL__N_120geam_min_plus_kernelIDF16_Dv2_DF16_S1_Li32ELi8ELi128ELi128ELi4ELi4ELi64ELi4ELi64ELc84ELc78ELb0ELb0ELb1EDF16_KPKDF16_KPDF16_EEviiiT16_PT17_ilS9_ilS7_S9_ilPT18_ili26rocblas_geam_ex_operation_.num_named_barrier, 0
	.set _ZN12_GLOBAL__N_120geam_min_plus_kernelIDF16_Dv2_DF16_S1_Li32ELi8ELi128ELi128ELi4ELi4ELi64ELi4ELi64ELc84ELc78ELb0ELb0ELb1EDF16_KPKDF16_KPDF16_EEviiiT16_PT17_ilS9_ilS7_S9_ilPT18_ili26rocblas_geam_ex_operation_.private_seg_size, 0
	.set _ZN12_GLOBAL__N_120geam_min_plus_kernelIDF16_Dv2_DF16_S1_Li32ELi8ELi128ELi128ELi4ELi4ELi64ELi4ELi64ELc84ELc78ELb0ELb0ELb1EDF16_KPKDF16_KPDF16_EEviiiT16_PT17_ilS9_ilS7_S9_ilPT18_ili26rocblas_geam_ex_operation_.uses_vcc, 1
	.set _ZN12_GLOBAL__N_120geam_min_plus_kernelIDF16_Dv2_DF16_S1_Li32ELi8ELi128ELi128ELi4ELi4ELi64ELi4ELi64ELc84ELc78ELb0ELb0ELb1EDF16_KPKDF16_KPDF16_EEviiiT16_PT17_ilS9_ilS7_S9_ilPT18_ili26rocblas_geam_ex_operation_.uses_flat_scratch, 0
	.set _ZN12_GLOBAL__N_120geam_min_plus_kernelIDF16_Dv2_DF16_S1_Li32ELi8ELi128ELi128ELi4ELi4ELi64ELi4ELi64ELc84ELc78ELb0ELb0ELb1EDF16_KPKDF16_KPDF16_EEviiiT16_PT17_ilS9_ilS7_S9_ilPT18_ili26rocblas_geam_ex_operation_.has_dyn_sized_stack, 0
	.set _ZN12_GLOBAL__N_120geam_min_plus_kernelIDF16_Dv2_DF16_S1_Li32ELi8ELi128ELi128ELi4ELi4ELi64ELi4ELi64ELc84ELc78ELb0ELb0ELb1EDF16_KPKDF16_KPDF16_EEviiiT16_PT17_ilS9_ilS7_S9_ilPT18_ili26rocblas_geam_ex_operation_.has_recursion, 0
	.set _ZN12_GLOBAL__N_120geam_min_plus_kernelIDF16_Dv2_DF16_S1_Li32ELi8ELi128ELi128ELi4ELi4ELi64ELi4ELi64ELc84ELc78ELb0ELb0ELb1EDF16_KPKDF16_KPDF16_EEviiiT16_PT17_ilS9_ilS7_S9_ilPT18_ili26rocblas_geam_ex_operation_.has_indirect_call, 0
	.section	.AMDGPU.csdata,"",@progbits
; Kernel info:
; codeLenInByte = 18448
; TotalNumSgprs: 36
; NumVgprs: 171
; NumAgprs: 0
; TotalNumVgprs: 171
; ScratchSize: 0
; MemoryBound: 0
; FloatMode: 240
; IeeeMode: 1
; LDSByteSize: 4096 bytes/workgroup (compile time only)
; SGPRBlocks: 4
; VGPRBlocks: 21
; NumSGPRsForWavesPerEU: 36
; NumVGPRsForWavesPerEU: 171
; AccumOffset: 172
; Occupancy: 2
; WaveLimiterHint : 1
; COMPUTE_PGM_RSRC2:SCRATCH_EN: 0
; COMPUTE_PGM_RSRC2:USER_SGPR: 2
; COMPUTE_PGM_RSRC2:TRAP_HANDLER: 0
; COMPUTE_PGM_RSRC2:TGID_X_EN: 1
; COMPUTE_PGM_RSRC2:TGID_Y_EN: 0
; COMPUTE_PGM_RSRC2:TGID_Z_EN: 1
; COMPUTE_PGM_RSRC2:TIDIG_COMP_CNT: 1
; COMPUTE_PGM_RSRC3_GFX90A:ACCUM_OFFSET: 42
; COMPUTE_PGM_RSRC3_GFX90A:TG_SPLIT: 0
	.section	.text._ZN12_GLOBAL__N_120geam_min_plus_kernelIDF16_Dv2_DF16_S1_Li32ELi8ELi128ELi128ELi4ELi4ELi64ELi4ELi64ELc84ELc78ELb0ELb1ELb1EPKDF16_KS3_KPDF16_EEviiiT16_PT17_ilS9_ilS7_S9_ilPT18_ili26rocblas_geam_ex_operation_,"axG",@progbits,_ZN12_GLOBAL__N_120geam_min_plus_kernelIDF16_Dv2_DF16_S1_Li32ELi8ELi128ELi128ELi4ELi4ELi64ELi4ELi64ELc84ELc78ELb0ELb1ELb1EPKDF16_KS3_KPDF16_EEviiiT16_PT17_ilS9_ilS7_S9_ilPT18_ili26rocblas_geam_ex_operation_,comdat
	.globl	_ZN12_GLOBAL__N_120geam_min_plus_kernelIDF16_Dv2_DF16_S1_Li32ELi8ELi128ELi128ELi4ELi4ELi64ELi4ELi64ELc84ELc78ELb0ELb1ELb1EPKDF16_KS3_KPDF16_EEviiiT16_PT17_ilS9_ilS7_S9_ilPT18_ili26rocblas_geam_ex_operation_ ; -- Begin function _ZN12_GLOBAL__N_120geam_min_plus_kernelIDF16_Dv2_DF16_S1_Li32ELi8ELi128ELi128ELi4ELi4ELi64ELi4ELi64ELc84ELc78ELb0ELb1ELb1EPKDF16_KS3_KPDF16_EEviiiT16_PT17_ilS9_ilS7_S9_ilPT18_ili26rocblas_geam_ex_operation_
	.p2align	8
	.type	_ZN12_GLOBAL__N_120geam_min_plus_kernelIDF16_Dv2_DF16_S1_Li32ELi8ELi128ELi128ELi4ELi4ELi64ELi4ELi64ELc84ELc78ELb0ELb1ELb1EPKDF16_KS3_KPDF16_EEviiiT16_PT17_ilS9_ilS7_S9_ilPT18_ili26rocblas_geam_ex_operation_,@function
_ZN12_GLOBAL__N_120geam_min_plus_kernelIDF16_Dv2_DF16_S1_Li32ELi8ELi128ELi128ELi4ELi4ELi64ELi4ELi64ELc84ELc78ELb0ELb1ELb1EPKDF16_KS3_KPDF16_EEviiiT16_PT17_ilS9_ilS7_S9_ilPT18_ili26rocblas_geam_ex_operation_: ; @_ZN12_GLOBAL__N_120geam_min_plus_kernelIDF16_Dv2_DF16_S1_Li32ELi8ELi128ELi128ELi4ELi4ELi64ELi4ELi64ELc84ELc78ELb0ELb1ELb1EPKDF16_KS3_KPDF16_EEviiiT16_PT17_ilS9_ilS7_S9_ilPT18_ili26rocblas_geam_ex_operation_
; %bb.0:
	s_load_dwordx4 s[4:7], s[0:1], 0x10
	s_load_dwordx4 s[12:15], s[0:1], 0x28
	;; [unrolled: 1-line block ×3, first 2 shown]
	s_mov_b32 s26, s3
	s_mov_b32 s27, 0
	s_lshl_b64 s[18:19], s[26:27], 1
	s_waitcnt lgkmcnt(0)
	s_add_u32 s4, s4, s18
	s_addc_u32 s5, s5, s19
	v_mov_b32_e32 v1, 0
	global_load_ushort v100, v1, s[4:5]
	s_add_u32 s4, s10, s18
	s_addc_u32 s5, s11, s19
	global_load_ushort v52, v1, s[4:5]
	s_load_dwordx2 s[16:17], s[0:1], 0x50
	s_mov_b64 s[22:23], 0
	s_mov_b64 s[24:25], 0
	s_waitcnt vmcnt(1)
	v_cmp_eq_f16_e32 vcc, 0, v100
	v_cmp_neq_f16_e64 s[4:5], 0, v100
	s_cbranch_vccnz .LBB216_2
; %bb.1:
	s_lshl_b64 s[10:11], s[26:27], 3
	s_add_u32 s6, s6, s10
	s_addc_u32 s7, s7, s11
	s_load_dwordx2 s[6:7], s[6:7], 0x0
	s_lshl_b64 s[10:11], s[12:13], 1
	s_waitcnt lgkmcnt(0)
	s_add_u32 s24, s6, s10
	s_addc_u32 s25, s7, s11
.LBB216_2:
	s_andn2_b64 vcc, exec, s[4:5]
	s_cbranch_vccnz .LBB216_4
; %bb.3:
	s_lshl_b64 s[4:5], s[26:27], 3
	s_add_u32 s4, s14, s4
	s_addc_u32 s5, s15, s5
	s_load_dwordx2 s[4:5], s[4:5], 0x0
	s_lshl_b64 s[6:7], s[8:9], 1
	s_waitcnt lgkmcnt(0)
	s_add_u32 s22, s4, s6
	s_addc_u32 s23, s5, s7
.LBB216_4:
	s_load_dwordx4 s[8:11], s[0:1], 0x60
	s_waitcnt vmcnt(0)
	v_cmp_eq_f16_e32 vcc, 0, v52
	v_cmp_neq_f16_e64 s[4:5], 0, v52
	s_cbranch_vccnz .LBB216_6
; %bb.5:
	s_lshl_b64 s[6:7], s[26:27], 3
	s_waitcnt lgkmcnt(0)
	s_add_u32 s6, s16, s6
	s_addc_u32 s7, s17, s7
	s_load_dwordx2 s[6:7], s[6:7], 0x0
	s_lshl_b64 s[8:9], s[8:9], 1
	s_waitcnt lgkmcnt(0)
	s_add_u32 s20, s6, s8
	s_addc_u32 s21, s7, s9
	s_branch .LBB216_7
.LBB216_6:
	s_mov_b64 s[20:21], 0
.LBB216_7:
	s_waitcnt lgkmcnt(0)
	s_load_dwordx4 s[16:19], s[0:1], 0x0
	s_load_dword s31, s[0:1], 0x20
	s_lshl_b64 s[6:7], s[26:27], 3
	s_add_u32 s26, s10, s6
	s_addc_u32 s27, s11, s7
	s_waitcnt lgkmcnt(0)
	s_add_i32 s3, s16, -1
	s_ashr_i32 s6, s3, 31
	s_lshr_b32 s6, s6, 25
	s_add_i32 s3, s3, s6
	s_ashr_i32 s3, s3, 7
	s_add_i32 s6, s3, 1
	v_cvt_f32_u32_e32 v1, s6
	s_not_b32 s3, s3
	v_and_b32_e32 v85, 0x3ff, v0
	v_bfe_u32 v96, v0, 10, 10
	v_rcp_iflag_f32_e32 v1, v1
	v_and_b32_e32 v104, 3, v0
	v_lshl_add_u32 v0, v96, 5, v85
	v_lshrrev_b32_e32 v4, 2, v0
	v_mul_f32_e32 v1, 0x4f7ffffe, v1
	v_cvt_u32_f32_e32 v1, v1
	v_cmp_le_i32_e64 s[12:13], s18, v104
	v_cmp_eq_f16_e32 vcc, 0, v100
	v_mov_b32_e32 v6, 0x7c00
	v_readfirstlane_b32 s7, v1
	s_mul_i32 s3, s3, s7
	s_mul_hi_u32 s3, s7, s3
	s_add_i32 s7, s7, s3
	s_mul_hi_u32 s3, s2, s7
	s_mul_i32 s7, s3, s6
	s_sub_i32 s7, s2, s7
	s_add_i32 s8, s3, 1
	s_sub_i32 s9, s7, s6
	s_cmp_ge_u32 s7, s6
	s_cselect_b32 s3, s8, s3
	s_cselect_b32 s7, s9, s7
	s_add_i32 s8, s3, 1
	s_cmp_ge_u32 s7, s6
	s_cselect_b32 s10, s8, s3
	s_mul_i32 s3, s10, s6
	s_sub_i32 s2, s2, s3
	s_lshl_b32 s28, s2, 7
	v_add_u32_e32 v28, s28, v4
	s_add_i32 s19, s18, -1
	v_min_i32_e32 v0, s19, v104
	v_cmp_le_i32_e64 s[2:3], s16, v28
	v_ashrrev_i32_e32 v1, 31, v0
	s_or_b64 s[6:7], s[12:13], s[2:3]
	v_lshl_add_u64 v[2:3], v[0:1], 1, s[24:25]
	v_cndmask_b32_e64 v5, 0, v6, s[6:7]
	s_nor_b64 s[8:9], vcc, s[6:7]
	s_and_saveexec_b64 s[6:7], s[8:9]
	s_cbranch_execz .LBB216_9
; %bb.8:
	v_mad_i64_i32 v[8:9], s[8:9], v28, s31, 0
	v_lshl_add_u64 v[8:9], v[8:9], 1, v[2:3]
	flat_load_ushort v5, v[8:9]
	s_waitcnt vmcnt(0) lgkmcnt(0)
	v_mul_f16_e32 v5, v100, v5
.LBB216_9:
	s_or_b64 exec, exec, s[6:7]
	v_add_u32_e32 v29, 64, v28
	v_cmp_le_i32_e64 s[6:7], s16, v29
	s_or_b64 s[8:9], s[12:13], s[6:7]
	v_cndmask_b32_e64 v6, 0, v6, s[8:9]
	s_nor_b64 s[14:15], vcc, s[8:9]
	s_and_saveexec_b64 s[8:9], s[14:15]
	s_cbranch_execz .LBB216_11
; %bb.10:
	v_mad_i64_i32 v[6:7], s[14:15], v29, s31, 0
	v_lshl_add_u64 v[2:3], v[6:7], 1, v[2:3]
	flat_load_ushort v2, v[2:3]
	s_waitcnt vmcnt(0) lgkmcnt(0)
	v_mul_f16_e32 v6, v100, v2
.LBB216_11:
	s_or_b64 exec, exec, s[8:9]
	s_load_dword s33, s[0:1], 0x38
	s_lshl_b32 s29, s10, 7
	v_add_u32_e32 v30, s29, v4
	v_cmp_le_i32_e64 s[8:9], s17, v30
	v_mov_b32_e32 v2, 0x7c00
	s_or_b64 s[10:11], s[12:13], s[8:9]
	v_lshl_add_u64 v[0:1], v[0:1], 1, s[22:23]
	v_cndmask_b32_e64 v7, 0, v2, s[10:11]
	s_nor_b64 s[14:15], vcc, s[10:11]
	s_and_saveexec_b64 s[10:11], s[14:15]
	s_cbranch_execz .LBB216_13
; %bb.12:
	s_waitcnt lgkmcnt(0)
	v_mad_i64_i32 v[8:9], s[14:15], v30, s33, 0
	v_lshl_add_u64 v[8:9], v[8:9], 1, v[0:1]
	flat_load_ushort v3, v[8:9]
	s_waitcnt vmcnt(0) lgkmcnt(0)
	v_mul_f16_e32 v7, v100, v3
.LBB216_13:
	s_or_b64 exec, exec, s[10:11]
	v_add_u32_e32 v31, 64, v30
	v_cmp_le_i32_e64 s[10:11], s17, v31
	s_or_b64 s[12:13], s[12:13], s[10:11]
	v_cndmask_b32_e64 v8, 0, v2, s[12:13]
	s_nor_b64 s[14:15], vcc, s[12:13]
	s_and_saveexec_b64 s[12:13], s[14:15]
	s_cbranch_execz .LBB216_15
; %bb.14:
	s_waitcnt lgkmcnt(0)
	v_mad_i64_i32 v[2:3], s[14:15], v31, s33, 0
	v_lshl_add_u64 v[0:1], v[2:3], 1, v[0:1]
	flat_load_ushort v0, v[0:1]
	s_waitcnt vmcnt(0) lgkmcnt(0)
	v_mul_f16_e32 v8, v100, v0
.LBB216_15:
	s_or_b64 exec, exec, s[12:13]
	v_or_b32_e32 v0, 4, v104
	v_cmp_le_i32_e64 s[12:13], s18, v0
	v_min_i32_e32 v0, s19, v0
	v_ashrrev_i32_e32 v1, 31, v0
	v_mov_b32_e32 v9, 0x7c00
	s_or_b64 s[14:15], s[12:13], s[2:3]
	v_lshl_add_u64 v[2:3], v[0:1], 1, s[24:25]
	v_cndmask_b32_e64 v32, 0, v9, s[14:15]
	s_nor_b64 s[34:35], vcc, s[14:15]
	s_and_saveexec_b64 s[14:15], s[34:35]
	s_cbranch_execz .LBB216_17
; %bb.16:
	v_mad_i64_i32 v[10:11], s[34:35], v28, s31, 0
	v_lshl_add_u64 v[10:11], v[10:11], 1, v[2:3]
	flat_load_ushort v10, v[10:11]
	s_waitcnt vmcnt(0) lgkmcnt(0)
	v_mul_f16_e32 v32, v100, v10
.LBB216_17:
	s_or_b64 exec, exec, s[14:15]
	s_or_b64 s[14:15], s[12:13], s[6:7]
	v_cndmask_b32_e64 v33, 0, v9, s[14:15]
	s_nor_b64 s[34:35], vcc, s[14:15]
	s_and_saveexec_b64 s[14:15], s[34:35]
	s_cbranch_execz .LBB216_19
; %bb.18:
	v_mad_i64_i32 v[10:11], s[34:35], v29, s31, 0
	v_lshl_add_u64 v[2:3], v[10:11], 1, v[2:3]
	flat_load_ushort v2, v[2:3]
	s_waitcnt vmcnt(0) lgkmcnt(0)
	v_mul_f16_e32 v33, v100, v2
.LBB216_19:
	s_or_b64 exec, exec, s[14:15]
	v_mov_b32_e32 v2, 0x7c00
	s_or_b64 s[14:15], s[12:13], s[8:9]
	v_lshl_add_u64 v[0:1], v[0:1], 1, s[22:23]
	v_cndmask_b32_e64 v34, 0, v2, s[14:15]
	s_nor_b64 s[34:35], vcc, s[14:15]
	s_and_saveexec_b64 s[14:15], s[34:35]
	s_cbranch_execz .LBB216_21
; %bb.20:
	s_waitcnt lgkmcnt(0)
	v_mad_i64_i32 v[10:11], s[34:35], v30, s33, 0
	v_lshl_add_u64 v[10:11], v[10:11], 1, v[0:1]
	flat_load_ushort v3, v[10:11]
	s_waitcnt vmcnt(0) lgkmcnt(0)
	v_mul_f16_e32 v34, v100, v3
.LBB216_21:
	s_or_b64 exec, exec, s[14:15]
	s_or_b64 s[12:13], s[12:13], s[10:11]
	v_cndmask_b32_e64 v35, 0, v2, s[12:13]
	s_nor_b64 s[34:35], vcc, s[12:13]
	s_movk_i32 s14, 0x7c00
	s_and_saveexec_b64 s[12:13], s[34:35]
	s_cbranch_execz .LBB216_23
; %bb.22:
	s_waitcnt lgkmcnt(0)
	v_mad_i64_i32 v[2:3], s[34:35], v31, s33, 0
	v_lshl_add_u64 v[0:1], v[2:3], 1, v[0:1]
	flat_load_ushort v0, v[0:1]
	s_waitcnt vmcnt(0) lgkmcnt(0)
	v_mul_f16_e32 v35, v100, v0
.LBB216_23:
	s_or_b64 exec, exec, s[12:13]
	v_lshlrev_b32_e32 v0, 3, v4
	v_lshlrev_b32_e32 v106, 3, v96
	v_lshl_or_b32 v114, v104, 1, v0
	v_lshlrev_b32_e32 v107, 3, v85
	v_add_u32_e32 v115, 0x800, v106
	s_load_dwordx2 s[26:27], s[26:27], 0x0
	ds_write_b16 v114, v5
	ds_write_b16 v114, v6 offset:512
	ds_write_b16 v114, v7 offset:2048
	;; [unrolled: 1-line block ×3, first 2 shown]
	s_waitcnt lgkmcnt(0)
	s_barrier
	ds_read2_b64 v[4:7], v107 offset1:32
	ds_read2_b64 v[0:3], v107 offset0:64 offset1:96
	ds_read2_b64 v[36:39], v115 offset1:8
	ds_read2_b64 v[40:43], v115 offset0:16 offset1:24
	ds_read2_b64 v[44:47], v115 offset0:32 offset1:40
	;; [unrolled: 1-line block ×7, first 2 shown]
	s_cmp_lt_i32 s18, 9
	ds_write_b16 v114, v32 offset:1024
	ds_write_b16 v114, v33 offset:1536
	;; [unrolled: 1-line block ×4, first 2 shown]
	s_waitcnt lgkmcnt(11)
	v_pk_add_f16 v48, v4, v36
	v_pk_add_f16 v49, v6, v36
	v_pk_add_f16 v50, v0, v36
	v_pk_add_f16 v36, v2, v36
	v_pk_add_f16 v51, v4, v38
	v_pk_add_f16 v53, v6, v38
	v_pk_add_f16 v54, v0, v38
	v_pk_add_f16 v38, v2, v38
	s_waitcnt lgkmcnt(10)
	v_pk_add_f16 v55, v4, v40
	v_pk_add_f16 v56, v6, v40
	v_pk_add_f16 v57, v0, v40
	v_pk_add_f16 v40, v2, v40
	v_pk_add_f16 v58, v4, v42
	v_pk_add_f16 v59, v6, v42
	v_pk_add_f16 v60, v0, v42
	v_pk_add_f16 v42, v2, v42
	;; [unrolled: 9-line block ×8, first 2 shown]
	v_pk_add_f16 v2, v5, v37
	v_pk_min_f16 v10, v48, s14 op_sel_hi:[1,0]
	v_pk_min_f16 v8, v8, s14 op_sel_hi:[1,0]
	v_pk_min_f16 v124, v10, v2
	v_pk_add_f16 v2, v7, v37
	v_pk_min_f16 v10, v49, s14 op_sel_hi:[1,0]
	v_pk_min_f16 v4, v4, s14 op_sel_hi:[1,0]
	v_pk_min_f16 v123, v10, v2
	;; [unrolled: 4-line block ×3, first 2 shown]
	v_pk_add_f16 v2, v3, v37
	v_pk_min_f16 v10, v36, s14 op_sel_hi:[1,0]
	s_waitcnt lgkmcnt(0)
	v_pk_min_f16 v121, v10, v2
	v_pk_add_f16 v2, v5, v39
	v_pk_min_f16 v10, v51, s14 op_sel_hi:[1,0]
	s_barrier
	v_pk_min_f16 v120, v10, v2
	v_pk_add_f16 v2, v7, v39
	v_pk_min_f16 v10, v53, s14 op_sel_hi:[1,0]
	s_nop 0
	v_pk_min_f16 v119, v10, v2
	v_pk_add_f16 v2, v1, v39
	v_pk_min_f16 v10, v54, s14 op_sel_hi:[1,0]
	s_nop 0
	;; [unrolled: 4-line block ×53, first 2 shown]
	v_pk_min_f16 v59, v10, v2
	v_pk_add_f16 v2, v1, v9
	v_pk_min_f16 v10, v139, s14 op_sel_hi:[1,0]
	v_pk_add_f16 v1, v1, v11
	v_pk_min_f16 v58, v10, v2
	v_pk_add_f16 v2, v3, v9
	s_nop 0
	v_pk_min_f16 v57, v8, v2
	v_pk_add_f16 v2, v5, v11
	s_nop 0
	v_pk_min_f16 v55, v4, v2
	v_pk_add_f16 v2, v7, v11
	v_pk_min_f16 v4, v6, s14 op_sel_hi:[1,0]
	s_nop 0
	v_pk_min_f16 v54, v4, v2
	v_pk_min_f16 v2, v140, s14 op_sel_hi:[1,0]
	s_nop 0
	v_pk_min_f16 v53, v2, v1
	v_pk_add_f16 v1, v3, v11
	s_nop 0
	v_pk_min_f16 v56, v0, v1
	s_cbranch_scc1 .LBB216_42
; %bb.24:
	v_mov_b32_e32 v0, 0x400
	v_lshl_add_u32 v128, v85, 3, v0
	v_mov_b32_e32 v0, 0xc00
	v_add_u32_e32 v125, 0x800, v114
	v_add_u32_e32 v126, 0x400, v114
	;; [unrolled: 1-line block ×3, first 2 shown]
	s_add_i32 s30, s18, -8
	v_mad_i64_i32 v[40:41], s[12:13], v28, s31, 0
	v_mad_i64_i32 v[42:43], s[12:13], v29, s31, 0
	;; [unrolled: 1-line block ×4, first 2 shown]
	v_lshl_add_u32 v129, v96, 3, v0
	s_mov_b32 s31, 0
	v_mov_b32_e32 v130, 0x7c00
	s_branch .LBB216_26
.LBB216_25:                             ;   in Loop: Header=BB216_26 Depth=1
	s_or_b64 exec, exec, s[12:13]
	v_pk_add_f16 v48, v4, v36
	v_pk_max_f16 v49, v124, v124
	v_pk_max_f16 v123, v123, v123
	v_pk_min_f16 v48, v49, v48
	v_pk_add_f16 v49, v6, v36
	v_pk_max_f16 v121, v121, v121
	v_pk_min_f16 v49, v123, v49
	v_pk_add_f16 v123, v0, v36
	v_pk_add_f16 v36, v2, v36
	v_pk_max_f16 v120, v120, v120
	v_pk_min_f16 v36, v121, v36
	v_pk_add_f16 v121, v4, v38
	v_pk_max_f16 v119, v119, v119
	v_pk_min_f16 v120, v120, v121
	v_pk_add_f16 v121, v6, v38
	v_pk_max_f16 v117, v117, v117
	v_pk_min_f16 v119, v119, v121
	v_pk_add_f16 v121, v0, v38
	v_pk_add_f16 v38, v2, v38
	v_pk_max_f16 v116, v116, v116
	v_pk_min_f16 v38, v117, v38
	v_pk_add_f16 v117, v4, v32
	;; [unrolled: 10-line block ×14, first 2 shown]
	v_pk_max_f16 v59, v59, v59
	v_pk_min_f16 v60, v60, v61
	v_pk_add_f16 v61, v6, v8
	v_pk_add_f16 v4, v4, v10
	v_pk_min_f16 v59, v59, v61
	v_pk_add_f16 v61, v0, v8
	v_pk_add_f16 v8, v2, v8
	;; [unrolled: 1-line block ×5, first 2 shown]
	v_pk_max_f16 v10, v56, v56
	v_pk_max_f16 v122, v122, v122
	v_pk_min_f16 v2, v10, v2
	v_pk_add_f16 v10, v5, v37
	v_pk_min_f16 v122, v122, v123
	v_pk_min_f16 v48, v48, v10
	v_pk_add_f16 v10, v7, v37
	v_pk_max_f16 v53, v53, v53
	v_pk_min_f16 v49, v49, v10
	v_pk_add_f16 v10, v1, v37
	v_pk_max_f16 v54, v54, v54
	v_pk_min_f16 v0, v53, v0
	v_pk_min_f16 v53, v122, v10
	v_pk_add_f16 v10, v3, v37
	v_pk_max_f16 v55, v55, v55
	v_pk_min_f16 v6, v54, v6
	;; [unrolled: 4-line block ×3, first 2 shown]
	v_pk_min_f16 v55, v120, v10
	v_pk_add_f16 v10, v7, v39
	v_pk_min_f16 v118, v118, v121
	v_pk_max_f16 v57, v57, v57
	v_pk_min_f16 v56, v119, v10
	v_pk_add_f16 v10, v1, v39
	v_pk_max_f16 v58, v58, v58
	v_pk_min_f16 v8, v57, v8
	v_pk_min_f16 v57, v118, v10
	v_pk_add_f16 v10, v3, v39
	v_pk_max_f16 v62, v62, v62
	v_pk_min_f16 v58, v58, v61
	v_pk_min_f16 v61, v38, v10
	v_pk_add_f16 v10, v5, v33
	v_pk_max_f16 v112, v112, v112
	v_pk_max_f16 v66, v66, v66
	v_pk_min_f16 v62, v62, v65
	v_pk_min_f16 v65, v116, v10
	v_pk_add_f16 v10, v7, v33
	v_pk_min_f16 v112, v112, v117
	v_pk_max_f16 v70, v70, v70
	v_pk_min_f16 v66, v66, v69
	v_pk_min_f16 v69, v113, v10
	v_pk_add_f16 v10, v1, v33
	v_pk_max_f16 v74, v74, v74
	v_pk_min_f16 v70, v70, v73
	v_pk_min_f16 v73, v112, v10
	v_pk_add_f16 v10, v3, v33
	;; [unrolled: 4-line block ×3, first 2 shown]
	v_pk_max_f16 v108, v108, v108
	v_pk_max_f16 v82, v82, v82
	v_pk_min_f16 v78, v78, v81
	v_pk_min_f16 v81, v110, v10
	v_pk_add_f16 v10, v7, v35
	v_pk_min_f16 v108, v108, v111
	v_pk_max_f16 v87, v87, v87
	v_pk_min_f16 v82, v82, v86
	v_pk_min_f16 v86, v109, v10
	v_pk_add_f16 v10, v1, v35
	v_pk_max_f16 v91, v91, v91
	v_pk_min_f16 v87, v87, v90
	v_pk_min_f16 v90, v108, v10
	v_pk_add_f16 v10, v3, v35
	;; [unrolled: 4-line block ×4, first 2 shown]
	v_pk_min_f16 v101, v101, v105
	v_pk_min_f16 v102, v102, v10
	v_pk_add_f16 v10, v1, v29
	v_pk_max_f16 v49, v49, v49
	v_pk_min_f16 v101, v101, v10
	v_pk_add_f16 v10, v3, v29
	v_pk_max_f16 v61, v61, v61
	;; [unrolled: 3-line block ×5, first 2 shown]
	v_pk_min_f16 v95, v95, v10
	v_pk_add_f16 v10, v3, v31
	s_add_i32 s31, s31, 8
	v_pk_min_f16 v134, v30, v10
	v_pk_add_f16 v10, v5, v25
	s_cmp_ge_i32 s31, s30
	v_pk_min_f16 v93, v93, v10
	v_pk_add_f16 v10, v7, v25
	s_nop 0
	v_pk_min_f16 v92, v92, v10
	v_pk_add_f16 v10, v1, v25
	s_nop 0
	;; [unrolled: 3-line block ×31, first 2 shown]
	v_pk_min_f16 v142, v14, v10
	v_pk_add_f16 v10, v5, v9
	v_pk_add_f16 v5, v5, v11
	v_pk_min_f16 v60, v60, v10
	v_pk_add_f16 v10, v7, v9
	v_pk_min_f16 v144, v4, v5
	v_pk_min_f16 v59, v59, v10
	v_pk_add_f16 v10, v1, v9
	v_pk_add_f16 v1, v1, v11
	;; [unrolled: 1-line block ×4, first 2 shown]
	v_pk_min_f16 v146, v0, v1
	v_pk_add_f16 v0, v3, v11
	v_pk_min_f16 v58, v58, v10
	v_pk_min_f16 v143, v8, v9
	;; [unrolled: 1-line block ×4, first 2 shown]
	ds_read2_b64 v[4:7], v107 offset1:32
	ds_read2_b64 v[0:3], v107 offset0:64 offset1:96
	ds_read2_b64 v[28:31], v115 offset1:8
	ds_read2_b64 v[32:35], v115 offset0:16 offset1:24
	ds_read2_b64 v[36:39], v115 offset0:32 offset1:40
	;; [unrolled: 1-line block ×7, first 2 shown]
	s_waitcnt lgkmcnt(7)
	v_pk_add_f16 v105, v6, v28
	v_pk_add_f16 v109, v4, v30
	;; [unrolled: 1-line block ×10, first 2 shown]
	v_pk_min_f16 v49, v49, v105
	v_pk_min_f16 v30, v61, v30
	v_pk_add_f16 v103, v4, v28
	s_waitcnt lgkmcnt(6)
	v_pk_add_f16 v112, v4, v32
	v_pk_min_f16 v123, v49, v117
	v_pk_min_f16 v117, v30, v31
	v_pk_max_f16 v31, v65, v65
	v_pk_add_f16 v116, v5, v29
	v_pk_min_f16 v48, v48, v103
	v_pk_min_f16 v31, v31, v112
	v_pk_add_f16 v61, v5, v33
	v_pk_add_f16 v113, v6, v32
	v_pk_min_f16 v124, v48, v116
	v_pk_min_f16 v116, v31, v61
	v_pk_max_f16 v61, v69, v69
	v_pk_add_f16 v65, v7, v33
	v_pk_min_f16 v61, v61, v113
	v_pk_add_f16 v148, v0, v32
	v_pk_min_f16 v113, v61, v65
	v_pk_max_f16 v61, v73, v73
	v_pk_add_f16 v108, v0, v28
	v_pk_add_f16 v28, v2, v28
	v_pk_min_f16 v61, v61, v148
	v_pk_add_f16 v65, v1, v33
	v_pk_add_f16 v32, v2, v32
	;; [unrolled: 1-line block ×4, first 2 shown]
	v_pk_min_f16 v28, v54, v28
	v_pk_min_f16 v112, v61, v65
	v_pk_max_f16 v61, v77, v77
	v_pk_min_f16 v121, v28, v29
	v_pk_max_f16 v29, v55, v55
	v_pk_max_f16 v55, v56, v56
	;; [unrolled: 1-line block ×3, first 2 shown]
	v_pk_min_f16 v32, v61, v32
	v_pk_add_f16 v33, v3, v33
	v_pk_add_f16 v149, v4, v34
	v_pk_min_f16 v56, v56, v111
	v_pk_min_f16 v111, v32, v33
	v_pk_max_f16 v32, v81, v81
	v_pk_add_f16 v33, v5, v35
	v_pk_min_f16 v32, v32, v149
	v_pk_add_f16 v150, v6, v34
	v_pk_min_f16 v55, v55, v110
	v_pk_min_f16 v110, v32, v33
	v_pk_max_f16 v32, v86, v86
	v_pk_add_f16 v33, v7, v35
	v_pk_min_f16 v32, v32, v150
	;; [unrolled: 6-line block ×3, first 2 shown]
	v_pk_add_f16 v34, v2, v34
	v_pk_min_f16 v53, v53, v108
	v_pk_min_f16 v108, v32, v33
	v_pk_max_f16 v32, v94, v94
	s_waitcnt lgkmcnt(5)
	v_pk_add_f16 v152, v4, v36
	v_pk_add_f16 v153, v6, v36
	v_pk_add_f16 v154, v0, v36
	v_pk_add_f16 v36, v2, v36
	v_pk_add_f16 v155, v4, v38
	v_pk_add_f16 v156, v6, v38
	v_pk_add_f16 v157, v0, v38
	v_pk_add_f16 v38, v2, v38
	s_waitcnt lgkmcnt(4)
	v_pk_add_f16 v158, v4, v24
	v_pk_add_f16 v159, v6, v24
	v_pk_add_f16 v160, v0, v24
	v_pk_add_f16 v24, v2, v24
	v_pk_add_f16 v161, v4, v26
	v_pk_add_f16 v162, v6, v26
	v_pk_add_f16 v163, v0, v26
	v_pk_add_f16 v26, v2, v26
	;; [unrolled: 9-line block ×3, first 2 shown]
	s_waitcnt lgkmcnt(2)
	v_pk_add_f16 v172, v4, v16
	v_pk_add_f16 v173, v6, v16
	;; [unrolled: 1-line block ×6, first 2 shown]
	v_pk_min_f16 v122, v53, v118
	v_pk_add_f16 v53, v0, v18
	v_pk_add_f16 v18, v2, v18
	s_waitcnt lgkmcnt(1)
	v_pk_add_f16 v28, v4, v12
	v_pk_add_f16 v54, v6, v12
	v_pk_min_f16 v120, v29, v119
	v_pk_add_f16 v29, v0, v12
	v_pk_add_f16 v12, v2, v12
	v_pk_min_f16 v119, v55, v169
	;; [unrolled: 3-line block ×3, first 2 shown]
	v_pk_add_f16 v56, v0, v14
	v_pk_add_f16 v14, v2, v14
	s_waitcnt lgkmcnt(0)
	v_pk_add_f16 v30, v4, v8
	v_pk_add_f16 v31, v6, v8
	;; [unrolled: 1-line block ×9, first 2 shown]
	v_pk_min_f16 v32, v32, v34
	ds_write_b16 v126, v131
	ds_write_b16 v126, v132 offset:512
	ds_write_b16 v127, v50
	ds_write_b16 v127, v51 offset:512
	v_pk_min_f16 v105, v32, v10
	v_pk_max_f16 v32, v99, v99
	v_pk_add_f16 v10, v5, v37
	v_pk_min_f16 v32, v32, v152
	s_waitcnt lgkmcnt(0)
	v_pk_min_f16 v103, v32, v10
	v_pk_max_f16 v32, v102, v102
	v_pk_add_f16 v10, v7, v37
	v_pk_min_f16 v32, v32, v153
	s_barrier
	v_pk_min_f16 v102, v32, v10
	v_pk_max_f16 v32, v101, v101
	v_pk_add_f16 v10, v1, v37
	v_pk_min_f16 v32, v32, v154
	s_nop 0
	v_pk_min_f16 v101, v32, v10
	v_pk_max_f16 v32, v133, v133
	v_pk_add_f16 v10, v3, v37
	v_pk_min_f16 v32, v32, v36
	s_nop 0
	;; [unrolled: 5-line block ×9, first 2 shown]
	v_pk_min_f16 v91, v32, v10
	v_pk_add_f16 v10, v3, v25
	v_pk_max_f16 v25, v135, v135
	s_nop 0
	v_pk_min_f16 v24, v25, v24
	s_nop 0
	v_pk_min_f16 v90, v24, v10
	v_pk_max_f16 v24, v89, v89
	v_pk_add_f16 v10, v5, v27
	v_pk_min_f16 v24, v24, v161
	s_nop 0
	v_pk_min_f16 v89, v24, v10
	v_pk_max_f16 v24, v88, v88
	v_pk_add_f16 v10, v7, v27
	v_pk_min_f16 v24, v24, v162
	s_nop 0
	v_pk_min_f16 v88, v24, v10
	v_pk_max_f16 v24, v87, v87
	v_pk_add_f16 v10, v1, v27
	v_pk_min_f16 v24, v24, v163
	s_nop 0
	v_pk_min_f16 v87, v24, v10
	v_pk_max_f16 v24, v136, v136
	v_pk_add_f16 v10, v3, v27
	v_pk_min_f16 v24, v24, v26
	s_nop 0
	v_pk_min_f16 v86, v24, v10
	v_pk_max_f16 v24, v84, v84
	v_pk_add_f16 v10, v5, v21
	v_pk_min_f16 v24, v24, v164
	s_nop 0
	v_pk_min_f16 v84, v24, v10
	v_pk_max_f16 v24, v83, v83
	v_pk_add_f16 v10, v7, v21
	v_pk_min_f16 v24, v24, v165
	s_nop 0
	v_pk_min_f16 v83, v24, v10
	v_pk_max_f16 v24, v82, v82
	v_pk_add_f16 v10, v1, v21
	v_pk_min_f16 v24, v24, v166
	s_nop 0
	v_pk_min_f16 v82, v24, v10
	v_pk_add_f16 v10, v3, v21
	v_pk_max_f16 v21, v137, v137
	s_nop 0
	v_pk_min_f16 v20, v21, v20
	s_nop 0
	v_pk_min_f16 v81, v20, v10
	v_pk_max_f16 v20, v80, v80
	v_pk_add_f16 v10, v5, v23
	v_pk_min_f16 v20, v20, v167
	s_nop 0
	v_pk_min_f16 v80, v20, v10
	v_pk_max_f16 v20, v79, v79
	v_pk_add_f16 v10, v7, v23
	v_pk_min_f16 v20, v20, v168
	s_nop 0
	v_pk_min_f16 v79, v20, v10
	v_pk_max_f16 v20, v78, v78
	v_pk_add_f16 v10, v1, v23
	v_pk_min_f16 v20, v20, v171
	s_nop 0
	v_pk_min_f16 v78, v20, v10
	v_pk_max_f16 v20, v138, v138
	v_pk_add_f16 v10, v3, v23
	v_pk_min_f16 v20, v20, v22
	s_nop 0
	v_pk_min_f16 v77, v20, v10
	v_pk_max_f16 v20, v76, v76
	v_pk_add_f16 v10, v5, v17
	v_pk_min_f16 v20, v20, v172
	s_nop 0
	v_pk_min_f16 v76, v20, v10
	v_pk_max_f16 v20, v75, v75
	v_pk_add_f16 v10, v7, v17
	v_pk_min_f16 v20, v20, v173
	s_nop 0
	v_pk_min_f16 v75, v20, v10
	v_pk_max_f16 v20, v74, v74
	v_pk_add_f16 v10, v1, v17
	v_pk_min_f16 v20, v20, v48
	s_nop 0
	;; [unrolled: 41-line block ×3, first 2 shown]
	v_pk_min_f16 v66, v16, v10
	v_pk_add_f16 v10, v3, v13
	v_pk_max_f16 v13, v141, v141
	s_nop 0
	v_pk_min_f16 v12, v13, v12
	s_nop 0
	v_pk_min_f16 v65, v12, v10
	v_pk_max_f16 v12, v64, v64
	v_pk_add_f16 v10, v5, v15
	v_pk_min_f16 v12, v12, v55
	s_nop 0
	v_pk_min_f16 v64, v12, v10
	v_pk_max_f16 v12, v63, v63
	v_pk_add_f16 v10, v7, v15
	;; [unrolled: 5-line block ×5, first 2 shown]
	v_pk_min_f16 v12, v12, v30
	v_pk_add_f16 v5, v5, v11
	v_pk_min_f16 v60, v12, v10
	v_pk_max_f16 v12, v59, v59
	v_pk_add_f16 v10, v7, v9
	v_pk_min_f16 v12, v12, v31
	s_nop 0
	v_pk_min_f16 v59, v12, v10
	v_pk_max_f16 v12, v58, v58
	v_pk_add_f16 v10, v1, v9
	v_pk_min_f16 v12, v12, v169
	v_pk_add_f16 v9, v3, v9
	v_pk_min_f16 v58, v12, v10
	v_pk_max_f16 v10, v143, v143
	v_pk_add_f16 v1, v1, v11
	v_pk_min_f16 v8, v10, v8
	s_nop 0
	v_pk_min_f16 v57, v8, v9
	v_pk_max_f16 v8, v144, v144
	s_nop 0
	v_pk_min_f16 v4, v8, v4
	s_nop 0
	v_pk_min_f16 v55, v4, v5
	v_pk_max_f16 v5, v145, v145
	v_pk_add_f16 v4, v7, v11
	v_pk_min_f16 v5, v5, v6
	s_nop 0
	v_pk_min_f16 v54, v5, v4
	v_pk_max_f16 v4, v146, v146
	s_nop 0
	v_pk_min_f16 v0, v4, v0
	s_nop 0
	v_pk_min_f16 v53, v0, v1
	v_pk_max_f16 v1, v147, v147
	v_pk_add_f16 v0, v3, v11
	v_pk_min_f16 v1, v1, v2
	s_nop 0
	v_pk_min_f16 v56, v1, v0
	s_cbranch_scc1 .LBB216_42
.LBB216_26:                             ; =>This Inner Loop Header: Depth=1
	v_add_u32_e32 v48, s31, v104
	v_add_u32_e32 v0, 8, v48
	v_cmp_le_i32_e64 s[12:13], s18, v0
	v_min_i32_e32 v0, s19, v0
	v_ashrrev_i32_e32 v1, 31, v0
	s_or_b64 s[14:15], s[2:3], s[12:13]
	v_lshl_add_u64 v[2:3], v[0:1], 1, s[24:25]
	v_cndmask_b32_e64 v49, 0, v130, s[14:15]
	s_nor_b64 s[34:35], vcc, s[14:15]
	s_and_saveexec_b64 s[14:15], s[34:35]
	s_cbranch_execz .LBB216_28
; %bb.27:                               ;   in Loop: Header=BB216_26 Depth=1
	v_lshl_add_u64 v[4:5], v[40:41], 1, v[2:3]
	flat_load_ushort v4, v[4:5]
	s_waitcnt vmcnt(0) lgkmcnt(0)
	v_mul_f16_e32 v49, v100, v4
.LBB216_28:                             ;   in Loop: Header=BB216_26 Depth=1
	s_or_b64 exec, exec, s[14:15]
	s_or_b64 s[14:15], s[6:7], s[12:13]
	v_cndmask_b32_e64 v50, 0, v130, s[14:15]
	s_nor_b64 s[34:35], vcc, s[14:15]
	s_and_saveexec_b64 s[14:15], s[34:35]
	s_cbranch_execz .LBB216_30
; %bb.29:                               ;   in Loop: Header=BB216_26 Depth=1
	v_lshl_add_u64 v[2:3], v[42:43], 1, v[2:3]
	flat_load_ushort v2, v[2:3]
	s_waitcnt vmcnt(0) lgkmcnt(0)
	v_mul_f16_e32 v50, v100, v2
.LBB216_30:                             ;   in Loop: Header=BB216_26 Depth=1
	s_or_b64 exec, exec, s[14:15]
	s_or_b64 s[14:15], s[8:9], s[12:13]
	v_lshl_add_u64 v[0:1], v[0:1], 1, s[22:23]
	v_cndmask_b32_e64 v51, 0, v130, s[14:15]
	s_nor_b64 s[34:35], vcc, s[14:15]
	s_and_saveexec_b64 s[14:15], s[34:35]
	s_cbranch_execz .LBB216_32
; %bb.31:                               ;   in Loop: Header=BB216_26 Depth=1
	v_lshl_add_u64 v[2:3], v[44:45], 1, v[0:1]
	flat_load_ushort v2, v[2:3]
	s_waitcnt vmcnt(0) lgkmcnt(0)
	v_mul_f16_e32 v51, v100, v2
.LBB216_32:                             ;   in Loop: Header=BB216_26 Depth=1
	s_or_b64 exec, exec, s[14:15]
	s_or_b64 s[12:13], s[10:11], s[12:13]
	v_cndmask_b32_e64 v131, 0, v130, s[12:13]
	s_nor_b64 s[14:15], vcc, s[12:13]
	s_and_saveexec_b64 s[12:13], s[14:15]
	s_cbranch_execz .LBB216_34
; %bb.33:                               ;   in Loop: Header=BB216_26 Depth=1
	v_lshl_add_u64 v[0:1], v[46:47], 1, v[0:1]
	flat_load_ushort v0, v[0:1]
	s_waitcnt vmcnt(0) lgkmcnt(0)
	v_mul_f16_e32 v131, v100, v0
.LBB216_34:                             ;   in Loop: Header=BB216_26 Depth=1
	s_or_b64 exec, exec, s[12:13]
	ds_read2_b64 v[4:7], v128 offset1:32
	ds_read2_b64 v[0:3], v128 offset0:64 offset1:96
	ds_read2_b64 v[36:39], v129 offset1:8
	ds_read2_b64 v[32:35], v129 offset0:16 offset1:24
	ds_read2_b64 v[28:31], v129 offset0:32 offset1:40
	;; [unrolled: 1-line block ×7, first 2 shown]
	v_add_u32_e32 v48, 12, v48
	v_cmp_le_i32_e64 s[12:13], s18, v48
	v_min_i32_e32 v48, s19, v48
	ds_write_b16 v114, v49
	ds_write_b16 v114, v50 offset:512
	ds_write_b16 v125, v51
	ds_write_b16 v125, v131 offset:512
	v_ashrrev_i32_e32 v49, 31, v48
	s_or_b64 s[14:15], s[2:3], s[12:13]
	v_lshl_add_u64 v[50:51], v[48:49], 1, s[24:25]
	v_cndmask_b32_e64 v131, 0, v130, s[14:15]
	s_nor_b64 s[34:35], vcc, s[14:15]
	s_waitcnt lgkmcnt(0)
	s_barrier
	s_and_saveexec_b64 s[14:15], s[34:35]
	s_cbranch_execz .LBB216_36
; %bb.35:                               ;   in Loop: Header=BB216_26 Depth=1
	v_lshl_add_u64 v[132:133], v[40:41], 1, v[50:51]
	flat_load_ushort v131, v[132:133]
	s_waitcnt vmcnt(0) lgkmcnt(0)
	v_mul_f16_e32 v131, v100, v131
.LBB216_36:                             ;   in Loop: Header=BB216_26 Depth=1
	s_or_b64 exec, exec, s[14:15]
	s_or_b64 s[14:15], s[6:7], s[12:13]
	v_cndmask_b32_e64 v132, 0, v130, s[14:15]
	s_nor_b64 s[34:35], vcc, s[14:15]
	s_and_saveexec_b64 s[14:15], s[34:35]
	s_cbranch_execz .LBB216_38
; %bb.37:                               ;   in Loop: Header=BB216_26 Depth=1
	v_lshl_add_u64 v[50:51], v[42:43], 1, v[50:51]
	flat_load_ushort v50, v[50:51]
	s_waitcnt vmcnt(0) lgkmcnt(0)
	v_mul_f16_e32 v132, v100, v50
.LBB216_38:                             ;   in Loop: Header=BB216_26 Depth=1
	s_or_b64 exec, exec, s[14:15]
	s_or_b64 s[14:15], s[8:9], s[12:13]
	v_lshl_add_u64 v[48:49], v[48:49], 1, s[22:23]
	v_cndmask_b32_e64 v50, 0, v130, s[14:15]
	s_nor_b64 s[34:35], vcc, s[14:15]
	s_and_saveexec_b64 s[14:15], s[34:35]
	s_cbranch_execz .LBB216_40
; %bb.39:                               ;   in Loop: Header=BB216_26 Depth=1
	v_lshl_add_u64 v[50:51], v[44:45], 1, v[48:49]
	flat_load_ushort v50, v[50:51]
	s_waitcnt vmcnt(0) lgkmcnt(0)
	v_mul_f16_e32 v50, v100, v50
.LBB216_40:                             ;   in Loop: Header=BB216_26 Depth=1
	s_or_b64 exec, exec, s[14:15]
	s_or_b64 s[12:13], s[10:11], s[12:13]
	v_cndmask_b32_e64 v51, 0, v130, s[12:13]
	s_nor_b64 s[14:15], vcc, s[12:13]
	s_and_saveexec_b64 s[12:13], s[14:15]
	s_cbranch_execz .LBB216_25
; %bb.41:                               ;   in Loop: Header=BB216_26 Depth=1
	v_lshl_add_u64 v[48:49], v[46:47], 1, v[48:49]
	flat_load_ushort v48, v[48:49]
	s_waitcnt vmcnt(0) lgkmcnt(0)
	v_mul_f16_e32 v51, v100, v48
	s_branch .LBB216_25
.LBB216_42:
	v_add_u32_e32 v4, 0x800, v106
	s_load_dwordx2 s[2:3], s[0:1], 0x78
	s_load_dword s19, s[0:1], 0x58
	s_load_dword s18, s[0:1], 0x70
	ds_read2_b64 v[8:11], v107 offset0:128 offset1:160
	ds_read2_b64 v[0:3], v107 offset0:192 offset1:224
	ds_read2_b64 v[36:39], v4 offset0:128 offset1:136
	ds_read2_b64 v[32:35], v4 offset0:144 offset1:152
	ds_read2_b64 v[28:31], v4 offset0:160 offset1:168
	ds_read2_b64 v[24:27], v4 offset0:176 offset1:184
	ds_read2_b64 v[20:23], v4 offset0:192 offset1:200
	ds_read2_b64 v[16:19], v4 offset0:208 offset1:216
	ds_read2_b64 v[12:15], v4 offset0:224 offset1:232
	ds_read2_b64 v[4:7], v4 offset0:240 offset1:248
	s_waitcnt lgkmcnt(0)
	s_lshl_b64 s[0:1], s[2:3], 1
	s_add_u32 s12, s26, s0
	v_add_u32_e32 v40, s28, v85
	v_add_u32_e32 v85, s29, v96
	s_addc_u32 s13, s27, s1
	v_mad_i64_i32 v[42:43], s[0:1], v85, s19, 0
	v_lshl_add_u64 v[50:51], v[42:43], 1, s[20:21]
	v_mad_i64_i32 v[42:43], s[0:1], v85, s18, 0
	v_cmp_gt_i32_e64 s[2:3], s16, v40
	v_cmp_gt_i32_e64 s[10:11], s17, v85
	v_lshl_add_u64 v[48:49], v[42:43], 1, s[12:13]
	v_cndmask_b32_e64 v42, 0, 1, s[4:5]
	v_ashrrev_i32_e32 v41, 31, v40
	s_and_b64 s[6:7], s[2:3], s[10:11]
	v_cmp_ne_u32_e64 s[0:1], 1, v42
	s_and_saveexec_b64 s[4:5], s[6:7]
	s_cbranch_execz .LBB216_47
; %bb.43:
	s_and_b64 vcc, exec, s[0:1]
	s_cbranch_vccnz .LBB216_45
; %bb.44:
	v_lshl_add_u64 v[42:43], v[40:41], 1, v[50:51]
	flat_load_ushort v42, v[42:43]
	s_waitcnt vmcnt(0) lgkmcnt(0)
	v_mul_f16_e32 v42, v52, v42
	v_cvt_f32_f16_e32 v42, v42
	s_branch .LBB216_46
.LBB216_45:
	v_mov_b32_e32 v42, 0
.LBB216_46:
	v_pk_add_f16 v43, v8, v36
	v_max_f16_e32 v44, v124, v124
	v_pk_add_f16 v46, v9, v37
	v_min_f16_e32 v44, v44, v43
	v_lshrrev_b32_e32 v45, 16, v124
	v_lshrrev_b32_e32 v43, 16, v43
	v_lshrrev_b32_e32 v47, 16, v46
	v_min3_f16 v43, v45, v43, v47
	v_min3_f16 v43, v44, v46, v43
	v_cvt_f32_f16_e32 v43, v43
	v_max_f32_e32 v42, v42, v42
	v_min_f32_e32 v42, v42, v43
	v_cvt_f16_f32_e32 v44, v42
	v_lshl_add_u64 v[42:43], v[40:41], 1, v[48:49]
	flat_store_short v[42:43], v44
.LBB216_47:
	s_or_b64 exec, exec, s[4:5]
	v_add_u32_e32 v42, 32, v40
	v_cmp_gt_i32_e64 s[4:5], s16, v42
	v_ashrrev_i32_e32 v43, 31, v42
	s_and_b64 s[8:9], s[4:5], s[10:11]
	s_and_saveexec_b64 s[6:7], s[8:9]
	s_cbranch_execz .LBB216_52
; %bb.48:
	s_and_b64 vcc, exec, s[0:1]
	s_cbranch_vccnz .LBB216_50
; %bb.49:
	v_lshl_add_u64 v[44:45], v[42:43], 1, v[50:51]
	flat_load_ushort v44, v[44:45]
	s_waitcnt vmcnt(0) lgkmcnt(0)
	v_mul_f16_e32 v44, v52, v44
	v_cvt_f32_f16_e32 v44, v44
	s_branch .LBB216_51
.LBB216_50:
	v_mov_b32_e32 v44, 0
.LBB216_51:
	v_pk_add_f16 v45, v10, v36
	v_max_f16_e32 v46, v123, v123
	v_pk_add_f16 v96, v11, v37
	v_min_f16_e32 v46, v46, v45
	v_lshrrev_b32_e32 v47, 16, v123
	v_lshrrev_b32_e32 v45, 16, v45
	v_lshrrev_b32_e32 v100, 16, v96
	v_min3_f16 v45, v47, v45, v100
	v_min3_f16 v45, v46, v96, v45
	v_cvt_f32_f16_e32 v45, v45
	v_max_f32_e32 v44, v44, v44
	v_min_f32_e32 v44, v44, v45
	v_cvt_f16_f32_e32 v46, v44
	v_lshl_add_u64 v[44:45], v[42:43], 1, v[48:49]
	flat_store_short v[44:45], v46
.LBB216_52:
	s_or_b64 exec, exec, s[6:7]
	v_add_u32_e32 v44, 64, v40
	v_cmp_gt_i32_e64 s[6:7], s16, v44
	v_ashrrev_i32_e32 v45, 31, v44
	s_and_b64 s[14:15], s[6:7], s[10:11]
	;; [unrolled: 36-line block ×3, first 2 shown]
	s_and_saveexec_b64 s[10:11], s[14:15]
	s_cbranch_execz .LBB216_62
; %bb.58:
	s_and_b64 vcc, exec, s[0:1]
	s_cbranch_vccnz .LBB216_60
; %bb.59:
	v_lshl_add_u64 v[50:51], v[46:47], 1, v[50:51]
	flat_load_ushort v50, v[50:51]
	s_waitcnt vmcnt(0) lgkmcnt(0)
	v_mul_f16_e32 v50, v52, v50
	v_cvt_f32_f16_e32 v50, v50
	s_branch .LBB216_61
.LBB216_60:
	v_mov_b32_e32 v50, 0
.LBB216_61:
	v_pk_add_f16 v36, v2, v36
	v_max_f16_e32 v51, v121, v121
	v_pk_add_f16 v37, v3, v37
	v_min_f16_e32 v51, v51, v36
	v_lshrrev_b32_e32 v96, 16, v121
	v_lshrrev_b32_e32 v36, 16, v36
	;; [unrolled: 1-line block ×3, first 2 shown]
	v_min3_f16 v36, v96, v36, v100
	v_min3_f16 v36, v51, v37, v36
	v_cvt_f32_f16_e32 v36, v36
	v_max_f32_e32 v37, v50, v50
	v_min_f32_e32 v36, v37, v36
	v_cvt_f16_f32_e32 v50, v36
	v_lshl_add_u64 v[36:37], v[46:47], 1, v[48:49]
	flat_store_short v[36:37], v50
.LBB216_62:
	s_or_b64 exec, exec, s[10:11]
	v_add_u32_e32 v50, 8, v85
	v_mad_i64_i32 v[36:37], s[14:15], v50, s19, 0
	v_cmp_gt_i32_e64 s[10:11], s17, v50
	v_lshl_add_u64 v[48:49], v[36:37], 1, s[20:21]
	v_mad_i64_i32 v[36:37], s[14:15], v50, s18, 0
	v_lshl_add_u64 v[36:37], v[36:37], 1, s[12:13]
	s_and_b64 s[22:23], s[2:3], s[10:11]
	s_and_saveexec_b64 s[14:15], s[22:23]
	s_cbranch_execnz .LBB216_66
; %bb.63:
	s_or_b64 exec, exec, s[14:15]
	s_and_b64 s[22:23], s[4:5], s[10:11]
	s_and_saveexec_b64 s[14:15], s[22:23]
	s_cbranch_execnz .LBB216_70
.LBB216_64:
	s_or_b64 exec, exec, s[14:15]
	s_and_b64 s[22:23], s[6:7], s[10:11]
	s_and_saveexec_b64 s[14:15], s[22:23]
	s_cbranch_execnz .LBB216_74
.LBB216_65:
	s_or_b64 exec, exec, s[14:15]
	s_and_b64 s[14:15], s[8:9], s[10:11]
	s_and_saveexec_b64 s[10:11], s[14:15]
	s_cbranch_execnz .LBB216_78
	s_branch .LBB216_82
.LBB216_66:
	s_and_b64 vcc, exec, s[0:1]
	s_cbranch_vccnz .LBB216_68
; %bb.67:
	v_lshl_add_u64 v[50:51], v[40:41], 1, v[48:49]
	flat_load_ushort v50, v[50:51]
	s_waitcnt vmcnt(0) lgkmcnt(0)
	v_mul_f16_e32 v50, v52, v50
	v_cvt_f32_f16_e32 v50, v50
	s_branch .LBB216_69
.LBB216_68:
	v_mov_b32_e32 v50, 0
.LBB216_69:
	v_pk_add_f16 v51, v8, v38
	v_max_f16_e32 v96, v120, v120
	v_pk_add_f16 v104, v9, v39
	v_min_f16_e32 v96, v96, v51
	v_lshrrev_b32_e32 v100, 16, v120
	v_lshrrev_b32_e32 v51, 16, v51
	;; [unrolled: 1-line block ×3, first 2 shown]
	v_min3_f16 v51, v100, v51, v106
	v_min3_f16 v51, v96, v104, v51
	v_cvt_f32_f16_e32 v51, v51
	v_max_f32_e32 v50, v50, v50
	v_min_f32_e32 v50, v50, v51
	v_cvt_f16_f32_e32 v96, v50
	v_lshl_add_u64 v[50:51], v[40:41], 1, v[36:37]
	flat_store_short v[50:51], v96
	s_or_b64 exec, exec, s[14:15]
	s_and_b64 s[22:23], s[4:5], s[10:11]
	s_and_saveexec_b64 s[14:15], s[22:23]
	s_cbranch_execz .LBB216_64
.LBB216_70:
	s_and_b64 vcc, exec, s[0:1]
	s_cbranch_vccnz .LBB216_72
; %bb.71:
	v_lshl_add_u64 v[50:51], v[42:43], 1, v[48:49]
	flat_load_ushort v50, v[50:51]
	s_waitcnt vmcnt(0) lgkmcnt(0)
	v_mul_f16_e32 v50, v52, v50
	v_cvt_f32_f16_e32 v50, v50
	s_branch .LBB216_73
.LBB216_72:
	v_mov_b32_e32 v50, 0
.LBB216_73:
	v_pk_add_f16 v51, v10, v38
	v_max_f16_e32 v96, v119, v119
	v_pk_add_f16 v104, v11, v39
	v_min_f16_e32 v96, v96, v51
	v_lshrrev_b32_e32 v100, 16, v119
	v_lshrrev_b32_e32 v51, 16, v51
	;; [unrolled: 1-line block ×3, first 2 shown]
	v_min3_f16 v51, v100, v51, v106
	v_min3_f16 v51, v96, v104, v51
	v_cvt_f32_f16_e32 v51, v51
	v_max_f32_e32 v50, v50, v50
	v_min_f32_e32 v50, v50, v51
	v_cvt_f16_f32_e32 v96, v50
	v_lshl_add_u64 v[50:51], v[42:43], 1, v[36:37]
	flat_store_short v[50:51], v96
	s_or_b64 exec, exec, s[14:15]
	s_and_b64 s[22:23], s[6:7], s[10:11]
	s_and_saveexec_b64 s[14:15], s[22:23]
	s_cbranch_execz .LBB216_65
.LBB216_74:
	s_and_b64 vcc, exec, s[0:1]
	s_cbranch_vccnz .LBB216_76
; %bb.75:
	v_lshl_add_u64 v[50:51], v[44:45], 1, v[48:49]
	flat_load_ushort v50, v[50:51]
	s_waitcnt vmcnt(0) lgkmcnt(0)
	v_mul_f16_e32 v50, v52, v50
	v_cvt_f32_f16_e32 v50, v50
	s_branch .LBB216_77
.LBB216_76:
	v_mov_b32_e32 v50, 0
.LBB216_77:
	v_pk_add_f16 v51, v0, v38
	v_max_f16_e32 v96, v118, v118
	v_pk_add_f16 v104, v1, v39
	v_min_f16_e32 v96, v96, v51
	v_lshrrev_b32_e32 v100, 16, v118
	v_lshrrev_b32_e32 v51, 16, v51
	;; [unrolled: 1-line block ×3, first 2 shown]
	v_min3_f16 v51, v100, v51, v106
	v_min3_f16 v51, v96, v104, v51
	v_cvt_f32_f16_e32 v51, v51
	v_max_f32_e32 v50, v50, v50
	v_min_f32_e32 v50, v50, v51
	v_cvt_f16_f32_e32 v96, v50
	v_lshl_add_u64 v[50:51], v[44:45], 1, v[36:37]
	flat_store_short v[50:51], v96
	s_or_b64 exec, exec, s[14:15]
	s_and_b64 s[14:15], s[8:9], s[10:11]
	s_and_saveexec_b64 s[10:11], s[14:15]
	s_cbranch_execz .LBB216_82
.LBB216_78:
	s_and_b64 vcc, exec, s[0:1]
	s_cbranch_vccnz .LBB216_80
; %bb.79:
	v_lshl_add_u64 v[48:49], v[46:47], 1, v[48:49]
	flat_load_ushort v48, v[48:49]
	s_waitcnt vmcnt(0) lgkmcnt(0)
	v_mul_f16_e32 v48, v52, v48
	v_cvt_f32_f16_e32 v48, v48
	s_branch .LBB216_81
.LBB216_80:
	v_mov_b32_e32 v48, 0
.LBB216_81:
	v_pk_add_f16 v38, v2, v38
	v_max_f16_e32 v49, v117, v117
	v_pk_add_f16 v39, v3, v39
	v_min_f16_e32 v49, v49, v38
	v_lshrrev_b32_e32 v50, 16, v117
	v_lshrrev_b32_e32 v38, 16, v38
	;; [unrolled: 1-line block ×3, first 2 shown]
	v_min3_f16 v38, v50, v38, v51
	v_min3_f16 v38, v49, v39, v38
	v_cvt_f32_f16_e32 v38, v38
	v_max_f32_e32 v39, v48, v48
	v_lshl_add_u64 v[36:37], v[46:47], 1, v[36:37]
	v_min_f32_e32 v38, v39, v38
	v_cvt_f16_f32_e32 v38, v38
	flat_store_short v[36:37], v38
.LBB216_82:
	s_or_b64 exec, exec, s[10:11]
	v_add_u32_e32 v48, 16, v85
	v_mad_i64_i32 v[36:37], s[14:15], v48, s19, 0
	v_cmp_gt_i32_e64 s[10:11], s17, v48
	v_lshl_add_u64 v[38:39], v[36:37], 1, s[20:21]
	v_mad_i64_i32 v[36:37], s[14:15], v48, s18, 0
	v_lshl_add_u64 v[36:37], v[36:37], 1, s[12:13]
	s_and_b64 s[22:23], s[2:3], s[10:11]
	s_and_saveexec_b64 s[14:15], s[22:23]
	s_cbranch_execnz .LBB216_86
; %bb.83:
	s_or_b64 exec, exec, s[14:15]
	s_and_b64 s[22:23], s[4:5], s[10:11]
	s_and_saveexec_b64 s[14:15], s[22:23]
	s_cbranch_execnz .LBB216_90
.LBB216_84:
	s_or_b64 exec, exec, s[14:15]
	s_and_b64 s[22:23], s[6:7], s[10:11]
	s_and_saveexec_b64 s[14:15], s[22:23]
	s_cbranch_execnz .LBB216_94
.LBB216_85:
	s_or_b64 exec, exec, s[14:15]
	s_and_b64 s[14:15], s[8:9], s[10:11]
	s_and_saveexec_b64 s[10:11], s[14:15]
	s_cbranch_execnz .LBB216_98
	s_branch .LBB216_102
.LBB216_86:
	s_and_b64 vcc, exec, s[0:1]
	s_cbranch_vccnz .LBB216_88
; %bb.87:
	v_lshl_add_u64 v[48:49], v[40:41], 1, v[38:39]
	flat_load_ushort v48, v[48:49]
	s_waitcnt vmcnt(0) lgkmcnt(0)
	v_mul_f16_e32 v48, v52, v48
	v_cvt_f32_f16_e32 v48, v48
	s_branch .LBB216_89
.LBB216_88:
	v_mov_b32_e32 v48, 0
.LBB216_89:
	v_pk_add_f16 v49, v8, v32
	v_max_f16_e32 v50, v116, v116
	v_pk_add_f16 v96, v9, v33
	v_min_f16_e32 v50, v50, v49
	v_lshrrev_b32_e32 v51, 16, v116
	v_lshrrev_b32_e32 v49, 16, v49
	;; [unrolled: 1-line block ×3, first 2 shown]
	v_min3_f16 v49, v51, v49, v100
	v_min3_f16 v49, v50, v96, v49
	v_cvt_f32_f16_e32 v49, v49
	v_max_f32_e32 v48, v48, v48
	v_min_f32_e32 v48, v48, v49
	v_cvt_f16_f32_e32 v50, v48
	v_lshl_add_u64 v[48:49], v[40:41], 1, v[36:37]
	flat_store_short v[48:49], v50
	s_or_b64 exec, exec, s[14:15]
	s_and_b64 s[22:23], s[4:5], s[10:11]
	s_and_saveexec_b64 s[14:15], s[22:23]
	s_cbranch_execz .LBB216_84
.LBB216_90:
	s_and_b64 vcc, exec, s[0:1]
	s_cbranch_vccnz .LBB216_92
; %bb.91:
	v_lshl_add_u64 v[48:49], v[42:43], 1, v[38:39]
	flat_load_ushort v48, v[48:49]
	s_waitcnt vmcnt(0) lgkmcnt(0)
	v_mul_f16_e32 v48, v52, v48
	v_cvt_f32_f16_e32 v48, v48
	s_branch .LBB216_93
.LBB216_92:
	v_mov_b32_e32 v48, 0
.LBB216_93:
	v_pk_add_f16 v49, v10, v32
	v_max_f16_e32 v50, v113, v113
	v_pk_add_f16 v96, v11, v33
	v_min_f16_e32 v50, v50, v49
	v_lshrrev_b32_e32 v51, 16, v113
	v_lshrrev_b32_e32 v49, 16, v49
	;; [unrolled: 1-line block ×3, first 2 shown]
	v_min3_f16 v49, v51, v49, v100
	v_min3_f16 v49, v50, v96, v49
	v_cvt_f32_f16_e32 v49, v49
	v_max_f32_e32 v48, v48, v48
	v_min_f32_e32 v48, v48, v49
	v_cvt_f16_f32_e32 v50, v48
	v_lshl_add_u64 v[48:49], v[42:43], 1, v[36:37]
	flat_store_short v[48:49], v50
	s_or_b64 exec, exec, s[14:15]
	s_and_b64 s[22:23], s[6:7], s[10:11]
	s_and_saveexec_b64 s[14:15], s[22:23]
	s_cbranch_execz .LBB216_85
.LBB216_94:
	s_and_b64 vcc, exec, s[0:1]
	s_cbranch_vccnz .LBB216_96
; %bb.95:
	v_lshl_add_u64 v[48:49], v[44:45], 1, v[38:39]
	flat_load_ushort v48, v[48:49]
	s_waitcnt vmcnt(0) lgkmcnt(0)
	v_mul_f16_e32 v48, v52, v48
	v_cvt_f32_f16_e32 v48, v48
	s_branch .LBB216_97
.LBB216_96:
	v_mov_b32_e32 v48, 0
.LBB216_97:
	v_pk_add_f16 v49, v0, v32
	v_max_f16_e32 v50, v112, v112
	v_pk_add_f16 v96, v1, v33
	v_min_f16_e32 v50, v50, v49
	v_lshrrev_b32_e32 v51, 16, v112
	v_lshrrev_b32_e32 v49, 16, v49
	;; [unrolled: 1-line block ×3, first 2 shown]
	v_min3_f16 v49, v51, v49, v100
	v_min3_f16 v49, v50, v96, v49
	v_cvt_f32_f16_e32 v49, v49
	v_max_f32_e32 v48, v48, v48
	v_min_f32_e32 v48, v48, v49
	v_cvt_f16_f32_e32 v50, v48
	v_lshl_add_u64 v[48:49], v[44:45], 1, v[36:37]
	flat_store_short v[48:49], v50
	s_or_b64 exec, exec, s[14:15]
	s_and_b64 s[14:15], s[8:9], s[10:11]
	s_and_saveexec_b64 s[10:11], s[14:15]
	s_cbranch_execz .LBB216_102
.LBB216_98:
	s_and_b64 vcc, exec, s[0:1]
	s_cbranch_vccnz .LBB216_100
; %bb.99:
	v_lshl_add_u64 v[38:39], v[46:47], 1, v[38:39]
	flat_load_ushort v38, v[38:39]
	s_waitcnt vmcnt(0) lgkmcnt(0)
	v_mul_f16_e32 v38, v52, v38
	v_cvt_f32_f16_e32 v38, v38
	s_branch .LBB216_101
.LBB216_100:
	v_mov_b32_e32 v38, 0
.LBB216_101:
	v_pk_add_f16 v32, v2, v32
	v_max_f16_e32 v39, v111, v111
	v_pk_add_f16 v33, v3, v33
	v_min_f16_e32 v39, v39, v32
	v_lshrrev_b32_e32 v48, 16, v111
	v_lshrrev_b32_e32 v32, 16, v32
	;; [unrolled: 1-line block ×3, first 2 shown]
	v_min3_f16 v32, v48, v32, v49
	v_min3_f16 v32, v39, v33, v32
	v_cvt_f32_f16_e32 v32, v32
	v_max_f32_e32 v33, v38, v38
	v_min_f32_e32 v32, v33, v32
	v_cvt_f16_f32_e32 v38, v32
	v_lshl_add_u64 v[32:33], v[46:47], 1, v[36:37]
	flat_store_short v[32:33], v38
.LBB216_102:
	s_or_b64 exec, exec, s[10:11]
	v_add_u32_e32 v38, 24, v85
	v_mad_i64_i32 v[32:33], s[14:15], v38, s19, 0
	v_cmp_gt_i32_e64 s[10:11], s17, v38
	v_lshl_add_u64 v[36:37], v[32:33], 1, s[20:21]
	v_mad_i64_i32 v[32:33], s[14:15], v38, s18, 0
	v_lshl_add_u64 v[32:33], v[32:33], 1, s[12:13]
	s_and_b64 s[22:23], s[2:3], s[10:11]
	s_and_saveexec_b64 s[14:15], s[22:23]
	s_cbranch_execnz .LBB216_106
; %bb.103:
	s_or_b64 exec, exec, s[14:15]
	s_and_b64 s[22:23], s[4:5], s[10:11]
	s_and_saveexec_b64 s[14:15], s[22:23]
	s_cbranch_execnz .LBB216_110
.LBB216_104:
	s_or_b64 exec, exec, s[14:15]
	s_and_b64 s[22:23], s[6:7], s[10:11]
	s_and_saveexec_b64 s[14:15], s[22:23]
	s_cbranch_execnz .LBB216_114
.LBB216_105:
	s_or_b64 exec, exec, s[14:15]
	s_and_b64 s[14:15], s[8:9], s[10:11]
	s_and_saveexec_b64 s[10:11], s[14:15]
	s_cbranch_execnz .LBB216_118
	s_branch .LBB216_122
.LBB216_106:
	s_and_b64 vcc, exec, s[0:1]
	s_cbranch_vccnz .LBB216_108
; %bb.107:
	v_lshl_add_u64 v[38:39], v[40:41], 1, v[36:37]
	flat_load_ushort v38, v[38:39]
	s_waitcnt vmcnt(0) lgkmcnt(0)
	v_mul_f16_e32 v38, v52, v38
	v_cvt_f32_f16_e32 v38, v38
	s_branch .LBB216_109
.LBB216_108:
	v_mov_b32_e32 v38, 0
.LBB216_109:
	v_pk_add_f16 v39, v8, v34
	v_max_f16_e32 v48, v110, v110
	v_pk_add_f16 v50, v9, v35
	v_min_f16_e32 v48, v48, v39
	v_lshrrev_b32_e32 v49, 16, v110
	v_lshrrev_b32_e32 v39, 16, v39
	;; [unrolled: 1-line block ×3, first 2 shown]
	v_min3_f16 v39, v49, v39, v51
	v_min3_f16 v39, v48, v50, v39
	v_cvt_f32_f16_e32 v39, v39
	v_max_f32_e32 v38, v38, v38
	v_min_f32_e32 v38, v38, v39
	v_cvt_f16_f32_e32 v48, v38
	v_lshl_add_u64 v[38:39], v[40:41], 1, v[32:33]
	flat_store_short v[38:39], v48
	s_or_b64 exec, exec, s[14:15]
	s_and_b64 s[22:23], s[4:5], s[10:11]
	s_and_saveexec_b64 s[14:15], s[22:23]
	s_cbranch_execz .LBB216_104
.LBB216_110:
	s_and_b64 vcc, exec, s[0:1]
	s_cbranch_vccnz .LBB216_112
; %bb.111:
	v_lshl_add_u64 v[38:39], v[42:43], 1, v[36:37]
	flat_load_ushort v38, v[38:39]
	s_waitcnt vmcnt(0) lgkmcnt(0)
	v_mul_f16_e32 v38, v52, v38
	v_cvt_f32_f16_e32 v38, v38
	s_branch .LBB216_113
.LBB216_112:
	v_mov_b32_e32 v38, 0
.LBB216_113:
	v_pk_add_f16 v39, v10, v34
	v_max_f16_e32 v48, v109, v109
	v_pk_add_f16 v50, v11, v35
	v_min_f16_e32 v48, v48, v39
	v_lshrrev_b32_e32 v49, 16, v109
	v_lshrrev_b32_e32 v39, 16, v39
	;; [unrolled: 1-line block ×3, first 2 shown]
	v_min3_f16 v39, v49, v39, v51
	v_min3_f16 v39, v48, v50, v39
	v_cvt_f32_f16_e32 v39, v39
	v_max_f32_e32 v38, v38, v38
	v_min_f32_e32 v38, v38, v39
	v_cvt_f16_f32_e32 v48, v38
	v_lshl_add_u64 v[38:39], v[42:43], 1, v[32:33]
	flat_store_short v[38:39], v48
	s_or_b64 exec, exec, s[14:15]
	s_and_b64 s[22:23], s[6:7], s[10:11]
	s_and_saveexec_b64 s[14:15], s[22:23]
	s_cbranch_execz .LBB216_105
.LBB216_114:
	s_and_b64 vcc, exec, s[0:1]
	s_cbranch_vccnz .LBB216_116
; %bb.115:
	v_lshl_add_u64 v[38:39], v[44:45], 1, v[36:37]
	flat_load_ushort v38, v[38:39]
	s_waitcnt vmcnt(0) lgkmcnt(0)
	v_mul_f16_e32 v38, v52, v38
	v_cvt_f32_f16_e32 v38, v38
	s_branch .LBB216_117
.LBB216_116:
	v_mov_b32_e32 v38, 0
.LBB216_117:
	v_pk_add_f16 v39, v0, v34
	v_max_f16_e32 v48, v108, v108
	v_pk_add_f16 v50, v1, v35
	v_min_f16_e32 v48, v48, v39
	v_lshrrev_b32_e32 v49, 16, v108
	v_lshrrev_b32_e32 v39, 16, v39
	;; [unrolled: 1-line block ×3, first 2 shown]
	v_min3_f16 v39, v49, v39, v51
	v_min3_f16 v39, v48, v50, v39
	v_cvt_f32_f16_e32 v39, v39
	v_max_f32_e32 v38, v38, v38
	v_min_f32_e32 v38, v38, v39
	v_cvt_f16_f32_e32 v48, v38
	v_lshl_add_u64 v[38:39], v[44:45], 1, v[32:33]
	flat_store_short v[38:39], v48
	s_or_b64 exec, exec, s[14:15]
	s_and_b64 s[14:15], s[8:9], s[10:11]
	s_and_saveexec_b64 s[10:11], s[14:15]
	s_cbranch_execz .LBB216_122
.LBB216_118:
	s_and_b64 vcc, exec, s[0:1]
	s_cbranch_vccnz .LBB216_120
; %bb.119:
	v_lshl_add_u64 v[36:37], v[46:47], 1, v[36:37]
	flat_load_ushort v36, v[36:37]
	s_waitcnt vmcnt(0) lgkmcnt(0)
	v_mul_f16_e32 v36, v52, v36
	v_cvt_f32_f16_e32 v36, v36
	s_branch .LBB216_121
.LBB216_120:
	v_mov_b32_e32 v36, 0
.LBB216_121:
	v_pk_add_f16 v34, v2, v34
	v_max_f16_e32 v37, v105, v105
	v_pk_add_f16 v35, v3, v35
	v_min_f16_e32 v37, v37, v34
	v_lshrrev_b32_e32 v38, 16, v105
	v_lshrrev_b32_e32 v34, 16, v34
	;; [unrolled: 1-line block ×3, first 2 shown]
	v_min3_f16 v34, v38, v34, v39
	v_min3_f16 v34, v37, v35, v34
	v_cvt_f32_f16_e32 v34, v34
	v_max_f32_e32 v35, v36, v36
	v_lshl_add_u64 v[32:33], v[46:47], 1, v[32:33]
	v_min_f32_e32 v34, v35, v34
	v_cvt_f16_f32_e32 v34, v34
	flat_store_short v[32:33], v34
.LBB216_122:
	s_or_b64 exec, exec, s[10:11]
	v_add_u32_e32 v36, 32, v85
	v_mad_i64_i32 v[32:33], s[14:15], v36, s19, 0
	v_cmp_gt_i32_e64 s[10:11], s17, v36
	v_lshl_add_u64 v[34:35], v[32:33], 1, s[20:21]
	v_mad_i64_i32 v[32:33], s[14:15], v36, s18, 0
	v_lshl_add_u64 v[32:33], v[32:33], 1, s[12:13]
	s_and_b64 s[22:23], s[2:3], s[10:11]
	s_and_saveexec_b64 s[14:15], s[22:23]
	s_cbranch_execnz .LBB216_126
; %bb.123:
	s_or_b64 exec, exec, s[14:15]
	s_and_b64 s[22:23], s[4:5], s[10:11]
	s_and_saveexec_b64 s[14:15], s[22:23]
	s_cbranch_execnz .LBB216_130
.LBB216_124:
	s_or_b64 exec, exec, s[14:15]
	s_and_b64 s[22:23], s[6:7], s[10:11]
	s_and_saveexec_b64 s[14:15], s[22:23]
	s_cbranch_execnz .LBB216_134
.LBB216_125:
	s_or_b64 exec, exec, s[14:15]
	s_and_b64 s[14:15], s[8:9], s[10:11]
	s_and_saveexec_b64 s[10:11], s[14:15]
	s_cbranch_execnz .LBB216_138
	s_branch .LBB216_142
.LBB216_126:
	s_and_b64 vcc, exec, s[0:1]
	s_cbranch_vccnz .LBB216_128
; %bb.127:
	v_lshl_add_u64 v[36:37], v[40:41], 1, v[34:35]
	flat_load_ushort v36, v[36:37]
	s_waitcnt vmcnt(0) lgkmcnt(0)
	v_mul_f16_e32 v36, v52, v36
	v_cvt_f32_f16_e32 v36, v36
	s_branch .LBB216_129
.LBB216_128:
	v_mov_b32_e32 v36, 0
.LBB216_129:
	v_pk_add_f16 v37, v8, v28
	v_max_f16_e32 v38, v103, v103
	v_pk_add_f16 v48, v9, v29
	v_min_f16_e32 v38, v38, v37
	v_lshrrev_b32_e32 v39, 16, v103
	v_lshrrev_b32_e32 v37, 16, v37
	;; [unrolled: 1-line block ×3, first 2 shown]
	v_min3_f16 v37, v39, v37, v49
	v_min3_f16 v37, v38, v48, v37
	v_cvt_f32_f16_e32 v37, v37
	v_max_f32_e32 v36, v36, v36
	v_min_f32_e32 v36, v36, v37
	v_cvt_f16_f32_e32 v38, v36
	v_lshl_add_u64 v[36:37], v[40:41], 1, v[32:33]
	flat_store_short v[36:37], v38
	s_or_b64 exec, exec, s[14:15]
	s_and_b64 s[22:23], s[4:5], s[10:11]
	s_and_saveexec_b64 s[14:15], s[22:23]
	s_cbranch_execz .LBB216_124
.LBB216_130:
	s_and_b64 vcc, exec, s[0:1]
	s_cbranch_vccnz .LBB216_132
; %bb.131:
	v_lshl_add_u64 v[36:37], v[42:43], 1, v[34:35]
	flat_load_ushort v36, v[36:37]
	s_waitcnt vmcnt(0) lgkmcnt(0)
	v_mul_f16_e32 v36, v52, v36
	v_cvt_f32_f16_e32 v36, v36
	s_branch .LBB216_133
.LBB216_132:
	v_mov_b32_e32 v36, 0
.LBB216_133:
	v_pk_add_f16 v37, v10, v28
	v_max_f16_e32 v38, v102, v102
	v_pk_add_f16 v48, v11, v29
	v_min_f16_e32 v38, v38, v37
	v_lshrrev_b32_e32 v39, 16, v102
	v_lshrrev_b32_e32 v37, 16, v37
	;; [unrolled: 1-line block ×3, first 2 shown]
	v_min3_f16 v37, v39, v37, v49
	v_min3_f16 v37, v38, v48, v37
	v_cvt_f32_f16_e32 v37, v37
	v_max_f32_e32 v36, v36, v36
	v_min_f32_e32 v36, v36, v37
	v_cvt_f16_f32_e32 v38, v36
	v_lshl_add_u64 v[36:37], v[42:43], 1, v[32:33]
	flat_store_short v[36:37], v38
	s_or_b64 exec, exec, s[14:15]
	s_and_b64 s[22:23], s[6:7], s[10:11]
	s_and_saveexec_b64 s[14:15], s[22:23]
	s_cbranch_execz .LBB216_125
.LBB216_134:
	s_and_b64 vcc, exec, s[0:1]
	s_cbranch_vccnz .LBB216_136
; %bb.135:
	v_lshl_add_u64 v[36:37], v[44:45], 1, v[34:35]
	flat_load_ushort v36, v[36:37]
	s_waitcnt vmcnt(0) lgkmcnt(0)
	v_mul_f16_e32 v36, v52, v36
	v_cvt_f32_f16_e32 v36, v36
	s_branch .LBB216_137
.LBB216_136:
	v_mov_b32_e32 v36, 0
.LBB216_137:
	v_pk_add_f16 v37, v0, v28
	v_max_f16_e32 v38, v101, v101
	v_pk_add_f16 v48, v1, v29
	v_min_f16_e32 v38, v38, v37
	v_lshrrev_b32_e32 v39, 16, v101
	v_lshrrev_b32_e32 v37, 16, v37
	;; [unrolled: 1-line block ×3, first 2 shown]
	v_min3_f16 v37, v39, v37, v49
	v_min3_f16 v37, v38, v48, v37
	v_cvt_f32_f16_e32 v37, v37
	v_max_f32_e32 v36, v36, v36
	v_min_f32_e32 v36, v36, v37
	v_cvt_f16_f32_e32 v38, v36
	v_lshl_add_u64 v[36:37], v[44:45], 1, v[32:33]
	flat_store_short v[36:37], v38
	s_or_b64 exec, exec, s[14:15]
	s_and_b64 s[14:15], s[8:9], s[10:11]
	s_and_saveexec_b64 s[10:11], s[14:15]
	s_cbranch_execz .LBB216_142
.LBB216_138:
	s_and_b64 vcc, exec, s[0:1]
	s_cbranch_vccnz .LBB216_140
; %bb.139:
	v_lshl_add_u64 v[34:35], v[46:47], 1, v[34:35]
	flat_load_ushort v34, v[34:35]
	s_waitcnt vmcnt(0) lgkmcnt(0)
	v_mul_f16_e32 v34, v52, v34
	v_cvt_f32_f16_e32 v34, v34
	s_branch .LBB216_141
.LBB216_140:
	v_mov_b32_e32 v34, 0
.LBB216_141:
	v_pk_add_f16 v28, v2, v28
	v_max_f16_e32 v35, v99, v99
	v_pk_add_f16 v29, v3, v29
	v_min_f16_e32 v35, v35, v28
	v_lshrrev_b32_e32 v36, 16, v99
	v_lshrrev_b32_e32 v28, 16, v28
	;; [unrolled: 1-line block ×3, first 2 shown]
	v_min3_f16 v28, v36, v28, v37
	v_min3_f16 v28, v35, v29, v28
	v_cvt_f32_f16_e32 v28, v28
	v_max_f32_e32 v29, v34, v34
	v_min_f32_e32 v28, v29, v28
	v_cvt_f16_f32_e32 v34, v28
	v_lshl_add_u64 v[28:29], v[46:47], 1, v[32:33]
	flat_store_short v[28:29], v34
.LBB216_142:
	s_or_b64 exec, exec, s[10:11]
	v_add_u32_e32 v34, 40, v85
	v_mad_i64_i32 v[28:29], s[14:15], v34, s19, 0
	v_cmp_gt_i32_e64 s[10:11], s17, v34
	v_lshl_add_u64 v[32:33], v[28:29], 1, s[20:21]
	v_mad_i64_i32 v[28:29], s[14:15], v34, s18, 0
	v_lshl_add_u64 v[28:29], v[28:29], 1, s[12:13]
	s_and_b64 s[22:23], s[2:3], s[10:11]
	s_and_saveexec_b64 s[14:15], s[22:23]
	s_cbranch_execnz .LBB216_146
; %bb.143:
	s_or_b64 exec, exec, s[14:15]
	s_and_b64 s[22:23], s[4:5], s[10:11]
	s_and_saveexec_b64 s[14:15], s[22:23]
	s_cbranch_execnz .LBB216_150
.LBB216_144:
	s_or_b64 exec, exec, s[14:15]
	s_and_b64 s[22:23], s[6:7], s[10:11]
	s_and_saveexec_b64 s[14:15], s[22:23]
	s_cbranch_execnz .LBB216_154
.LBB216_145:
	s_or_b64 exec, exec, s[14:15]
	s_and_b64 s[14:15], s[8:9], s[10:11]
	s_and_saveexec_b64 s[10:11], s[14:15]
	s_cbranch_execnz .LBB216_158
	s_branch .LBB216_162
.LBB216_146:
	s_and_b64 vcc, exec, s[0:1]
	s_cbranch_vccnz .LBB216_148
; %bb.147:
	v_lshl_add_u64 v[34:35], v[40:41], 1, v[32:33]
	flat_load_ushort v34, v[34:35]
	s_waitcnt vmcnt(0) lgkmcnt(0)
	v_mul_f16_e32 v34, v52, v34
	v_cvt_f32_f16_e32 v34, v34
	s_branch .LBB216_149
.LBB216_148:
	v_mov_b32_e32 v34, 0
.LBB216_149:
	v_pk_add_f16 v35, v8, v30
	v_max_f16_e32 v36, v98, v98
	v_pk_add_f16 v38, v9, v31
	v_min_f16_e32 v36, v36, v35
	v_lshrrev_b32_e32 v37, 16, v98
	v_lshrrev_b32_e32 v35, 16, v35
	;; [unrolled: 1-line block ×3, first 2 shown]
	v_min3_f16 v35, v37, v35, v39
	v_min3_f16 v35, v36, v38, v35
	v_cvt_f32_f16_e32 v35, v35
	v_max_f32_e32 v34, v34, v34
	v_min_f32_e32 v34, v34, v35
	v_cvt_f16_f32_e32 v36, v34
	v_lshl_add_u64 v[34:35], v[40:41], 1, v[28:29]
	flat_store_short v[34:35], v36
	s_or_b64 exec, exec, s[14:15]
	s_and_b64 s[22:23], s[4:5], s[10:11]
	s_and_saveexec_b64 s[14:15], s[22:23]
	s_cbranch_execz .LBB216_144
.LBB216_150:
	s_and_b64 vcc, exec, s[0:1]
	s_cbranch_vccnz .LBB216_152
; %bb.151:
	v_lshl_add_u64 v[34:35], v[42:43], 1, v[32:33]
	flat_load_ushort v34, v[34:35]
	s_waitcnt vmcnt(0) lgkmcnt(0)
	v_mul_f16_e32 v34, v52, v34
	v_cvt_f32_f16_e32 v34, v34
	s_branch .LBB216_153
.LBB216_152:
	v_mov_b32_e32 v34, 0
.LBB216_153:
	v_pk_add_f16 v35, v10, v30
	v_max_f16_e32 v36, v97, v97
	v_pk_add_f16 v38, v11, v31
	v_min_f16_e32 v36, v36, v35
	v_lshrrev_b32_e32 v37, 16, v97
	v_lshrrev_b32_e32 v35, 16, v35
	;; [unrolled: 1-line block ×3, first 2 shown]
	v_min3_f16 v35, v37, v35, v39
	v_min3_f16 v35, v36, v38, v35
	v_cvt_f32_f16_e32 v35, v35
	v_max_f32_e32 v34, v34, v34
	v_min_f32_e32 v34, v34, v35
	v_cvt_f16_f32_e32 v36, v34
	v_lshl_add_u64 v[34:35], v[42:43], 1, v[28:29]
	flat_store_short v[34:35], v36
	s_or_b64 exec, exec, s[14:15]
	s_and_b64 s[22:23], s[6:7], s[10:11]
	s_and_saveexec_b64 s[14:15], s[22:23]
	s_cbranch_execz .LBB216_145
.LBB216_154:
	s_and_b64 vcc, exec, s[0:1]
	s_cbranch_vccnz .LBB216_156
; %bb.155:
	v_lshl_add_u64 v[34:35], v[44:45], 1, v[32:33]
	flat_load_ushort v34, v[34:35]
	s_waitcnt vmcnt(0) lgkmcnt(0)
	v_mul_f16_e32 v34, v52, v34
	v_cvt_f32_f16_e32 v34, v34
	s_branch .LBB216_157
.LBB216_156:
	v_mov_b32_e32 v34, 0
.LBB216_157:
	v_pk_add_f16 v35, v0, v30
	v_max_f16_e32 v36, v95, v95
	v_pk_add_f16 v38, v1, v31
	v_min_f16_e32 v36, v36, v35
	v_lshrrev_b32_e32 v37, 16, v95
	v_lshrrev_b32_e32 v35, 16, v35
	;; [unrolled: 1-line block ×3, first 2 shown]
	v_min3_f16 v35, v37, v35, v39
	v_min3_f16 v35, v36, v38, v35
	v_cvt_f32_f16_e32 v35, v35
	v_max_f32_e32 v34, v34, v34
	v_min_f32_e32 v34, v34, v35
	v_cvt_f16_f32_e32 v36, v34
	v_lshl_add_u64 v[34:35], v[44:45], 1, v[28:29]
	flat_store_short v[34:35], v36
	s_or_b64 exec, exec, s[14:15]
	s_and_b64 s[14:15], s[8:9], s[10:11]
	s_and_saveexec_b64 s[10:11], s[14:15]
	s_cbranch_execz .LBB216_162
.LBB216_158:
	s_and_b64 vcc, exec, s[0:1]
	s_cbranch_vccnz .LBB216_160
; %bb.159:
	v_lshl_add_u64 v[32:33], v[46:47], 1, v[32:33]
	flat_load_ushort v32, v[32:33]
	s_waitcnt vmcnt(0) lgkmcnt(0)
	v_mul_f16_e32 v32, v52, v32
	v_cvt_f32_f16_e32 v32, v32
	s_branch .LBB216_161
.LBB216_160:
	v_mov_b32_e32 v32, 0
.LBB216_161:
	v_pk_add_f16 v30, v2, v30
	v_max_f16_e32 v33, v94, v94
	v_pk_add_f16 v31, v3, v31
	v_min_f16_e32 v33, v33, v30
	v_lshrrev_b32_e32 v34, 16, v94
	v_lshrrev_b32_e32 v30, 16, v30
	v_lshrrev_b32_e32 v35, 16, v31
	v_min3_f16 v30, v34, v30, v35
	v_min3_f16 v30, v33, v31, v30
	v_cvt_f32_f16_e32 v30, v30
	v_max_f32_e32 v31, v32, v32
	v_lshl_add_u64 v[28:29], v[46:47], 1, v[28:29]
	v_min_f32_e32 v30, v31, v30
	v_cvt_f16_f32_e32 v30, v30
	flat_store_short v[28:29], v30
.LBB216_162:
	s_or_b64 exec, exec, s[10:11]
	v_add_u32_e32 v32, 48, v85
	v_mad_i64_i32 v[28:29], s[14:15], v32, s19, 0
	v_cmp_gt_i32_e64 s[10:11], s17, v32
	v_lshl_add_u64 v[30:31], v[28:29], 1, s[20:21]
	v_mad_i64_i32 v[28:29], s[14:15], v32, s18, 0
	v_lshl_add_u64 v[28:29], v[28:29], 1, s[12:13]
	s_and_b64 s[22:23], s[2:3], s[10:11]
	s_and_saveexec_b64 s[14:15], s[22:23]
	s_cbranch_execnz .LBB216_166
; %bb.163:
	s_or_b64 exec, exec, s[14:15]
	s_and_b64 s[22:23], s[4:5], s[10:11]
	s_and_saveexec_b64 s[14:15], s[22:23]
	s_cbranch_execnz .LBB216_170
.LBB216_164:
	s_or_b64 exec, exec, s[14:15]
	s_and_b64 s[22:23], s[6:7], s[10:11]
	s_and_saveexec_b64 s[14:15], s[22:23]
	s_cbranch_execnz .LBB216_174
.LBB216_165:
	s_or_b64 exec, exec, s[14:15]
	s_and_b64 s[14:15], s[8:9], s[10:11]
	s_and_saveexec_b64 s[10:11], s[14:15]
	s_cbranch_execnz .LBB216_178
	s_branch .LBB216_182
.LBB216_166:
	s_and_b64 vcc, exec, s[0:1]
	s_cbranch_vccnz .LBB216_168
; %bb.167:
	v_lshl_add_u64 v[32:33], v[40:41], 1, v[30:31]
	flat_load_ushort v32, v[32:33]
	s_waitcnt vmcnt(0) lgkmcnt(0)
	v_mul_f16_e32 v32, v52, v32
	v_cvt_f32_f16_e32 v32, v32
	s_branch .LBB216_169
.LBB216_168:
	v_mov_b32_e32 v32, 0
.LBB216_169:
	v_pk_add_f16 v33, v8, v24
	v_max_f16_e32 v34, v93, v93
	v_pk_add_f16 v36, v9, v25
	v_min_f16_e32 v34, v34, v33
	v_lshrrev_b32_e32 v35, 16, v93
	v_lshrrev_b32_e32 v33, 16, v33
	;; [unrolled: 1-line block ×3, first 2 shown]
	v_min3_f16 v33, v35, v33, v37
	v_min3_f16 v33, v34, v36, v33
	v_cvt_f32_f16_e32 v33, v33
	v_max_f32_e32 v32, v32, v32
	v_min_f32_e32 v32, v32, v33
	v_cvt_f16_f32_e32 v34, v32
	v_lshl_add_u64 v[32:33], v[40:41], 1, v[28:29]
	flat_store_short v[32:33], v34
	s_or_b64 exec, exec, s[14:15]
	s_and_b64 s[22:23], s[4:5], s[10:11]
	s_and_saveexec_b64 s[14:15], s[22:23]
	s_cbranch_execz .LBB216_164
.LBB216_170:
	s_and_b64 vcc, exec, s[0:1]
	s_cbranch_vccnz .LBB216_172
; %bb.171:
	v_lshl_add_u64 v[32:33], v[42:43], 1, v[30:31]
	flat_load_ushort v32, v[32:33]
	s_waitcnt vmcnt(0) lgkmcnt(0)
	v_mul_f16_e32 v32, v52, v32
	v_cvt_f32_f16_e32 v32, v32
	s_branch .LBB216_173
.LBB216_172:
	v_mov_b32_e32 v32, 0
.LBB216_173:
	v_pk_add_f16 v33, v10, v24
	v_max_f16_e32 v34, v92, v92
	v_pk_add_f16 v36, v11, v25
	v_min_f16_e32 v34, v34, v33
	v_lshrrev_b32_e32 v35, 16, v92
	v_lshrrev_b32_e32 v33, 16, v33
	;; [unrolled: 1-line block ×3, first 2 shown]
	v_min3_f16 v33, v35, v33, v37
	v_min3_f16 v33, v34, v36, v33
	v_cvt_f32_f16_e32 v33, v33
	v_max_f32_e32 v32, v32, v32
	v_min_f32_e32 v32, v32, v33
	v_cvt_f16_f32_e32 v34, v32
	v_lshl_add_u64 v[32:33], v[42:43], 1, v[28:29]
	flat_store_short v[32:33], v34
	s_or_b64 exec, exec, s[14:15]
	s_and_b64 s[22:23], s[6:7], s[10:11]
	s_and_saveexec_b64 s[14:15], s[22:23]
	s_cbranch_execz .LBB216_165
.LBB216_174:
	s_and_b64 vcc, exec, s[0:1]
	s_cbranch_vccnz .LBB216_176
; %bb.175:
	v_lshl_add_u64 v[32:33], v[44:45], 1, v[30:31]
	flat_load_ushort v32, v[32:33]
	s_waitcnt vmcnt(0) lgkmcnt(0)
	v_mul_f16_e32 v32, v52, v32
	v_cvt_f32_f16_e32 v32, v32
	s_branch .LBB216_177
.LBB216_176:
	v_mov_b32_e32 v32, 0
.LBB216_177:
	v_pk_add_f16 v33, v0, v24
	v_max_f16_e32 v34, v91, v91
	v_pk_add_f16 v36, v1, v25
	v_min_f16_e32 v34, v34, v33
	v_lshrrev_b32_e32 v35, 16, v91
	v_lshrrev_b32_e32 v33, 16, v33
	;; [unrolled: 1-line block ×3, first 2 shown]
	v_min3_f16 v33, v35, v33, v37
	v_min3_f16 v33, v34, v36, v33
	v_cvt_f32_f16_e32 v33, v33
	v_max_f32_e32 v32, v32, v32
	v_min_f32_e32 v32, v32, v33
	v_cvt_f16_f32_e32 v34, v32
	v_lshl_add_u64 v[32:33], v[44:45], 1, v[28:29]
	flat_store_short v[32:33], v34
	s_or_b64 exec, exec, s[14:15]
	s_and_b64 s[14:15], s[8:9], s[10:11]
	s_and_saveexec_b64 s[10:11], s[14:15]
	s_cbranch_execz .LBB216_182
.LBB216_178:
	s_and_b64 vcc, exec, s[0:1]
	s_cbranch_vccnz .LBB216_180
; %bb.179:
	v_lshl_add_u64 v[30:31], v[46:47], 1, v[30:31]
	flat_load_ushort v30, v[30:31]
	s_waitcnt vmcnt(0) lgkmcnt(0)
	v_mul_f16_e32 v30, v52, v30
	v_cvt_f32_f16_e32 v30, v30
	s_branch .LBB216_181
.LBB216_180:
	v_mov_b32_e32 v30, 0
.LBB216_181:
	v_pk_add_f16 v24, v2, v24
	v_max_f16_e32 v31, v90, v90
	v_pk_add_f16 v25, v3, v25
	v_min_f16_e32 v31, v31, v24
	v_lshrrev_b32_e32 v32, 16, v90
	v_lshrrev_b32_e32 v24, 16, v24
	;; [unrolled: 1-line block ×3, first 2 shown]
	v_min3_f16 v24, v32, v24, v33
	v_min3_f16 v24, v31, v25, v24
	v_cvt_f32_f16_e32 v24, v24
	v_max_f32_e32 v25, v30, v30
	v_min_f32_e32 v24, v25, v24
	v_cvt_f16_f32_e32 v30, v24
	v_lshl_add_u64 v[24:25], v[46:47], 1, v[28:29]
	flat_store_short v[24:25], v30
.LBB216_182:
	s_or_b64 exec, exec, s[10:11]
	v_add_u32_e32 v30, 56, v85
	v_mad_i64_i32 v[24:25], s[14:15], v30, s19, 0
	v_cmp_gt_i32_e64 s[10:11], s17, v30
	v_lshl_add_u64 v[28:29], v[24:25], 1, s[20:21]
	v_mad_i64_i32 v[24:25], s[14:15], v30, s18, 0
	v_lshl_add_u64 v[24:25], v[24:25], 1, s[12:13]
	s_and_b64 s[22:23], s[2:3], s[10:11]
	s_and_saveexec_b64 s[14:15], s[22:23]
	s_cbranch_execnz .LBB216_186
; %bb.183:
	s_or_b64 exec, exec, s[14:15]
	s_and_b64 s[22:23], s[4:5], s[10:11]
	s_and_saveexec_b64 s[14:15], s[22:23]
	s_cbranch_execnz .LBB216_190
.LBB216_184:
	s_or_b64 exec, exec, s[14:15]
	s_and_b64 s[22:23], s[6:7], s[10:11]
	s_and_saveexec_b64 s[14:15], s[22:23]
	s_cbranch_execnz .LBB216_194
.LBB216_185:
	s_or_b64 exec, exec, s[14:15]
	s_and_b64 s[14:15], s[8:9], s[10:11]
	s_and_saveexec_b64 s[10:11], s[14:15]
	s_cbranch_execnz .LBB216_198
	s_branch .LBB216_202
.LBB216_186:
	s_and_b64 vcc, exec, s[0:1]
	s_cbranch_vccnz .LBB216_188
; %bb.187:
	v_lshl_add_u64 v[30:31], v[40:41], 1, v[28:29]
	flat_load_ushort v30, v[30:31]
	s_waitcnt vmcnt(0) lgkmcnt(0)
	v_mul_f16_e32 v30, v52, v30
	v_cvt_f32_f16_e32 v30, v30
	s_branch .LBB216_189
.LBB216_188:
	v_mov_b32_e32 v30, 0
.LBB216_189:
	v_pk_add_f16 v31, v8, v26
	v_max_f16_e32 v32, v89, v89
	v_pk_add_f16 v34, v9, v27
	v_min_f16_e32 v32, v32, v31
	v_lshrrev_b32_e32 v33, 16, v89
	v_lshrrev_b32_e32 v31, 16, v31
	;; [unrolled: 1-line block ×3, first 2 shown]
	v_min3_f16 v31, v33, v31, v35
	v_min3_f16 v31, v32, v34, v31
	v_cvt_f32_f16_e32 v31, v31
	v_max_f32_e32 v30, v30, v30
	v_min_f32_e32 v30, v30, v31
	v_cvt_f16_f32_e32 v32, v30
	v_lshl_add_u64 v[30:31], v[40:41], 1, v[24:25]
	flat_store_short v[30:31], v32
	s_or_b64 exec, exec, s[14:15]
	s_and_b64 s[22:23], s[4:5], s[10:11]
	s_and_saveexec_b64 s[14:15], s[22:23]
	s_cbranch_execz .LBB216_184
.LBB216_190:
	s_and_b64 vcc, exec, s[0:1]
	s_cbranch_vccnz .LBB216_192
; %bb.191:
	v_lshl_add_u64 v[30:31], v[42:43], 1, v[28:29]
	flat_load_ushort v30, v[30:31]
	s_waitcnt vmcnt(0) lgkmcnt(0)
	v_mul_f16_e32 v30, v52, v30
	v_cvt_f32_f16_e32 v30, v30
	s_branch .LBB216_193
.LBB216_192:
	v_mov_b32_e32 v30, 0
.LBB216_193:
	v_pk_add_f16 v31, v10, v26
	v_max_f16_e32 v32, v88, v88
	v_pk_add_f16 v34, v11, v27
	v_min_f16_e32 v32, v32, v31
	v_lshrrev_b32_e32 v33, 16, v88
	v_lshrrev_b32_e32 v31, 16, v31
	;; [unrolled: 1-line block ×3, first 2 shown]
	v_min3_f16 v31, v33, v31, v35
	v_min3_f16 v31, v32, v34, v31
	v_cvt_f32_f16_e32 v31, v31
	v_max_f32_e32 v30, v30, v30
	v_min_f32_e32 v30, v30, v31
	v_cvt_f16_f32_e32 v32, v30
	v_lshl_add_u64 v[30:31], v[42:43], 1, v[24:25]
	flat_store_short v[30:31], v32
	s_or_b64 exec, exec, s[14:15]
	s_and_b64 s[22:23], s[6:7], s[10:11]
	s_and_saveexec_b64 s[14:15], s[22:23]
	s_cbranch_execz .LBB216_185
.LBB216_194:
	s_and_b64 vcc, exec, s[0:1]
	s_cbranch_vccnz .LBB216_196
; %bb.195:
	v_lshl_add_u64 v[30:31], v[44:45], 1, v[28:29]
	flat_load_ushort v30, v[30:31]
	s_waitcnt vmcnt(0) lgkmcnt(0)
	v_mul_f16_e32 v30, v52, v30
	v_cvt_f32_f16_e32 v30, v30
	s_branch .LBB216_197
.LBB216_196:
	v_mov_b32_e32 v30, 0
.LBB216_197:
	v_pk_add_f16 v31, v0, v26
	v_max_f16_e32 v32, v87, v87
	v_pk_add_f16 v34, v1, v27
	v_min_f16_e32 v32, v32, v31
	v_lshrrev_b32_e32 v33, 16, v87
	v_lshrrev_b32_e32 v31, 16, v31
	;; [unrolled: 1-line block ×3, first 2 shown]
	v_min3_f16 v31, v33, v31, v35
	v_min3_f16 v31, v32, v34, v31
	v_cvt_f32_f16_e32 v31, v31
	v_max_f32_e32 v30, v30, v30
	v_min_f32_e32 v30, v30, v31
	v_cvt_f16_f32_e32 v32, v30
	v_lshl_add_u64 v[30:31], v[44:45], 1, v[24:25]
	flat_store_short v[30:31], v32
	s_or_b64 exec, exec, s[14:15]
	s_and_b64 s[14:15], s[8:9], s[10:11]
	s_and_saveexec_b64 s[10:11], s[14:15]
	s_cbranch_execz .LBB216_202
.LBB216_198:
	s_and_b64 vcc, exec, s[0:1]
	s_cbranch_vccnz .LBB216_200
; %bb.199:
	v_lshl_add_u64 v[28:29], v[46:47], 1, v[28:29]
	flat_load_ushort v28, v[28:29]
	s_waitcnt vmcnt(0) lgkmcnt(0)
	v_mul_f16_e32 v28, v52, v28
	v_cvt_f32_f16_e32 v28, v28
	s_branch .LBB216_201
.LBB216_200:
	v_mov_b32_e32 v28, 0
.LBB216_201:
	v_pk_add_f16 v26, v2, v26
	v_max_f16_e32 v29, v86, v86
	v_pk_add_f16 v27, v3, v27
	v_min_f16_e32 v29, v29, v26
	v_lshrrev_b32_e32 v30, 16, v86
	v_lshrrev_b32_e32 v26, 16, v26
	;; [unrolled: 1-line block ×3, first 2 shown]
	v_min3_f16 v26, v30, v26, v31
	v_min3_f16 v26, v29, v27, v26
	v_cvt_f32_f16_e32 v26, v26
	v_max_f32_e32 v27, v28, v28
	v_lshl_add_u64 v[24:25], v[46:47], 1, v[24:25]
	v_min_f32_e32 v26, v27, v26
	v_cvt_f16_f32_e32 v26, v26
	flat_store_short v[24:25], v26
.LBB216_202:
	s_or_b64 exec, exec, s[10:11]
	v_add_u32_e32 v28, 64, v85
	v_mad_i64_i32 v[24:25], s[14:15], v28, s19, 0
	v_cmp_gt_i32_e64 s[10:11], s17, v28
	v_lshl_add_u64 v[26:27], v[24:25], 1, s[20:21]
	v_mad_i64_i32 v[24:25], s[14:15], v28, s18, 0
	v_lshl_add_u64 v[24:25], v[24:25], 1, s[12:13]
	s_and_b64 s[22:23], s[2:3], s[10:11]
	s_and_saveexec_b64 s[14:15], s[22:23]
	s_cbranch_execnz .LBB216_206
; %bb.203:
	s_or_b64 exec, exec, s[14:15]
	s_and_b64 s[22:23], s[4:5], s[10:11]
	s_and_saveexec_b64 s[14:15], s[22:23]
	s_cbranch_execnz .LBB216_210
.LBB216_204:
	s_or_b64 exec, exec, s[14:15]
	s_and_b64 s[22:23], s[6:7], s[10:11]
	s_and_saveexec_b64 s[14:15], s[22:23]
	s_cbranch_execnz .LBB216_214
.LBB216_205:
	s_or_b64 exec, exec, s[14:15]
	s_and_b64 s[14:15], s[8:9], s[10:11]
	s_and_saveexec_b64 s[10:11], s[14:15]
	s_cbranch_execnz .LBB216_218
	s_branch .LBB216_222
.LBB216_206:
	s_and_b64 vcc, exec, s[0:1]
	s_cbranch_vccnz .LBB216_208
; %bb.207:
	v_lshl_add_u64 v[28:29], v[40:41], 1, v[26:27]
	flat_load_ushort v28, v[28:29]
	s_waitcnt vmcnt(0) lgkmcnt(0)
	v_mul_f16_e32 v28, v52, v28
	v_cvt_f32_f16_e32 v28, v28
	s_branch .LBB216_209
.LBB216_208:
	v_mov_b32_e32 v28, 0
.LBB216_209:
	v_pk_add_f16 v29, v8, v20
	v_max_f16_e32 v30, v84, v84
	v_pk_add_f16 v32, v9, v21
	v_min_f16_e32 v30, v30, v29
	v_lshrrev_b32_e32 v31, 16, v84
	v_lshrrev_b32_e32 v29, 16, v29
	;; [unrolled: 1-line block ×3, first 2 shown]
	v_min3_f16 v29, v31, v29, v33
	v_min3_f16 v29, v30, v32, v29
	v_cvt_f32_f16_e32 v29, v29
	v_max_f32_e32 v28, v28, v28
	v_min_f32_e32 v28, v28, v29
	v_cvt_f16_f32_e32 v30, v28
	v_lshl_add_u64 v[28:29], v[40:41], 1, v[24:25]
	flat_store_short v[28:29], v30
	s_or_b64 exec, exec, s[14:15]
	s_and_b64 s[22:23], s[4:5], s[10:11]
	s_and_saveexec_b64 s[14:15], s[22:23]
	s_cbranch_execz .LBB216_204
.LBB216_210:
	s_and_b64 vcc, exec, s[0:1]
	s_cbranch_vccnz .LBB216_212
; %bb.211:
	v_lshl_add_u64 v[28:29], v[42:43], 1, v[26:27]
	flat_load_ushort v28, v[28:29]
	s_waitcnt vmcnt(0) lgkmcnt(0)
	v_mul_f16_e32 v28, v52, v28
	v_cvt_f32_f16_e32 v28, v28
	s_branch .LBB216_213
.LBB216_212:
	v_mov_b32_e32 v28, 0
.LBB216_213:
	v_pk_add_f16 v29, v10, v20
	v_max_f16_e32 v30, v83, v83
	v_pk_add_f16 v32, v11, v21
	v_min_f16_e32 v30, v30, v29
	v_lshrrev_b32_e32 v31, 16, v83
	v_lshrrev_b32_e32 v29, 16, v29
	;; [unrolled: 1-line block ×3, first 2 shown]
	v_min3_f16 v29, v31, v29, v33
	v_min3_f16 v29, v30, v32, v29
	v_cvt_f32_f16_e32 v29, v29
	v_max_f32_e32 v28, v28, v28
	v_min_f32_e32 v28, v28, v29
	v_cvt_f16_f32_e32 v30, v28
	v_lshl_add_u64 v[28:29], v[42:43], 1, v[24:25]
	flat_store_short v[28:29], v30
	s_or_b64 exec, exec, s[14:15]
	s_and_b64 s[22:23], s[6:7], s[10:11]
	s_and_saveexec_b64 s[14:15], s[22:23]
	s_cbranch_execz .LBB216_205
.LBB216_214:
	s_and_b64 vcc, exec, s[0:1]
	s_cbranch_vccnz .LBB216_216
; %bb.215:
	v_lshl_add_u64 v[28:29], v[44:45], 1, v[26:27]
	flat_load_ushort v28, v[28:29]
	s_waitcnt vmcnt(0) lgkmcnt(0)
	v_mul_f16_e32 v28, v52, v28
	v_cvt_f32_f16_e32 v28, v28
	s_branch .LBB216_217
.LBB216_216:
	v_mov_b32_e32 v28, 0
.LBB216_217:
	v_pk_add_f16 v29, v0, v20
	v_max_f16_e32 v30, v82, v82
	v_pk_add_f16 v32, v1, v21
	v_min_f16_e32 v30, v30, v29
	v_lshrrev_b32_e32 v31, 16, v82
	v_lshrrev_b32_e32 v29, 16, v29
	;; [unrolled: 1-line block ×3, first 2 shown]
	v_min3_f16 v29, v31, v29, v33
	v_min3_f16 v29, v30, v32, v29
	v_cvt_f32_f16_e32 v29, v29
	v_max_f32_e32 v28, v28, v28
	v_min_f32_e32 v28, v28, v29
	v_cvt_f16_f32_e32 v30, v28
	v_lshl_add_u64 v[28:29], v[44:45], 1, v[24:25]
	flat_store_short v[28:29], v30
	s_or_b64 exec, exec, s[14:15]
	s_and_b64 s[14:15], s[8:9], s[10:11]
	s_and_saveexec_b64 s[10:11], s[14:15]
	s_cbranch_execz .LBB216_222
.LBB216_218:
	s_and_b64 vcc, exec, s[0:1]
	s_cbranch_vccnz .LBB216_220
; %bb.219:
	v_lshl_add_u64 v[26:27], v[46:47], 1, v[26:27]
	flat_load_ushort v26, v[26:27]
	s_waitcnt vmcnt(0) lgkmcnt(0)
	v_mul_f16_e32 v26, v52, v26
	v_cvt_f32_f16_e32 v26, v26
	s_branch .LBB216_221
.LBB216_220:
	v_mov_b32_e32 v26, 0
.LBB216_221:
	v_pk_add_f16 v20, v2, v20
	v_max_f16_e32 v27, v81, v81
	v_pk_add_f16 v21, v3, v21
	v_min_f16_e32 v27, v27, v20
	v_lshrrev_b32_e32 v28, 16, v81
	v_lshrrev_b32_e32 v20, 16, v20
	v_lshrrev_b32_e32 v29, 16, v21
	v_min3_f16 v20, v28, v20, v29
	v_min3_f16 v20, v27, v21, v20
	v_cvt_f32_f16_e32 v20, v20
	v_max_f32_e32 v21, v26, v26
	v_min_f32_e32 v20, v21, v20
	v_cvt_f16_f32_e32 v26, v20
	v_lshl_add_u64 v[20:21], v[46:47], 1, v[24:25]
	flat_store_short v[20:21], v26
.LBB216_222:
	s_or_b64 exec, exec, s[10:11]
	v_add_u32_e32 v26, 0x48, v85
	v_mad_i64_i32 v[20:21], s[14:15], v26, s19, 0
	v_cmp_gt_i32_e64 s[10:11], s17, v26
	v_lshl_add_u64 v[24:25], v[20:21], 1, s[20:21]
	v_mad_i64_i32 v[20:21], s[14:15], v26, s18, 0
	v_lshl_add_u64 v[20:21], v[20:21], 1, s[12:13]
	s_and_b64 s[22:23], s[2:3], s[10:11]
	s_and_saveexec_b64 s[14:15], s[22:23]
	s_cbranch_execnz .LBB216_226
; %bb.223:
	s_or_b64 exec, exec, s[14:15]
	s_and_b64 s[22:23], s[4:5], s[10:11]
	s_and_saveexec_b64 s[14:15], s[22:23]
	s_cbranch_execnz .LBB216_230
.LBB216_224:
	s_or_b64 exec, exec, s[14:15]
	s_and_b64 s[22:23], s[6:7], s[10:11]
	s_and_saveexec_b64 s[14:15], s[22:23]
	s_cbranch_execnz .LBB216_234
.LBB216_225:
	s_or_b64 exec, exec, s[14:15]
	s_and_b64 s[14:15], s[8:9], s[10:11]
	s_and_saveexec_b64 s[10:11], s[14:15]
	s_cbranch_execnz .LBB216_238
	s_branch .LBB216_242
.LBB216_226:
	s_and_b64 vcc, exec, s[0:1]
	s_cbranch_vccnz .LBB216_228
; %bb.227:
	v_lshl_add_u64 v[26:27], v[40:41], 1, v[24:25]
	flat_load_ushort v26, v[26:27]
	s_waitcnt vmcnt(0) lgkmcnt(0)
	v_mul_f16_e32 v26, v52, v26
	v_cvt_f32_f16_e32 v26, v26
	s_branch .LBB216_229
.LBB216_228:
	v_mov_b32_e32 v26, 0
.LBB216_229:
	v_pk_add_f16 v27, v8, v22
	v_max_f16_e32 v28, v80, v80
	v_pk_add_f16 v30, v9, v23
	v_min_f16_e32 v28, v28, v27
	v_lshrrev_b32_e32 v29, 16, v80
	v_lshrrev_b32_e32 v27, 16, v27
	;; [unrolled: 1-line block ×3, first 2 shown]
	v_min3_f16 v27, v29, v27, v31
	v_min3_f16 v27, v28, v30, v27
	v_cvt_f32_f16_e32 v27, v27
	v_max_f32_e32 v26, v26, v26
	v_min_f32_e32 v26, v26, v27
	v_cvt_f16_f32_e32 v28, v26
	v_lshl_add_u64 v[26:27], v[40:41], 1, v[20:21]
	flat_store_short v[26:27], v28
	s_or_b64 exec, exec, s[14:15]
	s_and_b64 s[22:23], s[4:5], s[10:11]
	s_and_saveexec_b64 s[14:15], s[22:23]
	s_cbranch_execz .LBB216_224
.LBB216_230:
	s_and_b64 vcc, exec, s[0:1]
	s_cbranch_vccnz .LBB216_232
; %bb.231:
	v_lshl_add_u64 v[26:27], v[42:43], 1, v[24:25]
	flat_load_ushort v26, v[26:27]
	s_waitcnt vmcnt(0) lgkmcnt(0)
	v_mul_f16_e32 v26, v52, v26
	v_cvt_f32_f16_e32 v26, v26
	s_branch .LBB216_233
.LBB216_232:
	v_mov_b32_e32 v26, 0
.LBB216_233:
	v_pk_add_f16 v27, v10, v22
	v_max_f16_e32 v28, v79, v79
	v_pk_add_f16 v30, v11, v23
	v_min_f16_e32 v28, v28, v27
	v_lshrrev_b32_e32 v29, 16, v79
	v_lshrrev_b32_e32 v27, 16, v27
	v_lshrrev_b32_e32 v31, 16, v30
	v_min3_f16 v27, v29, v27, v31
	v_min3_f16 v27, v28, v30, v27
	v_cvt_f32_f16_e32 v27, v27
	v_max_f32_e32 v26, v26, v26
	v_min_f32_e32 v26, v26, v27
	v_cvt_f16_f32_e32 v28, v26
	v_lshl_add_u64 v[26:27], v[42:43], 1, v[20:21]
	flat_store_short v[26:27], v28
	s_or_b64 exec, exec, s[14:15]
	s_and_b64 s[22:23], s[6:7], s[10:11]
	s_and_saveexec_b64 s[14:15], s[22:23]
	s_cbranch_execz .LBB216_225
.LBB216_234:
	s_and_b64 vcc, exec, s[0:1]
	s_cbranch_vccnz .LBB216_236
; %bb.235:
	v_lshl_add_u64 v[26:27], v[44:45], 1, v[24:25]
	flat_load_ushort v26, v[26:27]
	s_waitcnt vmcnt(0) lgkmcnt(0)
	v_mul_f16_e32 v26, v52, v26
	v_cvt_f32_f16_e32 v26, v26
	s_branch .LBB216_237
.LBB216_236:
	v_mov_b32_e32 v26, 0
.LBB216_237:
	v_pk_add_f16 v27, v0, v22
	v_max_f16_e32 v28, v78, v78
	v_pk_add_f16 v30, v1, v23
	v_min_f16_e32 v28, v28, v27
	v_lshrrev_b32_e32 v29, 16, v78
	v_lshrrev_b32_e32 v27, 16, v27
	;; [unrolled: 1-line block ×3, first 2 shown]
	v_min3_f16 v27, v29, v27, v31
	v_min3_f16 v27, v28, v30, v27
	v_cvt_f32_f16_e32 v27, v27
	v_max_f32_e32 v26, v26, v26
	v_min_f32_e32 v26, v26, v27
	v_cvt_f16_f32_e32 v28, v26
	v_lshl_add_u64 v[26:27], v[44:45], 1, v[20:21]
	flat_store_short v[26:27], v28
	s_or_b64 exec, exec, s[14:15]
	s_and_b64 s[14:15], s[8:9], s[10:11]
	s_and_saveexec_b64 s[10:11], s[14:15]
	s_cbranch_execz .LBB216_242
.LBB216_238:
	s_and_b64 vcc, exec, s[0:1]
	s_cbranch_vccnz .LBB216_240
; %bb.239:
	v_lshl_add_u64 v[24:25], v[46:47], 1, v[24:25]
	flat_load_ushort v24, v[24:25]
	s_waitcnt vmcnt(0) lgkmcnt(0)
	v_mul_f16_e32 v24, v52, v24
	v_cvt_f32_f16_e32 v24, v24
	s_branch .LBB216_241
.LBB216_240:
	v_mov_b32_e32 v24, 0
.LBB216_241:
	v_pk_add_f16 v22, v2, v22
	v_max_f16_e32 v25, v77, v77
	v_pk_add_f16 v23, v3, v23
	v_min_f16_e32 v25, v25, v22
	v_lshrrev_b32_e32 v26, 16, v77
	v_lshrrev_b32_e32 v22, 16, v22
	;; [unrolled: 1-line block ×3, first 2 shown]
	v_min3_f16 v22, v26, v22, v27
	v_min3_f16 v22, v25, v23, v22
	v_cvt_f32_f16_e32 v22, v22
	v_max_f32_e32 v23, v24, v24
	v_lshl_add_u64 v[20:21], v[46:47], 1, v[20:21]
	v_min_f32_e32 v22, v23, v22
	v_cvt_f16_f32_e32 v22, v22
	flat_store_short v[20:21], v22
.LBB216_242:
	s_or_b64 exec, exec, s[10:11]
	v_add_u32_e32 v24, 0x50, v85
	v_mad_i64_i32 v[20:21], s[14:15], v24, s19, 0
	v_cmp_gt_i32_e64 s[10:11], s17, v24
	v_lshl_add_u64 v[22:23], v[20:21], 1, s[20:21]
	v_mad_i64_i32 v[20:21], s[14:15], v24, s18, 0
	v_lshl_add_u64 v[20:21], v[20:21], 1, s[12:13]
	s_and_b64 s[22:23], s[2:3], s[10:11]
	s_and_saveexec_b64 s[14:15], s[22:23]
	s_cbranch_execnz .LBB216_246
; %bb.243:
	s_or_b64 exec, exec, s[14:15]
	s_and_b64 s[22:23], s[4:5], s[10:11]
	s_and_saveexec_b64 s[14:15], s[22:23]
	s_cbranch_execnz .LBB216_250
.LBB216_244:
	s_or_b64 exec, exec, s[14:15]
	s_and_b64 s[22:23], s[6:7], s[10:11]
	s_and_saveexec_b64 s[14:15], s[22:23]
	s_cbranch_execnz .LBB216_254
.LBB216_245:
	s_or_b64 exec, exec, s[14:15]
	s_and_b64 s[14:15], s[8:9], s[10:11]
	s_and_saveexec_b64 s[10:11], s[14:15]
	s_cbranch_execnz .LBB216_258
	s_branch .LBB216_262
.LBB216_246:
	s_and_b64 vcc, exec, s[0:1]
	s_cbranch_vccnz .LBB216_248
; %bb.247:
	v_lshl_add_u64 v[24:25], v[40:41], 1, v[22:23]
	flat_load_ushort v24, v[24:25]
	s_waitcnt vmcnt(0) lgkmcnt(0)
	v_mul_f16_e32 v24, v52, v24
	v_cvt_f32_f16_e32 v24, v24
	s_branch .LBB216_249
.LBB216_248:
	v_mov_b32_e32 v24, 0
.LBB216_249:
	v_pk_add_f16 v25, v8, v16
	v_max_f16_e32 v26, v76, v76
	v_pk_add_f16 v28, v9, v17
	v_min_f16_e32 v26, v26, v25
	v_lshrrev_b32_e32 v27, 16, v76
	v_lshrrev_b32_e32 v25, 16, v25
	;; [unrolled: 1-line block ×3, first 2 shown]
	v_min3_f16 v25, v27, v25, v29
	v_min3_f16 v25, v26, v28, v25
	v_cvt_f32_f16_e32 v25, v25
	v_max_f32_e32 v24, v24, v24
	v_min_f32_e32 v24, v24, v25
	v_cvt_f16_f32_e32 v26, v24
	v_lshl_add_u64 v[24:25], v[40:41], 1, v[20:21]
	flat_store_short v[24:25], v26
	s_or_b64 exec, exec, s[14:15]
	s_and_b64 s[22:23], s[4:5], s[10:11]
	s_and_saveexec_b64 s[14:15], s[22:23]
	s_cbranch_execz .LBB216_244
.LBB216_250:
	s_and_b64 vcc, exec, s[0:1]
	s_cbranch_vccnz .LBB216_252
; %bb.251:
	v_lshl_add_u64 v[24:25], v[42:43], 1, v[22:23]
	flat_load_ushort v24, v[24:25]
	s_waitcnt vmcnt(0) lgkmcnt(0)
	v_mul_f16_e32 v24, v52, v24
	v_cvt_f32_f16_e32 v24, v24
	s_branch .LBB216_253
.LBB216_252:
	v_mov_b32_e32 v24, 0
.LBB216_253:
	v_pk_add_f16 v25, v10, v16
	v_max_f16_e32 v26, v75, v75
	v_pk_add_f16 v28, v11, v17
	v_min_f16_e32 v26, v26, v25
	v_lshrrev_b32_e32 v27, 16, v75
	v_lshrrev_b32_e32 v25, 16, v25
	;; [unrolled: 1-line block ×3, first 2 shown]
	v_min3_f16 v25, v27, v25, v29
	v_min3_f16 v25, v26, v28, v25
	v_cvt_f32_f16_e32 v25, v25
	v_max_f32_e32 v24, v24, v24
	v_min_f32_e32 v24, v24, v25
	v_cvt_f16_f32_e32 v26, v24
	v_lshl_add_u64 v[24:25], v[42:43], 1, v[20:21]
	flat_store_short v[24:25], v26
	s_or_b64 exec, exec, s[14:15]
	s_and_b64 s[22:23], s[6:7], s[10:11]
	s_and_saveexec_b64 s[14:15], s[22:23]
	s_cbranch_execz .LBB216_245
.LBB216_254:
	s_and_b64 vcc, exec, s[0:1]
	s_cbranch_vccnz .LBB216_256
; %bb.255:
	v_lshl_add_u64 v[24:25], v[44:45], 1, v[22:23]
	flat_load_ushort v24, v[24:25]
	s_waitcnt vmcnt(0) lgkmcnt(0)
	v_mul_f16_e32 v24, v52, v24
	v_cvt_f32_f16_e32 v24, v24
	s_branch .LBB216_257
.LBB216_256:
	v_mov_b32_e32 v24, 0
.LBB216_257:
	v_pk_add_f16 v25, v0, v16
	v_max_f16_e32 v26, v74, v74
	v_pk_add_f16 v28, v1, v17
	v_min_f16_e32 v26, v26, v25
	v_lshrrev_b32_e32 v27, 16, v74
	v_lshrrev_b32_e32 v25, 16, v25
	;; [unrolled: 1-line block ×3, first 2 shown]
	v_min3_f16 v25, v27, v25, v29
	v_min3_f16 v25, v26, v28, v25
	v_cvt_f32_f16_e32 v25, v25
	v_max_f32_e32 v24, v24, v24
	v_min_f32_e32 v24, v24, v25
	v_cvt_f16_f32_e32 v26, v24
	v_lshl_add_u64 v[24:25], v[44:45], 1, v[20:21]
	flat_store_short v[24:25], v26
	s_or_b64 exec, exec, s[14:15]
	s_and_b64 s[14:15], s[8:9], s[10:11]
	s_and_saveexec_b64 s[10:11], s[14:15]
	s_cbranch_execz .LBB216_262
.LBB216_258:
	s_and_b64 vcc, exec, s[0:1]
	s_cbranch_vccnz .LBB216_260
; %bb.259:
	v_lshl_add_u64 v[22:23], v[46:47], 1, v[22:23]
	flat_load_ushort v22, v[22:23]
	s_waitcnt vmcnt(0) lgkmcnt(0)
	v_mul_f16_e32 v22, v52, v22
	v_cvt_f32_f16_e32 v22, v22
	s_branch .LBB216_261
.LBB216_260:
	v_mov_b32_e32 v22, 0
.LBB216_261:
	v_pk_add_f16 v16, v2, v16
	v_max_f16_e32 v23, v73, v73
	v_pk_add_f16 v17, v3, v17
	v_min_f16_e32 v23, v23, v16
	v_lshrrev_b32_e32 v24, 16, v73
	v_lshrrev_b32_e32 v16, 16, v16
	;; [unrolled: 1-line block ×3, first 2 shown]
	v_min3_f16 v16, v24, v16, v25
	v_min3_f16 v16, v23, v17, v16
	v_cvt_f32_f16_e32 v16, v16
	v_max_f32_e32 v17, v22, v22
	v_min_f32_e32 v16, v17, v16
	v_cvt_f16_f32_e32 v22, v16
	v_lshl_add_u64 v[16:17], v[46:47], 1, v[20:21]
	flat_store_short v[16:17], v22
.LBB216_262:
	s_or_b64 exec, exec, s[10:11]
	v_add_u32_e32 v22, 0x58, v85
	v_mad_i64_i32 v[16:17], s[14:15], v22, s19, 0
	v_cmp_gt_i32_e64 s[10:11], s17, v22
	v_lshl_add_u64 v[20:21], v[16:17], 1, s[20:21]
	v_mad_i64_i32 v[16:17], s[14:15], v22, s18, 0
	v_lshl_add_u64 v[16:17], v[16:17], 1, s[12:13]
	s_and_b64 s[22:23], s[2:3], s[10:11]
	s_and_saveexec_b64 s[14:15], s[22:23]
	s_cbranch_execnz .LBB216_266
; %bb.263:
	s_or_b64 exec, exec, s[14:15]
	s_and_b64 s[22:23], s[4:5], s[10:11]
	s_and_saveexec_b64 s[14:15], s[22:23]
	s_cbranch_execnz .LBB216_270
.LBB216_264:
	s_or_b64 exec, exec, s[14:15]
	s_and_b64 s[22:23], s[6:7], s[10:11]
	s_and_saveexec_b64 s[14:15], s[22:23]
	s_cbranch_execnz .LBB216_274
.LBB216_265:
	s_or_b64 exec, exec, s[14:15]
	s_and_b64 s[14:15], s[8:9], s[10:11]
	s_and_saveexec_b64 s[10:11], s[14:15]
	s_cbranch_execnz .LBB216_278
	s_branch .LBB216_282
.LBB216_266:
	s_and_b64 vcc, exec, s[0:1]
	s_cbranch_vccnz .LBB216_268
; %bb.267:
	v_lshl_add_u64 v[22:23], v[40:41], 1, v[20:21]
	flat_load_ushort v22, v[22:23]
	s_waitcnt vmcnt(0) lgkmcnt(0)
	v_mul_f16_e32 v22, v52, v22
	v_cvt_f32_f16_e32 v22, v22
	s_branch .LBB216_269
.LBB216_268:
	v_mov_b32_e32 v22, 0
.LBB216_269:
	v_pk_add_f16 v23, v8, v18
	v_max_f16_e32 v24, v72, v72
	v_pk_add_f16 v26, v9, v19
	v_min_f16_e32 v24, v24, v23
	v_lshrrev_b32_e32 v25, 16, v72
	v_lshrrev_b32_e32 v23, 16, v23
	;; [unrolled: 1-line block ×3, first 2 shown]
	v_min3_f16 v23, v25, v23, v27
	v_min3_f16 v23, v24, v26, v23
	v_cvt_f32_f16_e32 v23, v23
	v_max_f32_e32 v22, v22, v22
	v_min_f32_e32 v22, v22, v23
	v_cvt_f16_f32_e32 v24, v22
	v_lshl_add_u64 v[22:23], v[40:41], 1, v[16:17]
	flat_store_short v[22:23], v24
	s_or_b64 exec, exec, s[14:15]
	s_and_b64 s[22:23], s[4:5], s[10:11]
	s_and_saveexec_b64 s[14:15], s[22:23]
	s_cbranch_execz .LBB216_264
.LBB216_270:
	s_and_b64 vcc, exec, s[0:1]
	s_cbranch_vccnz .LBB216_272
; %bb.271:
	v_lshl_add_u64 v[22:23], v[42:43], 1, v[20:21]
	flat_load_ushort v22, v[22:23]
	s_waitcnt vmcnt(0) lgkmcnt(0)
	v_mul_f16_e32 v22, v52, v22
	v_cvt_f32_f16_e32 v22, v22
	s_branch .LBB216_273
.LBB216_272:
	v_mov_b32_e32 v22, 0
.LBB216_273:
	v_pk_add_f16 v23, v10, v18
	v_max_f16_e32 v24, v71, v71
	v_pk_add_f16 v26, v11, v19
	v_min_f16_e32 v24, v24, v23
	v_lshrrev_b32_e32 v25, 16, v71
	v_lshrrev_b32_e32 v23, 16, v23
	v_lshrrev_b32_e32 v27, 16, v26
	v_min3_f16 v23, v25, v23, v27
	v_min3_f16 v23, v24, v26, v23
	v_cvt_f32_f16_e32 v23, v23
	v_max_f32_e32 v22, v22, v22
	v_min_f32_e32 v22, v22, v23
	v_cvt_f16_f32_e32 v24, v22
	v_lshl_add_u64 v[22:23], v[42:43], 1, v[16:17]
	flat_store_short v[22:23], v24
	s_or_b64 exec, exec, s[14:15]
	s_and_b64 s[22:23], s[6:7], s[10:11]
	s_and_saveexec_b64 s[14:15], s[22:23]
	s_cbranch_execz .LBB216_265
.LBB216_274:
	s_and_b64 vcc, exec, s[0:1]
	s_cbranch_vccnz .LBB216_276
; %bb.275:
	v_lshl_add_u64 v[22:23], v[44:45], 1, v[20:21]
	flat_load_ushort v22, v[22:23]
	s_waitcnt vmcnt(0) lgkmcnt(0)
	v_mul_f16_e32 v22, v52, v22
	v_cvt_f32_f16_e32 v22, v22
	s_branch .LBB216_277
.LBB216_276:
	v_mov_b32_e32 v22, 0
.LBB216_277:
	v_pk_add_f16 v23, v0, v18
	v_max_f16_e32 v24, v70, v70
	v_pk_add_f16 v26, v1, v19
	v_min_f16_e32 v24, v24, v23
	v_lshrrev_b32_e32 v25, 16, v70
	v_lshrrev_b32_e32 v23, 16, v23
	;; [unrolled: 1-line block ×3, first 2 shown]
	v_min3_f16 v23, v25, v23, v27
	v_min3_f16 v23, v24, v26, v23
	v_cvt_f32_f16_e32 v23, v23
	v_max_f32_e32 v22, v22, v22
	v_min_f32_e32 v22, v22, v23
	v_cvt_f16_f32_e32 v24, v22
	v_lshl_add_u64 v[22:23], v[44:45], 1, v[16:17]
	flat_store_short v[22:23], v24
	s_or_b64 exec, exec, s[14:15]
	s_and_b64 s[14:15], s[8:9], s[10:11]
	s_and_saveexec_b64 s[10:11], s[14:15]
	s_cbranch_execz .LBB216_282
.LBB216_278:
	s_and_b64 vcc, exec, s[0:1]
	s_cbranch_vccnz .LBB216_280
; %bb.279:
	v_lshl_add_u64 v[20:21], v[46:47], 1, v[20:21]
	flat_load_ushort v20, v[20:21]
	s_waitcnt vmcnt(0) lgkmcnt(0)
	v_mul_f16_e32 v20, v52, v20
	v_cvt_f32_f16_e32 v20, v20
	s_branch .LBB216_281
.LBB216_280:
	v_mov_b32_e32 v20, 0
.LBB216_281:
	v_pk_add_f16 v18, v2, v18
	v_max_f16_e32 v21, v69, v69
	v_pk_add_f16 v19, v3, v19
	v_min_f16_e32 v21, v21, v18
	v_lshrrev_b32_e32 v22, 16, v69
	v_lshrrev_b32_e32 v18, 16, v18
	;; [unrolled: 1-line block ×3, first 2 shown]
	v_min3_f16 v18, v22, v18, v23
	v_min3_f16 v18, v21, v19, v18
	v_cvt_f32_f16_e32 v18, v18
	v_max_f32_e32 v19, v20, v20
	v_lshl_add_u64 v[16:17], v[46:47], 1, v[16:17]
	v_min_f32_e32 v18, v19, v18
	v_cvt_f16_f32_e32 v18, v18
	flat_store_short v[16:17], v18
.LBB216_282:
	s_or_b64 exec, exec, s[10:11]
	v_add_u32_e32 v20, 0x60, v85
	v_mad_i64_i32 v[16:17], s[14:15], v20, s19, 0
	v_cmp_gt_i32_e64 s[10:11], s17, v20
	v_lshl_add_u64 v[18:19], v[16:17], 1, s[20:21]
	v_mad_i64_i32 v[16:17], s[14:15], v20, s18, 0
	v_lshl_add_u64 v[16:17], v[16:17], 1, s[12:13]
	s_and_b64 s[22:23], s[2:3], s[10:11]
	s_and_saveexec_b64 s[14:15], s[22:23]
	s_cbranch_execnz .LBB216_286
; %bb.283:
	s_or_b64 exec, exec, s[14:15]
	s_and_b64 s[22:23], s[4:5], s[10:11]
	s_and_saveexec_b64 s[14:15], s[22:23]
	s_cbranch_execnz .LBB216_290
.LBB216_284:
	s_or_b64 exec, exec, s[14:15]
	s_and_b64 s[22:23], s[6:7], s[10:11]
	s_and_saveexec_b64 s[14:15], s[22:23]
	s_cbranch_execnz .LBB216_294
.LBB216_285:
	s_or_b64 exec, exec, s[14:15]
	s_and_b64 s[14:15], s[8:9], s[10:11]
	s_and_saveexec_b64 s[10:11], s[14:15]
	s_cbranch_execnz .LBB216_298
	s_branch .LBB216_302
.LBB216_286:
	s_and_b64 vcc, exec, s[0:1]
	s_cbranch_vccnz .LBB216_288
; %bb.287:
	v_lshl_add_u64 v[20:21], v[40:41], 1, v[18:19]
	flat_load_ushort v20, v[20:21]
	s_waitcnt vmcnt(0) lgkmcnt(0)
	v_mul_f16_e32 v20, v52, v20
	v_cvt_f32_f16_e32 v20, v20
	s_branch .LBB216_289
.LBB216_288:
	v_mov_b32_e32 v20, 0
.LBB216_289:
	v_pk_add_f16 v21, v8, v12
	v_max_f16_e32 v22, v68, v68
	v_pk_add_f16 v24, v9, v13
	v_min_f16_e32 v22, v22, v21
	v_lshrrev_b32_e32 v23, 16, v68
	v_lshrrev_b32_e32 v21, 16, v21
	;; [unrolled: 1-line block ×3, first 2 shown]
	v_min3_f16 v21, v23, v21, v25
	v_min3_f16 v21, v22, v24, v21
	v_cvt_f32_f16_e32 v21, v21
	v_max_f32_e32 v20, v20, v20
	v_min_f32_e32 v20, v20, v21
	v_cvt_f16_f32_e32 v22, v20
	v_lshl_add_u64 v[20:21], v[40:41], 1, v[16:17]
	flat_store_short v[20:21], v22
	s_or_b64 exec, exec, s[14:15]
	s_and_b64 s[22:23], s[4:5], s[10:11]
	s_and_saveexec_b64 s[14:15], s[22:23]
	s_cbranch_execz .LBB216_284
.LBB216_290:
	s_and_b64 vcc, exec, s[0:1]
	s_cbranch_vccnz .LBB216_292
; %bb.291:
	v_lshl_add_u64 v[20:21], v[42:43], 1, v[18:19]
	flat_load_ushort v20, v[20:21]
	s_waitcnt vmcnt(0) lgkmcnt(0)
	v_mul_f16_e32 v20, v52, v20
	v_cvt_f32_f16_e32 v20, v20
	s_branch .LBB216_293
.LBB216_292:
	v_mov_b32_e32 v20, 0
.LBB216_293:
	v_pk_add_f16 v21, v10, v12
	v_max_f16_e32 v22, v67, v67
	v_pk_add_f16 v24, v11, v13
	v_min_f16_e32 v22, v22, v21
	v_lshrrev_b32_e32 v23, 16, v67
	v_lshrrev_b32_e32 v21, 16, v21
	v_lshrrev_b32_e32 v25, 16, v24
	v_min3_f16 v21, v23, v21, v25
	v_min3_f16 v21, v22, v24, v21
	v_cvt_f32_f16_e32 v21, v21
	v_max_f32_e32 v20, v20, v20
	v_min_f32_e32 v20, v20, v21
	v_cvt_f16_f32_e32 v22, v20
	v_lshl_add_u64 v[20:21], v[42:43], 1, v[16:17]
	flat_store_short v[20:21], v22
	s_or_b64 exec, exec, s[14:15]
	s_and_b64 s[22:23], s[6:7], s[10:11]
	s_and_saveexec_b64 s[14:15], s[22:23]
	s_cbranch_execz .LBB216_285
.LBB216_294:
	s_and_b64 vcc, exec, s[0:1]
	s_cbranch_vccnz .LBB216_296
; %bb.295:
	v_lshl_add_u64 v[20:21], v[44:45], 1, v[18:19]
	flat_load_ushort v20, v[20:21]
	s_waitcnt vmcnt(0) lgkmcnt(0)
	v_mul_f16_e32 v20, v52, v20
	v_cvt_f32_f16_e32 v20, v20
	s_branch .LBB216_297
.LBB216_296:
	v_mov_b32_e32 v20, 0
.LBB216_297:
	v_pk_add_f16 v21, v0, v12
	v_max_f16_e32 v22, v66, v66
	v_pk_add_f16 v24, v1, v13
	v_min_f16_e32 v22, v22, v21
	v_lshrrev_b32_e32 v23, 16, v66
	v_lshrrev_b32_e32 v21, 16, v21
	;; [unrolled: 1-line block ×3, first 2 shown]
	v_min3_f16 v21, v23, v21, v25
	v_min3_f16 v21, v22, v24, v21
	v_cvt_f32_f16_e32 v21, v21
	v_max_f32_e32 v20, v20, v20
	v_min_f32_e32 v20, v20, v21
	v_cvt_f16_f32_e32 v22, v20
	v_lshl_add_u64 v[20:21], v[44:45], 1, v[16:17]
	flat_store_short v[20:21], v22
	s_or_b64 exec, exec, s[14:15]
	s_and_b64 s[14:15], s[8:9], s[10:11]
	s_and_saveexec_b64 s[10:11], s[14:15]
	s_cbranch_execz .LBB216_302
.LBB216_298:
	s_and_b64 vcc, exec, s[0:1]
	s_cbranch_vccnz .LBB216_300
; %bb.299:
	v_lshl_add_u64 v[18:19], v[46:47], 1, v[18:19]
	flat_load_ushort v18, v[18:19]
	s_waitcnt vmcnt(0) lgkmcnt(0)
	v_mul_f16_e32 v18, v52, v18
	v_cvt_f32_f16_e32 v18, v18
	s_branch .LBB216_301
.LBB216_300:
	v_mov_b32_e32 v18, 0
.LBB216_301:
	v_pk_add_f16 v12, v2, v12
	v_max_f16_e32 v19, v65, v65
	v_pk_add_f16 v13, v3, v13
	v_min_f16_e32 v19, v19, v12
	v_lshrrev_b32_e32 v20, 16, v65
	v_lshrrev_b32_e32 v12, 16, v12
	;; [unrolled: 1-line block ×3, first 2 shown]
	v_min3_f16 v12, v20, v12, v21
	v_min3_f16 v12, v19, v13, v12
	v_cvt_f32_f16_e32 v12, v12
	v_max_f32_e32 v13, v18, v18
	v_min_f32_e32 v12, v13, v12
	v_cvt_f16_f32_e32 v18, v12
	v_lshl_add_u64 v[12:13], v[46:47], 1, v[16:17]
	flat_store_short v[12:13], v18
.LBB216_302:
	s_or_b64 exec, exec, s[10:11]
	v_add_u32_e32 v18, 0x68, v85
	v_mad_i64_i32 v[12:13], s[14:15], v18, s19, 0
	v_cmp_gt_i32_e64 s[10:11], s17, v18
	v_lshl_add_u64 v[16:17], v[12:13], 1, s[20:21]
	v_mad_i64_i32 v[12:13], s[14:15], v18, s18, 0
	v_lshl_add_u64 v[12:13], v[12:13], 1, s[12:13]
	s_and_b64 s[22:23], s[2:3], s[10:11]
	s_and_saveexec_b64 s[14:15], s[22:23]
	s_cbranch_execnz .LBB216_306
; %bb.303:
	s_or_b64 exec, exec, s[14:15]
	s_and_b64 s[22:23], s[4:5], s[10:11]
	s_and_saveexec_b64 s[14:15], s[22:23]
	s_cbranch_execnz .LBB216_310
.LBB216_304:
	s_or_b64 exec, exec, s[14:15]
	s_and_b64 s[22:23], s[6:7], s[10:11]
	s_and_saveexec_b64 s[14:15], s[22:23]
	s_cbranch_execnz .LBB216_314
.LBB216_305:
	s_or_b64 exec, exec, s[14:15]
	s_and_b64 s[14:15], s[8:9], s[10:11]
	s_and_saveexec_b64 s[10:11], s[14:15]
	s_cbranch_execnz .LBB216_318
	s_branch .LBB216_322
.LBB216_306:
	s_and_b64 vcc, exec, s[0:1]
	s_cbranch_vccnz .LBB216_308
; %bb.307:
	v_lshl_add_u64 v[18:19], v[40:41], 1, v[16:17]
	flat_load_ushort v18, v[18:19]
	s_waitcnt vmcnt(0) lgkmcnt(0)
	v_mul_f16_e32 v18, v52, v18
	v_cvt_f32_f16_e32 v18, v18
	s_branch .LBB216_309
.LBB216_308:
	v_mov_b32_e32 v18, 0
.LBB216_309:
	v_pk_add_f16 v19, v8, v14
	v_max_f16_e32 v20, v64, v64
	v_pk_add_f16 v22, v9, v15
	v_min_f16_e32 v20, v20, v19
	v_lshrrev_b32_e32 v21, 16, v64
	v_lshrrev_b32_e32 v19, 16, v19
	;; [unrolled: 1-line block ×3, first 2 shown]
	v_min3_f16 v19, v21, v19, v23
	v_min3_f16 v19, v20, v22, v19
	v_cvt_f32_f16_e32 v19, v19
	v_max_f32_e32 v18, v18, v18
	v_min_f32_e32 v18, v18, v19
	v_cvt_f16_f32_e32 v20, v18
	v_lshl_add_u64 v[18:19], v[40:41], 1, v[12:13]
	flat_store_short v[18:19], v20
	s_or_b64 exec, exec, s[14:15]
	s_and_b64 s[22:23], s[4:5], s[10:11]
	s_and_saveexec_b64 s[14:15], s[22:23]
	s_cbranch_execz .LBB216_304
.LBB216_310:
	s_and_b64 vcc, exec, s[0:1]
	s_cbranch_vccnz .LBB216_312
; %bb.311:
	v_lshl_add_u64 v[18:19], v[42:43], 1, v[16:17]
	flat_load_ushort v18, v[18:19]
	s_waitcnt vmcnt(0) lgkmcnt(0)
	v_mul_f16_e32 v18, v52, v18
	v_cvt_f32_f16_e32 v18, v18
	s_branch .LBB216_313
.LBB216_312:
	v_mov_b32_e32 v18, 0
.LBB216_313:
	v_pk_add_f16 v19, v10, v14
	v_max_f16_e32 v20, v63, v63
	v_pk_add_f16 v22, v11, v15
	v_min_f16_e32 v20, v20, v19
	v_lshrrev_b32_e32 v21, 16, v63
	v_lshrrev_b32_e32 v19, 16, v19
	;; [unrolled: 1-line block ×3, first 2 shown]
	v_min3_f16 v19, v21, v19, v23
	v_min3_f16 v19, v20, v22, v19
	v_cvt_f32_f16_e32 v19, v19
	v_max_f32_e32 v18, v18, v18
	v_min_f32_e32 v18, v18, v19
	v_cvt_f16_f32_e32 v20, v18
	v_lshl_add_u64 v[18:19], v[42:43], 1, v[12:13]
	flat_store_short v[18:19], v20
	s_or_b64 exec, exec, s[14:15]
	s_and_b64 s[22:23], s[6:7], s[10:11]
	s_and_saveexec_b64 s[14:15], s[22:23]
	s_cbranch_execz .LBB216_305
.LBB216_314:
	s_and_b64 vcc, exec, s[0:1]
	s_cbranch_vccnz .LBB216_316
; %bb.315:
	v_lshl_add_u64 v[18:19], v[44:45], 1, v[16:17]
	flat_load_ushort v18, v[18:19]
	s_waitcnt vmcnt(0) lgkmcnt(0)
	v_mul_f16_e32 v18, v52, v18
	v_cvt_f32_f16_e32 v18, v18
	s_branch .LBB216_317
.LBB216_316:
	v_mov_b32_e32 v18, 0
.LBB216_317:
	v_pk_add_f16 v19, v0, v14
	v_max_f16_e32 v20, v62, v62
	v_pk_add_f16 v22, v1, v15
	v_min_f16_e32 v20, v20, v19
	v_lshrrev_b32_e32 v21, 16, v62
	v_lshrrev_b32_e32 v19, 16, v19
	;; [unrolled: 1-line block ×3, first 2 shown]
	v_min3_f16 v19, v21, v19, v23
	v_min3_f16 v19, v20, v22, v19
	v_cvt_f32_f16_e32 v19, v19
	v_max_f32_e32 v18, v18, v18
	v_min_f32_e32 v18, v18, v19
	v_cvt_f16_f32_e32 v20, v18
	v_lshl_add_u64 v[18:19], v[44:45], 1, v[12:13]
	flat_store_short v[18:19], v20
	s_or_b64 exec, exec, s[14:15]
	s_and_b64 s[14:15], s[8:9], s[10:11]
	s_and_saveexec_b64 s[10:11], s[14:15]
	s_cbranch_execz .LBB216_322
.LBB216_318:
	s_and_b64 vcc, exec, s[0:1]
	s_cbranch_vccnz .LBB216_320
; %bb.319:
	v_lshl_add_u64 v[16:17], v[46:47], 1, v[16:17]
	flat_load_ushort v16, v[16:17]
	s_waitcnt vmcnt(0) lgkmcnt(0)
	v_mul_f16_e32 v16, v52, v16
	v_cvt_f32_f16_e32 v16, v16
	s_branch .LBB216_321
.LBB216_320:
	v_mov_b32_e32 v16, 0
.LBB216_321:
	v_pk_add_f16 v14, v2, v14
	v_max_f16_e32 v17, v61, v61
	v_pk_add_f16 v15, v3, v15
	v_min_f16_e32 v17, v17, v14
	v_lshrrev_b32_e32 v18, 16, v61
	v_lshrrev_b32_e32 v14, 16, v14
	;; [unrolled: 1-line block ×3, first 2 shown]
	v_min3_f16 v14, v18, v14, v19
	v_min3_f16 v14, v17, v15, v14
	v_cvt_f32_f16_e32 v14, v14
	v_max_f32_e32 v15, v16, v16
	v_lshl_add_u64 v[12:13], v[46:47], 1, v[12:13]
	v_min_f32_e32 v14, v15, v14
	v_cvt_f16_f32_e32 v14, v14
	flat_store_short v[12:13], v14
.LBB216_322:
	s_or_b64 exec, exec, s[10:11]
	v_add_u32_e32 v16, 0x70, v85
	v_mad_i64_i32 v[12:13], s[14:15], v16, s19, 0
	v_cmp_gt_i32_e64 s[10:11], s17, v16
	v_lshl_add_u64 v[14:15], v[12:13], 1, s[20:21]
	v_mad_i64_i32 v[12:13], s[14:15], v16, s18, 0
	v_lshl_add_u64 v[12:13], v[12:13], 1, s[12:13]
	s_and_b64 s[22:23], s[2:3], s[10:11]
	s_and_saveexec_b64 s[14:15], s[22:23]
	s_cbranch_execnz .LBB216_326
; %bb.323:
	s_or_b64 exec, exec, s[14:15]
	s_and_b64 s[22:23], s[4:5], s[10:11]
	s_and_saveexec_b64 s[14:15], s[22:23]
	s_cbranch_execnz .LBB216_330
.LBB216_324:
	s_or_b64 exec, exec, s[14:15]
	s_and_b64 s[22:23], s[6:7], s[10:11]
	s_and_saveexec_b64 s[14:15], s[22:23]
	s_cbranch_execnz .LBB216_334
.LBB216_325:
	s_or_b64 exec, exec, s[14:15]
	s_and_b64 s[14:15], s[8:9], s[10:11]
	s_and_saveexec_b64 s[10:11], s[14:15]
	s_cbranch_execnz .LBB216_338
	s_branch .LBB216_342
.LBB216_326:
	s_and_b64 vcc, exec, s[0:1]
	s_cbranch_vccnz .LBB216_328
; %bb.327:
	v_lshl_add_u64 v[16:17], v[40:41], 1, v[14:15]
	flat_load_ushort v16, v[16:17]
	s_waitcnt vmcnt(0) lgkmcnt(0)
	v_mul_f16_e32 v16, v52, v16
	v_cvt_f32_f16_e32 v16, v16
	s_branch .LBB216_329
.LBB216_328:
	v_mov_b32_e32 v16, 0
.LBB216_329:
	v_pk_add_f16 v17, v8, v4
	v_max_f16_e32 v18, v60, v60
	v_pk_add_f16 v20, v9, v5
	v_min_f16_e32 v18, v18, v17
	v_lshrrev_b32_e32 v19, 16, v60
	v_lshrrev_b32_e32 v17, 16, v17
	;; [unrolled: 1-line block ×3, first 2 shown]
	v_min3_f16 v17, v19, v17, v21
	v_min3_f16 v17, v18, v20, v17
	v_cvt_f32_f16_e32 v17, v17
	v_max_f32_e32 v16, v16, v16
	v_min_f32_e32 v16, v16, v17
	v_cvt_f16_f32_e32 v18, v16
	v_lshl_add_u64 v[16:17], v[40:41], 1, v[12:13]
	flat_store_short v[16:17], v18
	s_or_b64 exec, exec, s[14:15]
	s_and_b64 s[22:23], s[4:5], s[10:11]
	s_and_saveexec_b64 s[14:15], s[22:23]
	s_cbranch_execz .LBB216_324
.LBB216_330:
	s_and_b64 vcc, exec, s[0:1]
	s_cbranch_vccnz .LBB216_332
; %bb.331:
	v_lshl_add_u64 v[16:17], v[42:43], 1, v[14:15]
	flat_load_ushort v16, v[16:17]
	s_waitcnt vmcnt(0) lgkmcnt(0)
	v_mul_f16_e32 v16, v52, v16
	v_cvt_f32_f16_e32 v16, v16
	s_branch .LBB216_333
.LBB216_332:
	v_mov_b32_e32 v16, 0
.LBB216_333:
	v_pk_add_f16 v17, v10, v4
	v_max_f16_e32 v18, v59, v59
	v_pk_add_f16 v20, v11, v5
	v_min_f16_e32 v18, v18, v17
	v_lshrrev_b32_e32 v19, 16, v59
	v_lshrrev_b32_e32 v17, 16, v17
	;; [unrolled: 1-line block ×3, first 2 shown]
	v_min3_f16 v17, v19, v17, v21
	v_min3_f16 v17, v18, v20, v17
	v_cvt_f32_f16_e32 v17, v17
	v_max_f32_e32 v16, v16, v16
	v_min_f32_e32 v16, v16, v17
	v_cvt_f16_f32_e32 v18, v16
	v_lshl_add_u64 v[16:17], v[42:43], 1, v[12:13]
	flat_store_short v[16:17], v18
	s_or_b64 exec, exec, s[14:15]
	s_and_b64 s[22:23], s[6:7], s[10:11]
	s_and_saveexec_b64 s[14:15], s[22:23]
	s_cbranch_execz .LBB216_325
.LBB216_334:
	s_and_b64 vcc, exec, s[0:1]
	s_cbranch_vccnz .LBB216_336
; %bb.335:
	v_lshl_add_u64 v[16:17], v[44:45], 1, v[14:15]
	flat_load_ushort v16, v[16:17]
	s_waitcnt vmcnt(0) lgkmcnt(0)
	v_mul_f16_e32 v16, v52, v16
	v_cvt_f32_f16_e32 v16, v16
	s_branch .LBB216_337
.LBB216_336:
	v_mov_b32_e32 v16, 0
.LBB216_337:
	v_pk_add_f16 v17, v0, v4
	v_max_f16_e32 v18, v58, v58
	v_pk_add_f16 v20, v1, v5
	v_min_f16_e32 v18, v18, v17
	v_lshrrev_b32_e32 v19, 16, v58
	v_lshrrev_b32_e32 v17, 16, v17
	;; [unrolled: 1-line block ×3, first 2 shown]
	v_min3_f16 v17, v19, v17, v21
	v_min3_f16 v17, v18, v20, v17
	v_cvt_f32_f16_e32 v17, v17
	v_max_f32_e32 v16, v16, v16
	v_min_f32_e32 v16, v16, v17
	v_cvt_f16_f32_e32 v18, v16
	v_lshl_add_u64 v[16:17], v[44:45], 1, v[12:13]
	flat_store_short v[16:17], v18
	s_or_b64 exec, exec, s[14:15]
	s_and_b64 s[14:15], s[8:9], s[10:11]
	s_and_saveexec_b64 s[10:11], s[14:15]
	s_cbranch_execz .LBB216_342
.LBB216_338:
	s_and_b64 vcc, exec, s[0:1]
	s_cbranch_vccnz .LBB216_340
; %bb.339:
	v_lshl_add_u64 v[14:15], v[46:47], 1, v[14:15]
	flat_load_ushort v14, v[14:15]
	s_waitcnt vmcnt(0) lgkmcnt(0)
	v_mul_f16_e32 v14, v52, v14
	v_cvt_f32_f16_e32 v14, v14
	s_branch .LBB216_341
.LBB216_340:
	v_mov_b32_e32 v14, 0
.LBB216_341:
	v_pk_add_f16 v4, v2, v4
	v_max_f16_e32 v15, v57, v57
	v_pk_add_f16 v5, v3, v5
	v_min_f16_e32 v15, v15, v4
	v_lshrrev_b32_e32 v16, 16, v57
	v_lshrrev_b32_e32 v4, 16, v4
	;; [unrolled: 1-line block ×3, first 2 shown]
	v_min3_f16 v4, v16, v4, v17
	v_min3_f16 v4, v15, v5, v4
	v_cvt_f32_f16_e32 v4, v4
	v_max_f32_e32 v5, v14, v14
	v_min_f32_e32 v4, v5, v4
	v_cvt_f16_f32_e32 v14, v4
	v_lshl_add_u64 v[4:5], v[46:47], 1, v[12:13]
	flat_store_short v[4:5], v14
.LBB216_342:
	s_or_b64 exec, exec, s[10:11]
	v_add_u32_e32 v14, 0x78, v85
	v_mad_i64_i32 v[4:5], s[14:15], v14, s19, 0
	v_cmp_gt_i32_e64 s[10:11], s17, v14
	v_lshl_add_u64 v[12:13], v[4:5], 1, s[20:21]
	v_mad_i64_i32 v[4:5], s[14:15], v14, s18, 0
	v_lshl_add_u64 v[4:5], v[4:5], 1, s[12:13]
	s_and_b64 s[12:13], s[2:3], s[10:11]
	s_and_saveexec_b64 s[2:3], s[12:13]
	s_cbranch_execnz .LBB216_347
; %bb.343:
	s_or_b64 exec, exec, s[2:3]
	s_and_b64 s[4:5], s[4:5], s[10:11]
	s_and_saveexec_b64 s[2:3], s[4:5]
	s_cbranch_execnz .LBB216_351
.LBB216_344:
	s_or_b64 exec, exec, s[2:3]
	s_and_b64 s[4:5], s[6:7], s[10:11]
	s_and_saveexec_b64 s[2:3], s[4:5]
	s_cbranch_execnz .LBB216_355
.LBB216_345:
	s_or_b64 exec, exec, s[2:3]
	s_and_b64 s[2:3], s[8:9], s[10:11]
	s_and_saveexec_b64 s[4:5], s[2:3]
	s_cbranch_execnz .LBB216_359
.LBB216_346:
	s_endpgm
.LBB216_347:
	s_and_b64 vcc, exec, s[0:1]
	s_cbranch_vccnz .LBB216_349
; %bb.348:
	v_lshl_add_u64 v[14:15], v[40:41], 1, v[12:13]
	flat_load_ushort v14, v[14:15]
	s_waitcnt vmcnt(0) lgkmcnt(0)
	v_mul_f16_e32 v14, v52, v14
	v_cvt_f32_f16_e32 v14, v14
	s_branch .LBB216_350
.LBB216_349:
	v_mov_b32_e32 v14, 0
.LBB216_350:
	v_pk_add_f16 v8, v8, v6
	v_max_f16_e32 v15, v55, v55
	v_pk_add_f16 v9, v9, v7
	v_min_f16_e32 v15, v15, v8
	v_lshrrev_b32_e32 v16, 16, v55
	v_lshrrev_b32_e32 v8, 16, v8
	;; [unrolled: 1-line block ×3, first 2 shown]
	v_min3_f16 v8, v16, v8, v17
	v_min3_f16 v8, v15, v9, v8
	v_cvt_f32_f16_e32 v8, v8
	v_max_f32_e32 v9, v14, v14
	v_min_f32_e32 v8, v9, v8
	v_cvt_f16_f32_e32 v14, v8
	v_lshl_add_u64 v[8:9], v[40:41], 1, v[4:5]
	flat_store_short v[8:9], v14
	s_or_b64 exec, exec, s[2:3]
	s_and_b64 s[4:5], s[4:5], s[10:11]
	s_and_saveexec_b64 s[2:3], s[4:5]
	s_cbranch_execz .LBB216_344
.LBB216_351:
	s_and_b64 vcc, exec, s[0:1]
	s_cbranch_vccnz .LBB216_353
; %bb.352:
	v_lshl_add_u64 v[8:9], v[42:43], 1, v[12:13]
	flat_load_ushort v8, v[8:9]
	s_waitcnt vmcnt(0) lgkmcnt(0)
	v_mul_f16_e32 v8, v52, v8
	v_cvt_f32_f16_e32 v8, v8
	s_branch .LBB216_354
.LBB216_353:
	v_mov_b32_e32 v8, 0
.LBB216_354:
	v_pk_add_f16 v9, v10, v6
	v_max_f16_e32 v10, v54, v54
	v_pk_add_f16 v11, v11, v7
	v_min_f16_e32 v10, v10, v9
	v_lshrrev_b32_e32 v14, 16, v54
	v_lshrrev_b32_e32 v9, 16, v9
	;; [unrolled: 1-line block ×3, first 2 shown]
	v_min3_f16 v9, v14, v9, v15
	v_min3_f16 v9, v10, v11, v9
	v_cvt_f32_f16_e32 v9, v9
	v_max_f32_e32 v8, v8, v8
	v_min_f32_e32 v8, v8, v9
	v_cvt_f16_f32_e32 v10, v8
	v_lshl_add_u64 v[8:9], v[42:43], 1, v[4:5]
	flat_store_short v[8:9], v10
	s_or_b64 exec, exec, s[2:3]
	s_and_b64 s[4:5], s[6:7], s[10:11]
	s_and_saveexec_b64 s[2:3], s[4:5]
	s_cbranch_execz .LBB216_345
.LBB216_355:
	s_and_b64 vcc, exec, s[0:1]
	s_cbranch_vccnz .LBB216_357
; %bb.356:
	v_lshl_add_u64 v[8:9], v[44:45], 1, v[12:13]
	flat_load_ushort v8, v[8:9]
	s_waitcnt vmcnt(0) lgkmcnt(0)
	v_mul_f16_e32 v8, v52, v8
	v_cvt_f32_f16_e32 v8, v8
	s_branch .LBB216_358
.LBB216_357:
	v_mov_b32_e32 v8, 0
.LBB216_358:
	v_pk_add_f16 v0, v0, v6
	v_max_f16_e32 v9, v53, v53
	v_pk_add_f16 v1, v1, v7
	v_min_f16_e32 v9, v9, v0
	v_lshrrev_b32_e32 v10, 16, v53
	v_lshrrev_b32_e32 v0, 16, v0
	;; [unrolled: 1-line block ×3, first 2 shown]
	v_min3_f16 v0, v10, v0, v11
	v_min3_f16 v0, v9, v1, v0
	v_cvt_f32_f16_e32 v0, v0
	v_max_f32_e32 v1, v8, v8
	v_min_f32_e32 v0, v1, v0
	v_cvt_f16_f32_e32 v8, v0
	v_lshl_add_u64 v[0:1], v[44:45], 1, v[4:5]
	flat_store_short v[0:1], v8
	s_or_b64 exec, exec, s[2:3]
	s_and_b64 s[2:3], s[8:9], s[10:11]
	s_and_saveexec_b64 s[4:5], s[2:3]
	s_cbranch_execz .LBB216_346
.LBB216_359:
	s_and_b64 vcc, exec, s[0:1]
	s_cbranch_vccnz .LBB216_361
; %bb.360:
	v_lshl_add_u64 v[0:1], v[46:47], 1, v[12:13]
	flat_load_ushort v0, v[0:1]
	s_waitcnt vmcnt(0) lgkmcnt(0)
	v_mul_f16_e32 v0, v52, v0
	v_cvt_f32_f16_e32 v0, v0
	s_branch .LBB216_362
.LBB216_361:
	v_mov_b32_e32 v0, 0
.LBB216_362:
	v_pk_add_f16 v1, v2, v6
	v_max_f16_e32 v2, v56, v56
	v_pk_add_f16 v3, v3, v7
	v_min_f16_e32 v2, v2, v1
	v_lshrrev_b32_e32 v6, 16, v56
	v_lshrrev_b32_e32 v1, 16, v1
	;; [unrolled: 1-line block ×3, first 2 shown]
	v_min3_f16 v1, v6, v1, v7
	v_min3_f16 v1, v2, v3, v1
	v_cvt_f32_f16_e32 v1, v1
	v_max_f32_e32 v0, v0, v0
	v_min_f32_e32 v0, v0, v1
	v_cvt_f16_f32_e32 v2, v0
	v_lshl_add_u64 v[0:1], v[46:47], 1, v[4:5]
	flat_store_short v[0:1], v2
	s_endpgm
	.section	.rodata,"a",@progbits
	.p2align	6, 0x0
	.amdhsa_kernel _ZN12_GLOBAL__N_120geam_min_plus_kernelIDF16_Dv2_DF16_S1_Li32ELi8ELi128ELi128ELi4ELi4ELi64ELi4ELi64ELc84ELc78ELb0ELb1ELb1EPKDF16_KS3_KPDF16_EEviiiT16_PT17_ilS9_ilS7_S9_ilPT18_ili26rocblas_geam_ex_operation_
		.amdhsa_group_segment_fixed_size 4096
		.amdhsa_private_segment_fixed_size 0
		.amdhsa_kernarg_size 136
		.amdhsa_user_sgpr_count 2
		.amdhsa_user_sgpr_dispatch_ptr 0
		.amdhsa_user_sgpr_queue_ptr 0
		.amdhsa_user_sgpr_kernarg_segment_ptr 1
		.amdhsa_user_sgpr_dispatch_id 0
		.amdhsa_user_sgpr_kernarg_preload_length 0
		.amdhsa_user_sgpr_kernarg_preload_offset 0
		.amdhsa_user_sgpr_private_segment_size 0
		.amdhsa_uses_dynamic_stack 0
		.amdhsa_enable_private_segment 0
		.amdhsa_system_sgpr_workgroup_id_x 1
		.amdhsa_system_sgpr_workgroup_id_y 0
		.amdhsa_system_sgpr_workgroup_id_z 1
		.amdhsa_system_sgpr_workgroup_info 0
		.amdhsa_system_vgpr_workitem_id 1
		.amdhsa_next_free_vgpr 175
		.amdhsa_next_free_sgpr 36
		.amdhsa_accum_offset 176
		.amdhsa_reserve_vcc 1
		.amdhsa_float_round_mode_32 0
		.amdhsa_float_round_mode_16_64 0
		.amdhsa_float_denorm_mode_32 3
		.amdhsa_float_denorm_mode_16_64 3
		.amdhsa_dx10_clamp 1
		.amdhsa_ieee_mode 1
		.amdhsa_fp16_overflow 0
		.amdhsa_tg_split 0
		.amdhsa_exception_fp_ieee_invalid_op 0
		.amdhsa_exception_fp_denorm_src 0
		.amdhsa_exception_fp_ieee_div_zero 0
		.amdhsa_exception_fp_ieee_overflow 0
		.amdhsa_exception_fp_ieee_underflow 0
		.amdhsa_exception_fp_ieee_inexact 0
		.amdhsa_exception_int_div_zero 0
	.end_amdhsa_kernel
	.section	.text._ZN12_GLOBAL__N_120geam_min_plus_kernelIDF16_Dv2_DF16_S1_Li32ELi8ELi128ELi128ELi4ELi4ELi64ELi4ELi64ELc84ELc78ELb0ELb1ELb1EPKDF16_KS3_KPDF16_EEviiiT16_PT17_ilS9_ilS7_S9_ilPT18_ili26rocblas_geam_ex_operation_,"axG",@progbits,_ZN12_GLOBAL__N_120geam_min_plus_kernelIDF16_Dv2_DF16_S1_Li32ELi8ELi128ELi128ELi4ELi4ELi64ELi4ELi64ELc84ELc78ELb0ELb1ELb1EPKDF16_KS3_KPDF16_EEviiiT16_PT17_ilS9_ilS7_S9_ilPT18_ili26rocblas_geam_ex_operation_,comdat
.Lfunc_end216:
	.size	_ZN12_GLOBAL__N_120geam_min_plus_kernelIDF16_Dv2_DF16_S1_Li32ELi8ELi128ELi128ELi4ELi4ELi64ELi4ELi64ELc84ELc78ELb0ELb1ELb1EPKDF16_KS3_KPDF16_EEviiiT16_PT17_ilS9_ilS7_S9_ilPT18_ili26rocblas_geam_ex_operation_, .Lfunc_end216-_ZN12_GLOBAL__N_120geam_min_plus_kernelIDF16_Dv2_DF16_S1_Li32ELi8ELi128ELi128ELi4ELi4ELi64ELi4ELi64ELc84ELc78ELb0ELb1ELb1EPKDF16_KS3_KPDF16_EEviiiT16_PT17_ilS9_ilS7_S9_ilPT18_ili26rocblas_geam_ex_operation_
                                        ; -- End function
	.set _ZN12_GLOBAL__N_120geam_min_plus_kernelIDF16_Dv2_DF16_S1_Li32ELi8ELi128ELi128ELi4ELi4ELi64ELi4ELi64ELc84ELc78ELb0ELb1ELb1EPKDF16_KS3_KPDF16_EEviiiT16_PT17_ilS9_ilS7_S9_ilPT18_ili26rocblas_geam_ex_operation_.num_vgpr, 175
	.set _ZN12_GLOBAL__N_120geam_min_plus_kernelIDF16_Dv2_DF16_S1_Li32ELi8ELi128ELi128ELi4ELi4ELi64ELi4ELi64ELc84ELc78ELb0ELb1ELb1EPKDF16_KS3_KPDF16_EEviiiT16_PT17_ilS9_ilS7_S9_ilPT18_ili26rocblas_geam_ex_operation_.num_agpr, 0
	.set _ZN12_GLOBAL__N_120geam_min_plus_kernelIDF16_Dv2_DF16_S1_Li32ELi8ELi128ELi128ELi4ELi4ELi64ELi4ELi64ELc84ELc78ELb0ELb1ELb1EPKDF16_KS3_KPDF16_EEviiiT16_PT17_ilS9_ilS7_S9_ilPT18_ili26rocblas_geam_ex_operation_.numbered_sgpr, 36
	.set _ZN12_GLOBAL__N_120geam_min_plus_kernelIDF16_Dv2_DF16_S1_Li32ELi8ELi128ELi128ELi4ELi4ELi64ELi4ELi64ELc84ELc78ELb0ELb1ELb1EPKDF16_KS3_KPDF16_EEviiiT16_PT17_ilS9_ilS7_S9_ilPT18_ili26rocblas_geam_ex_operation_.num_named_barrier, 0
	.set _ZN12_GLOBAL__N_120geam_min_plus_kernelIDF16_Dv2_DF16_S1_Li32ELi8ELi128ELi128ELi4ELi4ELi64ELi4ELi64ELc84ELc78ELb0ELb1ELb1EPKDF16_KS3_KPDF16_EEviiiT16_PT17_ilS9_ilS7_S9_ilPT18_ili26rocblas_geam_ex_operation_.private_seg_size, 0
	.set _ZN12_GLOBAL__N_120geam_min_plus_kernelIDF16_Dv2_DF16_S1_Li32ELi8ELi128ELi128ELi4ELi4ELi64ELi4ELi64ELc84ELc78ELb0ELb1ELb1EPKDF16_KS3_KPDF16_EEviiiT16_PT17_ilS9_ilS7_S9_ilPT18_ili26rocblas_geam_ex_operation_.uses_vcc, 1
	.set _ZN12_GLOBAL__N_120geam_min_plus_kernelIDF16_Dv2_DF16_S1_Li32ELi8ELi128ELi128ELi4ELi4ELi64ELi4ELi64ELc84ELc78ELb0ELb1ELb1EPKDF16_KS3_KPDF16_EEviiiT16_PT17_ilS9_ilS7_S9_ilPT18_ili26rocblas_geam_ex_operation_.uses_flat_scratch, 0
	.set _ZN12_GLOBAL__N_120geam_min_plus_kernelIDF16_Dv2_DF16_S1_Li32ELi8ELi128ELi128ELi4ELi4ELi64ELi4ELi64ELc84ELc78ELb0ELb1ELb1EPKDF16_KS3_KPDF16_EEviiiT16_PT17_ilS9_ilS7_S9_ilPT18_ili26rocblas_geam_ex_operation_.has_dyn_sized_stack, 0
	.set _ZN12_GLOBAL__N_120geam_min_plus_kernelIDF16_Dv2_DF16_S1_Li32ELi8ELi128ELi128ELi4ELi4ELi64ELi4ELi64ELc84ELc78ELb0ELb1ELb1EPKDF16_KS3_KPDF16_EEviiiT16_PT17_ilS9_ilS7_S9_ilPT18_ili26rocblas_geam_ex_operation_.has_recursion, 0
	.set _ZN12_GLOBAL__N_120geam_min_plus_kernelIDF16_Dv2_DF16_S1_Li32ELi8ELi128ELi128ELi4ELi4ELi64ELi4ELi64ELc84ELc78ELb0ELb1ELb1EPKDF16_KS3_KPDF16_EEviiiT16_PT17_ilS9_ilS7_S9_ilPT18_ili26rocblas_geam_ex_operation_.has_indirect_call, 0
	.section	.AMDGPU.csdata,"",@progbits
; Kernel info:
; codeLenInByte = 20912
; TotalNumSgprs: 42
; NumVgprs: 175
; NumAgprs: 0
; TotalNumVgprs: 175
; ScratchSize: 0
; MemoryBound: 0
; FloatMode: 240
; IeeeMode: 1
; LDSByteSize: 4096 bytes/workgroup (compile time only)
; SGPRBlocks: 5
; VGPRBlocks: 21
; NumSGPRsForWavesPerEU: 42
; NumVGPRsForWavesPerEU: 175
; AccumOffset: 176
; Occupancy: 2
; WaveLimiterHint : 1
; COMPUTE_PGM_RSRC2:SCRATCH_EN: 0
; COMPUTE_PGM_RSRC2:USER_SGPR: 2
; COMPUTE_PGM_RSRC2:TRAP_HANDLER: 0
; COMPUTE_PGM_RSRC2:TGID_X_EN: 1
; COMPUTE_PGM_RSRC2:TGID_Y_EN: 0
; COMPUTE_PGM_RSRC2:TGID_Z_EN: 1
; COMPUTE_PGM_RSRC2:TIDIG_COMP_CNT: 1
; COMPUTE_PGM_RSRC3_GFX90A:ACCUM_OFFSET: 43
; COMPUTE_PGM_RSRC3_GFX90A:TG_SPLIT: 0
	.section	.text._ZN12_GLOBAL__N_120geam_min_plus_kernelIDF16_Dv2_DF16_S1_Li32ELi8ELi128ELi128ELi4ELi4ELi64ELi4ELi64ELc84ELc78ELb1ELb1ELb1EDF16_KPKDF16_KPDF16_EEviiiT16_PT17_ilS9_ilS7_S9_ilPT18_ili26rocblas_geam_ex_operation_,"axG",@progbits,_ZN12_GLOBAL__N_120geam_min_plus_kernelIDF16_Dv2_DF16_S1_Li32ELi8ELi128ELi128ELi4ELi4ELi64ELi4ELi64ELc84ELc78ELb1ELb1ELb1EDF16_KPKDF16_KPDF16_EEviiiT16_PT17_ilS9_ilS7_S9_ilPT18_ili26rocblas_geam_ex_operation_,comdat
	.globl	_ZN12_GLOBAL__N_120geam_min_plus_kernelIDF16_Dv2_DF16_S1_Li32ELi8ELi128ELi128ELi4ELi4ELi64ELi4ELi64ELc84ELc78ELb1ELb1ELb1EDF16_KPKDF16_KPDF16_EEviiiT16_PT17_ilS9_ilS7_S9_ilPT18_ili26rocblas_geam_ex_operation_ ; -- Begin function _ZN12_GLOBAL__N_120geam_min_plus_kernelIDF16_Dv2_DF16_S1_Li32ELi8ELi128ELi128ELi4ELi4ELi64ELi4ELi64ELc84ELc78ELb1ELb1ELb1EDF16_KPKDF16_KPDF16_EEviiiT16_PT17_ilS9_ilS7_S9_ilPT18_ili26rocblas_geam_ex_operation_
	.p2align	8
	.type	_ZN12_GLOBAL__N_120geam_min_plus_kernelIDF16_Dv2_DF16_S1_Li32ELi8ELi128ELi128ELi4ELi4ELi64ELi4ELi64ELc84ELc78ELb1ELb1ELb1EDF16_KPKDF16_KPDF16_EEviiiT16_PT17_ilS9_ilS7_S9_ilPT18_ili26rocblas_geam_ex_operation_,@function
_ZN12_GLOBAL__N_120geam_min_plus_kernelIDF16_Dv2_DF16_S1_Li32ELi8ELi128ELi128ELi4ELi4ELi64ELi4ELi64ELc84ELc78ELb1ELb1ELb1EDF16_KPKDF16_KPDF16_EEviiiT16_PT17_ilS9_ilS7_S9_ilPT18_ili26rocblas_geam_ex_operation_: ; @_ZN12_GLOBAL__N_120geam_min_plus_kernelIDF16_Dv2_DF16_S1_Li32ELi8ELi128ELi128ELi4ELi4ELi64ELi4ELi64ELc84ELc78ELb1ELb1ELb1EDF16_KPKDF16_KPDF16_EEviiiT16_PT17_ilS9_ilS7_S9_ilPT18_ili26rocblas_geam_ex_operation_
; %bb.0:
	s_load_dwordx4 s[12:15], s[0:1], 0x0
	s_load_dwordx4 s[4:7], s[0:1], 0x20
	s_mov_b32 s8, s3
	s_mov_b32 s9, 0
	s_waitcnt lgkmcnt(0)
	v_cmp_eq_f16_e64 s[10:11], s15, 0
	s_and_b64 vcc, exec, s[10:11]
	s_cbranch_vccnz .LBB217_3
; %bb.1:
	s_load_dwordx2 s[16:17], s[0:1], 0x10
	s_lshl_b64 s[18:19], s[8:9], 3
	s_waitcnt lgkmcnt(0)
	s_add_u32 s16, s16, s18
	s_addc_u32 s17, s17, s19
	s_load_dwordx2 s[16:17], s[16:17], 0x0
	s_lshl_b64 s[4:5], s[4:5], 1
	s_waitcnt lgkmcnt(0)
	s_add_u32 s20, s16, s4
	s_addc_u32 s21, s17, s5
	s_andn2_b64 vcc, exec, s[10:11]
	s_cbranch_vccnz .LBB217_4
.LBB217_2:
	s_mov_b32 s11, 0
	s_mov_b32 s10, s8
	s_mov_b64 s[16:17], 0
	s_mov_b64 s[22:23], 0
	s_cbranch_execz .LBB217_5
	s_branch .LBB217_6
.LBB217_3:
	s_mov_b64 s[20:21], 0
	s_andn2_b64 vcc, exec, s[10:11]
	s_cbranch_vccz .LBB217_2
.LBB217_4:
	s_mov_b64 s[10:11], s[8:9]
	s_mov_b64 s[16:17], 0
	;; [unrolled: 1-line block ×3, first 2 shown]
.LBB217_5:
	s_lshl_b64 s[8:9], s[8:9], 3
	s_add_u32 s6, s6, s8
	s_load_dwordx2 s[4:5], s[0:1], 0x38
	s_addc_u32 s7, s7, s9
	s_load_dwordx2 s[6:7], s[6:7], 0x0
	s_waitcnt lgkmcnt(0)
	s_lshl_b64 s[4:5], s[4:5], 1
	s_add_u32 s22, s6, s4
	s_addc_u32 s23, s7, s5
.LBB217_6:
	s_load_dword s26, s[0:1], 0x40
	s_load_dwordx4 s[4:7], s[0:1], 0x58
	s_waitcnt lgkmcnt(0)
	v_cmp_eq_f16_e64 s[8:9], s26, 0
	v_cmp_neq_f16_e64 s[18:19], s26, 0
	s_and_b64 vcc, exec, s[8:9]
	s_cbranch_vccnz .LBB217_8
; %bb.7:
	s_load_dwordx2 s[8:9], s[0:1], 0x48
	s_lshl_b64 s[16:17], s[10:11], 3
	s_waitcnt lgkmcnt(0)
	s_add_u32 s8, s8, s16
	s_addc_u32 s9, s9, s17
	s_load_dwordx2 s[8:9], s[8:9], 0x0
	s_lshl_b64 s[4:5], s[4:5], 1
	s_waitcnt lgkmcnt(0)
	s_add_u32 s16, s8, s4
	s_addc_u32 s17, s9, s5
.LBB217_8:
	s_lshl_b64 s[4:5], s[10:11], 3
	s_add_u32 s10, s6, s4
	s_addc_u32 s11, s7, s5
	s_add_i32 s3, s12, -1
	s_ashr_i32 s4, s3, 31
	s_lshr_b32 s4, s4, 25
	s_add_i32 s3, s3, s4
	s_ashr_i32 s3, s3, 7
	s_add_i32 s4, s3, 1
	v_cvt_f32_u32_e32 v1, s4
	s_not_b32 s3, s3
	v_and_b32_e32 v100, 0x3ff, v0
	v_bfe_u32 v101, v0, 10, 10
	v_rcp_iflag_f32_e32 v1, v1
	s_load_dword s29, s[0:1], 0x18
	v_and_b32_e32 v110, 3, v0
	v_lshl_add_u32 v0, v101, 5, v100
	v_mul_f32_e32 v1, 0x4f7ffffe, v1
	v_cvt_u32_f32_e32 v1, v1
	v_lshrrev_b32_e32 v4, 2, v0
	v_cmp_le_i32_e64 s[8:9], s14, v110
	v_mov_b32_e32 v3, 0
	v_readfirstlane_b32 s5, v1
	s_mul_i32 s3, s3, s5
	s_mul_hi_u32 s3, s5, s3
	s_add_i32 s5, s5, s3
	s_mul_hi_u32 s3, s2, s5
	s_mul_i32 s5, s3, s4
	s_sub_i32 s5, s2, s5
	s_add_i32 s6, s3, 1
	s_sub_i32 s7, s5, s4
	s_cmp_ge_u32 s5, s4
	s_cselect_b32 s3, s6, s3
	s_cselect_b32 s5, s7, s5
	s_add_i32 s6, s3, 1
	s_cmp_ge_u32 s5, s4
	s_cselect_b32 s6, s6, s3
	s_mul_i32 s3, s6, s4
	s_sub_i32 s2, s2, s3
	s_lshl_b32 s27, s2, 7
	v_add_u32_e32 v32, s27, v4
	v_lshlrev_b32_e32 v2, 1, v110
	v_cmp_le_i32_e32 vcc, s12, v32
	v_lshl_add_u64 v[0:1], s[20:21], 0, v[2:3]
	s_nor_b64 s[4:5], s[8:9], vcc
	v_mov_b32_e32 v5, 0x7c00
	v_mov_b32_e32 v6, 0x7c00
	s_and_saveexec_b64 s[2:3], s[4:5]
	s_cbranch_execz .LBB217_10
; %bb.9:
	s_waitcnt lgkmcnt(0)
	v_mad_i64_i32 v[6:7], s[4:5], v32, s29, 0
	v_lshl_add_u64 v[6:7], v[6:7], 1, v[0:1]
	flat_load_ushort v6, v[6:7]
.LBB217_10:
	s_or_b64 exec, exec, s[2:3]
	v_add_u32_e32 v33, 64, v32
	v_cmp_le_i32_e64 s[2:3], s12, v33
	s_nor_b64 s[24:25], s[8:9], s[2:3]
	s_and_saveexec_b64 s[4:5], s[24:25]
	s_cbranch_execz .LBB217_12
; %bb.11:
	s_waitcnt lgkmcnt(0)
	v_mad_i64_i32 v[8:9], s[24:25], v33, s29, 0
	v_lshl_add_u64 v[8:9], v[8:9], 1, v[0:1]
	flat_load_ushort v5, v[8:9]
.LBB217_12:
	s_or_b64 exec, exec, s[4:5]
	s_load_dword s30, s[0:1], 0x30
	s_lshl_b32 s28, s6, 7
	v_add_u32_e32 v34, s28, v4
	v_mov_b32_e32 v3, 0
	v_cmp_le_i32_e64 s[4:5], s13, v34
	v_lshl_add_u64 v[2:3], s[22:23], 0, v[2:3]
	s_nor_b64 s[24:25], s[8:9], s[4:5]
	v_mov_b32_e32 v7, 0x7c00
	v_mov_b32_e32 v8, 0x7c00
	s_and_saveexec_b64 s[6:7], s[24:25]
	s_cbranch_execz .LBB217_14
; %bb.13:
	s_waitcnt lgkmcnt(0)
	v_mad_i64_i32 v[8:9], s[24:25], v34, s30, 0
	v_lshl_add_u64 v[8:9], v[8:9], 1, v[2:3]
	flat_load_ushort v8, v[8:9]
.LBB217_14:
	s_or_b64 exec, exec, s[6:7]
	v_add_u32_e32 v35, 64, v34
	v_cmp_le_i32_e64 s[6:7], s13, v35
	s_nor_b64 s[24:25], s[8:9], s[6:7]
	s_and_saveexec_b64 s[8:9], s[24:25]
	s_cbranch_execz .LBB217_16
; %bb.15:
	s_waitcnt lgkmcnt(0)
	v_mad_i64_i32 v[10:11], s[24:25], v35, s30, 0
	v_lshl_add_u64 v[10:11], v[10:11], 1, v[2:3]
	flat_load_ushort v7, v[10:11]
.LBB217_16:
	s_or_b64 exec, exec, s[8:9]
	v_or_b32_e32 v9, 4, v110
	v_cmp_le_i32_e64 s[8:9], s14, v9
	s_nor_b64 s[34:35], s[8:9], vcc
	v_mov_b32_e32 v36, 0x7c00
	v_mov_b32_e32 v37, 0x7c00
	s_and_saveexec_b64 s[24:25], s[34:35]
	s_cbranch_execz .LBB217_18
; %bb.17:
	s_waitcnt lgkmcnt(0)
	v_mad_i64_i32 v[10:11], s[34:35], v32, s29, 0
	v_lshl_add_u64 v[10:11], v[10:11], 1, v[0:1]
	flat_load_ushort v37, v[10:11] offset:8
.LBB217_18:
	s_or_b64 exec, exec, s[24:25]
	s_nor_b64 s[34:35], s[8:9], s[2:3]
	s_and_saveexec_b64 s[24:25], s[34:35]
	s_cbranch_execz .LBB217_20
; %bb.19:
	s_waitcnt lgkmcnt(0)
	v_mad_i64_i32 v[10:11], s[34:35], v33, s29, 0
	v_lshl_add_u64 v[0:1], v[10:11], 1, v[0:1]
	flat_load_ushort v36, v[0:1] offset:8
.LBB217_20:
	s_or_b64 exec, exec, s[24:25]
	s_nor_b64 s[34:35], s[8:9], s[4:5]
	v_mov_b32_e32 v38, 0x7c00
	v_mov_b32_e32 v39, 0x7c00
	s_and_saveexec_b64 s[24:25], s[34:35]
	s_cbranch_execz .LBB217_22
; %bb.21:
	s_waitcnt lgkmcnt(0)
	v_mad_i64_i32 v[0:1], s[34:35], v34, s30, 0
	v_lshl_add_u64 v[0:1], v[0:1], 1, v[2:3]
	flat_load_ushort v39, v[0:1] offset:8
.LBB217_22:
	s_or_b64 exec, exec, s[24:25]
	s_nor_b64 s[24:25], s[8:9], s[6:7]
	s_and_saveexec_b64 s[8:9], s[24:25]
	s_cbranch_execz .LBB217_24
; %bb.23:
	s_waitcnt lgkmcnt(0)
	v_mad_i64_i32 v[0:1], s[24:25], v35, s30, 0
	v_lshl_add_u64 v[0:1], v[0:1], 1, v[2:3]
	flat_load_ushort v38, v[0:1] offset:8
.LBB217_24:
	s_or_b64 exec, exec, s[8:9]
	v_lshlrev_b32_e32 v0, 3, v4
	v_lshlrev_b32_e32 v108, 3, v101
	v_lshl_or_b32 v117, v110, 1, v0
	v_lshlrev_b32_e32 v109, 3, v100
	v_add_u32_e32 v118, 0x800, v108
	s_load_dwordx2 s[10:11], s[10:11], 0x0
	s_waitcnt vmcnt(0) lgkmcnt(0)
	ds_write_b16 v117, v6
	ds_write_b16 v117, v5 offset:512
	ds_write_b16 v117, v8 offset:2048
	;; [unrolled: 1-line block ×3, first 2 shown]
	s_waitcnt lgkmcnt(0)
	s_barrier
	ds_read2_b64 v[4:7], v109 offset1:32
	ds_read2_b64 v[0:3], v109 offset0:64 offset1:96
	ds_read2_b64 v[40:43], v118 offset1:8
	ds_read2_b64 v[44:47], v118 offset0:16 offset1:24
	ds_read2_b64 v[28:31], v118 offset0:32 offset1:40
	;; [unrolled: 1-line block ×7, first 2 shown]
	s_movk_i32 s8, 0x7c00
	s_cmp_lt_i32 s14, 9
	s_waitcnt lgkmcnt(7)
	v_pk_add_f16 v48, v4, v40
	v_pk_add_f16 v49, v6, v40
	v_pk_add_f16 v50, v0, v40
	v_pk_add_f16 v40, v2, v40
	v_pk_add_f16 v51, v4, v42
	v_pk_add_f16 v52, v6, v42
	v_pk_add_f16 v53, v0, v42
	v_pk_add_f16 v42, v2, v42
	s_waitcnt lgkmcnt(6)
	v_pk_add_f16 v54, v4, v44
	v_pk_add_f16 v55, v6, v44
	v_pk_add_f16 v56, v0, v44
	v_pk_add_f16 v44, v2, v44
	v_pk_add_f16 v57, v4, v46
	v_pk_add_f16 v58, v6, v46
	v_pk_add_f16 v59, v0, v46
	v_pk_add_f16 v46, v2, v46
	;; [unrolled: 9-line block ×8, first 2 shown]
	v_pk_add_f16 v2, v5, v41
	v_pk_min_f16 v10, v48, s8 op_sel_hi:[1,0]
	v_pk_min_f16 v8, v8, s8 op_sel_hi:[1,0]
	v_pk_min_f16 v128, v10, v2
	v_pk_add_f16 v2, v7, v41
	v_pk_min_f16 v10, v49, s8 op_sel_hi:[1,0]
	v_pk_min_f16 v4, v4, s8 op_sel_hi:[1,0]
	v_pk_min_f16 v127, v10, v2
	;; [unrolled: 4-line block ×3, first 2 shown]
	v_pk_add_f16 v2, v3, v41
	v_pk_min_f16 v10, v40, s8 op_sel_hi:[1,0]
	ds_write_b16 v117, v37 offset:1024
	ds_write_b16 v117, v36 offset:1536
	;; [unrolled: 1-line block ×4, first 2 shown]
	v_pk_min_f16 v125, v10, v2
	v_pk_add_f16 v2, v5, v43
	v_pk_min_f16 v10, v51, s8 op_sel_hi:[1,0]
	s_waitcnt lgkmcnt(0)
	v_pk_min_f16 v124, v10, v2
	v_pk_add_f16 v2, v7, v43
	v_pk_min_f16 v10, v52, s8 op_sel_hi:[1,0]
	s_barrier
	v_pk_min_f16 v123, v10, v2
	v_pk_add_f16 v2, v1, v43
	v_pk_min_f16 v10, v53, s8 op_sel_hi:[1,0]
	s_nop 0
	v_pk_min_f16 v122, v10, v2
	v_pk_add_f16 v2, v3, v43
	v_pk_min_f16 v10, v42, s8 op_sel_hi:[1,0]
	s_nop 0
	;; [unrolled: 4-line block ×52, first 2 shown]
	v_pk_min_f16 v64, v10, v2
	v_pk_add_f16 v2, v1, v9
	v_pk_min_f16 v10, v141, s8 op_sel_hi:[1,0]
	v_pk_add_f16 v1, v1, v11
	v_pk_min_f16 v63, v10, v2
	v_pk_add_f16 v2, v3, v9
	s_nop 0
	v_pk_min_f16 v62, v8, v2
	v_pk_add_f16 v2, v5, v11
	s_nop 0
	v_pk_min_f16 v60, v4, v2
	v_pk_add_f16 v2, v7, v11
	v_pk_min_f16 v4, v6, s8 op_sel_hi:[1,0]
	s_nop 0
	v_pk_min_f16 v59, v4, v2
	v_pk_min_f16 v2, v142, s8 op_sel_hi:[1,0]
	s_nop 0
	v_pk_min_f16 v58, v2, v1
	v_pk_add_f16 v1, v3, v11
	s_nop 0
	v_pk_min_f16 v61, v0, v1
	s_cbranch_scc1 .LBB217_43
; %bb.25:
	v_mov_b32_e32 v0, 0x400
	v_lshl_add_u32 v132, v100, 3, v0
	v_mov_b32_e32 v0, 0xc00
	v_lshl_add_u32 v133, v101, 3, v0
	v_and_b32_e32 v0, 3, v100
	v_lshlrev_b32_e32 v40, 1, v0
	v_mad_i64_i32 v[0:1], s[8:9], s30, v34, 0
	v_lshl_add_u64 v[42:43], v[0:1], 1, s[22:23]
	v_mad_i64_i32 v[0:1], s[8:9], s30, v35, 0
	v_lshl_add_u64 v[44:45], v[0:1], 1, s[22:23]
	;; [unrolled: 2-line block ×3, first 2 shown]
	v_mad_i64_i32 v[0:1], s[8:9], s29, v33, 0
	v_add_u32_e32 v129, 0x800, v117
	v_add_u32_e32 v130, 0x400, v117
	;; [unrolled: 1-line block ×3, first 2 shown]
	s_add_i32 s15, s14, -8
	v_mov_b32_e32 v41, 0
	v_lshl_add_u64 v[48:49], v[0:1], 1, s[20:21]
	s_mov_b32 s22, 0
	s_branch .LBB217_27
.LBB217_26:                             ;   in Loop: Header=BB217_27 Depth=1
	s_or_b64 exec, exec, s[8:9]
	v_pk_add_f16 v52, v4, v36
	v_pk_max_f16 v53, v128, v128
	v_pk_max_f16 v54, v127, v127
	v_pk_min_f16 v52, v53, v52
	v_pk_add_f16 v53, v6, v36
	v_pk_max_f16 v55, v126, v126
	v_pk_min_f16 v53, v54, v53
	v_pk_add_f16 v54, v0, v36
	v_pk_add_f16 v36, v2, v36
	v_pk_min_f16 v54, v55, v54
	v_pk_max_f16 v55, v125, v125
	v_pk_max_f16 v56, v124, v124
	v_pk_min_f16 v36, v55, v36
	v_pk_add_f16 v55, v4, v38
	v_pk_max_f16 v57, v123, v123
	v_pk_min_f16 v55, v56, v55
	v_pk_add_f16 v56, v6, v38
	v_pk_max_f16 v121, v121, v121
	v_pk_min_f16 v56, v57, v56
	v_pk_add_f16 v57, v0, v38
	v_pk_add_f16 v38, v2, v38
	v_pk_max_f16 v120, v120, v120
	v_pk_min_f16 v38, v121, v38
	v_pk_add_f16 v121, v4, v32
	v_pk_max_f16 v119, v119, v119
	v_pk_min_f16 v120, v120, v121
	v_pk_add_f16 v121, v6, v32
	v_pk_max_f16 v115, v115, v115
	v_pk_min_f16 v119, v119, v121
	v_pk_add_f16 v121, v0, v32
	v_pk_add_f16 v32, v2, v32
	;; [unrolled: 10-line block ×13, first 2 shown]
	v_pk_max_f16 v65, v65, v65
	v_pk_min_f16 v14, v66, v14
	v_pk_add_f16 v66, v4, v8
	v_pk_max_f16 v64, v64, v64
	v_pk_min_f16 v65, v65, v66
	v_pk_add_f16 v66, v6, v8
	v_pk_add_f16 v4, v4, v10
	v_pk_min_f16 v64, v64, v66
	v_pk_add_f16 v66, v0, v8
	v_pk_add_f16 v8, v2, v8
	;; [unrolled: 1-line block ×5, first 2 shown]
	v_pk_max_f16 v10, v61, v61
	v_pk_max_f16 v58, v58, v58
	v_pk_min_f16 v2, v10, v2
	v_pk_add_f16 v10, v5, v37
	v_pk_min_f16 v0, v58, v0
	v_pk_min_f16 v52, v52, v10
	v_pk_add_f16 v10, v7, v37
	v_pk_max_f16 v122, v122, v122
	v_pk_min_f16 v53, v53, v10
	v_pk_add_f16 v10, v1, v37
	v_pk_min_f16 v57, v122, v57
	v_pk_min_f16 v54, v54, v10
	v_pk_add_f16 v10, v3, v37
	v_pk_max_f16 v59, v59, v59
	v_pk_min_f16 v58, v36, v10
	v_pk_add_f16 v10, v5, v39
	v_pk_max_f16 v60, v60, v60
	v_pk_min_f16 v55, v55, v10
	v_pk_add_f16 v10, v7, v39
	v_pk_min_f16 v6, v59, v6
	v_pk_min_f16 v56, v56, v10
	v_pk_add_f16 v10, v1, v39
	v_pk_max_f16 v116, v116, v116
	v_pk_min_f16 v57, v57, v10
	v_pk_add_f16 v10, v3, v39
	v_pk_min_f16 v4, v60, v4
	v_pk_min_f16 v59, v38, v10
	v_pk_add_f16 v10, v5, v33
	v_pk_min_f16 v116, v116, v121
	v_pk_min_f16 v60, v120, v10
	v_pk_add_f16 v10, v7, v33
	v_pk_max_f16 v62, v62, v62
	v_pk_min_f16 v61, v119, v10
	v_pk_add_f16 v10, v1, v33
	v_pk_max_f16 v63, v63, v63
	v_pk_min_f16 v8, v62, v8
	v_pk_min_f16 v62, v116, v10
	v_pk_add_f16 v10, v3, v33
	v_pk_max_f16 v67, v67, v67
	v_pk_min_f16 v63, v63, v66
	v_pk_min_f16 v66, v32, v10
	v_pk_add_f16 v10, v5, v35
	v_pk_max_f16 v112, v112, v112
	v_pk_max_f16 v71, v71, v71
	v_pk_min_f16 v67, v67, v70
	v_pk_min_f16 v70, v114, v10
	v_pk_add_f16 v10, v7, v35
	v_pk_min_f16 v112, v112, v115
	v_pk_max_f16 v75, v75, v75
	v_pk_min_f16 v71, v71, v74
	v_pk_min_f16 v74, v113, v10
	v_pk_add_f16 v10, v1, v35
	v_pk_max_f16 v79, v79, v79
	v_pk_min_f16 v75, v75, v78
	v_pk_min_f16 v78, v112, v10
	v_pk_add_f16 v10, v3, v35
	;; [unrolled: 4-line block ×3, first 2 shown]
	v_pk_max_f16 v105, v105, v105
	v_pk_max_f16 v87, v87, v87
	v_pk_min_f16 v83, v83, v86
	v_pk_min_f16 v86, v107, v10
	v_pk_add_f16 v10, v7, v29
	v_pk_min_f16 v105, v105, v111
	v_pk_max_f16 v91, v91, v91
	v_pk_min_f16 v87, v87, v90
	v_pk_min_f16 v90, v106, v10
	v_pk_add_f16 v10, v1, v29
	v_pk_max_f16 v95, v95, v95
	v_pk_min_f16 v91, v91, v94
	v_pk_min_f16 v94, v105, v10
	v_pk_add_f16 v10, v3, v29
	v_pk_min_f16 v95, v95, v98
	v_pk_min_f16 v98, v28, v10
	v_pk_add_f16 v10, v5, v31
	v_pk_max_f16 v99, v99, v99
	v_pk_min_f16 v103, v103, v10
	v_pk_add_f16 v10, v7, v31
	v_pk_min_f16 v99, v99, v104
	v_pk_min_f16 v102, v102, v10
	v_pk_add_f16 v10, v1, v31
	v_pk_max_f16 v58, v58, v58
	v_pk_min_f16 v99, v99, v10
	v_pk_add_f16 v10, v3, v31
	v_pk_max_f16 v59, v59, v59
	;; [unrolled: 3-line block ×8, first 2 shown]
	v_pk_min_f16 v92, v92, v10
	v_pk_add_f16 v10, v1, v27
	s_add_i32 s22, s22, 8
	v_pk_min_f16 v91, v91, v10
	v_pk_add_f16 v10, v3, v27
	v_lshl_add_u64 v[42:43], v[42:43], 0, 16
	v_pk_min_f16 v138, v26, v10
	v_pk_add_f16 v10, v5, v21
	v_lshl_add_u64 v[44:45], v[44:45], 0, 16
	;; [unrolled: 3-line block ×3, first 2 shown]
	v_pk_min_f16 v88, v88, v10
	v_pk_add_f16 v10, v1, v21
	s_cmp_ge_i32 s22, s15
	v_pk_min_f16 v87, v87, v10
	v_pk_add_f16 v10, v3, v21
	v_lshl_add_u64 v[48:49], v[48:49], 0, 16
	v_pk_min_f16 v139, v20, v10
	v_pk_add_f16 v10, v5, v23
	s_nop 0
	v_pk_min_f16 v85, v85, v10
	v_pk_add_f16 v10, v7, v23
	s_nop 0
	;; [unrolled: 3-line block ×20, first 2 shown]
	v_pk_min_f16 v144, v14, v10
	v_pk_add_f16 v10, v5, v9
	v_pk_add_f16 v5, v5, v11
	v_pk_min_f16 v65, v65, v10
	v_pk_add_f16 v10, v7, v9
	v_pk_min_f16 v146, v4, v5
	v_pk_min_f16 v64, v64, v10
	v_pk_add_f16 v10, v1, v9
	v_pk_add_f16 v1, v1, v11
	;; [unrolled: 1-line block ×4, first 2 shown]
	v_pk_min_f16 v148, v0, v1
	v_pk_add_f16 v0, v3, v11
	v_pk_min_f16 v63, v63, v10
	v_pk_min_f16 v145, v8, v9
	;; [unrolled: 1-line block ×4, first 2 shown]
	ds_read2_b64 v[4:7], v109 offset1:32
	ds_read2_b64 v[0:3], v109 offset0:64 offset1:96
	ds_read2_b64 v[32:35], v118 offset1:8
	ds_read2_b64 v[36:39], v118 offset0:16 offset1:24
	ds_read2_b64 v[28:31], v118 offset0:32 offset1:40
	;; [unrolled: 1-line block ×7, first 2 shown]
	s_waitcnt lgkmcnt(0)
	v_pk_add_f16 v104, v4, v32
	v_pk_add_f16 v105, v6, v32
	v_pk_add_f16 v106, v0, v32
	v_pk_add_f16 v32, v2, v32
	v_pk_add_f16 v116, v5, v33
	v_pk_add_f16 v119, v7, v33
	v_pk_add_f16 v120, v1, v33
	v_pk_add_f16 v33, v3, v33
	v_pk_min_f16 v32, v58, v32
	v_pk_add_f16 v107, v4, v34
	v_pk_add_f16 v111, v6, v34
	;; [unrolled: 1-line block ×4, first 2 shown]
	v_pk_min_f16 v125, v32, v33
	v_pk_max_f16 v33, v55, v55
	v_pk_add_f16 v113, v4, v36
	v_pk_add_f16 v114, v6, v36
	;; [unrolled: 1-line block ×8, first 2 shown]
	v_pk_min_f16 v33, v33, v107
	v_pk_min_f16 v34, v59, v34
	v_pk_add_f16 v162, v5, v37
	v_pk_add_f16 v163, v7, v37
	;; [unrolled: 1-line block ×4, first 2 shown]
	v_pk_min_f16 v124, v33, v121
	v_pk_min_f16 v121, v34, v35
	v_pk_max_f16 v35, v60, v60
	v_pk_max_f16 v60, v61, v61
	;; [unrolled: 1-line block ×3, first 2 shown]
	v_pk_min_f16 v36, v66, v36
	v_pk_add_f16 v151, v6, v38
	v_pk_min_f16 v61, v61, v115
	v_pk_min_f16 v115, v36, v37
	v_pk_max_f16 v37, v70, v70
	v_pk_max_f16 v70, v74, v74
	v_pk_add_f16 v150, v4, v38
	v_pk_add_f16 v166, v7, v39
	v_pk_min_f16 v70, v70, v151
	v_pk_add_f16 v152, v0, v38
	v_pk_add_f16 v165, v5, v39
	v_pk_min_f16 v52, v52, v104
	v_pk_min_f16 v53, v53, v105
	;; [unrolled: 1-line block ×9, first 2 shown]
	v_pk_max_f16 v70, v78, v78
	v_pk_add_f16 v38, v2, v38
	v_pk_add_f16 v153, v4, v28
	;; [unrolled: 1-line block ×15, first 2 shown]
	v_pk_min_f16 v128, v52, v116
	v_pk_add_f16 v52, v0, v26
	v_pk_add_f16 v26, v2, v26
	v_pk_min_f16 v127, v53, v119
	v_pk_add_f16 v53, v4, v20
	v_pk_add_f16 v171, v6, v20
	;; [unrolled: 3-line block ×3, first 2 shown]
	v_pk_add_f16 v32, v4, v22
	v_pk_add_f16 v55, v6, v22
	;; [unrolled: 1-line block ×4, first 2 shown]
	v_pk_min_f16 v123, v56, v122
	v_pk_add_f16 v56, v4, v16
	v_pk_add_f16 v58, v6, v16
	v_pk_min_f16 v122, v57, v161
	v_pk_add_f16 v57, v0, v16
	v_pk_add_f16 v16, v2, v16
	;; [unrolled: 1-line block ×4, first 2 shown]
	v_pk_min_f16 v120, v35, v162
	v_pk_add_f16 v35, v0, v18
	v_pk_add_f16 v18, v2, v18
	v_pk_min_f16 v119, v60, v163
	v_pk_add_f16 v60, v4, v12
	v_pk_add_f16 v62, v6, v12
	;; [unrolled: 3-line block ×3, first 2 shown]
	v_pk_add_f16 v36, v4, v14
	v_pk_add_f16 v66, v6, v14
	v_pk_min_f16 v114, v37, v165
	v_pk_add_f16 v37, v0, v14
	v_pk_add_f16 v14, v2, v14
	v_pk_add_f16 v150, v4, v8
	v_pk_min_f16 v70, v70, v152
	v_pk_add_f16 v151, v6, v8
	v_pk_add_f16 v152, v0, v8
	;; [unrolled: 1-line block ×7, first 2 shown]
	v_pk_max_f16 v10, v98, v98
	v_pk_add_f16 v167, v1, v39
	v_pk_min_f16 v10, v10, v28
	v_pk_add_f16 v28, v3, v29
	v_pk_min_f16 v112, v70, v167
	v_pk_min_f16 v104, v10, v28
	v_pk_max_f16 v28, v103, v103
	v_pk_add_f16 v10, v5, v31
	v_pk_min_f16 v28, v28, v156
	v_pk_max_f16 v70, v82, v82
	v_pk_min_f16 v103, v28, v10
	v_pk_max_f16 v28, v102, v102
	v_pk_add_f16 v10, v7, v31
	v_pk_min_f16 v28, v28, v157
	v_pk_add_f16 v39, v3, v39
	v_pk_min_f16 v102, v28, v10
	v_pk_max_f16 v28, v99, v99
	v_pk_add_f16 v10, v1, v31
	v_pk_min_f16 v28, v28, v158
	v_pk_min_f16 v38, v70, v38
	;; [unrolled: 1-line block ×3, first 2 shown]
	v_pk_max_f16 v28, v136, v136
	v_pk_add_f16 v10, v3, v31
	v_pk_min_f16 v28, v28, v30
	v_pk_min_f16 v111, v38, v39
	;; [unrolled: 1-line block ×3, first 2 shown]
	v_pk_max_f16 v28, v97, v97
	v_pk_add_f16 v10, v5, v25
	v_pk_min_f16 v28, v28, v159
	v_pk_max_f16 v38, v86, v86
	v_pk_min_f16 v97, v28, v10
	v_pk_max_f16 v28, v96, v96
	v_pk_add_f16 v10, v7, v25
	v_pk_min_f16 v28, v28, v160
	v_pk_min_f16 v38, v38, v153
	;; [unrolled: 1-line block ×3, first 2 shown]
	v_pk_max_f16 v28, v95, v95
	v_pk_add_f16 v39, v5, v29
	v_pk_add_f16 v10, v1, v25
	v_pk_min_f16 v28, v28, v168
	v_pk_min_f16 v107, v38, v39
	v_pk_max_f16 v38, v90, v90
	v_pk_min_f16 v95, v28, v10
	v_pk_add_f16 v10, v3, v25
	v_pk_max_f16 v25, v137, v137
	v_pk_min_f16 v38, v38, v154
	v_pk_add_f16 v39, v7, v29
	v_pk_min_f16 v24, v25, v24
	v_pk_min_f16 v106, v38, v39
	v_pk_max_f16 v38, v94, v94
	v_pk_min_f16 v94, v24, v10
	v_pk_max_f16 v24, v93, v93
	v_pk_add_f16 v10, v5, v27
	v_pk_min_f16 v24, v24, v169
	v_pk_add_f16 v39, v1, v29
	v_pk_min_f16 v93, v24, v10
	v_pk_max_f16 v24, v92, v92
	v_pk_add_f16 v10, v7, v27
	v_pk_min_f16 v24, v24, v170
	v_pk_min_f16 v38, v38, v155
	;; [unrolled: 1-line block ×3, first 2 shown]
	v_pk_max_f16 v24, v91, v91
	v_pk_add_f16 v10, v1, v27
	v_pk_min_f16 v24, v24, v52
	v_pk_min_f16 v105, v38, v39
	v_pk_min_f16 v91, v24, v10
	v_pk_max_f16 v24, v138, v138
	v_pk_add_f16 v10, v3, v27
	v_pk_min_f16 v24, v24, v26
	s_waitcnt vmcnt(0)
	ds_write_b16 v130, v135
	ds_write_b16 v130, v134 offset:512
	ds_write_b16 v131, v51
	ds_write_b16 v131, v50 offset:512
	v_pk_min_f16 v90, v24, v10
	v_pk_max_f16 v24, v89, v89
	v_pk_add_f16 v10, v5, v21
	v_pk_min_f16 v24, v24, v53
	s_waitcnt lgkmcnt(0)
	v_pk_min_f16 v89, v24, v10
	v_pk_max_f16 v24, v88, v88
	v_pk_add_f16 v10, v7, v21
	v_pk_min_f16 v24, v24, v171
	s_barrier
	v_pk_min_f16 v88, v24, v10
	v_pk_max_f16 v24, v87, v87
	v_pk_add_f16 v10, v1, v21
	v_pk_min_f16 v24, v24, v54
	s_nop 0
	v_pk_min_f16 v87, v24, v10
	v_pk_add_f16 v10, v3, v21
	v_pk_max_f16 v21, v139, v139
	s_nop 0
	v_pk_min_f16 v20, v21, v20
	s_nop 0
	v_pk_min_f16 v86, v20, v10
	v_pk_max_f16 v20, v85, v85
	v_pk_add_f16 v10, v5, v23
	v_pk_min_f16 v20, v20, v32
	s_nop 0
	v_pk_min_f16 v85, v20, v10
	v_pk_max_f16 v20, v84, v84
	v_pk_add_f16 v10, v7, v23
	v_pk_min_f16 v20, v20, v55
	s_nop 0
	v_pk_min_f16 v84, v20, v10
	v_pk_max_f16 v20, v83, v83
	v_pk_add_f16 v10, v1, v23
	v_pk_min_f16 v20, v20, v33
	s_nop 0
	v_pk_min_f16 v83, v20, v10
	v_pk_max_f16 v20, v140, v140
	v_pk_add_f16 v10, v3, v23
	v_pk_min_f16 v20, v20, v22
	s_nop 0
	v_pk_min_f16 v82, v20, v10
	v_pk_max_f16 v20, v81, v81
	v_pk_add_f16 v10, v5, v17
	v_pk_min_f16 v20, v20, v56
	s_nop 0
	v_pk_min_f16 v81, v20, v10
	v_pk_max_f16 v20, v80, v80
	v_pk_add_f16 v10, v7, v17
	v_pk_min_f16 v20, v20, v58
	s_nop 0
	v_pk_min_f16 v80, v20, v10
	v_pk_max_f16 v20, v79, v79
	v_pk_add_f16 v10, v1, v17
	v_pk_min_f16 v20, v20, v57
	s_nop 0
	v_pk_min_f16 v79, v20, v10
	v_pk_add_f16 v10, v3, v17
	v_pk_max_f16 v17, v141, v141
	s_nop 0
	v_pk_min_f16 v16, v17, v16
	s_nop 0
	v_pk_min_f16 v78, v16, v10
	v_pk_max_f16 v16, v77, v77
	v_pk_add_f16 v10, v5, v19
	v_pk_min_f16 v16, v16, v34
	s_nop 0
	v_pk_min_f16 v77, v16, v10
	v_pk_max_f16 v16, v76, v76
	v_pk_add_f16 v10, v7, v19
	;; [unrolled: 5-line block ×7, first 2 shown]
	v_pk_min_f16 v16, v16, v61
	s_nop 0
	v_pk_min_f16 v71, v16, v10
	v_pk_add_f16 v10, v3, v13
	v_pk_max_f16 v13, v143, v143
	s_nop 0
	v_pk_min_f16 v12, v13, v12
	s_nop 0
	v_pk_min_f16 v70, v12, v10
	v_pk_max_f16 v12, v69, v69
	v_pk_add_f16 v10, v5, v15
	v_pk_min_f16 v12, v12, v36
	s_nop 0
	v_pk_min_f16 v69, v12, v10
	v_pk_max_f16 v12, v68, v68
	v_pk_add_f16 v10, v7, v15
	;; [unrolled: 5-line block ×5, first 2 shown]
	v_pk_min_f16 v12, v12, v150
	v_pk_add_f16 v5, v5, v11
	v_pk_min_f16 v65, v12, v10
	v_pk_max_f16 v12, v64, v64
	v_pk_add_f16 v10, v7, v9
	v_pk_min_f16 v12, v12, v151
	s_nop 0
	v_pk_min_f16 v64, v12, v10
	v_pk_max_f16 v12, v63, v63
	v_pk_add_f16 v10, v1, v9
	v_pk_min_f16 v12, v12, v152
	v_pk_add_f16 v9, v3, v9
	v_pk_min_f16 v63, v12, v10
	v_pk_max_f16 v10, v145, v145
	v_pk_add_f16 v1, v1, v11
	v_pk_min_f16 v8, v10, v8
	s_nop 0
	v_pk_min_f16 v62, v8, v9
	v_pk_max_f16 v8, v146, v146
	s_nop 0
	v_pk_min_f16 v4, v8, v4
	s_nop 0
	v_pk_min_f16 v60, v4, v5
	v_pk_max_f16 v5, v147, v147
	v_pk_add_f16 v4, v7, v11
	v_pk_min_f16 v5, v5, v6
	s_nop 0
	v_pk_min_f16 v59, v5, v4
	v_pk_max_f16 v4, v148, v148
	s_nop 0
	v_pk_min_f16 v0, v4, v0
	s_nop 0
	v_pk_min_f16 v58, v0, v1
	v_pk_max_f16 v1, v149, v149
	v_pk_add_f16 v0, v3, v11
	v_pk_min_f16 v1, v1, v2
	s_nop 0
	v_pk_min_f16 v61, v1, v0
	s_cbranch_scc1 .LBB217_43
.LBB217_27:                             ; =>This Inner Loop Header: Depth=1
	v_add_u32_e32 v134, s22, v110
	v_add_u32_e32 v0, 8, v134
	v_cmp_le_i32_e64 s[8:9], s14, v0
	s_nor_b64 s[24:25], vcc, s[8:9]
	v_mov_b32_e32 v135, 0x7c00
	v_lshl_add_u64 v[50:51], v[46:47], 0, v[40:41]
	v_mov_b32_e32 v136, 0x7c00
	s_and_saveexec_b64 s[20:21], s[24:25]
	s_cbranch_execz .LBB217_29
; %bb.28:                               ;   in Loop: Header=BB217_27 Depth=1
	flat_load_ushort v136, v[50:51] offset:16
.LBB217_29:                             ;   in Loop: Header=BB217_27 Depth=1
	s_or_b64 exec, exec, s[20:21]
	s_nor_b64 s[24:25], s[2:3], s[8:9]
	v_lshl_add_u64 v[52:53], v[48:49], 0, v[40:41]
	s_and_saveexec_b64 s[20:21], s[24:25]
	s_cbranch_execz .LBB217_31
; %bb.30:                               ;   in Loop: Header=BB217_27 Depth=1
	flat_load_ushort v135, v[52:53] offset:16
.LBB217_31:                             ;   in Loop: Header=BB217_27 Depth=1
	s_or_b64 exec, exec, s[20:21]
	s_nor_b64 s[24:25], s[4:5], s[8:9]
	v_mov_b32_e32 v137, 0x7c00
	v_lshl_add_u64 v[54:55], v[42:43], 0, v[40:41]
	v_mov_b32_e32 v138, 0x7c00
	s_and_saveexec_b64 s[20:21], s[24:25]
	s_cbranch_execz .LBB217_33
; %bb.32:                               ;   in Loop: Header=BB217_27 Depth=1
	flat_load_ushort v138, v[54:55] offset:16
.LBB217_33:                             ;   in Loop: Header=BB217_27 Depth=1
	s_or_b64 exec, exec, s[20:21]
	s_nor_b64 s[20:21], s[6:7], s[8:9]
	v_lshl_add_u64 v[56:57], v[44:45], 0, v[40:41]
	s_and_saveexec_b64 s[8:9], s[20:21]
	s_cbranch_execz .LBB217_35
; %bb.34:                               ;   in Loop: Header=BB217_27 Depth=1
	flat_load_ushort v137, v[56:57] offset:16
.LBB217_35:                             ;   in Loop: Header=BB217_27 Depth=1
	s_or_b64 exec, exec, s[8:9]
	ds_read2_b64 v[4:7], v132 offset1:32
	ds_read2_b64 v[0:3], v132 offset0:64 offset1:96
	ds_read2_b64 v[36:39], v133 offset1:8
	ds_read2_b64 v[32:35], v133 offset0:16 offset1:24
	ds_read2_b64 v[28:31], v133 offset0:32 offset1:40
	;; [unrolled: 1-line block ×7, first 2 shown]
	v_add_u32_e32 v134, 12, v134
	v_cmp_le_i32_e64 s[8:9], s14, v134
	s_waitcnt vmcnt(0) lgkmcnt(0)
	ds_write_b16 v117, v136
	ds_write_b16 v117, v135 offset:512
	ds_write_b16 v129, v138
	ds_write_b16 v129, v137 offset:512
	s_nor_b64 s[24:25], vcc, s[8:9]
	v_mov_b32_e32 v134, 0x7c00
	v_mov_b32_e32 v135, 0x7c00
	s_waitcnt lgkmcnt(0)
	s_barrier
	s_and_saveexec_b64 s[20:21], s[24:25]
	s_cbranch_execz .LBB217_37
; %bb.36:                               ;   in Loop: Header=BB217_27 Depth=1
	flat_load_ushort v135, v[50:51] offset:24
.LBB217_37:                             ;   in Loop: Header=BB217_27 Depth=1
	s_or_b64 exec, exec, s[20:21]
	s_nor_b64 s[24:25], s[2:3], s[8:9]
	s_and_saveexec_b64 s[20:21], s[24:25]
	s_cbranch_execz .LBB217_39
; %bb.38:                               ;   in Loop: Header=BB217_27 Depth=1
	flat_load_ushort v134, v[52:53] offset:24
.LBB217_39:                             ;   in Loop: Header=BB217_27 Depth=1
	s_or_b64 exec, exec, s[20:21]
	s_nor_b64 s[24:25], s[4:5], s[8:9]
	v_mov_b32_e32 v50, 0x7c00
	v_mov_b32_e32 v51, 0x7c00
	s_and_saveexec_b64 s[20:21], s[24:25]
	s_cbranch_execz .LBB217_41
; %bb.40:                               ;   in Loop: Header=BB217_27 Depth=1
	flat_load_ushort v51, v[54:55] offset:24
.LBB217_41:                             ;   in Loop: Header=BB217_27 Depth=1
	s_or_b64 exec, exec, s[20:21]
	s_nor_b64 s[20:21], s[6:7], s[8:9]
	s_and_saveexec_b64 s[8:9], s[20:21]
	s_cbranch_execz .LBB217_26
; %bb.42:                               ;   in Loop: Header=BB217_27 Depth=1
	flat_load_ushort v50, v[56:57] offset:24
	s_branch .LBB217_26
.LBB217_43:
	v_add_u32_e32 v4, 0x800, v108
	s_load_dwordx2 s[2:3], s[0:1], 0x70
	s_load_dword s21, s[0:1], 0x50
	s_load_dword s20, s[0:1], 0x68
	ds_read2_b64 v[8:11], v109 offset0:128 offset1:160
	ds_read2_b64 v[0:3], v109 offset0:192 offset1:224
	;; [unrolled: 1-line block ×10, first 2 shown]
	s_waitcnt lgkmcnt(0)
	s_lshl_b64 s[0:1], s[2:3], 1
	s_add_u32 s14, s10, s0
	v_add_u32_e32 v52, s28, v101
	s_addc_u32 s15, s11, s1
	v_mad_i64_i32 v[42:43], s[0:1], v52, s21, 0
	v_add_u32_e32 v40, s27, v100
	v_lshl_add_u64 v[50:51], v[42:43], 1, s[16:17]
	v_mad_i64_i32 v[42:43], s[0:1], v52, s20, 0
	v_cmp_gt_i32_e64 s[2:3], s12, v40
	v_cmp_gt_i32_e64 s[10:11], s13, v52
	v_lshl_add_u64 v[48:49], v[42:43], 1, s[14:15]
	v_cndmask_b32_e64 v42, 0, 1, s[18:19]
	v_ashrrev_i32_e32 v41, 31, v40
	s_and_b64 s[6:7], s[2:3], s[10:11]
	v_cmp_ne_u32_e64 s[0:1], 1, v42
	s_and_saveexec_b64 s[4:5], s[6:7]
	s_cbranch_execz .LBB217_48
; %bb.44:
	s_and_b64 vcc, exec, s[0:1]
	s_cbranch_vccnz .LBB217_46
; %bb.45:
	v_lshl_add_u64 v[42:43], v[40:41], 1, v[50:51]
	flat_load_ushort v42, v[42:43]
	s_waitcnt vmcnt(0) lgkmcnt(0)
	v_mul_f16_e32 v42, s26, v42
	v_cvt_f32_f16_e32 v42, v42
	s_branch .LBB217_47
.LBB217_46:
	v_mov_b32_e32 v42, 0
.LBB217_47:
	v_pk_add_f16 v43, v8, v36
	v_max_f16_e32 v44, v128, v128
	v_pk_add_f16 v46, v9, v37
	v_min_f16_e32 v44, v44, v43
	v_lshrrev_b32_e32 v45, 16, v128
	v_lshrrev_b32_e32 v43, 16, v43
	v_lshrrev_b32_e32 v47, 16, v46
	v_min3_f16 v43, v45, v43, v47
	v_min3_f16 v43, v44, v46, v43
	v_cvt_f32_f16_e32 v43, v43
	v_max_f32_e32 v42, v42, v42
	v_min_f32_e32 v42, v42, v43
	v_cvt_f16_f32_e32 v44, v42
	v_lshl_add_u64 v[42:43], v[40:41], 1, v[48:49]
	flat_store_short v[42:43], v44
.LBB217_48:
	s_or_b64 exec, exec, s[4:5]
	v_add_u32_e32 v42, 32, v40
	v_cmp_gt_i32_e64 s[4:5], s12, v42
	v_ashrrev_i32_e32 v43, 31, v42
	s_and_b64 s[8:9], s[4:5], s[10:11]
	s_and_saveexec_b64 s[6:7], s[8:9]
	s_cbranch_execz .LBB217_53
; %bb.49:
	s_and_b64 vcc, exec, s[0:1]
	s_cbranch_vccnz .LBB217_51
; %bb.50:
	v_lshl_add_u64 v[44:45], v[42:43], 1, v[50:51]
	flat_load_ushort v44, v[44:45]
	s_waitcnt vmcnt(0) lgkmcnt(0)
	v_mul_f16_e32 v44, s26, v44
	v_cvt_f32_f16_e32 v44, v44
	s_branch .LBB217_52
.LBB217_51:
	v_mov_b32_e32 v44, 0
.LBB217_52:
	v_pk_add_f16 v45, v10, v36
	v_max_f16_e32 v46, v127, v127
	v_pk_add_f16 v53, v11, v37
	v_min_f16_e32 v46, v46, v45
	v_lshrrev_b32_e32 v47, 16, v127
	v_lshrrev_b32_e32 v45, 16, v45
	v_lshrrev_b32_e32 v54, 16, v53
	v_min3_f16 v45, v47, v45, v54
	v_min3_f16 v45, v46, v53, v45
	v_cvt_f32_f16_e32 v45, v45
	v_max_f32_e32 v44, v44, v44
	v_min_f32_e32 v44, v44, v45
	v_cvt_f16_f32_e32 v46, v44
	v_lshl_add_u64 v[44:45], v[42:43], 1, v[48:49]
	flat_store_short v[44:45], v46
.LBB217_53:
	s_or_b64 exec, exec, s[6:7]
	v_add_u32_e32 v44, 64, v40
	v_cmp_gt_i32_e64 s[6:7], s12, v44
	v_ashrrev_i32_e32 v45, 31, v44
	s_and_b64 s[18:19], s[6:7], s[10:11]
	;; [unrolled: 36-line block ×3, first 2 shown]
	s_and_saveexec_b64 s[10:11], s[18:19]
	s_cbranch_execz .LBB217_63
; %bb.59:
	s_and_b64 vcc, exec, s[0:1]
	s_cbranch_vccnz .LBB217_61
; %bb.60:
	v_lshl_add_u64 v[50:51], v[46:47], 1, v[50:51]
	flat_load_ushort v50, v[50:51]
	s_waitcnt vmcnt(0) lgkmcnt(0)
	v_mul_f16_e32 v50, s26, v50
	v_cvt_f32_f16_e32 v50, v50
	s_branch .LBB217_62
.LBB217_61:
	v_mov_b32_e32 v50, 0
.LBB217_62:
	v_pk_add_f16 v36, v2, v36
	v_max_f16_e32 v51, v125, v125
	v_pk_add_f16 v37, v3, v37
	v_min_f16_e32 v51, v51, v36
	v_lshrrev_b32_e32 v53, 16, v125
	v_lshrrev_b32_e32 v36, 16, v36
	;; [unrolled: 1-line block ×3, first 2 shown]
	v_min3_f16 v36, v53, v36, v54
	v_min3_f16 v36, v51, v37, v36
	v_cvt_f32_f16_e32 v36, v36
	v_max_f32_e32 v37, v50, v50
	v_min_f32_e32 v36, v37, v36
	v_cvt_f16_f32_e32 v50, v36
	v_lshl_add_u64 v[36:37], v[46:47], 1, v[48:49]
	flat_store_short v[36:37], v50
.LBB217_63:
	s_or_b64 exec, exec, s[10:11]
	v_add_u32_e32 v50, 8, v52
	v_mad_i64_i32 v[36:37], s[18:19], v50, s21, 0
	v_cmp_gt_i32_e64 s[10:11], s13, v50
	v_lshl_add_u64 v[48:49], v[36:37], 1, s[16:17]
	v_mad_i64_i32 v[36:37], s[18:19], v50, s20, 0
	v_lshl_add_u64 v[36:37], v[36:37], 1, s[14:15]
	s_and_b64 s[22:23], s[2:3], s[10:11]
	s_and_saveexec_b64 s[18:19], s[22:23]
	s_cbranch_execnz .LBB217_67
; %bb.64:
	s_or_b64 exec, exec, s[18:19]
	s_and_b64 s[22:23], s[4:5], s[10:11]
	s_and_saveexec_b64 s[18:19], s[22:23]
	s_cbranch_execnz .LBB217_71
.LBB217_65:
	s_or_b64 exec, exec, s[18:19]
	s_and_b64 s[22:23], s[6:7], s[10:11]
	s_and_saveexec_b64 s[18:19], s[22:23]
	s_cbranch_execnz .LBB217_75
.LBB217_66:
	s_or_b64 exec, exec, s[18:19]
	s_and_b64 s[18:19], s[8:9], s[10:11]
	s_and_saveexec_b64 s[10:11], s[18:19]
	s_cbranch_execnz .LBB217_79
	s_branch .LBB217_83
.LBB217_67:
	s_and_b64 vcc, exec, s[0:1]
	s_cbranch_vccnz .LBB217_69
; %bb.68:
	v_lshl_add_u64 v[50:51], v[40:41], 1, v[48:49]
	flat_load_ushort v50, v[50:51]
	s_waitcnt vmcnt(0) lgkmcnt(0)
	v_mul_f16_e32 v50, s26, v50
	v_cvt_f32_f16_e32 v50, v50
	s_branch .LBB217_70
.LBB217_69:
	v_mov_b32_e32 v50, 0
.LBB217_70:
	v_pk_add_f16 v51, v8, v38
	v_max_f16_e32 v53, v124, v124
	v_pk_add_f16 v55, v9, v39
	v_min_f16_e32 v53, v53, v51
	v_lshrrev_b32_e32 v54, 16, v124
	v_lshrrev_b32_e32 v51, 16, v51
	;; [unrolled: 1-line block ×3, first 2 shown]
	v_min3_f16 v51, v54, v51, v56
	v_min3_f16 v51, v53, v55, v51
	v_cvt_f32_f16_e32 v51, v51
	v_max_f32_e32 v50, v50, v50
	v_min_f32_e32 v50, v50, v51
	v_cvt_f16_f32_e32 v53, v50
	v_lshl_add_u64 v[50:51], v[40:41], 1, v[36:37]
	flat_store_short v[50:51], v53
	s_or_b64 exec, exec, s[18:19]
	s_and_b64 s[22:23], s[4:5], s[10:11]
	s_and_saveexec_b64 s[18:19], s[22:23]
	s_cbranch_execz .LBB217_65
.LBB217_71:
	s_and_b64 vcc, exec, s[0:1]
	s_cbranch_vccnz .LBB217_73
; %bb.72:
	v_lshl_add_u64 v[50:51], v[42:43], 1, v[48:49]
	flat_load_ushort v50, v[50:51]
	s_waitcnt vmcnt(0) lgkmcnt(0)
	v_mul_f16_e32 v50, s26, v50
	v_cvt_f32_f16_e32 v50, v50
	s_branch .LBB217_74
.LBB217_73:
	v_mov_b32_e32 v50, 0
.LBB217_74:
	v_pk_add_f16 v51, v10, v38
	v_max_f16_e32 v53, v123, v123
	v_pk_add_f16 v55, v11, v39
	v_min_f16_e32 v53, v53, v51
	v_lshrrev_b32_e32 v54, 16, v123
	v_lshrrev_b32_e32 v51, 16, v51
	;; [unrolled: 1-line block ×3, first 2 shown]
	v_min3_f16 v51, v54, v51, v56
	v_min3_f16 v51, v53, v55, v51
	v_cvt_f32_f16_e32 v51, v51
	v_max_f32_e32 v50, v50, v50
	v_min_f32_e32 v50, v50, v51
	v_cvt_f16_f32_e32 v53, v50
	v_lshl_add_u64 v[50:51], v[42:43], 1, v[36:37]
	flat_store_short v[50:51], v53
	s_or_b64 exec, exec, s[18:19]
	s_and_b64 s[22:23], s[6:7], s[10:11]
	s_and_saveexec_b64 s[18:19], s[22:23]
	s_cbranch_execz .LBB217_66
.LBB217_75:
	s_and_b64 vcc, exec, s[0:1]
	s_cbranch_vccnz .LBB217_77
; %bb.76:
	v_lshl_add_u64 v[50:51], v[44:45], 1, v[48:49]
	flat_load_ushort v50, v[50:51]
	s_waitcnt vmcnt(0) lgkmcnt(0)
	v_mul_f16_e32 v50, s26, v50
	v_cvt_f32_f16_e32 v50, v50
	s_branch .LBB217_78
.LBB217_77:
	v_mov_b32_e32 v50, 0
.LBB217_78:
	v_pk_add_f16 v51, v0, v38
	v_max_f16_e32 v53, v122, v122
	v_pk_add_f16 v55, v1, v39
	v_min_f16_e32 v53, v53, v51
	v_lshrrev_b32_e32 v54, 16, v122
	v_lshrrev_b32_e32 v51, 16, v51
	;; [unrolled: 1-line block ×3, first 2 shown]
	v_min3_f16 v51, v54, v51, v56
	v_min3_f16 v51, v53, v55, v51
	v_cvt_f32_f16_e32 v51, v51
	v_max_f32_e32 v50, v50, v50
	v_min_f32_e32 v50, v50, v51
	v_cvt_f16_f32_e32 v53, v50
	v_lshl_add_u64 v[50:51], v[44:45], 1, v[36:37]
	flat_store_short v[50:51], v53
	s_or_b64 exec, exec, s[18:19]
	s_and_b64 s[18:19], s[8:9], s[10:11]
	s_and_saveexec_b64 s[10:11], s[18:19]
	s_cbranch_execz .LBB217_83
.LBB217_79:
	s_and_b64 vcc, exec, s[0:1]
	s_cbranch_vccnz .LBB217_81
; %bb.80:
	v_lshl_add_u64 v[48:49], v[46:47], 1, v[48:49]
	flat_load_ushort v48, v[48:49]
	s_waitcnt vmcnt(0) lgkmcnt(0)
	v_mul_f16_e32 v48, s26, v48
	v_cvt_f32_f16_e32 v48, v48
	s_branch .LBB217_82
.LBB217_81:
	v_mov_b32_e32 v48, 0
.LBB217_82:
	v_pk_add_f16 v38, v2, v38
	v_max_f16_e32 v49, v121, v121
	v_pk_add_f16 v39, v3, v39
	v_min_f16_e32 v49, v49, v38
	v_lshrrev_b32_e32 v50, 16, v121
	v_lshrrev_b32_e32 v38, 16, v38
	;; [unrolled: 1-line block ×3, first 2 shown]
	v_min3_f16 v38, v50, v38, v51
	v_min3_f16 v38, v49, v39, v38
	v_cvt_f32_f16_e32 v38, v38
	v_max_f32_e32 v39, v48, v48
	v_lshl_add_u64 v[36:37], v[46:47], 1, v[36:37]
	v_min_f32_e32 v38, v39, v38
	v_cvt_f16_f32_e32 v38, v38
	flat_store_short v[36:37], v38
.LBB217_83:
	s_or_b64 exec, exec, s[10:11]
	v_add_u32_e32 v48, 16, v52
	v_mad_i64_i32 v[36:37], s[18:19], v48, s21, 0
	v_cmp_gt_i32_e64 s[10:11], s13, v48
	v_lshl_add_u64 v[38:39], v[36:37], 1, s[16:17]
	v_mad_i64_i32 v[36:37], s[18:19], v48, s20, 0
	v_lshl_add_u64 v[36:37], v[36:37], 1, s[14:15]
	s_and_b64 s[22:23], s[2:3], s[10:11]
	s_and_saveexec_b64 s[18:19], s[22:23]
	s_cbranch_execnz .LBB217_87
; %bb.84:
	s_or_b64 exec, exec, s[18:19]
	s_and_b64 s[22:23], s[4:5], s[10:11]
	s_and_saveexec_b64 s[18:19], s[22:23]
	s_cbranch_execnz .LBB217_91
.LBB217_85:
	s_or_b64 exec, exec, s[18:19]
	s_and_b64 s[22:23], s[6:7], s[10:11]
	s_and_saveexec_b64 s[18:19], s[22:23]
	s_cbranch_execnz .LBB217_95
.LBB217_86:
	s_or_b64 exec, exec, s[18:19]
	s_and_b64 s[18:19], s[8:9], s[10:11]
	s_and_saveexec_b64 s[10:11], s[18:19]
	s_cbranch_execnz .LBB217_99
	s_branch .LBB217_103
.LBB217_87:
	s_and_b64 vcc, exec, s[0:1]
	s_cbranch_vccnz .LBB217_89
; %bb.88:
	v_lshl_add_u64 v[48:49], v[40:41], 1, v[38:39]
	flat_load_ushort v48, v[48:49]
	s_waitcnt vmcnt(0) lgkmcnt(0)
	v_mul_f16_e32 v48, s26, v48
	v_cvt_f32_f16_e32 v48, v48
	s_branch .LBB217_90
.LBB217_89:
	v_mov_b32_e32 v48, 0
.LBB217_90:
	v_pk_add_f16 v49, v8, v32
	v_max_f16_e32 v50, v120, v120
	v_pk_add_f16 v53, v9, v33
	v_min_f16_e32 v50, v50, v49
	v_lshrrev_b32_e32 v51, 16, v120
	v_lshrrev_b32_e32 v49, 16, v49
	;; [unrolled: 1-line block ×3, first 2 shown]
	v_min3_f16 v49, v51, v49, v54
	v_min3_f16 v49, v50, v53, v49
	v_cvt_f32_f16_e32 v49, v49
	v_max_f32_e32 v48, v48, v48
	v_min_f32_e32 v48, v48, v49
	v_cvt_f16_f32_e32 v50, v48
	v_lshl_add_u64 v[48:49], v[40:41], 1, v[36:37]
	flat_store_short v[48:49], v50
	s_or_b64 exec, exec, s[18:19]
	s_and_b64 s[22:23], s[4:5], s[10:11]
	s_and_saveexec_b64 s[18:19], s[22:23]
	s_cbranch_execz .LBB217_85
.LBB217_91:
	s_and_b64 vcc, exec, s[0:1]
	s_cbranch_vccnz .LBB217_93
; %bb.92:
	v_lshl_add_u64 v[48:49], v[42:43], 1, v[38:39]
	flat_load_ushort v48, v[48:49]
	s_waitcnt vmcnt(0) lgkmcnt(0)
	v_mul_f16_e32 v48, s26, v48
	v_cvt_f32_f16_e32 v48, v48
	s_branch .LBB217_94
.LBB217_93:
	v_mov_b32_e32 v48, 0
.LBB217_94:
	v_pk_add_f16 v49, v10, v32
	v_max_f16_e32 v50, v119, v119
	v_pk_add_f16 v53, v11, v33
	v_min_f16_e32 v50, v50, v49
	v_lshrrev_b32_e32 v51, 16, v119
	v_lshrrev_b32_e32 v49, 16, v49
	;; [unrolled: 1-line block ×3, first 2 shown]
	v_min3_f16 v49, v51, v49, v54
	v_min3_f16 v49, v50, v53, v49
	v_cvt_f32_f16_e32 v49, v49
	v_max_f32_e32 v48, v48, v48
	v_min_f32_e32 v48, v48, v49
	v_cvt_f16_f32_e32 v50, v48
	v_lshl_add_u64 v[48:49], v[42:43], 1, v[36:37]
	flat_store_short v[48:49], v50
	s_or_b64 exec, exec, s[18:19]
	s_and_b64 s[22:23], s[6:7], s[10:11]
	s_and_saveexec_b64 s[18:19], s[22:23]
	s_cbranch_execz .LBB217_86
.LBB217_95:
	s_and_b64 vcc, exec, s[0:1]
	s_cbranch_vccnz .LBB217_97
; %bb.96:
	v_lshl_add_u64 v[48:49], v[44:45], 1, v[38:39]
	flat_load_ushort v48, v[48:49]
	s_waitcnt vmcnt(0) lgkmcnt(0)
	v_mul_f16_e32 v48, s26, v48
	v_cvt_f32_f16_e32 v48, v48
	s_branch .LBB217_98
.LBB217_97:
	v_mov_b32_e32 v48, 0
.LBB217_98:
	v_pk_add_f16 v49, v0, v32
	v_max_f16_e32 v50, v116, v116
	v_pk_add_f16 v53, v1, v33
	v_min_f16_e32 v50, v50, v49
	v_lshrrev_b32_e32 v51, 16, v116
	v_lshrrev_b32_e32 v49, 16, v49
	;; [unrolled: 1-line block ×3, first 2 shown]
	v_min3_f16 v49, v51, v49, v54
	v_min3_f16 v49, v50, v53, v49
	v_cvt_f32_f16_e32 v49, v49
	v_max_f32_e32 v48, v48, v48
	v_min_f32_e32 v48, v48, v49
	v_cvt_f16_f32_e32 v50, v48
	v_lshl_add_u64 v[48:49], v[44:45], 1, v[36:37]
	flat_store_short v[48:49], v50
	s_or_b64 exec, exec, s[18:19]
	s_and_b64 s[18:19], s[8:9], s[10:11]
	s_and_saveexec_b64 s[10:11], s[18:19]
	s_cbranch_execz .LBB217_103
.LBB217_99:
	s_and_b64 vcc, exec, s[0:1]
	s_cbranch_vccnz .LBB217_101
; %bb.100:
	v_lshl_add_u64 v[38:39], v[46:47], 1, v[38:39]
	flat_load_ushort v38, v[38:39]
	s_waitcnt vmcnt(0) lgkmcnt(0)
	v_mul_f16_e32 v38, s26, v38
	v_cvt_f32_f16_e32 v38, v38
	s_branch .LBB217_102
.LBB217_101:
	v_mov_b32_e32 v38, 0
.LBB217_102:
	v_pk_add_f16 v32, v2, v32
	v_max_f16_e32 v39, v115, v115
	v_pk_add_f16 v33, v3, v33
	v_min_f16_e32 v39, v39, v32
	v_lshrrev_b32_e32 v48, 16, v115
	v_lshrrev_b32_e32 v32, 16, v32
	;; [unrolled: 1-line block ×3, first 2 shown]
	v_min3_f16 v32, v48, v32, v49
	v_min3_f16 v32, v39, v33, v32
	v_cvt_f32_f16_e32 v32, v32
	v_max_f32_e32 v33, v38, v38
	v_min_f32_e32 v32, v33, v32
	v_cvt_f16_f32_e32 v38, v32
	v_lshl_add_u64 v[32:33], v[46:47], 1, v[36:37]
	flat_store_short v[32:33], v38
.LBB217_103:
	s_or_b64 exec, exec, s[10:11]
	v_add_u32_e32 v38, 24, v52
	v_mad_i64_i32 v[32:33], s[18:19], v38, s21, 0
	v_cmp_gt_i32_e64 s[10:11], s13, v38
	v_lshl_add_u64 v[36:37], v[32:33], 1, s[16:17]
	v_mad_i64_i32 v[32:33], s[18:19], v38, s20, 0
	v_lshl_add_u64 v[32:33], v[32:33], 1, s[14:15]
	s_and_b64 s[22:23], s[2:3], s[10:11]
	s_and_saveexec_b64 s[18:19], s[22:23]
	s_cbranch_execnz .LBB217_107
; %bb.104:
	s_or_b64 exec, exec, s[18:19]
	s_and_b64 s[22:23], s[4:5], s[10:11]
	s_and_saveexec_b64 s[18:19], s[22:23]
	s_cbranch_execnz .LBB217_111
.LBB217_105:
	s_or_b64 exec, exec, s[18:19]
	s_and_b64 s[22:23], s[6:7], s[10:11]
	s_and_saveexec_b64 s[18:19], s[22:23]
	s_cbranch_execnz .LBB217_115
.LBB217_106:
	s_or_b64 exec, exec, s[18:19]
	s_and_b64 s[18:19], s[8:9], s[10:11]
	s_and_saveexec_b64 s[10:11], s[18:19]
	s_cbranch_execnz .LBB217_119
	s_branch .LBB217_123
.LBB217_107:
	s_and_b64 vcc, exec, s[0:1]
	s_cbranch_vccnz .LBB217_109
; %bb.108:
	v_lshl_add_u64 v[38:39], v[40:41], 1, v[36:37]
	flat_load_ushort v38, v[38:39]
	s_waitcnt vmcnt(0) lgkmcnt(0)
	v_mul_f16_e32 v38, s26, v38
	v_cvt_f32_f16_e32 v38, v38
	s_branch .LBB217_110
.LBB217_109:
	v_mov_b32_e32 v38, 0
.LBB217_110:
	v_pk_add_f16 v39, v8, v34
	v_max_f16_e32 v48, v114, v114
	v_pk_add_f16 v50, v9, v35
	v_min_f16_e32 v48, v48, v39
	v_lshrrev_b32_e32 v49, 16, v114
	v_lshrrev_b32_e32 v39, 16, v39
	;; [unrolled: 1-line block ×3, first 2 shown]
	v_min3_f16 v39, v49, v39, v51
	v_min3_f16 v39, v48, v50, v39
	v_cvt_f32_f16_e32 v39, v39
	v_max_f32_e32 v38, v38, v38
	v_min_f32_e32 v38, v38, v39
	v_cvt_f16_f32_e32 v48, v38
	v_lshl_add_u64 v[38:39], v[40:41], 1, v[32:33]
	flat_store_short v[38:39], v48
	s_or_b64 exec, exec, s[18:19]
	s_and_b64 s[22:23], s[4:5], s[10:11]
	s_and_saveexec_b64 s[18:19], s[22:23]
	s_cbranch_execz .LBB217_105
.LBB217_111:
	s_and_b64 vcc, exec, s[0:1]
	s_cbranch_vccnz .LBB217_113
; %bb.112:
	v_lshl_add_u64 v[38:39], v[42:43], 1, v[36:37]
	flat_load_ushort v38, v[38:39]
	s_waitcnt vmcnt(0) lgkmcnt(0)
	v_mul_f16_e32 v38, s26, v38
	v_cvt_f32_f16_e32 v38, v38
	s_branch .LBB217_114
.LBB217_113:
	v_mov_b32_e32 v38, 0
.LBB217_114:
	v_pk_add_f16 v39, v10, v34
	v_max_f16_e32 v48, v113, v113
	v_pk_add_f16 v50, v11, v35
	v_min_f16_e32 v48, v48, v39
	v_lshrrev_b32_e32 v49, 16, v113
	v_lshrrev_b32_e32 v39, 16, v39
	;; [unrolled: 1-line block ×3, first 2 shown]
	v_min3_f16 v39, v49, v39, v51
	v_min3_f16 v39, v48, v50, v39
	v_cvt_f32_f16_e32 v39, v39
	v_max_f32_e32 v38, v38, v38
	v_min_f32_e32 v38, v38, v39
	v_cvt_f16_f32_e32 v48, v38
	v_lshl_add_u64 v[38:39], v[42:43], 1, v[32:33]
	flat_store_short v[38:39], v48
	s_or_b64 exec, exec, s[18:19]
	s_and_b64 s[22:23], s[6:7], s[10:11]
	s_and_saveexec_b64 s[18:19], s[22:23]
	s_cbranch_execz .LBB217_106
.LBB217_115:
	s_and_b64 vcc, exec, s[0:1]
	s_cbranch_vccnz .LBB217_117
; %bb.116:
	v_lshl_add_u64 v[38:39], v[44:45], 1, v[36:37]
	flat_load_ushort v38, v[38:39]
	s_waitcnt vmcnt(0) lgkmcnt(0)
	v_mul_f16_e32 v38, s26, v38
	v_cvt_f32_f16_e32 v38, v38
	s_branch .LBB217_118
.LBB217_117:
	v_mov_b32_e32 v38, 0
.LBB217_118:
	v_pk_add_f16 v39, v0, v34
	v_max_f16_e32 v48, v112, v112
	v_pk_add_f16 v50, v1, v35
	v_min_f16_e32 v48, v48, v39
	v_lshrrev_b32_e32 v49, 16, v112
	v_lshrrev_b32_e32 v39, 16, v39
	;; [unrolled: 1-line block ×3, first 2 shown]
	v_min3_f16 v39, v49, v39, v51
	v_min3_f16 v39, v48, v50, v39
	v_cvt_f32_f16_e32 v39, v39
	v_max_f32_e32 v38, v38, v38
	v_min_f32_e32 v38, v38, v39
	v_cvt_f16_f32_e32 v48, v38
	v_lshl_add_u64 v[38:39], v[44:45], 1, v[32:33]
	flat_store_short v[38:39], v48
	s_or_b64 exec, exec, s[18:19]
	s_and_b64 s[18:19], s[8:9], s[10:11]
	s_and_saveexec_b64 s[10:11], s[18:19]
	s_cbranch_execz .LBB217_123
.LBB217_119:
	s_and_b64 vcc, exec, s[0:1]
	s_cbranch_vccnz .LBB217_121
; %bb.120:
	v_lshl_add_u64 v[36:37], v[46:47], 1, v[36:37]
	flat_load_ushort v36, v[36:37]
	s_waitcnt vmcnt(0) lgkmcnt(0)
	v_mul_f16_e32 v36, s26, v36
	v_cvt_f32_f16_e32 v36, v36
	s_branch .LBB217_122
.LBB217_121:
	v_mov_b32_e32 v36, 0
.LBB217_122:
	v_pk_add_f16 v34, v2, v34
	v_max_f16_e32 v37, v111, v111
	v_pk_add_f16 v35, v3, v35
	v_min_f16_e32 v37, v37, v34
	v_lshrrev_b32_e32 v38, 16, v111
	v_lshrrev_b32_e32 v34, 16, v34
	;; [unrolled: 1-line block ×3, first 2 shown]
	v_min3_f16 v34, v38, v34, v39
	v_min3_f16 v34, v37, v35, v34
	v_cvt_f32_f16_e32 v34, v34
	v_max_f32_e32 v35, v36, v36
	v_lshl_add_u64 v[32:33], v[46:47], 1, v[32:33]
	v_min_f32_e32 v34, v35, v34
	v_cvt_f16_f32_e32 v34, v34
	flat_store_short v[32:33], v34
.LBB217_123:
	s_or_b64 exec, exec, s[10:11]
	v_add_u32_e32 v36, 32, v52
	v_mad_i64_i32 v[32:33], s[18:19], v36, s21, 0
	v_cmp_gt_i32_e64 s[10:11], s13, v36
	v_lshl_add_u64 v[34:35], v[32:33], 1, s[16:17]
	v_mad_i64_i32 v[32:33], s[18:19], v36, s20, 0
	v_lshl_add_u64 v[32:33], v[32:33], 1, s[14:15]
	s_and_b64 s[22:23], s[2:3], s[10:11]
	s_and_saveexec_b64 s[18:19], s[22:23]
	s_cbranch_execnz .LBB217_127
; %bb.124:
	s_or_b64 exec, exec, s[18:19]
	s_and_b64 s[22:23], s[4:5], s[10:11]
	s_and_saveexec_b64 s[18:19], s[22:23]
	s_cbranch_execnz .LBB217_131
.LBB217_125:
	s_or_b64 exec, exec, s[18:19]
	s_and_b64 s[22:23], s[6:7], s[10:11]
	s_and_saveexec_b64 s[18:19], s[22:23]
	s_cbranch_execnz .LBB217_135
.LBB217_126:
	s_or_b64 exec, exec, s[18:19]
	s_and_b64 s[18:19], s[8:9], s[10:11]
	s_and_saveexec_b64 s[10:11], s[18:19]
	s_cbranch_execnz .LBB217_139
	s_branch .LBB217_143
.LBB217_127:
	s_and_b64 vcc, exec, s[0:1]
	s_cbranch_vccnz .LBB217_129
; %bb.128:
	v_lshl_add_u64 v[36:37], v[40:41], 1, v[34:35]
	flat_load_ushort v36, v[36:37]
	s_waitcnt vmcnt(0) lgkmcnt(0)
	v_mul_f16_e32 v36, s26, v36
	v_cvt_f32_f16_e32 v36, v36
	s_branch .LBB217_130
.LBB217_129:
	v_mov_b32_e32 v36, 0
.LBB217_130:
	v_pk_add_f16 v37, v8, v28
	v_max_f16_e32 v38, v107, v107
	v_pk_add_f16 v48, v9, v29
	v_min_f16_e32 v38, v38, v37
	v_lshrrev_b32_e32 v39, 16, v107
	v_lshrrev_b32_e32 v37, 16, v37
	;; [unrolled: 1-line block ×3, first 2 shown]
	v_min3_f16 v37, v39, v37, v49
	v_min3_f16 v37, v38, v48, v37
	v_cvt_f32_f16_e32 v37, v37
	v_max_f32_e32 v36, v36, v36
	v_min_f32_e32 v36, v36, v37
	v_cvt_f16_f32_e32 v38, v36
	v_lshl_add_u64 v[36:37], v[40:41], 1, v[32:33]
	flat_store_short v[36:37], v38
	s_or_b64 exec, exec, s[18:19]
	s_and_b64 s[22:23], s[4:5], s[10:11]
	s_and_saveexec_b64 s[18:19], s[22:23]
	s_cbranch_execz .LBB217_125
.LBB217_131:
	s_and_b64 vcc, exec, s[0:1]
	s_cbranch_vccnz .LBB217_133
; %bb.132:
	v_lshl_add_u64 v[36:37], v[42:43], 1, v[34:35]
	flat_load_ushort v36, v[36:37]
	s_waitcnt vmcnt(0) lgkmcnt(0)
	v_mul_f16_e32 v36, s26, v36
	v_cvt_f32_f16_e32 v36, v36
	s_branch .LBB217_134
.LBB217_133:
	v_mov_b32_e32 v36, 0
.LBB217_134:
	v_pk_add_f16 v37, v10, v28
	v_max_f16_e32 v38, v106, v106
	v_pk_add_f16 v48, v11, v29
	v_min_f16_e32 v38, v38, v37
	v_lshrrev_b32_e32 v39, 16, v106
	v_lshrrev_b32_e32 v37, 16, v37
	;; [unrolled: 1-line block ×3, first 2 shown]
	v_min3_f16 v37, v39, v37, v49
	v_min3_f16 v37, v38, v48, v37
	v_cvt_f32_f16_e32 v37, v37
	v_max_f32_e32 v36, v36, v36
	v_min_f32_e32 v36, v36, v37
	v_cvt_f16_f32_e32 v38, v36
	v_lshl_add_u64 v[36:37], v[42:43], 1, v[32:33]
	flat_store_short v[36:37], v38
	s_or_b64 exec, exec, s[18:19]
	s_and_b64 s[22:23], s[6:7], s[10:11]
	s_and_saveexec_b64 s[18:19], s[22:23]
	s_cbranch_execz .LBB217_126
.LBB217_135:
	s_and_b64 vcc, exec, s[0:1]
	s_cbranch_vccnz .LBB217_137
; %bb.136:
	v_lshl_add_u64 v[36:37], v[44:45], 1, v[34:35]
	flat_load_ushort v36, v[36:37]
	s_waitcnt vmcnt(0) lgkmcnt(0)
	v_mul_f16_e32 v36, s26, v36
	v_cvt_f32_f16_e32 v36, v36
	s_branch .LBB217_138
.LBB217_137:
	v_mov_b32_e32 v36, 0
.LBB217_138:
	v_pk_add_f16 v37, v0, v28
	v_max_f16_e32 v38, v105, v105
	v_pk_add_f16 v48, v1, v29
	v_min_f16_e32 v38, v38, v37
	v_lshrrev_b32_e32 v39, 16, v105
	v_lshrrev_b32_e32 v37, 16, v37
	;; [unrolled: 1-line block ×3, first 2 shown]
	v_min3_f16 v37, v39, v37, v49
	v_min3_f16 v37, v38, v48, v37
	v_cvt_f32_f16_e32 v37, v37
	v_max_f32_e32 v36, v36, v36
	v_min_f32_e32 v36, v36, v37
	v_cvt_f16_f32_e32 v38, v36
	v_lshl_add_u64 v[36:37], v[44:45], 1, v[32:33]
	flat_store_short v[36:37], v38
	s_or_b64 exec, exec, s[18:19]
	s_and_b64 s[18:19], s[8:9], s[10:11]
	s_and_saveexec_b64 s[10:11], s[18:19]
	s_cbranch_execz .LBB217_143
.LBB217_139:
	s_and_b64 vcc, exec, s[0:1]
	s_cbranch_vccnz .LBB217_141
; %bb.140:
	v_lshl_add_u64 v[34:35], v[46:47], 1, v[34:35]
	flat_load_ushort v34, v[34:35]
	s_waitcnt vmcnt(0) lgkmcnt(0)
	v_mul_f16_e32 v34, s26, v34
	v_cvt_f32_f16_e32 v34, v34
	s_branch .LBB217_142
.LBB217_141:
	v_mov_b32_e32 v34, 0
.LBB217_142:
	v_pk_add_f16 v28, v2, v28
	v_max_f16_e32 v35, v104, v104
	v_pk_add_f16 v29, v3, v29
	v_min_f16_e32 v35, v35, v28
	v_lshrrev_b32_e32 v36, 16, v104
	v_lshrrev_b32_e32 v28, 16, v28
	;; [unrolled: 1-line block ×3, first 2 shown]
	v_min3_f16 v28, v36, v28, v37
	v_min3_f16 v28, v35, v29, v28
	v_cvt_f32_f16_e32 v28, v28
	v_max_f32_e32 v29, v34, v34
	v_min_f32_e32 v28, v29, v28
	v_cvt_f16_f32_e32 v34, v28
	v_lshl_add_u64 v[28:29], v[46:47], 1, v[32:33]
	flat_store_short v[28:29], v34
.LBB217_143:
	s_or_b64 exec, exec, s[10:11]
	v_add_u32_e32 v34, 40, v52
	v_mad_i64_i32 v[28:29], s[18:19], v34, s21, 0
	v_cmp_gt_i32_e64 s[10:11], s13, v34
	v_lshl_add_u64 v[32:33], v[28:29], 1, s[16:17]
	v_mad_i64_i32 v[28:29], s[18:19], v34, s20, 0
	v_lshl_add_u64 v[28:29], v[28:29], 1, s[14:15]
	s_and_b64 s[22:23], s[2:3], s[10:11]
	s_and_saveexec_b64 s[18:19], s[22:23]
	s_cbranch_execnz .LBB217_147
; %bb.144:
	s_or_b64 exec, exec, s[18:19]
	s_and_b64 s[22:23], s[4:5], s[10:11]
	s_and_saveexec_b64 s[18:19], s[22:23]
	s_cbranch_execnz .LBB217_151
.LBB217_145:
	s_or_b64 exec, exec, s[18:19]
	s_and_b64 s[22:23], s[6:7], s[10:11]
	s_and_saveexec_b64 s[18:19], s[22:23]
	s_cbranch_execnz .LBB217_155
.LBB217_146:
	s_or_b64 exec, exec, s[18:19]
	s_and_b64 s[18:19], s[8:9], s[10:11]
	s_and_saveexec_b64 s[10:11], s[18:19]
	s_cbranch_execnz .LBB217_159
	s_branch .LBB217_163
.LBB217_147:
	s_and_b64 vcc, exec, s[0:1]
	s_cbranch_vccnz .LBB217_149
; %bb.148:
	v_lshl_add_u64 v[34:35], v[40:41], 1, v[32:33]
	flat_load_ushort v34, v[34:35]
	s_waitcnt vmcnt(0) lgkmcnt(0)
	v_mul_f16_e32 v34, s26, v34
	v_cvt_f32_f16_e32 v34, v34
	s_branch .LBB217_150
.LBB217_149:
	v_mov_b32_e32 v34, 0
.LBB217_150:
	v_pk_add_f16 v35, v8, v30
	v_max_f16_e32 v36, v103, v103
	v_pk_add_f16 v38, v9, v31
	v_min_f16_e32 v36, v36, v35
	v_lshrrev_b32_e32 v37, 16, v103
	v_lshrrev_b32_e32 v35, 16, v35
	;; [unrolled: 1-line block ×3, first 2 shown]
	v_min3_f16 v35, v37, v35, v39
	v_min3_f16 v35, v36, v38, v35
	v_cvt_f32_f16_e32 v35, v35
	v_max_f32_e32 v34, v34, v34
	v_min_f32_e32 v34, v34, v35
	v_cvt_f16_f32_e32 v36, v34
	v_lshl_add_u64 v[34:35], v[40:41], 1, v[28:29]
	flat_store_short v[34:35], v36
	s_or_b64 exec, exec, s[18:19]
	s_and_b64 s[22:23], s[4:5], s[10:11]
	s_and_saveexec_b64 s[18:19], s[22:23]
	s_cbranch_execz .LBB217_145
.LBB217_151:
	s_and_b64 vcc, exec, s[0:1]
	s_cbranch_vccnz .LBB217_153
; %bb.152:
	v_lshl_add_u64 v[34:35], v[42:43], 1, v[32:33]
	flat_load_ushort v34, v[34:35]
	s_waitcnt vmcnt(0) lgkmcnt(0)
	v_mul_f16_e32 v34, s26, v34
	v_cvt_f32_f16_e32 v34, v34
	s_branch .LBB217_154
.LBB217_153:
	v_mov_b32_e32 v34, 0
.LBB217_154:
	v_pk_add_f16 v35, v10, v30
	v_max_f16_e32 v36, v102, v102
	v_pk_add_f16 v38, v11, v31
	v_min_f16_e32 v36, v36, v35
	v_lshrrev_b32_e32 v37, 16, v102
	v_lshrrev_b32_e32 v35, 16, v35
	;; [unrolled: 1-line block ×3, first 2 shown]
	v_min3_f16 v35, v37, v35, v39
	v_min3_f16 v35, v36, v38, v35
	v_cvt_f32_f16_e32 v35, v35
	v_max_f32_e32 v34, v34, v34
	v_min_f32_e32 v34, v34, v35
	v_cvt_f16_f32_e32 v36, v34
	v_lshl_add_u64 v[34:35], v[42:43], 1, v[28:29]
	flat_store_short v[34:35], v36
	s_or_b64 exec, exec, s[18:19]
	s_and_b64 s[22:23], s[6:7], s[10:11]
	s_and_saveexec_b64 s[18:19], s[22:23]
	s_cbranch_execz .LBB217_146
.LBB217_155:
	s_and_b64 vcc, exec, s[0:1]
	s_cbranch_vccnz .LBB217_157
; %bb.156:
	v_lshl_add_u64 v[34:35], v[44:45], 1, v[32:33]
	flat_load_ushort v34, v[34:35]
	s_waitcnt vmcnt(0) lgkmcnt(0)
	v_mul_f16_e32 v34, s26, v34
	v_cvt_f32_f16_e32 v34, v34
	s_branch .LBB217_158
.LBB217_157:
	v_mov_b32_e32 v34, 0
.LBB217_158:
	v_pk_add_f16 v35, v0, v30
	v_max_f16_e32 v36, v99, v99
	v_pk_add_f16 v38, v1, v31
	v_min_f16_e32 v36, v36, v35
	v_lshrrev_b32_e32 v37, 16, v99
	v_lshrrev_b32_e32 v35, 16, v35
	;; [unrolled: 1-line block ×3, first 2 shown]
	v_min3_f16 v35, v37, v35, v39
	v_min3_f16 v35, v36, v38, v35
	v_cvt_f32_f16_e32 v35, v35
	v_max_f32_e32 v34, v34, v34
	v_min_f32_e32 v34, v34, v35
	v_cvt_f16_f32_e32 v36, v34
	v_lshl_add_u64 v[34:35], v[44:45], 1, v[28:29]
	flat_store_short v[34:35], v36
	s_or_b64 exec, exec, s[18:19]
	s_and_b64 s[18:19], s[8:9], s[10:11]
	s_and_saveexec_b64 s[10:11], s[18:19]
	s_cbranch_execz .LBB217_163
.LBB217_159:
	s_and_b64 vcc, exec, s[0:1]
	s_cbranch_vccnz .LBB217_161
; %bb.160:
	v_lshl_add_u64 v[32:33], v[46:47], 1, v[32:33]
	flat_load_ushort v32, v[32:33]
	s_waitcnt vmcnt(0) lgkmcnt(0)
	v_mul_f16_e32 v32, s26, v32
	v_cvt_f32_f16_e32 v32, v32
	s_branch .LBB217_162
.LBB217_161:
	v_mov_b32_e32 v32, 0
.LBB217_162:
	v_pk_add_f16 v30, v2, v30
	v_max_f16_e32 v33, v98, v98
	v_pk_add_f16 v31, v3, v31
	v_min_f16_e32 v33, v33, v30
	v_lshrrev_b32_e32 v34, 16, v98
	v_lshrrev_b32_e32 v30, 16, v30
	;; [unrolled: 1-line block ×3, first 2 shown]
	v_min3_f16 v30, v34, v30, v35
	v_min3_f16 v30, v33, v31, v30
	v_cvt_f32_f16_e32 v30, v30
	v_max_f32_e32 v31, v32, v32
	v_lshl_add_u64 v[28:29], v[46:47], 1, v[28:29]
	v_min_f32_e32 v30, v31, v30
	v_cvt_f16_f32_e32 v30, v30
	flat_store_short v[28:29], v30
.LBB217_163:
	s_or_b64 exec, exec, s[10:11]
	v_add_u32_e32 v32, 48, v52
	v_mad_i64_i32 v[28:29], s[18:19], v32, s21, 0
	v_cmp_gt_i32_e64 s[10:11], s13, v32
	v_lshl_add_u64 v[30:31], v[28:29], 1, s[16:17]
	v_mad_i64_i32 v[28:29], s[18:19], v32, s20, 0
	v_lshl_add_u64 v[28:29], v[28:29], 1, s[14:15]
	s_and_b64 s[22:23], s[2:3], s[10:11]
	s_and_saveexec_b64 s[18:19], s[22:23]
	s_cbranch_execnz .LBB217_167
; %bb.164:
	s_or_b64 exec, exec, s[18:19]
	s_and_b64 s[22:23], s[4:5], s[10:11]
	s_and_saveexec_b64 s[18:19], s[22:23]
	s_cbranch_execnz .LBB217_171
.LBB217_165:
	s_or_b64 exec, exec, s[18:19]
	s_and_b64 s[22:23], s[6:7], s[10:11]
	s_and_saveexec_b64 s[18:19], s[22:23]
	s_cbranch_execnz .LBB217_175
.LBB217_166:
	s_or_b64 exec, exec, s[18:19]
	s_and_b64 s[18:19], s[8:9], s[10:11]
	s_and_saveexec_b64 s[10:11], s[18:19]
	s_cbranch_execnz .LBB217_179
	s_branch .LBB217_183
.LBB217_167:
	s_and_b64 vcc, exec, s[0:1]
	s_cbranch_vccnz .LBB217_169
; %bb.168:
	v_lshl_add_u64 v[32:33], v[40:41], 1, v[30:31]
	flat_load_ushort v32, v[32:33]
	s_waitcnt vmcnt(0) lgkmcnt(0)
	v_mul_f16_e32 v32, s26, v32
	v_cvt_f32_f16_e32 v32, v32
	s_branch .LBB217_170
.LBB217_169:
	v_mov_b32_e32 v32, 0
.LBB217_170:
	v_pk_add_f16 v33, v8, v24
	v_max_f16_e32 v34, v97, v97
	v_pk_add_f16 v36, v9, v25
	v_min_f16_e32 v34, v34, v33
	v_lshrrev_b32_e32 v35, 16, v97
	v_lshrrev_b32_e32 v33, 16, v33
	;; [unrolled: 1-line block ×3, first 2 shown]
	v_min3_f16 v33, v35, v33, v37
	v_min3_f16 v33, v34, v36, v33
	v_cvt_f32_f16_e32 v33, v33
	v_max_f32_e32 v32, v32, v32
	v_min_f32_e32 v32, v32, v33
	v_cvt_f16_f32_e32 v34, v32
	v_lshl_add_u64 v[32:33], v[40:41], 1, v[28:29]
	flat_store_short v[32:33], v34
	s_or_b64 exec, exec, s[18:19]
	s_and_b64 s[22:23], s[4:5], s[10:11]
	s_and_saveexec_b64 s[18:19], s[22:23]
	s_cbranch_execz .LBB217_165
.LBB217_171:
	s_and_b64 vcc, exec, s[0:1]
	s_cbranch_vccnz .LBB217_173
; %bb.172:
	v_lshl_add_u64 v[32:33], v[42:43], 1, v[30:31]
	flat_load_ushort v32, v[32:33]
	s_waitcnt vmcnt(0) lgkmcnt(0)
	v_mul_f16_e32 v32, s26, v32
	v_cvt_f32_f16_e32 v32, v32
	s_branch .LBB217_174
.LBB217_173:
	v_mov_b32_e32 v32, 0
.LBB217_174:
	v_pk_add_f16 v33, v10, v24
	v_max_f16_e32 v34, v96, v96
	v_pk_add_f16 v36, v11, v25
	v_min_f16_e32 v34, v34, v33
	v_lshrrev_b32_e32 v35, 16, v96
	v_lshrrev_b32_e32 v33, 16, v33
	v_lshrrev_b32_e32 v37, 16, v36
	v_min3_f16 v33, v35, v33, v37
	v_min3_f16 v33, v34, v36, v33
	v_cvt_f32_f16_e32 v33, v33
	v_max_f32_e32 v32, v32, v32
	v_min_f32_e32 v32, v32, v33
	v_cvt_f16_f32_e32 v34, v32
	v_lshl_add_u64 v[32:33], v[42:43], 1, v[28:29]
	flat_store_short v[32:33], v34
	s_or_b64 exec, exec, s[18:19]
	s_and_b64 s[22:23], s[6:7], s[10:11]
	s_and_saveexec_b64 s[18:19], s[22:23]
	s_cbranch_execz .LBB217_166
.LBB217_175:
	s_and_b64 vcc, exec, s[0:1]
	s_cbranch_vccnz .LBB217_177
; %bb.176:
	v_lshl_add_u64 v[32:33], v[44:45], 1, v[30:31]
	flat_load_ushort v32, v[32:33]
	s_waitcnt vmcnt(0) lgkmcnt(0)
	v_mul_f16_e32 v32, s26, v32
	v_cvt_f32_f16_e32 v32, v32
	s_branch .LBB217_178
.LBB217_177:
	v_mov_b32_e32 v32, 0
.LBB217_178:
	v_pk_add_f16 v33, v0, v24
	v_max_f16_e32 v34, v95, v95
	v_pk_add_f16 v36, v1, v25
	v_min_f16_e32 v34, v34, v33
	v_lshrrev_b32_e32 v35, 16, v95
	v_lshrrev_b32_e32 v33, 16, v33
	;; [unrolled: 1-line block ×3, first 2 shown]
	v_min3_f16 v33, v35, v33, v37
	v_min3_f16 v33, v34, v36, v33
	v_cvt_f32_f16_e32 v33, v33
	v_max_f32_e32 v32, v32, v32
	v_min_f32_e32 v32, v32, v33
	v_cvt_f16_f32_e32 v34, v32
	v_lshl_add_u64 v[32:33], v[44:45], 1, v[28:29]
	flat_store_short v[32:33], v34
	s_or_b64 exec, exec, s[18:19]
	s_and_b64 s[18:19], s[8:9], s[10:11]
	s_and_saveexec_b64 s[10:11], s[18:19]
	s_cbranch_execz .LBB217_183
.LBB217_179:
	s_and_b64 vcc, exec, s[0:1]
	s_cbranch_vccnz .LBB217_181
; %bb.180:
	v_lshl_add_u64 v[30:31], v[46:47], 1, v[30:31]
	flat_load_ushort v30, v[30:31]
	s_waitcnt vmcnt(0) lgkmcnt(0)
	v_mul_f16_e32 v30, s26, v30
	v_cvt_f32_f16_e32 v30, v30
	s_branch .LBB217_182
.LBB217_181:
	v_mov_b32_e32 v30, 0
.LBB217_182:
	v_pk_add_f16 v24, v2, v24
	v_max_f16_e32 v31, v94, v94
	v_pk_add_f16 v25, v3, v25
	v_min_f16_e32 v31, v31, v24
	v_lshrrev_b32_e32 v32, 16, v94
	v_lshrrev_b32_e32 v24, 16, v24
	;; [unrolled: 1-line block ×3, first 2 shown]
	v_min3_f16 v24, v32, v24, v33
	v_min3_f16 v24, v31, v25, v24
	v_cvt_f32_f16_e32 v24, v24
	v_max_f32_e32 v25, v30, v30
	v_min_f32_e32 v24, v25, v24
	v_cvt_f16_f32_e32 v30, v24
	v_lshl_add_u64 v[24:25], v[46:47], 1, v[28:29]
	flat_store_short v[24:25], v30
.LBB217_183:
	s_or_b64 exec, exec, s[10:11]
	v_add_u32_e32 v30, 56, v52
	v_mad_i64_i32 v[24:25], s[18:19], v30, s21, 0
	v_cmp_gt_i32_e64 s[10:11], s13, v30
	v_lshl_add_u64 v[28:29], v[24:25], 1, s[16:17]
	v_mad_i64_i32 v[24:25], s[18:19], v30, s20, 0
	v_lshl_add_u64 v[24:25], v[24:25], 1, s[14:15]
	s_and_b64 s[22:23], s[2:3], s[10:11]
	s_and_saveexec_b64 s[18:19], s[22:23]
	s_cbranch_execnz .LBB217_187
; %bb.184:
	s_or_b64 exec, exec, s[18:19]
	s_and_b64 s[22:23], s[4:5], s[10:11]
	s_and_saveexec_b64 s[18:19], s[22:23]
	s_cbranch_execnz .LBB217_191
.LBB217_185:
	s_or_b64 exec, exec, s[18:19]
	s_and_b64 s[22:23], s[6:7], s[10:11]
	s_and_saveexec_b64 s[18:19], s[22:23]
	s_cbranch_execnz .LBB217_195
.LBB217_186:
	s_or_b64 exec, exec, s[18:19]
	s_and_b64 s[18:19], s[8:9], s[10:11]
	s_and_saveexec_b64 s[10:11], s[18:19]
	s_cbranch_execnz .LBB217_199
	s_branch .LBB217_203
.LBB217_187:
	s_and_b64 vcc, exec, s[0:1]
	s_cbranch_vccnz .LBB217_189
; %bb.188:
	v_lshl_add_u64 v[30:31], v[40:41], 1, v[28:29]
	flat_load_ushort v30, v[30:31]
	s_waitcnt vmcnt(0) lgkmcnt(0)
	v_mul_f16_e32 v30, s26, v30
	v_cvt_f32_f16_e32 v30, v30
	s_branch .LBB217_190
.LBB217_189:
	v_mov_b32_e32 v30, 0
.LBB217_190:
	v_pk_add_f16 v31, v8, v26
	v_max_f16_e32 v32, v93, v93
	v_pk_add_f16 v34, v9, v27
	v_min_f16_e32 v32, v32, v31
	v_lshrrev_b32_e32 v33, 16, v93
	v_lshrrev_b32_e32 v31, 16, v31
	;; [unrolled: 1-line block ×3, first 2 shown]
	v_min3_f16 v31, v33, v31, v35
	v_min3_f16 v31, v32, v34, v31
	v_cvt_f32_f16_e32 v31, v31
	v_max_f32_e32 v30, v30, v30
	v_min_f32_e32 v30, v30, v31
	v_cvt_f16_f32_e32 v32, v30
	v_lshl_add_u64 v[30:31], v[40:41], 1, v[24:25]
	flat_store_short v[30:31], v32
	s_or_b64 exec, exec, s[18:19]
	s_and_b64 s[22:23], s[4:5], s[10:11]
	s_and_saveexec_b64 s[18:19], s[22:23]
	s_cbranch_execz .LBB217_185
.LBB217_191:
	s_and_b64 vcc, exec, s[0:1]
	s_cbranch_vccnz .LBB217_193
; %bb.192:
	v_lshl_add_u64 v[30:31], v[42:43], 1, v[28:29]
	flat_load_ushort v30, v[30:31]
	s_waitcnt vmcnt(0) lgkmcnt(0)
	v_mul_f16_e32 v30, s26, v30
	v_cvt_f32_f16_e32 v30, v30
	s_branch .LBB217_194
.LBB217_193:
	v_mov_b32_e32 v30, 0
.LBB217_194:
	v_pk_add_f16 v31, v10, v26
	v_max_f16_e32 v32, v92, v92
	v_pk_add_f16 v34, v11, v27
	v_min_f16_e32 v32, v32, v31
	v_lshrrev_b32_e32 v33, 16, v92
	v_lshrrev_b32_e32 v31, 16, v31
	;; [unrolled: 1-line block ×3, first 2 shown]
	v_min3_f16 v31, v33, v31, v35
	v_min3_f16 v31, v32, v34, v31
	v_cvt_f32_f16_e32 v31, v31
	v_max_f32_e32 v30, v30, v30
	v_min_f32_e32 v30, v30, v31
	v_cvt_f16_f32_e32 v32, v30
	v_lshl_add_u64 v[30:31], v[42:43], 1, v[24:25]
	flat_store_short v[30:31], v32
	s_or_b64 exec, exec, s[18:19]
	s_and_b64 s[22:23], s[6:7], s[10:11]
	s_and_saveexec_b64 s[18:19], s[22:23]
	s_cbranch_execz .LBB217_186
.LBB217_195:
	s_and_b64 vcc, exec, s[0:1]
	s_cbranch_vccnz .LBB217_197
; %bb.196:
	v_lshl_add_u64 v[30:31], v[44:45], 1, v[28:29]
	flat_load_ushort v30, v[30:31]
	s_waitcnt vmcnt(0) lgkmcnt(0)
	v_mul_f16_e32 v30, s26, v30
	v_cvt_f32_f16_e32 v30, v30
	s_branch .LBB217_198
.LBB217_197:
	v_mov_b32_e32 v30, 0
.LBB217_198:
	v_pk_add_f16 v31, v0, v26
	v_max_f16_e32 v32, v91, v91
	v_pk_add_f16 v34, v1, v27
	v_min_f16_e32 v32, v32, v31
	v_lshrrev_b32_e32 v33, 16, v91
	v_lshrrev_b32_e32 v31, 16, v31
	;; [unrolled: 1-line block ×3, first 2 shown]
	v_min3_f16 v31, v33, v31, v35
	v_min3_f16 v31, v32, v34, v31
	v_cvt_f32_f16_e32 v31, v31
	v_max_f32_e32 v30, v30, v30
	v_min_f32_e32 v30, v30, v31
	v_cvt_f16_f32_e32 v32, v30
	v_lshl_add_u64 v[30:31], v[44:45], 1, v[24:25]
	flat_store_short v[30:31], v32
	s_or_b64 exec, exec, s[18:19]
	s_and_b64 s[18:19], s[8:9], s[10:11]
	s_and_saveexec_b64 s[10:11], s[18:19]
	s_cbranch_execz .LBB217_203
.LBB217_199:
	s_and_b64 vcc, exec, s[0:1]
	s_cbranch_vccnz .LBB217_201
; %bb.200:
	v_lshl_add_u64 v[28:29], v[46:47], 1, v[28:29]
	flat_load_ushort v28, v[28:29]
	s_waitcnt vmcnt(0) lgkmcnt(0)
	v_mul_f16_e32 v28, s26, v28
	v_cvt_f32_f16_e32 v28, v28
	s_branch .LBB217_202
.LBB217_201:
	v_mov_b32_e32 v28, 0
.LBB217_202:
	v_pk_add_f16 v26, v2, v26
	v_max_f16_e32 v29, v90, v90
	v_pk_add_f16 v27, v3, v27
	v_min_f16_e32 v29, v29, v26
	v_lshrrev_b32_e32 v30, 16, v90
	v_lshrrev_b32_e32 v26, 16, v26
	;; [unrolled: 1-line block ×3, first 2 shown]
	v_min3_f16 v26, v30, v26, v31
	v_min3_f16 v26, v29, v27, v26
	v_cvt_f32_f16_e32 v26, v26
	v_max_f32_e32 v27, v28, v28
	v_lshl_add_u64 v[24:25], v[46:47], 1, v[24:25]
	v_min_f32_e32 v26, v27, v26
	v_cvt_f16_f32_e32 v26, v26
	flat_store_short v[24:25], v26
.LBB217_203:
	s_or_b64 exec, exec, s[10:11]
	v_add_u32_e32 v28, 64, v52
	v_mad_i64_i32 v[24:25], s[18:19], v28, s21, 0
	v_cmp_gt_i32_e64 s[10:11], s13, v28
	v_lshl_add_u64 v[26:27], v[24:25], 1, s[16:17]
	v_mad_i64_i32 v[24:25], s[18:19], v28, s20, 0
	v_lshl_add_u64 v[24:25], v[24:25], 1, s[14:15]
	s_and_b64 s[22:23], s[2:3], s[10:11]
	s_and_saveexec_b64 s[18:19], s[22:23]
	s_cbranch_execnz .LBB217_207
; %bb.204:
	s_or_b64 exec, exec, s[18:19]
	s_and_b64 s[22:23], s[4:5], s[10:11]
	s_and_saveexec_b64 s[18:19], s[22:23]
	s_cbranch_execnz .LBB217_211
.LBB217_205:
	s_or_b64 exec, exec, s[18:19]
	s_and_b64 s[22:23], s[6:7], s[10:11]
	s_and_saveexec_b64 s[18:19], s[22:23]
	s_cbranch_execnz .LBB217_215
.LBB217_206:
	s_or_b64 exec, exec, s[18:19]
	s_and_b64 s[18:19], s[8:9], s[10:11]
	s_and_saveexec_b64 s[10:11], s[18:19]
	s_cbranch_execnz .LBB217_219
	s_branch .LBB217_223
.LBB217_207:
	s_and_b64 vcc, exec, s[0:1]
	s_cbranch_vccnz .LBB217_209
; %bb.208:
	v_lshl_add_u64 v[28:29], v[40:41], 1, v[26:27]
	flat_load_ushort v28, v[28:29]
	s_waitcnt vmcnt(0) lgkmcnt(0)
	v_mul_f16_e32 v28, s26, v28
	v_cvt_f32_f16_e32 v28, v28
	s_branch .LBB217_210
.LBB217_209:
	v_mov_b32_e32 v28, 0
.LBB217_210:
	v_pk_add_f16 v29, v8, v20
	v_max_f16_e32 v30, v89, v89
	v_pk_add_f16 v32, v9, v21
	v_min_f16_e32 v30, v30, v29
	v_lshrrev_b32_e32 v31, 16, v89
	v_lshrrev_b32_e32 v29, 16, v29
	;; [unrolled: 1-line block ×3, first 2 shown]
	v_min3_f16 v29, v31, v29, v33
	v_min3_f16 v29, v30, v32, v29
	v_cvt_f32_f16_e32 v29, v29
	v_max_f32_e32 v28, v28, v28
	v_min_f32_e32 v28, v28, v29
	v_cvt_f16_f32_e32 v30, v28
	v_lshl_add_u64 v[28:29], v[40:41], 1, v[24:25]
	flat_store_short v[28:29], v30
	s_or_b64 exec, exec, s[18:19]
	s_and_b64 s[22:23], s[4:5], s[10:11]
	s_and_saveexec_b64 s[18:19], s[22:23]
	s_cbranch_execz .LBB217_205
.LBB217_211:
	s_and_b64 vcc, exec, s[0:1]
	s_cbranch_vccnz .LBB217_213
; %bb.212:
	v_lshl_add_u64 v[28:29], v[42:43], 1, v[26:27]
	flat_load_ushort v28, v[28:29]
	s_waitcnt vmcnt(0) lgkmcnt(0)
	v_mul_f16_e32 v28, s26, v28
	v_cvt_f32_f16_e32 v28, v28
	s_branch .LBB217_214
.LBB217_213:
	v_mov_b32_e32 v28, 0
.LBB217_214:
	v_pk_add_f16 v29, v10, v20
	v_max_f16_e32 v30, v88, v88
	v_pk_add_f16 v32, v11, v21
	v_min_f16_e32 v30, v30, v29
	v_lshrrev_b32_e32 v31, 16, v88
	v_lshrrev_b32_e32 v29, 16, v29
	v_lshrrev_b32_e32 v33, 16, v32
	v_min3_f16 v29, v31, v29, v33
	v_min3_f16 v29, v30, v32, v29
	v_cvt_f32_f16_e32 v29, v29
	v_max_f32_e32 v28, v28, v28
	v_min_f32_e32 v28, v28, v29
	v_cvt_f16_f32_e32 v30, v28
	v_lshl_add_u64 v[28:29], v[42:43], 1, v[24:25]
	flat_store_short v[28:29], v30
	s_or_b64 exec, exec, s[18:19]
	s_and_b64 s[22:23], s[6:7], s[10:11]
	s_and_saveexec_b64 s[18:19], s[22:23]
	s_cbranch_execz .LBB217_206
.LBB217_215:
	s_and_b64 vcc, exec, s[0:1]
	s_cbranch_vccnz .LBB217_217
; %bb.216:
	v_lshl_add_u64 v[28:29], v[44:45], 1, v[26:27]
	flat_load_ushort v28, v[28:29]
	s_waitcnt vmcnt(0) lgkmcnt(0)
	v_mul_f16_e32 v28, s26, v28
	v_cvt_f32_f16_e32 v28, v28
	s_branch .LBB217_218
.LBB217_217:
	v_mov_b32_e32 v28, 0
.LBB217_218:
	v_pk_add_f16 v29, v0, v20
	v_max_f16_e32 v30, v87, v87
	v_pk_add_f16 v32, v1, v21
	v_min_f16_e32 v30, v30, v29
	v_lshrrev_b32_e32 v31, 16, v87
	v_lshrrev_b32_e32 v29, 16, v29
	;; [unrolled: 1-line block ×3, first 2 shown]
	v_min3_f16 v29, v31, v29, v33
	v_min3_f16 v29, v30, v32, v29
	v_cvt_f32_f16_e32 v29, v29
	v_max_f32_e32 v28, v28, v28
	v_min_f32_e32 v28, v28, v29
	v_cvt_f16_f32_e32 v30, v28
	v_lshl_add_u64 v[28:29], v[44:45], 1, v[24:25]
	flat_store_short v[28:29], v30
	s_or_b64 exec, exec, s[18:19]
	s_and_b64 s[18:19], s[8:9], s[10:11]
	s_and_saveexec_b64 s[10:11], s[18:19]
	s_cbranch_execz .LBB217_223
.LBB217_219:
	s_and_b64 vcc, exec, s[0:1]
	s_cbranch_vccnz .LBB217_221
; %bb.220:
	v_lshl_add_u64 v[26:27], v[46:47], 1, v[26:27]
	flat_load_ushort v26, v[26:27]
	s_waitcnt vmcnt(0) lgkmcnt(0)
	v_mul_f16_e32 v26, s26, v26
	v_cvt_f32_f16_e32 v26, v26
	s_branch .LBB217_222
.LBB217_221:
	v_mov_b32_e32 v26, 0
.LBB217_222:
	v_pk_add_f16 v20, v2, v20
	v_max_f16_e32 v27, v86, v86
	v_pk_add_f16 v21, v3, v21
	v_min_f16_e32 v27, v27, v20
	v_lshrrev_b32_e32 v28, 16, v86
	v_lshrrev_b32_e32 v20, 16, v20
	;; [unrolled: 1-line block ×3, first 2 shown]
	v_min3_f16 v20, v28, v20, v29
	v_min3_f16 v20, v27, v21, v20
	v_cvt_f32_f16_e32 v20, v20
	v_max_f32_e32 v21, v26, v26
	v_min_f32_e32 v20, v21, v20
	v_cvt_f16_f32_e32 v26, v20
	v_lshl_add_u64 v[20:21], v[46:47], 1, v[24:25]
	flat_store_short v[20:21], v26
.LBB217_223:
	s_or_b64 exec, exec, s[10:11]
	v_add_u32_e32 v26, 0x48, v52
	v_mad_i64_i32 v[20:21], s[18:19], v26, s21, 0
	v_cmp_gt_i32_e64 s[10:11], s13, v26
	v_lshl_add_u64 v[24:25], v[20:21], 1, s[16:17]
	v_mad_i64_i32 v[20:21], s[18:19], v26, s20, 0
	v_lshl_add_u64 v[20:21], v[20:21], 1, s[14:15]
	s_and_b64 s[22:23], s[2:3], s[10:11]
	s_and_saveexec_b64 s[18:19], s[22:23]
	s_cbranch_execnz .LBB217_227
; %bb.224:
	s_or_b64 exec, exec, s[18:19]
	s_and_b64 s[22:23], s[4:5], s[10:11]
	s_and_saveexec_b64 s[18:19], s[22:23]
	s_cbranch_execnz .LBB217_231
.LBB217_225:
	s_or_b64 exec, exec, s[18:19]
	s_and_b64 s[22:23], s[6:7], s[10:11]
	s_and_saveexec_b64 s[18:19], s[22:23]
	s_cbranch_execnz .LBB217_235
.LBB217_226:
	s_or_b64 exec, exec, s[18:19]
	s_and_b64 s[18:19], s[8:9], s[10:11]
	s_and_saveexec_b64 s[10:11], s[18:19]
	s_cbranch_execnz .LBB217_239
	s_branch .LBB217_243
.LBB217_227:
	s_and_b64 vcc, exec, s[0:1]
	s_cbranch_vccnz .LBB217_229
; %bb.228:
	v_lshl_add_u64 v[26:27], v[40:41], 1, v[24:25]
	flat_load_ushort v26, v[26:27]
	s_waitcnt vmcnt(0) lgkmcnt(0)
	v_mul_f16_e32 v26, s26, v26
	v_cvt_f32_f16_e32 v26, v26
	s_branch .LBB217_230
.LBB217_229:
	v_mov_b32_e32 v26, 0
.LBB217_230:
	v_pk_add_f16 v27, v8, v22
	v_max_f16_e32 v28, v85, v85
	v_pk_add_f16 v30, v9, v23
	v_min_f16_e32 v28, v28, v27
	v_lshrrev_b32_e32 v29, 16, v85
	v_lshrrev_b32_e32 v27, 16, v27
	;; [unrolled: 1-line block ×3, first 2 shown]
	v_min3_f16 v27, v29, v27, v31
	v_min3_f16 v27, v28, v30, v27
	v_cvt_f32_f16_e32 v27, v27
	v_max_f32_e32 v26, v26, v26
	v_min_f32_e32 v26, v26, v27
	v_cvt_f16_f32_e32 v28, v26
	v_lshl_add_u64 v[26:27], v[40:41], 1, v[20:21]
	flat_store_short v[26:27], v28
	s_or_b64 exec, exec, s[18:19]
	s_and_b64 s[22:23], s[4:5], s[10:11]
	s_and_saveexec_b64 s[18:19], s[22:23]
	s_cbranch_execz .LBB217_225
.LBB217_231:
	s_and_b64 vcc, exec, s[0:1]
	s_cbranch_vccnz .LBB217_233
; %bb.232:
	v_lshl_add_u64 v[26:27], v[42:43], 1, v[24:25]
	flat_load_ushort v26, v[26:27]
	s_waitcnt vmcnt(0) lgkmcnt(0)
	v_mul_f16_e32 v26, s26, v26
	v_cvt_f32_f16_e32 v26, v26
	s_branch .LBB217_234
.LBB217_233:
	v_mov_b32_e32 v26, 0
.LBB217_234:
	v_pk_add_f16 v27, v10, v22
	v_max_f16_e32 v28, v84, v84
	v_pk_add_f16 v30, v11, v23
	v_min_f16_e32 v28, v28, v27
	v_lshrrev_b32_e32 v29, 16, v84
	v_lshrrev_b32_e32 v27, 16, v27
	;; [unrolled: 1-line block ×3, first 2 shown]
	v_min3_f16 v27, v29, v27, v31
	v_min3_f16 v27, v28, v30, v27
	v_cvt_f32_f16_e32 v27, v27
	v_max_f32_e32 v26, v26, v26
	v_min_f32_e32 v26, v26, v27
	v_cvt_f16_f32_e32 v28, v26
	v_lshl_add_u64 v[26:27], v[42:43], 1, v[20:21]
	flat_store_short v[26:27], v28
	s_or_b64 exec, exec, s[18:19]
	s_and_b64 s[22:23], s[6:7], s[10:11]
	s_and_saveexec_b64 s[18:19], s[22:23]
	s_cbranch_execz .LBB217_226
.LBB217_235:
	s_and_b64 vcc, exec, s[0:1]
	s_cbranch_vccnz .LBB217_237
; %bb.236:
	v_lshl_add_u64 v[26:27], v[44:45], 1, v[24:25]
	flat_load_ushort v26, v[26:27]
	s_waitcnt vmcnt(0) lgkmcnt(0)
	v_mul_f16_e32 v26, s26, v26
	v_cvt_f32_f16_e32 v26, v26
	s_branch .LBB217_238
.LBB217_237:
	v_mov_b32_e32 v26, 0
.LBB217_238:
	v_pk_add_f16 v27, v0, v22
	v_max_f16_e32 v28, v83, v83
	v_pk_add_f16 v30, v1, v23
	v_min_f16_e32 v28, v28, v27
	v_lshrrev_b32_e32 v29, 16, v83
	v_lshrrev_b32_e32 v27, 16, v27
	;; [unrolled: 1-line block ×3, first 2 shown]
	v_min3_f16 v27, v29, v27, v31
	v_min3_f16 v27, v28, v30, v27
	v_cvt_f32_f16_e32 v27, v27
	v_max_f32_e32 v26, v26, v26
	v_min_f32_e32 v26, v26, v27
	v_cvt_f16_f32_e32 v28, v26
	v_lshl_add_u64 v[26:27], v[44:45], 1, v[20:21]
	flat_store_short v[26:27], v28
	s_or_b64 exec, exec, s[18:19]
	s_and_b64 s[18:19], s[8:9], s[10:11]
	s_and_saveexec_b64 s[10:11], s[18:19]
	s_cbranch_execz .LBB217_243
.LBB217_239:
	s_and_b64 vcc, exec, s[0:1]
	s_cbranch_vccnz .LBB217_241
; %bb.240:
	v_lshl_add_u64 v[24:25], v[46:47], 1, v[24:25]
	flat_load_ushort v24, v[24:25]
	s_waitcnt vmcnt(0) lgkmcnt(0)
	v_mul_f16_e32 v24, s26, v24
	v_cvt_f32_f16_e32 v24, v24
	s_branch .LBB217_242
.LBB217_241:
	v_mov_b32_e32 v24, 0
.LBB217_242:
	v_pk_add_f16 v22, v2, v22
	v_max_f16_e32 v25, v82, v82
	v_pk_add_f16 v23, v3, v23
	v_min_f16_e32 v25, v25, v22
	v_lshrrev_b32_e32 v26, 16, v82
	v_lshrrev_b32_e32 v22, 16, v22
	v_lshrrev_b32_e32 v27, 16, v23
	v_min3_f16 v22, v26, v22, v27
	v_min3_f16 v22, v25, v23, v22
	v_cvt_f32_f16_e32 v22, v22
	v_max_f32_e32 v23, v24, v24
	v_lshl_add_u64 v[20:21], v[46:47], 1, v[20:21]
	v_min_f32_e32 v22, v23, v22
	v_cvt_f16_f32_e32 v22, v22
	flat_store_short v[20:21], v22
.LBB217_243:
	s_or_b64 exec, exec, s[10:11]
	v_add_u32_e32 v24, 0x50, v52
	v_mad_i64_i32 v[20:21], s[18:19], v24, s21, 0
	v_cmp_gt_i32_e64 s[10:11], s13, v24
	v_lshl_add_u64 v[22:23], v[20:21], 1, s[16:17]
	v_mad_i64_i32 v[20:21], s[18:19], v24, s20, 0
	v_lshl_add_u64 v[20:21], v[20:21], 1, s[14:15]
	s_and_b64 s[22:23], s[2:3], s[10:11]
	s_and_saveexec_b64 s[18:19], s[22:23]
	s_cbranch_execnz .LBB217_247
; %bb.244:
	s_or_b64 exec, exec, s[18:19]
	s_and_b64 s[22:23], s[4:5], s[10:11]
	s_and_saveexec_b64 s[18:19], s[22:23]
	s_cbranch_execnz .LBB217_251
.LBB217_245:
	s_or_b64 exec, exec, s[18:19]
	s_and_b64 s[22:23], s[6:7], s[10:11]
	s_and_saveexec_b64 s[18:19], s[22:23]
	s_cbranch_execnz .LBB217_255
.LBB217_246:
	s_or_b64 exec, exec, s[18:19]
	s_and_b64 s[18:19], s[8:9], s[10:11]
	s_and_saveexec_b64 s[10:11], s[18:19]
	s_cbranch_execnz .LBB217_259
	s_branch .LBB217_263
.LBB217_247:
	s_and_b64 vcc, exec, s[0:1]
	s_cbranch_vccnz .LBB217_249
; %bb.248:
	v_lshl_add_u64 v[24:25], v[40:41], 1, v[22:23]
	flat_load_ushort v24, v[24:25]
	s_waitcnt vmcnt(0) lgkmcnt(0)
	v_mul_f16_e32 v24, s26, v24
	v_cvt_f32_f16_e32 v24, v24
	s_branch .LBB217_250
.LBB217_249:
	v_mov_b32_e32 v24, 0
.LBB217_250:
	v_pk_add_f16 v25, v8, v16
	v_max_f16_e32 v26, v81, v81
	v_pk_add_f16 v28, v9, v17
	v_min_f16_e32 v26, v26, v25
	v_lshrrev_b32_e32 v27, 16, v81
	v_lshrrev_b32_e32 v25, 16, v25
	;; [unrolled: 1-line block ×3, first 2 shown]
	v_min3_f16 v25, v27, v25, v29
	v_min3_f16 v25, v26, v28, v25
	v_cvt_f32_f16_e32 v25, v25
	v_max_f32_e32 v24, v24, v24
	v_min_f32_e32 v24, v24, v25
	v_cvt_f16_f32_e32 v26, v24
	v_lshl_add_u64 v[24:25], v[40:41], 1, v[20:21]
	flat_store_short v[24:25], v26
	s_or_b64 exec, exec, s[18:19]
	s_and_b64 s[22:23], s[4:5], s[10:11]
	s_and_saveexec_b64 s[18:19], s[22:23]
	s_cbranch_execz .LBB217_245
.LBB217_251:
	s_and_b64 vcc, exec, s[0:1]
	s_cbranch_vccnz .LBB217_253
; %bb.252:
	v_lshl_add_u64 v[24:25], v[42:43], 1, v[22:23]
	flat_load_ushort v24, v[24:25]
	s_waitcnt vmcnt(0) lgkmcnt(0)
	v_mul_f16_e32 v24, s26, v24
	v_cvt_f32_f16_e32 v24, v24
	s_branch .LBB217_254
.LBB217_253:
	v_mov_b32_e32 v24, 0
.LBB217_254:
	v_pk_add_f16 v25, v10, v16
	v_max_f16_e32 v26, v80, v80
	v_pk_add_f16 v28, v11, v17
	v_min_f16_e32 v26, v26, v25
	v_lshrrev_b32_e32 v27, 16, v80
	v_lshrrev_b32_e32 v25, 16, v25
	;; [unrolled: 1-line block ×3, first 2 shown]
	v_min3_f16 v25, v27, v25, v29
	v_min3_f16 v25, v26, v28, v25
	v_cvt_f32_f16_e32 v25, v25
	v_max_f32_e32 v24, v24, v24
	v_min_f32_e32 v24, v24, v25
	v_cvt_f16_f32_e32 v26, v24
	v_lshl_add_u64 v[24:25], v[42:43], 1, v[20:21]
	flat_store_short v[24:25], v26
	s_or_b64 exec, exec, s[18:19]
	s_and_b64 s[22:23], s[6:7], s[10:11]
	s_and_saveexec_b64 s[18:19], s[22:23]
	s_cbranch_execz .LBB217_246
.LBB217_255:
	s_and_b64 vcc, exec, s[0:1]
	s_cbranch_vccnz .LBB217_257
; %bb.256:
	v_lshl_add_u64 v[24:25], v[44:45], 1, v[22:23]
	flat_load_ushort v24, v[24:25]
	s_waitcnt vmcnt(0) lgkmcnt(0)
	v_mul_f16_e32 v24, s26, v24
	v_cvt_f32_f16_e32 v24, v24
	s_branch .LBB217_258
.LBB217_257:
	v_mov_b32_e32 v24, 0
.LBB217_258:
	v_pk_add_f16 v25, v0, v16
	v_max_f16_e32 v26, v79, v79
	v_pk_add_f16 v28, v1, v17
	v_min_f16_e32 v26, v26, v25
	v_lshrrev_b32_e32 v27, 16, v79
	v_lshrrev_b32_e32 v25, 16, v25
	;; [unrolled: 1-line block ×3, first 2 shown]
	v_min3_f16 v25, v27, v25, v29
	v_min3_f16 v25, v26, v28, v25
	v_cvt_f32_f16_e32 v25, v25
	v_max_f32_e32 v24, v24, v24
	v_min_f32_e32 v24, v24, v25
	v_cvt_f16_f32_e32 v26, v24
	v_lshl_add_u64 v[24:25], v[44:45], 1, v[20:21]
	flat_store_short v[24:25], v26
	s_or_b64 exec, exec, s[18:19]
	s_and_b64 s[18:19], s[8:9], s[10:11]
	s_and_saveexec_b64 s[10:11], s[18:19]
	s_cbranch_execz .LBB217_263
.LBB217_259:
	s_and_b64 vcc, exec, s[0:1]
	s_cbranch_vccnz .LBB217_261
; %bb.260:
	v_lshl_add_u64 v[22:23], v[46:47], 1, v[22:23]
	flat_load_ushort v22, v[22:23]
	s_waitcnt vmcnt(0) lgkmcnt(0)
	v_mul_f16_e32 v22, s26, v22
	v_cvt_f32_f16_e32 v22, v22
	s_branch .LBB217_262
.LBB217_261:
	v_mov_b32_e32 v22, 0
.LBB217_262:
	v_pk_add_f16 v16, v2, v16
	v_max_f16_e32 v23, v78, v78
	v_pk_add_f16 v17, v3, v17
	v_min_f16_e32 v23, v23, v16
	v_lshrrev_b32_e32 v24, 16, v78
	v_lshrrev_b32_e32 v16, 16, v16
	v_lshrrev_b32_e32 v25, 16, v17
	v_min3_f16 v16, v24, v16, v25
	v_min3_f16 v16, v23, v17, v16
	v_cvt_f32_f16_e32 v16, v16
	v_max_f32_e32 v17, v22, v22
	v_min_f32_e32 v16, v17, v16
	v_cvt_f16_f32_e32 v22, v16
	v_lshl_add_u64 v[16:17], v[46:47], 1, v[20:21]
	flat_store_short v[16:17], v22
.LBB217_263:
	s_or_b64 exec, exec, s[10:11]
	v_add_u32_e32 v22, 0x58, v52
	v_mad_i64_i32 v[16:17], s[18:19], v22, s21, 0
	v_cmp_gt_i32_e64 s[10:11], s13, v22
	v_lshl_add_u64 v[20:21], v[16:17], 1, s[16:17]
	v_mad_i64_i32 v[16:17], s[18:19], v22, s20, 0
	v_lshl_add_u64 v[16:17], v[16:17], 1, s[14:15]
	s_and_b64 s[22:23], s[2:3], s[10:11]
	s_and_saveexec_b64 s[18:19], s[22:23]
	s_cbranch_execnz .LBB217_267
; %bb.264:
	s_or_b64 exec, exec, s[18:19]
	s_and_b64 s[22:23], s[4:5], s[10:11]
	s_and_saveexec_b64 s[18:19], s[22:23]
	s_cbranch_execnz .LBB217_271
.LBB217_265:
	s_or_b64 exec, exec, s[18:19]
	s_and_b64 s[22:23], s[6:7], s[10:11]
	s_and_saveexec_b64 s[18:19], s[22:23]
	s_cbranch_execnz .LBB217_275
.LBB217_266:
	s_or_b64 exec, exec, s[18:19]
	s_and_b64 s[18:19], s[8:9], s[10:11]
	s_and_saveexec_b64 s[10:11], s[18:19]
	s_cbranch_execnz .LBB217_279
	s_branch .LBB217_283
.LBB217_267:
	s_and_b64 vcc, exec, s[0:1]
	s_cbranch_vccnz .LBB217_269
; %bb.268:
	v_lshl_add_u64 v[22:23], v[40:41], 1, v[20:21]
	flat_load_ushort v22, v[22:23]
	s_waitcnt vmcnt(0) lgkmcnt(0)
	v_mul_f16_e32 v22, s26, v22
	v_cvt_f32_f16_e32 v22, v22
	s_branch .LBB217_270
.LBB217_269:
	v_mov_b32_e32 v22, 0
.LBB217_270:
	v_pk_add_f16 v23, v8, v18
	v_max_f16_e32 v24, v77, v77
	v_pk_add_f16 v26, v9, v19
	v_min_f16_e32 v24, v24, v23
	v_lshrrev_b32_e32 v25, 16, v77
	v_lshrrev_b32_e32 v23, 16, v23
	;; [unrolled: 1-line block ×3, first 2 shown]
	v_min3_f16 v23, v25, v23, v27
	v_min3_f16 v23, v24, v26, v23
	v_cvt_f32_f16_e32 v23, v23
	v_max_f32_e32 v22, v22, v22
	v_min_f32_e32 v22, v22, v23
	v_cvt_f16_f32_e32 v24, v22
	v_lshl_add_u64 v[22:23], v[40:41], 1, v[16:17]
	flat_store_short v[22:23], v24
	s_or_b64 exec, exec, s[18:19]
	s_and_b64 s[22:23], s[4:5], s[10:11]
	s_and_saveexec_b64 s[18:19], s[22:23]
	s_cbranch_execz .LBB217_265
.LBB217_271:
	s_and_b64 vcc, exec, s[0:1]
	s_cbranch_vccnz .LBB217_273
; %bb.272:
	v_lshl_add_u64 v[22:23], v[42:43], 1, v[20:21]
	flat_load_ushort v22, v[22:23]
	s_waitcnt vmcnt(0) lgkmcnt(0)
	v_mul_f16_e32 v22, s26, v22
	v_cvt_f32_f16_e32 v22, v22
	s_branch .LBB217_274
.LBB217_273:
	v_mov_b32_e32 v22, 0
.LBB217_274:
	v_pk_add_f16 v23, v10, v18
	v_max_f16_e32 v24, v76, v76
	v_pk_add_f16 v26, v11, v19
	v_min_f16_e32 v24, v24, v23
	v_lshrrev_b32_e32 v25, 16, v76
	v_lshrrev_b32_e32 v23, 16, v23
	;; [unrolled: 1-line block ×3, first 2 shown]
	v_min3_f16 v23, v25, v23, v27
	v_min3_f16 v23, v24, v26, v23
	v_cvt_f32_f16_e32 v23, v23
	v_max_f32_e32 v22, v22, v22
	v_min_f32_e32 v22, v22, v23
	v_cvt_f16_f32_e32 v24, v22
	v_lshl_add_u64 v[22:23], v[42:43], 1, v[16:17]
	flat_store_short v[22:23], v24
	s_or_b64 exec, exec, s[18:19]
	s_and_b64 s[22:23], s[6:7], s[10:11]
	s_and_saveexec_b64 s[18:19], s[22:23]
	s_cbranch_execz .LBB217_266
.LBB217_275:
	s_and_b64 vcc, exec, s[0:1]
	s_cbranch_vccnz .LBB217_277
; %bb.276:
	v_lshl_add_u64 v[22:23], v[44:45], 1, v[20:21]
	flat_load_ushort v22, v[22:23]
	s_waitcnt vmcnt(0) lgkmcnt(0)
	v_mul_f16_e32 v22, s26, v22
	v_cvt_f32_f16_e32 v22, v22
	s_branch .LBB217_278
.LBB217_277:
	v_mov_b32_e32 v22, 0
.LBB217_278:
	v_pk_add_f16 v23, v0, v18
	v_max_f16_e32 v24, v75, v75
	v_pk_add_f16 v26, v1, v19
	v_min_f16_e32 v24, v24, v23
	v_lshrrev_b32_e32 v25, 16, v75
	v_lshrrev_b32_e32 v23, 16, v23
	;; [unrolled: 1-line block ×3, first 2 shown]
	v_min3_f16 v23, v25, v23, v27
	v_min3_f16 v23, v24, v26, v23
	v_cvt_f32_f16_e32 v23, v23
	v_max_f32_e32 v22, v22, v22
	v_min_f32_e32 v22, v22, v23
	v_cvt_f16_f32_e32 v24, v22
	v_lshl_add_u64 v[22:23], v[44:45], 1, v[16:17]
	flat_store_short v[22:23], v24
	s_or_b64 exec, exec, s[18:19]
	s_and_b64 s[18:19], s[8:9], s[10:11]
	s_and_saveexec_b64 s[10:11], s[18:19]
	s_cbranch_execz .LBB217_283
.LBB217_279:
	s_and_b64 vcc, exec, s[0:1]
	s_cbranch_vccnz .LBB217_281
; %bb.280:
	v_lshl_add_u64 v[20:21], v[46:47], 1, v[20:21]
	flat_load_ushort v20, v[20:21]
	s_waitcnt vmcnt(0) lgkmcnt(0)
	v_mul_f16_e32 v20, s26, v20
	v_cvt_f32_f16_e32 v20, v20
	s_branch .LBB217_282
.LBB217_281:
	v_mov_b32_e32 v20, 0
.LBB217_282:
	v_pk_add_f16 v18, v2, v18
	v_max_f16_e32 v21, v74, v74
	v_pk_add_f16 v19, v3, v19
	v_min_f16_e32 v21, v21, v18
	v_lshrrev_b32_e32 v22, 16, v74
	v_lshrrev_b32_e32 v18, 16, v18
	;; [unrolled: 1-line block ×3, first 2 shown]
	v_min3_f16 v18, v22, v18, v23
	v_min3_f16 v18, v21, v19, v18
	v_cvt_f32_f16_e32 v18, v18
	v_max_f32_e32 v19, v20, v20
	v_lshl_add_u64 v[16:17], v[46:47], 1, v[16:17]
	v_min_f32_e32 v18, v19, v18
	v_cvt_f16_f32_e32 v18, v18
	flat_store_short v[16:17], v18
.LBB217_283:
	s_or_b64 exec, exec, s[10:11]
	v_add_u32_e32 v20, 0x60, v52
	v_mad_i64_i32 v[16:17], s[18:19], v20, s21, 0
	v_cmp_gt_i32_e64 s[10:11], s13, v20
	v_lshl_add_u64 v[18:19], v[16:17], 1, s[16:17]
	v_mad_i64_i32 v[16:17], s[18:19], v20, s20, 0
	v_lshl_add_u64 v[16:17], v[16:17], 1, s[14:15]
	s_and_b64 s[22:23], s[2:3], s[10:11]
	s_and_saveexec_b64 s[18:19], s[22:23]
	s_cbranch_execnz .LBB217_287
; %bb.284:
	s_or_b64 exec, exec, s[18:19]
	s_and_b64 s[22:23], s[4:5], s[10:11]
	s_and_saveexec_b64 s[18:19], s[22:23]
	s_cbranch_execnz .LBB217_291
.LBB217_285:
	s_or_b64 exec, exec, s[18:19]
	s_and_b64 s[22:23], s[6:7], s[10:11]
	s_and_saveexec_b64 s[18:19], s[22:23]
	s_cbranch_execnz .LBB217_295
.LBB217_286:
	s_or_b64 exec, exec, s[18:19]
	s_and_b64 s[18:19], s[8:9], s[10:11]
	s_and_saveexec_b64 s[10:11], s[18:19]
	s_cbranch_execnz .LBB217_299
	s_branch .LBB217_303
.LBB217_287:
	s_and_b64 vcc, exec, s[0:1]
	s_cbranch_vccnz .LBB217_289
; %bb.288:
	v_lshl_add_u64 v[20:21], v[40:41], 1, v[18:19]
	flat_load_ushort v20, v[20:21]
	s_waitcnt vmcnt(0) lgkmcnt(0)
	v_mul_f16_e32 v20, s26, v20
	v_cvt_f32_f16_e32 v20, v20
	s_branch .LBB217_290
.LBB217_289:
	v_mov_b32_e32 v20, 0
.LBB217_290:
	v_pk_add_f16 v21, v8, v12
	v_max_f16_e32 v22, v73, v73
	v_pk_add_f16 v24, v9, v13
	v_min_f16_e32 v22, v22, v21
	v_lshrrev_b32_e32 v23, 16, v73
	v_lshrrev_b32_e32 v21, 16, v21
	;; [unrolled: 1-line block ×3, first 2 shown]
	v_min3_f16 v21, v23, v21, v25
	v_min3_f16 v21, v22, v24, v21
	v_cvt_f32_f16_e32 v21, v21
	v_max_f32_e32 v20, v20, v20
	v_min_f32_e32 v20, v20, v21
	v_cvt_f16_f32_e32 v22, v20
	v_lshl_add_u64 v[20:21], v[40:41], 1, v[16:17]
	flat_store_short v[20:21], v22
	s_or_b64 exec, exec, s[18:19]
	s_and_b64 s[22:23], s[4:5], s[10:11]
	s_and_saveexec_b64 s[18:19], s[22:23]
	s_cbranch_execz .LBB217_285
.LBB217_291:
	s_and_b64 vcc, exec, s[0:1]
	s_cbranch_vccnz .LBB217_293
; %bb.292:
	v_lshl_add_u64 v[20:21], v[42:43], 1, v[18:19]
	flat_load_ushort v20, v[20:21]
	s_waitcnt vmcnt(0) lgkmcnt(0)
	v_mul_f16_e32 v20, s26, v20
	v_cvt_f32_f16_e32 v20, v20
	s_branch .LBB217_294
.LBB217_293:
	v_mov_b32_e32 v20, 0
.LBB217_294:
	v_pk_add_f16 v21, v10, v12
	v_max_f16_e32 v22, v72, v72
	v_pk_add_f16 v24, v11, v13
	v_min_f16_e32 v22, v22, v21
	v_lshrrev_b32_e32 v23, 16, v72
	v_lshrrev_b32_e32 v21, 16, v21
	;; [unrolled: 1-line block ×3, first 2 shown]
	v_min3_f16 v21, v23, v21, v25
	v_min3_f16 v21, v22, v24, v21
	v_cvt_f32_f16_e32 v21, v21
	v_max_f32_e32 v20, v20, v20
	v_min_f32_e32 v20, v20, v21
	v_cvt_f16_f32_e32 v22, v20
	v_lshl_add_u64 v[20:21], v[42:43], 1, v[16:17]
	flat_store_short v[20:21], v22
	s_or_b64 exec, exec, s[18:19]
	s_and_b64 s[22:23], s[6:7], s[10:11]
	s_and_saveexec_b64 s[18:19], s[22:23]
	s_cbranch_execz .LBB217_286
.LBB217_295:
	s_and_b64 vcc, exec, s[0:1]
	s_cbranch_vccnz .LBB217_297
; %bb.296:
	v_lshl_add_u64 v[20:21], v[44:45], 1, v[18:19]
	flat_load_ushort v20, v[20:21]
	s_waitcnt vmcnt(0) lgkmcnt(0)
	v_mul_f16_e32 v20, s26, v20
	v_cvt_f32_f16_e32 v20, v20
	s_branch .LBB217_298
.LBB217_297:
	v_mov_b32_e32 v20, 0
.LBB217_298:
	v_pk_add_f16 v21, v0, v12
	v_max_f16_e32 v22, v71, v71
	v_pk_add_f16 v24, v1, v13
	v_min_f16_e32 v22, v22, v21
	v_lshrrev_b32_e32 v23, 16, v71
	v_lshrrev_b32_e32 v21, 16, v21
	;; [unrolled: 1-line block ×3, first 2 shown]
	v_min3_f16 v21, v23, v21, v25
	v_min3_f16 v21, v22, v24, v21
	v_cvt_f32_f16_e32 v21, v21
	v_max_f32_e32 v20, v20, v20
	v_min_f32_e32 v20, v20, v21
	v_cvt_f16_f32_e32 v22, v20
	v_lshl_add_u64 v[20:21], v[44:45], 1, v[16:17]
	flat_store_short v[20:21], v22
	s_or_b64 exec, exec, s[18:19]
	s_and_b64 s[18:19], s[8:9], s[10:11]
	s_and_saveexec_b64 s[10:11], s[18:19]
	s_cbranch_execz .LBB217_303
.LBB217_299:
	s_and_b64 vcc, exec, s[0:1]
	s_cbranch_vccnz .LBB217_301
; %bb.300:
	v_lshl_add_u64 v[18:19], v[46:47], 1, v[18:19]
	flat_load_ushort v18, v[18:19]
	s_waitcnt vmcnt(0) lgkmcnt(0)
	v_mul_f16_e32 v18, s26, v18
	v_cvt_f32_f16_e32 v18, v18
	s_branch .LBB217_302
.LBB217_301:
	v_mov_b32_e32 v18, 0
.LBB217_302:
	v_pk_add_f16 v12, v2, v12
	v_max_f16_e32 v19, v70, v70
	v_pk_add_f16 v13, v3, v13
	v_min_f16_e32 v19, v19, v12
	v_lshrrev_b32_e32 v20, 16, v70
	v_lshrrev_b32_e32 v12, 16, v12
	;; [unrolled: 1-line block ×3, first 2 shown]
	v_min3_f16 v12, v20, v12, v21
	v_min3_f16 v12, v19, v13, v12
	v_cvt_f32_f16_e32 v12, v12
	v_max_f32_e32 v13, v18, v18
	v_min_f32_e32 v12, v13, v12
	v_cvt_f16_f32_e32 v18, v12
	v_lshl_add_u64 v[12:13], v[46:47], 1, v[16:17]
	flat_store_short v[12:13], v18
.LBB217_303:
	s_or_b64 exec, exec, s[10:11]
	v_add_u32_e32 v18, 0x68, v52
	v_mad_i64_i32 v[12:13], s[18:19], v18, s21, 0
	v_cmp_gt_i32_e64 s[10:11], s13, v18
	v_lshl_add_u64 v[16:17], v[12:13], 1, s[16:17]
	v_mad_i64_i32 v[12:13], s[18:19], v18, s20, 0
	v_lshl_add_u64 v[12:13], v[12:13], 1, s[14:15]
	s_and_b64 s[22:23], s[2:3], s[10:11]
	s_and_saveexec_b64 s[18:19], s[22:23]
	s_cbranch_execnz .LBB217_307
; %bb.304:
	s_or_b64 exec, exec, s[18:19]
	s_and_b64 s[22:23], s[4:5], s[10:11]
	s_and_saveexec_b64 s[18:19], s[22:23]
	s_cbranch_execnz .LBB217_311
.LBB217_305:
	s_or_b64 exec, exec, s[18:19]
	s_and_b64 s[22:23], s[6:7], s[10:11]
	s_and_saveexec_b64 s[18:19], s[22:23]
	s_cbranch_execnz .LBB217_315
.LBB217_306:
	s_or_b64 exec, exec, s[18:19]
	s_and_b64 s[18:19], s[8:9], s[10:11]
	s_and_saveexec_b64 s[10:11], s[18:19]
	s_cbranch_execnz .LBB217_319
	s_branch .LBB217_323
.LBB217_307:
	s_and_b64 vcc, exec, s[0:1]
	s_cbranch_vccnz .LBB217_309
; %bb.308:
	v_lshl_add_u64 v[18:19], v[40:41], 1, v[16:17]
	flat_load_ushort v18, v[18:19]
	s_waitcnt vmcnt(0) lgkmcnt(0)
	v_mul_f16_e32 v18, s26, v18
	v_cvt_f32_f16_e32 v18, v18
	s_branch .LBB217_310
.LBB217_309:
	v_mov_b32_e32 v18, 0
.LBB217_310:
	v_pk_add_f16 v19, v8, v14
	v_max_f16_e32 v20, v69, v69
	v_pk_add_f16 v22, v9, v15
	v_min_f16_e32 v20, v20, v19
	v_lshrrev_b32_e32 v21, 16, v69
	v_lshrrev_b32_e32 v19, 16, v19
	;; [unrolled: 1-line block ×3, first 2 shown]
	v_min3_f16 v19, v21, v19, v23
	v_min3_f16 v19, v20, v22, v19
	v_cvt_f32_f16_e32 v19, v19
	v_max_f32_e32 v18, v18, v18
	v_min_f32_e32 v18, v18, v19
	v_cvt_f16_f32_e32 v20, v18
	v_lshl_add_u64 v[18:19], v[40:41], 1, v[12:13]
	flat_store_short v[18:19], v20
	s_or_b64 exec, exec, s[18:19]
	s_and_b64 s[22:23], s[4:5], s[10:11]
	s_and_saveexec_b64 s[18:19], s[22:23]
	s_cbranch_execz .LBB217_305
.LBB217_311:
	s_and_b64 vcc, exec, s[0:1]
	s_cbranch_vccnz .LBB217_313
; %bb.312:
	v_lshl_add_u64 v[18:19], v[42:43], 1, v[16:17]
	flat_load_ushort v18, v[18:19]
	s_waitcnt vmcnt(0) lgkmcnt(0)
	v_mul_f16_e32 v18, s26, v18
	v_cvt_f32_f16_e32 v18, v18
	s_branch .LBB217_314
.LBB217_313:
	v_mov_b32_e32 v18, 0
.LBB217_314:
	v_pk_add_f16 v19, v10, v14
	v_max_f16_e32 v20, v68, v68
	v_pk_add_f16 v22, v11, v15
	v_min_f16_e32 v20, v20, v19
	v_lshrrev_b32_e32 v21, 16, v68
	v_lshrrev_b32_e32 v19, 16, v19
	;; [unrolled: 1-line block ×3, first 2 shown]
	v_min3_f16 v19, v21, v19, v23
	v_min3_f16 v19, v20, v22, v19
	v_cvt_f32_f16_e32 v19, v19
	v_max_f32_e32 v18, v18, v18
	v_min_f32_e32 v18, v18, v19
	v_cvt_f16_f32_e32 v20, v18
	v_lshl_add_u64 v[18:19], v[42:43], 1, v[12:13]
	flat_store_short v[18:19], v20
	s_or_b64 exec, exec, s[18:19]
	s_and_b64 s[22:23], s[6:7], s[10:11]
	s_and_saveexec_b64 s[18:19], s[22:23]
	s_cbranch_execz .LBB217_306
.LBB217_315:
	s_and_b64 vcc, exec, s[0:1]
	s_cbranch_vccnz .LBB217_317
; %bb.316:
	v_lshl_add_u64 v[18:19], v[44:45], 1, v[16:17]
	flat_load_ushort v18, v[18:19]
	s_waitcnt vmcnt(0) lgkmcnt(0)
	v_mul_f16_e32 v18, s26, v18
	v_cvt_f32_f16_e32 v18, v18
	s_branch .LBB217_318
.LBB217_317:
	v_mov_b32_e32 v18, 0
.LBB217_318:
	v_pk_add_f16 v19, v0, v14
	v_max_f16_e32 v20, v67, v67
	v_pk_add_f16 v22, v1, v15
	v_min_f16_e32 v20, v20, v19
	v_lshrrev_b32_e32 v21, 16, v67
	v_lshrrev_b32_e32 v19, 16, v19
	;; [unrolled: 1-line block ×3, first 2 shown]
	v_min3_f16 v19, v21, v19, v23
	v_min3_f16 v19, v20, v22, v19
	v_cvt_f32_f16_e32 v19, v19
	v_max_f32_e32 v18, v18, v18
	v_min_f32_e32 v18, v18, v19
	v_cvt_f16_f32_e32 v20, v18
	v_lshl_add_u64 v[18:19], v[44:45], 1, v[12:13]
	flat_store_short v[18:19], v20
	s_or_b64 exec, exec, s[18:19]
	s_and_b64 s[18:19], s[8:9], s[10:11]
	s_and_saveexec_b64 s[10:11], s[18:19]
	s_cbranch_execz .LBB217_323
.LBB217_319:
	s_and_b64 vcc, exec, s[0:1]
	s_cbranch_vccnz .LBB217_321
; %bb.320:
	v_lshl_add_u64 v[16:17], v[46:47], 1, v[16:17]
	flat_load_ushort v16, v[16:17]
	s_waitcnt vmcnt(0) lgkmcnt(0)
	v_mul_f16_e32 v16, s26, v16
	v_cvt_f32_f16_e32 v16, v16
	s_branch .LBB217_322
.LBB217_321:
	v_mov_b32_e32 v16, 0
.LBB217_322:
	v_pk_add_f16 v14, v2, v14
	v_max_f16_e32 v17, v66, v66
	v_pk_add_f16 v15, v3, v15
	v_min_f16_e32 v17, v17, v14
	v_lshrrev_b32_e32 v18, 16, v66
	v_lshrrev_b32_e32 v14, 16, v14
	;; [unrolled: 1-line block ×3, first 2 shown]
	v_min3_f16 v14, v18, v14, v19
	v_min3_f16 v14, v17, v15, v14
	v_cvt_f32_f16_e32 v14, v14
	v_max_f32_e32 v15, v16, v16
	v_lshl_add_u64 v[12:13], v[46:47], 1, v[12:13]
	v_min_f32_e32 v14, v15, v14
	v_cvt_f16_f32_e32 v14, v14
	flat_store_short v[12:13], v14
.LBB217_323:
	s_or_b64 exec, exec, s[10:11]
	v_add_u32_e32 v16, 0x70, v52
	v_mad_i64_i32 v[12:13], s[18:19], v16, s21, 0
	v_cmp_gt_i32_e64 s[10:11], s13, v16
	v_lshl_add_u64 v[14:15], v[12:13], 1, s[16:17]
	v_mad_i64_i32 v[12:13], s[18:19], v16, s20, 0
	v_lshl_add_u64 v[12:13], v[12:13], 1, s[14:15]
	s_and_b64 s[22:23], s[2:3], s[10:11]
	s_and_saveexec_b64 s[18:19], s[22:23]
	s_cbranch_execnz .LBB217_327
; %bb.324:
	s_or_b64 exec, exec, s[18:19]
	s_and_b64 s[22:23], s[4:5], s[10:11]
	s_and_saveexec_b64 s[18:19], s[22:23]
	s_cbranch_execnz .LBB217_331
.LBB217_325:
	s_or_b64 exec, exec, s[18:19]
	s_and_b64 s[22:23], s[6:7], s[10:11]
	s_and_saveexec_b64 s[18:19], s[22:23]
	s_cbranch_execnz .LBB217_335
.LBB217_326:
	s_or_b64 exec, exec, s[18:19]
	s_and_b64 s[18:19], s[8:9], s[10:11]
	s_and_saveexec_b64 s[10:11], s[18:19]
	s_cbranch_execnz .LBB217_339
	s_branch .LBB217_343
.LBB217_327:
	s_and_b64 vcc, exec, s[0:1]
	s_cbranch_vccnz .LBB217_329
; %bb.328:
	v_lshl_add_u64 v[16:17], v[40:41], 1, v[14:15]
	flat_load_ushort v16, v[16:17]
	s_waitcnt vmcnt(0) lgkmcnt(0)
	v_mul_f16_e32 v16, s26, v16
	v_cvt_f32_f16_e32 v16, v16
	s_branch .LBB217_330
.LBB217_329:
	v_mov_b32_e32 v16, 0
.LBB217_330:
	v_pk_add_f16 v17, v8, v4
	v_max_f16_e32 v18, v65, v65
	v_pk_add_f16 v20, v9, v5
	v_min_f16_e32 v18, v18, v17
	v_lshrrev_b32_e32 v19, 16, v65
	v_lshrrev_b32_e32 v17, 16, v17
	;; [unrolled: 1-line block ×3, first 2 shown]
	v_min3_f16 v17, v19, v17, v21
	v_min3_f16 v17, v18, v20, v17
	v_cvt_f32_f16_e32 v17, v17
	v_max_f32_e32 v16, v16, v16
	v_min_f32_e32 v16, v16, v17
	v_cvt_f16_f32_e32 v18, v16
	v_lshl_add_u64 v[16:17], v[40:41], 1, v[12:13]
	flat_store_short v[16:17], v18
	s_or_b64 exec, exec, s[18:19]
	s_and_b64 s[22:23], s[4:5], s[10:11]
	s_and_saveexec_b64 s[18:19], s[22:23]
	s_cbranch_execz .LBB217_325
.LBB217_331:
	s_and_b64 vcc, exec, s[0:1]
	s_cbranch_vccnz .LBB217_333
; %bb.332:
	v_lshl_add_u64 v[16:17], v[42:43], 1, v[14:15]
	flat_load_ushort v16, v[16:17]
	s_waitcnt vmcnt(0) lgkmcnt(0)
	v_mul_f16_e32 v16, s26, v16
	v_cvt_f32_f16_e32 v16, v16
	s_branch .LBB217_334
.LBB217_333:
	v_mov_b32_e32 v16, 0
.LBB217_334:
	v_pk_add_f16 v17, v10, v4
	v_max_f16_e32 v18, v64, v64
	v_pk_add_f16 v20, v11, v5
	v_min_f16_e32 v18, v18, v17
	v_lshrrev_b32_e32 v19, 16, v64
	v_lshrrev_b32_e32 v17, 16, v17
	;; [unrolled: 1-line block ×3, first 2 shown]
	v_min3_f16 v17, v19, v17, v21
	v_min3_f16 v17, v18, v20, v17
	v_cvt_f32_f16_e32 v17, v17
	v_max_f32_e32 v16, v16, v16
	v_min_f32_e32 v16, v16, v17
	v_cvt_f16_f32_e32 v18, v16
	v_lshl_add_u64 v[16:17], v[42:43], 1, v[12:13]
	flat_store_short v[16:17], v18
	s_or_b64 exec, exec, s[18:19]
	s_and_b64 s[22:23], s[6:7], s[10:11]
	s_and_saveexec_b64 s[18:19], s[22:23]
	s_cbranch_execz .LBB217_326
.LBB217_335:
	s_and_b64 vcc, exec, s[0:1]
	s_cbranch_vccnz .LBB217_337
; %bb.336:
	v_lshl_add_u64 v[16:17], v[44:45], 1, v[14:15]
	flat_load_ushort v16, v[16:17]
	s_waitcnt vmcnt(0) lgkmcnt(0)
	v_mul_f16_e32 v16, s26, v16
	v_cvt_f32_f16_e32 v16, v16
	s_branch .LBB217_338
.LBB217_337:
	v_mov_b32_e32 v16, 0
.LBB217_338:
	v_pk_add_f16 v17, v0, v4
	v_max_f16_e32 v18, v63, v63
	v_pk_add_f16 v20, v1, v5
	v_min_f16_e32 v18, v18, v17
	v_lshrrev_b32_e32 v19, 16, v63
	v_lshrrev_b32_e32 v17, 16, v17
	v_lshrrev_b32_e32 v21, 16, v20
	v_min3_f16 v17, v19, v17, v21
	v_min3_f16 v17, v18, v20, v17
	v_cvt_f32_f16_e32 v17, v17
	v_max_f32_e32 v16, v16, v16
	v_min_f32_e32 v16, v16, v17
	v_cvt_f16_f32_e32 v18, v16
	v_lshl_add_u64 v[16:17], v[44:45], 1, v[12:13]
	flat_store_short v[16:17], v18
	s_or_b64 exec, exec, s[18:19]
	s_and_b64 s[18:19], s[8:9], s[10:11]
	s_and_saveexec_b64 s[10:11], s[18:19]
	s_cbranch_execz .LBB217_343
.LBB217_339:
	s_and_b64 vcc, exec, s[0:1]
	s_cbranch_vccnz .LBB217_341
; %bb.340:
	v_lshl_add_u64 v[14:15], v[46:47], 1, v[14:15]
	flat_load_ushort v14, v[14:15]
	s_waitcnt vmcnt(0) lgkmcnt(0)
	v_mul_f16_e32 v14, s26, v14
	v_cvt_f32_f16_e32 v14, v14
	s_branch .LBB217_342
.LBB217_341:
	v_mov_b32_e32 v14, 0
.LBB217_342:
	v_pk_add_f16 v4, v2, v4
	v_max_f16_e32 v15, v62, v62
	v_pk_add_f16 v5, v3, v5
	v_min_f16_e32 v15, v15, v4
	v_lshrrev_b32_e32 v16, 16, v62
	v_lshrrev_b32_e32 v4, 16, v4
	;; [unrolled: 1-line block ×3, first 2 shown]
	v_min3_f16 v4, v16, v4, v17
	v_min3_f16 v4, v15, v5, v4
	v_cvt_f32_f16_e32 v4, v4
	v_max_f32_e32 v5, v14, v14
	v_min_f32_e32 v4, v5, v4
	v_cvt_f16_f32_e32 v14, v4
	v_lshl_add_u64 v[4:5], v[46:47], 1, v[12:13]
	flat_store_short v[4:5], v14
.LBB217_343:
	s_or_b64 exec, exec, s[10:11]
	v_add_u32_e32 v14, 0x78, v52
	v_cmp_gt_i32_e64 s[10:11], s13, v14
	v_mad_i64_i32 v[4:5], s[12:13], v14, s21, 0
	v_lshl_add_u64 v[12:13], v[4:5], 1, s[16:17]
	v_mad_i64_i32 v[4:5], s[12:13], v14, s20, 0
	v_lshl_add_u64 v[4:5], v[4:5], 1, s[14:15]
	s_and_b64 s[12:13], s[2:3], s[10:11]
	s_and_saveexec_b64 s[2:3], s[12:13]
	s_cbranch_execnz .LBB217_348
; %bb.344:
	s_or_b64 exec, exec, s[2:3]
	s_and_b64 s[4:5], s[4:5], s[10:11]
	s_and_saveexec_b64 s[2:3], s[4:5]
	s_cbranch_execnz .LBB217_352
.LBB217_345:
	s_or_b64 exec, exec, s[2:3]
	s_and_b64 s[4:5], s[6:7], s[10:11]
	s_and_saveexec_b64 s[2:3], s[4:5]
	s_cbranch_execnz .LBB217_356
.LBB217_346:
	s_or_b64 exec, exec, s[2:3]
	s_and_b64 s[2:3], s[8:9], s[10:11]
	s_and_saveexec_b64 s[4:5], s[2:3]
	s_cbranch_execnz .LBB217_360
.LBB217_347:
	s_endpgm
.LBB217_348:
	s_and_b64 vcc, exec, s[0:1]
	s_cbranch_vccnz .LBB217_350
; %bb.349:
	v_lshl_add_u64 v[14:15], v[40:41], 1, v[12:13]
	flat_load_ushort v14, v[14:15]
	s_waitcnt vmcnt(0) lgkmcnt(0)
	v_mul_f16_e32 v14, s26, v14
	v_cvt_f32_f16_e32 v14, v14
	s_branch .LBB217_351
.LBB217_350:
	v_mov_b32_e32 v14, 0
.LBB217_351:
	v_pk_add_f16 v8, v8, v6
	v_max_f16_e32 v15, v60, v60
	v_pk_add_f16 v9, v9, v7
	v_min_f16_e32 v15, v15, v8
	v_lshrrev_b32_e32 v16, 16, v60
	v_lshrrev_b32_e32 v8, 16, v8
	;; [unrolled: 1-line block ×3, first 2 shown]
	v_min3_f16 v8, v16, v8, v17
	v_min3_f16 v8, v15, v9, v8
	v_cvt_f32_f16_e32 v8, v8
	v_max_f32_e32 v9, v14, v14
	v_min_f32_e32 v8, v9, v8
	v_cvt_f16_f32_e32 v14, v8
	v_lshl_add_u64 v[8:9], v[40:41], 1, v[4:5]
	flat_store_short v[8:9], v14
	s_or_b64 exec, exec, s[2:3]
	s_and_b64 s[4:5], s[4:5], s[10:11]
	s_and_saveexec_b64 s[2:3], s[4:5]
	s_cbranch_execz .LBB217_345
.LBB217_352:
	s_and_b64 vcc, exec, s[0:1]
	s_cbranch_vccnz .LBB217_354
; %bb.353:
	v_lshl_add_u64 v[8:9], v[42:43], 1, v[12:13]
	flat_load_ushort v8, v[8:9]
	s_waitcnt vmcnt(0) lgkmcnt(0)
	v_mul_f16_e32 v8, s26, v8
	v_cvt_f32_f16_e32 v8, v8
	s_branch .LBB217_355
.LBB217_354:
	v_mov_b32_e32 v8, 0
.LBB217_355:
	v_pk_add_f16 v9, v10, v6
	v_max_f16_e32 v10, v59, v59
	v_pk_add_f16 v11, v11, v7
	v_min_f16_e32 v10, v10, v9
	v_lshrrev_b32_e32 v14, 16, v59
	v_lshrrev_b32_e32 v9, 16, v9
	;; [unrolled: 1-line block ×3, first 2 shown]
	v_min3_f16 v9, v14, v9, v15
	v_min3_f16 v9, v10, v11, v9
	v_cvt_f32_f16_e32 v9, v9
	v_max_f32_e32 v8, v8, v8
	v_min_f32_e32 v8, v8, v9
	v_cvt_f16_f32_e32 v10, v8
	v_lshl_add_u64 v[8:9], v[42:43], 1, v[4:5]
	flat_store_short v[8:9], v10
	s_or_b64 exec, exec, s[2:3]
	s_and_b64 s[4:5], s[6:7], s[10:11]
	s_and_saveexec_b64 s[2:3], s[4:5]
	s_cbranch_execz .LBB217_346
.LBB217_356:
	s_and_b64 vcc, exec, s[0:1]
	s_cbranch_vccnz .LBB217_358
; %bb.357:
	v_lshl_add_u64 v[8:9], v[44:45], 1, v[12:13]
	flat_load_ushort v8, v[8:9]
	s_waitcnt vmcnt(0) lgkmcnt(0)
	v_mul_f16_e32 v8, s26, v8
	v_cvt_f32_f16_e32 v8, v8
	s_branch .LBB217_359
.LBB217_358:
	v_mov_b32_e32 v8, 0
.LBB217_359:
	v_pk_add_f16 v0, v0, v6
	v_max_f16_e32 v9, v58, v58
	v_pk_add_f16 v1, v1, v7
	v_min_f16_e32 v9, v9, v0
	v_lshrrev_b32_e32 v10, 16, v58
	v_lshrrev_b32_e32 v0, 16, v0
	;; [unrolled: 1-line block ×3, first 2 shown]
	v_min3_f16 v0, v10, v0, v11
	v_min3_f16 v0, v9, v1, v0
	v_cvt_f32_f16_e32 v0, v0
	v_max_f32_e32 v1, v8, v8
	v_min_f32_e32 v0, v1, v0
	v_cvt_f16_f32_e32 v8, v0
	v_lshl_add_u64 v[0:1], v[44:45], 1, v[4:5]
	flat_store_short v[0:1], v8
	s_or_b64 exec, exec, s[2:3]
	s_and_b64 s[2:3], s[8:9], s[10:11]
	s_and_saveexec_b64 s[4:5], s[2:3]
	s_cbranch_execz .LBB217_347
.LBB217_360:
	s_and_b64 vcc, exec, s[0:1]
	s_cbranch_vccnz .LBB217_362
; %bb.361:
	v_lshl_add_u64 v[0:1], v[46:47], 1, v[12:13]
	flat_load_ushort v0, v[0:1]
	s_waitcnt vmcnt(0) lgkmcnt(0)
	v_mul_f16_e32 v0, s26, v0
	v_cvt_f32_f16_e32 v0, v0
	s_branch .LBB217_363
.LBB217_362:
	v_mov_b32_e32 v0, 0
.LBB217_363:
	v_pk_add_f16 v1, v2, v6
	v_max_f16_e32 v2, v61, v61
	v_pk_add_f16 v3, v3, v7
	v_min_f16_e32 v2, v2, v1
	v_lshrrev_b32_e32 v6, 16, v61
	v_lshrrev_b32_e32 v1, 16, v1
	;; [unrolled: 1-line block ×3, first 2 shown]
	v_min3_f16 v1, v6, v1, v7
	v_min3_f16 v1, v2, v3, v1
	v_cvt_f32_f16_e32 v1, v1
	v_max_f32_e32 v0, v0, v0
	v_min_f32_e32 v0, v0, v1
	v_cvt_f16_f32_e32 v2, v0
	v_lshl_add_u64 v[0:1], v[46:47], 1, v[4:5]
	flat_store_short v[0:1], v2
	s_endpgm
	.section	.rodata,"a",@progbits
	.p2align	6, 0x0
	.amdhsa_kernel _ZN12_GLOBAL__N_120geam_min_plus_kernelIDF16_Dv2_DF16_S1_Li32ELi8ELi128ELi128ELi4ELi4ELi64ELi4ELi64ELc84ELc78ELb1ELb1ELb1EDF16_KPKDF16_KPDF16_EEviiiT16_PT17_ilS9_ilS7_S9_ilPT18_ili26rocblas_geam_ex_operation_
		.amdhsa_group_segment_fixed_size 4096
		.amdhsa_private_segment_fixed_size 0
		.amdhsa_kernarg_size 128
		.amdhsa_user_sgpr_count 2
		.amdhsa_user_sgpr_dispatch_ptr 0
		.amdhsa_user_sgpr_queue_ptr 0
		.amdhsa_user_sgpr_kernarg_segment_ptr 1
		.amdhsa_user_sgpr_dispatch_id 0
		.amdhsa_user_sgpr_kernarg_preload_length 0
		.amdhsa_user_sgpr_kernarg_preload_offset 0
		.amdhsa_user_sgpr_private_segment_size 0
		.amdhsa_uses_dynamic_stack 0
		.amdhsa_enable_private_segment 0
		.amdhsa_system_sgpr_workgroup_id_x 1
		.amdhsa_system_sgpr_workgroup_id_y 0
		.amdhsa_system_sgpr_workgroup_id_z 1
		.amdhsa_system_sgpr_workgroup_info 0
		.amdhsa_system_vgpr_workitem_id 1
		.amdhsa_next_free_vgpr 172
		.amdhsa_next_free_sgpr 36
		.amdhsa_accum_offset 172
		.amdhsa_reserve_vcc 1
		.amdhsa_float_round_mode_32 0
		.amdhsa_float_round_mode_16_64 0
		.amdhsa_float_denorm_mode_32 3
		.amdhsa_float_denorm_mode_16_64 3
		.amdhsa_dx10_clamp 1
		.amdhsa_ieee_mode 1
		.amdhsa_fp16_overflow 0
		.amdhsa_tg_split 0
		.amdhsa_exception_fp_ieee_invalid_op 0
		.amdhsa_exception_fp_denorm_src 0
		.amdhsa_exception_fp_ieee_div_zero 0
		.amdhsa_exception_fp_ieee_overflow 0
		.amdhsa_exception_fp_ieee_underflow 0
		.amdhsa_exception_fp_ieee_inexact 0
		.amdhsa_exception_int_div_zero 0
	.end_amdhsa_kernel
	.section	.text._ZN12_GLOBAL__N_120geam_min_plus_kernelIDF16_Dv2_DF16_S1_Li32ELi8ELi128ELi128ELi4ELi4ELi64ELi4ELi64ELc84ELc78ELb1ELb1ELb1EDF16_KPKDF16_KPDF16_EEviiiT16_PT17_ilS9_ilS7_S9_ilPT18_ili26rocblas_geam_ex_operation_,"axG",@progbits,_ZN12_GLOBAL__N_120geam_min_plus_kernelIDF16_Dv2_DF16_S1_Li32ELi8ELi128ELi128ELi4ELi4ELi64ELi4ELi64ELc84ELc78ELb1ELb1ELb1EDF16_KPKDF16_KPDF16_EEviiiT16_PT17_ilS9_ilS7_S9_ilPT18_ili26rocblas_geam_ex_operation_,comdat
.Lfunc_end217:
	.size	_ZN12_GLOBAL__N_120geam_min_plus_kernelIDF16_Dv2_DF16_S1_Li32ELi8ELi128ELi128ELi4ELi4ELi64ELi4ELi64ELc84ELc78ELb1ELb1ELb1EDF16_KPKDF16_KPDF16_EEviiiT16_PT17_ilS9_ilS7_S9_ilPT18_ili26rocblas_geam_ex_operation_, .Lfunc_end217-_ZN12_GLOBAL__N_120geam_min_plus_kernelIDF16_Dv2_DF16_S1_Li32ELi8ELi128ELi128ELi4ELi4ELi64ELi4ELi64ELc84ELc78ELb1ELb1ELb1EDF16_KPKDF16_KPDF16_EEviiiT16_PT17_ilS9_ilS7_S9_ilPT18_ili26rocblas_geam_ex_operation_
                                        ; -- End function
	.set _ZN12_GLOBAL__N_120geam_min_plus_kernelIDF16_Dv2_DF16_S1_Li32ELi8ELi128ELi128ELi4ELi4ELi64ELi4ELi64ELc84ELc78ELb1ELb1ELb1EDF16_KPKDF16_KPDF16_EEviiiT16_PT17_ilS9_ilS7_S9_ilPT18_ili26rocblas_geam_ex_operation_.num_vgpr, 172
	.set _ZN12_GLOBAL__N_120geam_min_plus_kernelIDF16_Dv2_DF16_S1_Li32ELi8ELi128ELi128ELi4ELi4ELi64ELi4ELi64ELc84ELc78ELb1ELb1ELb1EDF16_KPKDF16_KPDF16_EEviiiT16_PT17_ilS9_ilS7_S9_ilPT18_ili26rocblas_geam_ex_operation_.num_agpr, 0
	.set _ZN12_GLOBAL__N_120geam_min_plus_kernelIDF16_Dv2_DF16_S1_Li32ELi8ELi128ELi128ELi4ELi4ELi64ELi4ELi64ELc84ELc78ELb1ELb1ELb1EDF16_KPKDF16_KPDF16_EEviiiT16_PT17_ilS9_ilS7_S9_ilPT18_ili26rocblas_geam_ex_operation_.numbered_sgpr, 36
	.set _ZN12_GLOBAL__N_120geam_min_plus_kernelIDF16_Dv2_DF16_S1_Li32ELi8ELi128ELi128ELi4ELi4ELi64ELi4ELi64ELc84ELc78ELb1ELb1ELb1EDF16_KPKDF16_KPDF16_EEviiiT16_PT17_ilS9_ilS7_S9_ilPT18_ili26rocblas_geam_ex_operation_.num_named_barrier, 0
	.set _ZN12_GLOBAL__N_120geam_min_plus_kernelIDF16_Dv2_DF16_S1_Li32ELi8ELi128ELi128ELi4ELi4ELi64ELi4ELi64ELc84ELc78ELb1ELb1ELb1EDF16_KPKDF16_KPDF16_EEviiiT16_PT17_ilS9_ilS7_S9_ilPT18_ili26rocblas_geam_ex_operation_.private_seg_size, 0
	.set _ZN12_GLOBAL__N_120geam_min_plus_kernelIDF16_Dv2_DF16_S1_Li32ELi8ELi128ELi128ELi4ELi4ELi64ELi4ELi64ELc84ELc78ELb1ELb1ELb1EDF16_KPKDF16_KPDF16_EEviiiT16_PT17_ilS9_ilS7_S9_ilPT18_ili26rocblas_geam_ex_operation_.uses_vcc, 1
	.set _ZN12_GLOBAL__N_120geam_min_plus_kernelIDF16_Dv2_DF16_S1_Li32ELi8ELi128ELi128ELi4ELi4ELi64ELi4ELi64ELc84ELc78ELb1ELb1ELb1EDF16_KPKDF16_KPDF16_EEviiiT16_PT17_ilS9_ilS7_S9_ilPT18_ili26rocblas_geam_ex_operation_.uses_flat_scratch, 0
	.set _ZN12_GLOBAL__N_120geam_min_plus_kernelIDF16_Dv2_DF16_S1_Li32ELi8ELi128ELi128ELi4ELi4ELi64ELi4ELi64ELc84ELc78ELb1ELb1ELb1EDF16_KPKDF16_KPDF16_EEviiiT16_PT17_ilS9_ilS7_S9_ilPT18_ili26rocblas_geam_ex_operation_.has_dyn_sized_stack, 0
	.set _ZN12_GLOBAL__N_120geam_min_plus_kernelIDF16_Dv2_DF16_S1_Li32ELi8ELi128ELi128ELi4ELi4ELi64ELi4ELi64ELc84ELc78ELb1ELb1ELb1EDF16_KPKDF16_KPDF16_EEviiiT16_PT17_ilS9_ilS7_S9_ilPT18_ili26rocblas_geam_ex_operation_.has_recursion, 0
	.set _ZN12_GLOBAL__N_120geam_min_plus_kernelIDF16_Dv2_DF16_S1_Li32ELi8ELi128ELi128ELi4ELi4ELi64ELi4ELi64ELc84ELc78ELb1ELb1ELb1EDF16_KPKDF16_KPDF16_EEviiiT16_PT17_ilS9_ilS7_S9_ilPT18_ili26rocblas_geam_ex_operation_.has_indirect_call, 0
	.section	.AMDGPU.csdata,"",@progbits
; Kernel info:
; codeLenInByte = 20528
; TotalNumSgprs: 42
; NumVgprs: 172
; NumAgprs: 0
; TotalNumVgprs: 172
; ScratchSize: 0
; MemoryBound: 0
; FloatMode: 240
; IeeeMode: 1
; LDSByteSize: 4096 bytes/workgroup (compile time only)
; SGPRBlocks: 5
; VGPRBlocks: 21
; NumSGPRsForWavesPerEU: 42
; NumVGPRsForWavesPerEU: 172
; AccumOffset: 172
; Occupancy: 2
; WaveLimiterHint : 1
; COMPUTE_PGM_RSRC2:SCRATCH_EN: 0
; COMPUTE_PGM_RSRC2:USER_SGPR: 2
; COMPUTE_PGM_RSRC2:TRAP_HANDLER: 0
; COMPUTE_PGM_RSRC2:TGID_X_EN: 1
; COMPUTE_PGM_RSRC2:TGID_Y_EN: 0
; COMPUTE_PGM_RSRC2:TGID_Z_EN: 1
; COMPUTE_PGM_RSRC2:TIDIG_COMP_CNT: 1
; COMPUTE_PGM_RSRC3_GFX90A:ACCUM_OFFSET: 42
; COMPUTE_PGM_RSRC3_GFX90A:TG_SPLIT: 0
	.section	.text._ZN12_GLOBAL__N_120geam_min_plus_kernelIDF16_Dv2_DF16_S1_Li32ELi8ELi128ELi128ELi4ELi4ELi64ELi4ELi64ELc84ELc78ELb0ELb1ELb1EDF16_KPKDF16_KPDF16_EEviiiT16_PT17_ilS9_ilS7_S9_ilPT18_ili26rocblas_geam_ex_operation_,"axG",@progbits,_ZN12_GLOBAL__N_120geam_min_plus_kernelIDF16_Dv2_DF16_S1_Li32ELi8ELi128ELi128ELi4ELi4ELi64ELi4ELi64ELc84ELc78ELb0ELb1ELb1EDF16_KPKDF16_KPDF16_EEviiiT16_PT17_ilS9_ilS7_S9_ilPT18_ili26rocblas_geam_ex_operation_,comdat
	.globl	_ZN12_GLOBAL__N_120geam_min_plus_kernelIDF16_Dv2_DF16_S1_Li32ELi8ELi128ELi128ELi4ELi4ELi64ELi4ELi64ELc84ELc78ELb0ELb1ELb1EDF16_KPKDF16_KPDF16_EEviiiT16_PT17_ilS9_ilS7_S9_ilPT18_ili26rocblas_geam_ex_operation_ ; -- Begin function _ZN12_GLOBAL__N_120geam_min_plus_kernelIDF16_Dv2_DF16_S1_Li32ELi8ELi128ELi128ELi4ELi4ELi64ELi4ELi64ELc84ELc78ELb0ELb1ELb1EDF16_KPKDF16_KPDF16_EEviiiT16_PT17_ilS9_ilS7_S9_ilPT18_ili26rocblas_geam_ex_operation_
	.p2align	8
	.type	_ZN12_GLOBAL__N_120geam_min_plus_kernelIDF16_Dv2_DF16_S1_Li32ELi8ELi128ELi128ELi4ELi4ELi64ELi4ELi64ELc84ELc78ELb0ELb1ELb1EDF16_KPKDF16_KPDF16_EEviiiT16_PT17_ilS9_ilS7_S9_ilPT18_ili26rocblas_geam_ex_operation_,@function
_ZN12_GLOBAL__N_120geam_min_plus_kernelIDF16_Dv2_DF16_S1_Li32ELi8ELi128ELi128ELi4ELi4ELi64ELi4ELi64ELc84ELc78ELb0ELb1ELb1EDF16_KPKDF16_KPDF16_EEviiiT16_PT17_ilS9_ilS7_S9_ilPT18_ili26rocblas_geam_ex_operation_: ; @_ZN12_GLOBAL__N_120geam_min_plus_kernelIDF16_Dv2_DF16_S1_Li32ELi8ELi128ELi128ELi4ELi4ELi64ELi4ELi64ELc84ELc78ELb0ELb1ELb1EDF16_KPKDF16_KPDF16_EEviiiT16_PT17_ilS9_ilS7_S9_ilPT18_ili26rocblas_geam_ex_operation_
; %bb.0:
	s_load_dwordx4 s[12:15], s[0:1], 0x0
	s_load_dwordx4 s[4:7], s[0:1], 0x20
	s_mov_b32 s8, s3
	s_mov_b32 s9, 0
	s_waitcnt lgkmcnt(0)
	v_cmp_eq_f16_e64 s[10:11], s15, 0
	s_and_b64 vcc, exec, s[10:11]
	s_cbranch_vccnz .LBB218_3
; %bb.1:
	s_load_dwordx2 s[16:17], s[0:1], 0x10
	s_lshl_b64 s[18:19], s[8:9], 3
	s_waitcnt lgkmcnt(0)
	s_add_u32 s16, s16, s18
	s_addc_u32 s17, s17, s19
	s_load_dwordx2 s[16:17], s[16:17], 0x0
	s_lshl_b64 s[4:5], s[4:5], 1
	s_waitcnt lgkmcnt(0)
	s_add_u32 s20, s16, s4
	s_addc_u32 s21, s17, s5
	s_andn2_b64 vcc, exec, s[10:11]
	s_cbranch_vccnz .LBB218_4
.LBB218_2:
	s_mov_b32 s11, 0
	s_mov_b32 s10, s8
	s_mov_b64 s[16:17], 0
	s_mov_b64 s[22:23], 0
	s_cbranch_execz .LBB218_5
	s_branch .LBB218_6
.LBB218_3:
	s_mov_b64 s[20:21], 0
	s_andn2_b64 vcc, exec, s[10:11]
	s_cbranch_vccz .LBB218_2
.LBB218_4:
	s_mov_b64 s[10:11], s[8:9]
	s_mov_b64 s[16:17], 0
	;; [unrolled: 1-line block ×3, first 2 shown]
.LBB218_5:
	s_lshl_b64 s[8:9], s[8:9], 3
	s_add_u32 s6, s6, s8
	s_load_dwordx2 s[4:5], s[0:1], 0x38
	s_addc_u32 s7, s7, s9
	s_load_dwordx2 s[6:7], s[6:7], 0x0
	s_waitcnt lgkmcnt(0)
	s_lshl_b64 s[4:5], s[4:5], 1
	s_add_u32 s22, s6, s4
	s_addc_u32 s23, s7, s5
.LBB218_6:
	s_load_dword s28, s[0:1], 0x40
	s_load_dwordx4 s[4:7], s[0:1], 0x58
	s_waitcnt lgkmcnt(0)
	v_cmp_eq_f16_e64 s[8:9], s28, 0
	v_cmp_neq_f16_e64 s[18:19], s28, 0
	s_and_b64 vcc, exec, s[8:9]
	s_cbranch_vccnz .LBB218_8
; %bb.7:
	s_load_dwordx2 s[8:9], s[0:1], 0x48
	s_lshl_b64 s[16:17], s[10:11], 3
	s_waitcnt lgkmcnt(0)
	s_add_u32 s8, s8, s16
	s_addc_u32 s9, s9, s17
	s_load_dwordx2 s[8:9], s[8:9], 0x0
	s_lshl_b64 s[4:5], s[4:5], 1
	s_waitcnt lgkmcnt(0)
	s_add_u32 s16, s8, s4
	s_addc_u32 s17, s9, s5
.LBB218_8:
	s_lshl_b64 s[4:5], s[10:11], 3
	s_add_u32 s24, s6, s4
	s_addc_u32 s25, s7, s5
	s_add_i32 s3, s12, -1
	s_ashr_i32 s4, s3, 31
	s_lshr_b32 s4, s4, 25
	s_add_i32 s3, s3, s4
	s_ashr_i32 s3, s3, 7
	s_add_i32 s4, s3, 1
	v_cvt_f32_u32_e32 v1, s4
	s_not_b32 s3, s3
	v_and_b32_e32 v84, 0x3ff, v0
	v_bfe_u32 v95, v0, 10, 10
	v_rcp_iflag_f32_e32 v1, v1
	v_and_b32_e32 v102, 3, v0
	v_lshl_add_u32 v0, v95, 5, v84
	s_load_dword s34, s[0:1], 0x18
	v_mul_f32_e32 v1, 0x4f7ffffe, v1
	v_cvt_u32_f32_e32 v1, v1
	v_lshrrev_b32_e32 v4, 2, v0
	v_cmp_le_i32_e64 s[8:9], s14, v102
	v_cmp_eq_f16_e64 s[26:27], s15, 0
	v_readfirstlane_b32 s5, v1
	s_mul_i32 s3, s3, s5
	s_mul_hi_u32 s3, s5, s3
	s_add_i32 s5, s5, s3
	s_mul_hi_u32 s3, s2, s5
	s_mul_i32 s5, s3, s4
	s_sub_i32 s5, s2, s5
	s_add_i32 s6, s3, 1
	s_sub_i32 s7, s5, s4
	s_cmp_ge_u32 s5, s4
	s_cselect_b32 s3, s6, s3
	s_cselect_b32 s5, s7, s5
	s_add_i32 s6, s3, 1
	s_cmp_ge_u32 s5, s4
	s_cselect_b32 s6, s6, s3
	s_mul_i32 s3, s6, s4
	s_sub_i32 s2, s2, s3
	s_lshl_b32 s29, s2, 7
	v_add_u32_e32 v28, s29, v4
	s_add_i32 s31, s14, -1
	v_min_i32_e32 v0, s31, v102
	v_cmp_le_i32_e32 vcc, s12, v28
	v_ashrrev_i32_e32 v1, 31, v0
	v_mov_b32_e32 v6, 0x7c00
	s_or_b64 s[2:3], s[8:9], vcc
	v_lshl_add_u64 v[2:3], v[0:1], 1, s[20:21]
	v_cndmask_b32_e64 v5, 0, v6, s[2:3]
	s_nor_b64 s[4:5], s[26:27], s[2:3]
	s_and_saveexec_b64 s[2:3], s[4:5]
	s_cbranch_execz .LBB218_10
; %bb.9:
	s_waitcnt lgkmcnt(0)
	v_mad_i64_i32 v[8:9], s[4:5], v28, s34, 0
	v_lshl_add_u64 v[8:9], v[8:9], 1, v[2:3]
	flat_load_ushort v5, v[8:9]
	s_waitcnt vmcnt(0) lgkmcnt(0)
	v_mul_f16_e32 v5, s15, v5
.LBB218_10:
	s_or_b64 exec, exec, s[2:3]
	v_add_u32_e32 v29, 64, v28
	v_cmp_le_i32_e64 s[2:3], s12, v29
	s_or_b64 s[4:5], s[8:9], s[2:3]
	v_cndmask_b32_e64 v6, 0, v6, s[4:5]
	s_nor_b64 s[10:11], s[26:27], s[4:5]
	s_and_saveexec_b64 s[4:5], s[10:11]
	s_cbranch_execz .LBB218_12
; %bb.11:
	s_waitcnt lgkmcnt(0)
	v_mad_i64_i32 v[6:7], s[10:11], v29, s34, 0
	v_lshl_add_u64 v[2:3], v[6:7], 1, v[2:3]
	flat_load_ushort v2, v[2:3]
	s_waitcnt vmcnt(0) lgkmcnt(0)
	v_mul_f16_e32 v6, s15, v2
.LBB218_12:
	s_or_b64 exec, exec, s[4:5]
	s_load_dword s35, s[0:1], 0x30
	s_lshl_b32 s30, s6, 7
	v_add_u32_e32 v30, s30, v4
	v_cmp_le_i32_e64 s[4:5], s13, v30
	v_mov_b32_e32 v2, 0x7c00
	s_or_b64 s[6:7], s[8:9], s[4:5]
	v_lshl_add_u64 v[0:1], v[0:1], 1, s[22:23]
	v_cndmask_b32_e64 v7, 0, v2, s[6:7]
	s_nor_b64 s[10:11], s[26:27], s[6:7]
	s_and_saveexec_b64 s[6:7], s[10:11]
	s_cbranch_execz .LBB218_14
; %bb.13:
	s_waitcnt lgkmcnt(0)
	v_mad_i64_i32 v[8:9], s[10:11], v30, s35, 0
	v_lshl_add_u64 v[8:9], v[8:9], 1, v[0:1]
	flat_load_ushort v3, v[8:9]
	s_waitcnt vmcnt(0) lgkmcnt(0)
	v_mul_f16_e32 v7, s15, v3
.LBB218_14:
	s_or_b64 exec, exec, s[6:7]
	v_add_u32_e32 v31, 64, v30
	v_cmp_le_i32_e64 s[6:7], s13, v31
	s_or_b64 s[8:9], s[8:9], s[6:7]
	v_cndmask_b32_e64 v8, 0, v2, s[8:9]
	s_nor_b64 s[10:11], s[26:27], s[8:9]
	s_and_saveexec_b64 s[8:9], s[10:11]
	s_cbranch_execz .LBB218_16
; %bb.15:
	s_waitcnt lgkmcnt(0)
	v_mad_i64_i32 v[2:3], s[10:11], v31, s35, 0
	v_lshl_add_u64 v[0:1], v[2:3], 1, v[0:1]
	flat_load_ushort v0, v[0:1]
	s_waitcnt vmcnt(0) lgkmcnt(0)
	v_mul_f16_e32 v8, s15, v0
.LBB218_16:
	s_or_b64 exec, exec, s[8:9]
	v_or_b32_e32 v0, 4, v102
	v_cmp_le_i32_e64 s[8:9], s14, v0
	v_min_i32_e32 v0, s31, v0
	v_ashrrev_i32_e32 v1, 31, v0
	v_mov_b32_e32 v9, 0x7c00
	s_or_b64 s[10:11], s[8:9], vcc
	v_lshl_add_u64 v[2:3], v[0:1], 1, s[20:21]
	v_cndmask_b32_e64 v32, 0, v9, s[10:11]
	s_nor_b64 s[36:37], s[26:27], s[10:11]
	s_and_saveexec_b64 s[10:11], s[36:37]
	s_cbranch_execz .LBB218_18
; %bb.17:
	s_waitcnt lgkmcnt(0)
	v_mad_i64_i32 v[10:11], s[36:37], v28, s34, 0
	v_lshl_add_u64 v[10:11], v[10:11], 1, v[2:3]
	flat_load_ushort v10, v[10:11]
	s_waitcnt vmcnt(0) lgkmcnt(0)
	v_mul_f16_e32 v32, s15, v10
.LBB218_18:
	s_or_b64 exec, exec, s[10:11]
	s_or_b64 s[10:11], s[8:9], s[2:3]
	v_cndmask_b32_e64 v33, 0, v9, s[10:11]
	s_nor_b64 s[36:37], s[26:27], s[10:11]
	s_and_saveexec_b64 s[10:11], s[36:37]
	s_cbranch_execz .LBB218_20
; %bb.19:
	s_waitcnt lgkmcnt(0)
	v_mad_i64_i32 v[10:11], s[36:37], v29, s34, 0
	v_lshl_add_u64 v[2:3], v[10:11], 1, v[2:3]
	flat_load_ushort v2, v[2:3]
	s_waitcnt vmcnt(0) lgkmcnt(0)
	v_mul_f16_e32 v33, s15, v2
.LBB218_20:
	s_or_b64 exec, exec, s[10:11]
	v_mov_b32_e32 v2, 0x7c00
	s_or_b64 s[10:11], s[8:9], s[4:5]
	v_lshl_add_u64 v[0:1], v[0:1], 1, s[22:23]
	v_cndmask_b32_e64 v34, 0, v2, s[10:11]
	s_nor_b64 s[36:37], s[26:27], s[10:11]
	s_and_saveexec_b64 s[10:11], s[36:37]
	s_cbranch_execz .LBB218_22
; %bb.21:
	s_waitcnt lgkmcnt(0)
	v_mad_i64_i32 v[10:11], s[36:37], v30, s35, 0
	v_lshl_add_u64 v[10:11], v[10:11], 1, v[0:1]
	flat_load_ushort v3, v[10:11]
	s_waitcnt vmcnt(0) lgkmcnt(0)
	v_mul_f16_e32 v34, s15, v3
.LBB218_22:
	s_or_b64 exec, exec, s[10:11]
	s_or_b64 s[8:9], s[8:9], s[6:7]
	v_cndmask_b32_e64 v35, 0, v2, s[8:9]
	s_nor_b64 s[36:37], s[26:27], s[8:9]
	s_movk_i32 s10, 0x7c00
	s_and_saveexec_b64 s[8:9], s[36:37]
	s_cbranch_execz .LBB218_24
; %bb.23:
	s_waitcnt lgkmcnt(0)
	v_mad_i64_i32 v[2:3], s[36:37], v31, s35, 0
	v_lshl_add_u64 v[0:1], v[2:3], 1, v[0:1]
	flat_load_ushort v0, v[0:1]
	s_waitcnt vmcnt(0) lgkmcnt(0)
	v_mul_f16_e32 v35, s15, v0
.LBB218_24:
	s_or_b64 exec, exec, s[8:9]
	v_lshlrev_b32_e32 v0, 3, v4
	v_lshlrev_b32_e32 v104, 3, v95
	v_lshl_or_b32 v112, v102, 1, v0
	v_lshlrev_b32_e32 v105, 3, v84
	v_add_u32_e32 v113, 0x800, v104
	s_load_dwordx2 s[24:25], s[24:25], 0x0
	ds_write_b16 v112, v5
	ds_write_b16 v112, v6 offset:512
	ds_write_b16 v112, v7 offset:2048
	ds_write_b16 v112, v8 offset:2560
	s_waitcnt lgkmcnt(0)
	s_barrier
	ds_read2_b64 v[4:7], v105 offset1:32
	ds_read2_b64 v[0:3], v105 offset0:64 offset1:96
	ds_read2_b64 v[36:39], v113 offset1:8
	ds_read2_b64 v[40:43], v113 offset0:16 offset1:24
	ds_read2_b64 v[44:47], v113 offset0:32 offset1:40
	;; [unrolled: 1-line block ×7, first 2 shown]
	s_cmp_lt_i32 s14, 9
	ds_write_b16 v112, v32 offset:1024
	ds_write_b16 v112, v33 offset:1536
	;; [unrolled: 1-line block ×4, first 2 shown]
	s_waitcnt lgkmcnt(11)
	v_pk_add_f16 v48, v4, v36
	v_pk_add_f16 v49, v6, v36
	v_pk_add_f16 v50, v0, v36
	v_pk_add_f16 v36, v2, v36
	v_pk_add_f16 v51, v4, v38
	v_pk_add_f16 v52, v6, v38
	v_pk_add_f16 v53, v0, v38
	v_pk_add_f16 v38, v2, v38
	s_waitcnt lgkmcnt(10)
	v_pk_add_f16 v54, v4, v40
	v_pk_add_f16 v55, v6, v40
	v_pk_add_f16 v56, v0, v40
	v_pk_add_f16 v40, v2, v40
	v_pk_add_f16 v57, v4, v42
	v_pk_add_f16 v58, v6, v42
	v_pk_add_f16 v59, v0, v42
	v_pk_add_f16 v42, v2, v42
	;; [unrolled: 9-line block ×8, first 2 shown]
	v_pk_add_f16 v2, v5, v37
	v_pk_min_f16 v10, v48, s10 op_sel_hi:[1,0]
	v_pk_min_f16 v8, v8, s10 op_sel_hi:[1,0]
	v_pk_min_f16 v122, v10, v2
	v_pk_add_f16 v2, v7, v37
	v_pk_min_f16 v10, v49, s10 op_sel_hi:[1,0]
	v_pk_min_f16 v4, v4, s10 op_sel_hi:[1,0]
	v_pk_min_f16 v121, v10, v2
	;; [unrolled: 4-line block ×3, first 2 shown]
	v_pk_add_f16 v2, v3, v37
	v_pk_min_f16 v10, v36, s10 op_sel_hi:[1,0]
	s_waitcnt lgkmcnt(0)
	v_pk_min_f16 v119, v10, v2
	v_pk_add_f16 v2, v5, v39
	v_pk_min_f16 v10, v51, s10 op_sel_hi:[1,0]
	s_barrier
	v_pk_min_f16 v118, v10, v2
	v_pk_add_f16 v2, v7, v39
	v_pk_min_f16 v10, v52, s10 op_sel_hi:[1,0]
	s_nop 0
	v_pk_min_f16 v117, v10, v2
	v_pk_add_f16 v2, v1, v39
	v_pk_min_f16 v10, v53, s10 op_sel_hi:[1,0]
	s_nop 0
	;; [unrolled: 4-line block ×53, first 2 shown]
	v_pk_min_f16 v58, v10, v2
	v_pk_add_f16 v2, v1, v9
	v_pk_min_f16 v10, v137, s10 op_sel_hi:[1,0]
	v_pk_add_f16 v1, v1, v11
	v_pk_min_f16 v57, v10, v2
	v_pk_add_f16 v2, v3, v9
	s_nop 0
	v_pk_min_f16 v56, v8, v2
	v_pk_add_f16 v2, v5, v11
	s_nop 0
	v_pk_min_f16 v54, v4, v2
	v_pk_add_f16 v2, v7, v11
	v_pk_min_f16 v4, v6, s10 op_sel_hi:[1,0]
	s_nop 0
	v_pk_min_f16 v53, v4, v2
	v_pk_min_f16 v2, v138, s10 op_sel_hi:[1,0]
	s_nop 0
	v_pk_min_f16 v52, v2, v1
	v_pk_add_f16 v1, v3, v11
	s_nop 0
	v_pk_min_f16 v55, v0, v1
	s_cbranch_scc1 .LBB218_43
; %bb.25:
	v_mov_b32_e32 v0, 0x400
	v_lshl_add_u32 v126, v84, 3, v0
	v_mov_b32_e32 v0, 0xc00
	v_add_u32_e32 v123, 0x800, v112
	v_add_u32_e32 v124, 0x400, v112
	;; [unrolled: 1-line block ×3, first 2 shown]
	s_add_i32 s33, s14, -8
	v_mad_i64_i32 v[40:41], s[8:9], v28, s34, 0
	v_mad_i64_i32 v[42:43], s[8:9], v29, s34, 0
	;; [unrolled: 1-line block ×4, first 2 shown]
	v_lshl_add_u32 v127, v95, 3, v0
	s_mov_b32 s34, 0
	v_mov_b32_e32 v128, 0x7c00
	s_branch .LBB218_27
.LBB218_26:                             ;   in Loop: Header=BB218_27 Depth=1
	s_or_b64 exec, exec, s[8:9]
	v_pk_add_f16 v48, v4, v36
	v_pk_max_f16 v49, v122, v122
	v_pk_max_f16 v121, v121, v121
	v_pk_min_f16 v48, v49, v48
	v_pk_add_f16 v49, v6, v36
	v_pk_max_f16 v119, v119, v119
	v_pk_min_f16 v49, v121, v49
	v_pk_add_f16 v121, v0, v36
	v_pk_add_f16 v36, v2, v36
	v_pk_max_f16 v118, v118, v118
	v_pk_min_f16 v36, v119, v36
	v_pk_add_f16 v119, v4, v38
	v_pk_max_f16 v117, v117, v117
	v_pk_min_f16 v118, v118, v119
	v_pk_add_f16 v119, v6, v38
	v_pk_max_f16 v115, v115, v115
	v_pk_min_f16 v117, v117, v119
	v_pk_add_f16 v119, v0, v38
	v_pk_add_f16 v38, v2, v38
	v_pk_max_f16 v114, v114, v114
	v_pk_min_f16 v38, v115, v38
	v_pk_add_f16 v115, v4, v32
	;; [unrolled: 10-line block ×14, first 2 shown]
	v_pk_max_f16 v58, v58, v58
	v_pk_min_f16 v59, v59, v60
	v_pk_add_f16 v60, v6, v8
	v_pk_add_f16 v4, v4, v10
	v_pk_min_f16 v58, v58, v60
	v_pk_add_f16 v60, v0, v8
	v_pk_add_f16 v8, v2, v8
	;; [unrolled: 1-line block ×5, first 2 shown]
	v_pk_max_f16 v10, v55, v55
	v_pk_max_f16 v120, v120, v120
	v_pk_min_f16 v2, v10, v2
	v_pk_add_f16 v10, v5, v37
	v_pk_min_f16 v120, v120, v121
	v_pk_min_f16 v48, v48, v10
	v_pk_add_f16 v10, v7, v37
	v_pk_max_f16 v52, v52, v52
	v_pk_min_f16 v49, v49, v10
	v_pk_add_f16 v10, v1, v37
	v_pk_max_f16 v53, v53, v53
	v_pk_min_f16 v0, v52, v0
	v_pk_min_f16 v52, v120, v10
	v_pk_add_f16 v10, v3, v37
	v_pk_max_f16 v54, v54, v54
	v_pk_min_f16 v6, v53, v6
	;; [unrolled: 4-line block ×3, first 2 shown]
	v_pk_min_f16 v54, v118, v10
	v_pk_add_f16 v10, v7, v39
	v_pk_min_f16 v116, v116, v119
	v_pk_max_f16 v56, v56, v56
	v_pk_min_f16 v55, v117, v10
	v_pk_add_f16 v10, v1, v39
	v_pk_max_f16 v57, v57, v57
	v_pk_min_f16 v8, v56, v8
	v_pk_min_f16 v56, v116, v10
	v_pk_add_f16 v10, v3, v39
	v_pk_max_f16 v61, v61, v61
	v_pk_min_f16 v57, v57, v60
	v_pk_min_f16 v60, v38, v10
	v_pk_add_f16 v10, v5, v33
	v_pk_max_f16 v110, v110, v110
	v_pk_max_f16 v65, v65, v65
	v_pk_min_f16 v61, v61, v64
	v_pk_min_f16 v64, v114, v10
	v_pk_add_f16 v10, v7, v33
	v_pk_min_f16 v110, v110, v115
	v_pk_max_f16 v69, v69, v69
	v_pk_min_f16 v65, v65, v68
	v_pk_min_f16 v68, v111, v10
	v_pk_add_f16 v10, v1, v33
	v_pk_max_f16 v73, v73, v73
	v_pk_min_f16 v69, v69, v72
	v_pk_min_f16 v72, v110, v10
	v_pk_add_f16 v10, v3, v33
	;; [unrolled: 4-line block ×3, first 2 shown]
	v_pk_max_f16 v106, v106, v106
	v_pk_max_f16 v81, v81, v81
	v_pk_min_f16 v77, v77, v80
	v_pk_min_f16 v80, v108, v10
	v_pk_add_f16 v10, v7, v35
	v_pk_min_f16 v106, v106, v109
	v_pk_max_f16 v86, v86, v86
	v_pk_min_f16 v81, v81, v85
	v_pk_min_f16 v85, v107, v10
	v_pk_add_f16 v10, v1, v35
	v_pk_max_f16 v90, v90, v90
	v_pk_min_f16 v86, v86, v89
	v_pk_min_f16 v89, v106, v10
	v_pk_add_f16 v10, v3, v35
	;; [unrolled: 4-line block ×4, first 2 shown]
	v_pk_min_f16 v99, v99, v103
	v_pk_min_f16 v100, v100, v10
	v_pk_add_f16 v10, v1, v29
	v_pk_max_f16 v49, v49, v49
	v_pk_min_f16 v99, v99, v10
	v_pk_add_f16 v10, v3, v29
	v_pk_max_f16 v60, v60, v60
	;; [unrolled: 3-line block ×5, first 2 shown]
	v_pk_min_f16 v94, v94, v10
	v_pk_add_f16 v10, v3, v31
	s_add_i32 s34, s34, 8
	v_pk_min_f16 v132, v30, v10
	v_pk_add_f16 v10, v5, v25
	s_cmp_ge_i32 s34, s33
	v_pk_min_f16 v92, v92, v10
	v_pk_add_f16 v10, v7, v25
	s_nop 0
	v_pk_min_f16 v91, v91, v10
	v_pk_add_f16 v10, v1, v25
	s_nop 0
	v_pk_min_f16 v90, v90, v10
	v_pk_add_f16 v10, v3, v25
	s_nop 0
	v_pk_min_f16 v133, v24, v10
	v_pk_add_f16 v10, v5, v27
	s_nop 0
	v_pk_min_f16 v88, v88, v10
	v_pk_add_f16 v10, v7, v27
	s_nop 0
	v_pk_min_f16 v87, v87, v10
	v_pk_add_f16 v10, v1, v27
	s_nop 0
	v_pk_min_f16 v86, v86, v10
	v_pk_add_f16 v10, v3, v27
	s_nop 0
	v_pk_min_f16 v134, v26, v10
	v_pk_add_f16 v10, v5, v21
	s_nop 0
	v_pk_min_f16 v83, v83, v10
	v_pk_add_f16 v10, v7, v21
	s_nop 0
	v_pk_min_f16 v82, v82, v10
	v_pk_add_f16 v10, v1, v21
	s_nop 0
	v_pk_min_f16 v81, v81, v10
	v_pk_add_f16 v10, v3, v21
	s_nop 0
	v_pk_min_f16 v135, v20, v10
	v_pk_add_f16 v10, v5, v23
	s_nop 0
	v_pk_min_f16 v79, v79, v10
	v_pk_add_f16 v10, v7, v23
	s_nop 0
	v_pk_min_f16 v78, v78, v10
	v_pk_add_f16 v10, v1, v23
	s_nop 0
	v_pk_min_f16 v77, v77, v10
	v_pk_add_f16 v10, v3, v23
	s_nop 0
	v_pk_min_f16 v136, v22, v10
	v_pk_add_f16 v10, v5, v17
	s_nop 0
	v_pk_min_f16 v75, v75, v10
	v_pk_add_f16 v10, v7, v17
	s_nop 0
	v_pk_min_f16 v74, v74, v10
	v_pk_add_f16 v10, v1, v17
	s_nop 0
	v_pk_min_f16 v73, v73, v10
	v_pk_add_f16 v10, v3, v17
	s_nop 0
	v_pk_min_f16 v137, v16, v10
	v_pk_add_f16 v10, v5, v19
	s_nop 0
	v_pk_min_f16 v71, v71, v10
	v_pk_add_f16 v10, v7, v19
	s_nop 0
	v_pk_min_f16 v70, v70, v10
	v_pk_add_f16 v10, v1, v19
	s_nop 0
	v_pk_min_f16 v69, v69, v10
	v_pk_add_f16 v10, v3, v19
	s_nop 0
	v_pk_min_f16 v138, v18, v10
	v_pk_add_f16 v10, v5, v13
	s_nop 0
	v_pk_min_f16 v67, v67, v10
	v_pk_add_f16 v10, v7, v13
	s_nop 0
	v_pk_min_f16 v66, v66, v10
	v_pk_add_f16 v10, v1, v13
	s_nop 0
	v_pk_min_f16 v65, v65, v10
	v_pk_add_f16 v10, v3, v13
	s_nop 0
	v_pk_min_f16 v139, v12, v10
	v_pk_add_f16 v10, v5, v15
	s_nop 0
	v_pk_min_f16 v63, v63, v10
	v_pk_add_f16 v10, v7, v15
	s_nop 0
	v_pk_min_f16 v62, v62, v10
	v_pk_add_f16 v10, v1, v15
	s_nop 0
	v_pk_min_f16 v61, v61, v10
	v_pk_add_f16 v10, v3, v15
	s_nop 0
	v_pk_min_f16 v140, v14, v10
	v_pk_add_f16 v10, v5, v9
	v_pk_add_f16 v5, v5, v11
	v_pk_min_f16 v59, v59, v10
	v_pk_add_f16 v10, v7, v9
	v_pk_min_f16 v142, v4, v5
	v_pk_min_f16 v58, v58, v10
	v_pk_add_f16 v10, v1, v9
	v_pk_add_f16 v1, v1, v11
	;; [unrolled: 1-line block ×4, first 2 shown]
	v_pk_min_f16 v144, v0, v1
	v_pk_add_f16 v0, v3, v11
	v_pk_min_f16 v57, v57, v10
	v_pk_min_f16 v141, v8, v9
	;; [unrolled: 1-line block ×4, first 2 shown]
	ds_read2_b64 v[4:7], v105 offset1:32
	ds_read2_b64 v[0:3], v105 offset0:64 offset1:96
	ds_read2_b64 v[28:31], v113 offset1:8
	ds_read2_b64 v[32:35], v113 offset0:16 offset1:24
	ds_read2_b64 v[36:39], v113 offset0:32 offset1:40
	ds_read2_b64 v[24:27], v113 offset0:48 offset1:56
	ds_read2_b64 v[20:23], v113 offset0:64 offset1:72
	ds_read2_b64 v[16:19], v113 offset0:80 offset1:88
	ds_read2_b64 v[12:15], v113 offset0:96 offset1:104
	ds_read2_b64 v[8:11], v113 offset0:112 offset1:120
	s_waitcnt lgkmcnt(7)
	v_pk_add_f16 v103, v6, v28
	v_pk_add_f16 v107, v4, v30
	;; [unrolled: 1-line block ×10, first 2 shown]
	v_pk_min_f16 v49, v49, v103
	v_pk_min_f16 v30, v60, v30
	v_pk_add_f16 v101, v4, v28
	s_waitcnt lgkmcnt(6)
	v_pk_add_f16 v110, v4, v32
	v_pk_min_f16 v121, v49, v115
	v_pk_min_f16 v115, v30, v31
	v_pk_max_f16 v31, v64, v64
	v_pk_add_f16 v114, v5, v29
	v_pk_min_f16 v48, v48, v101
	v_pk_min_f16 v31, v31, v110
	v_pk_add_f16 v60, v5, v33
	v_pk_add_f16 v111, v6, v32
	v_pk_min_f16 v122, v48, v114
	v_pk_min_f16 v114, v31, v60
	v_pk_max_f16 v60, v68, v68
	v_pk_add_f16 v64, v7, v33
	v_pk_min_f16 v60, v60, v111
	v_pk_add_f16 v146, v0, v32
	v_pk_min_f16 v111, v60, v64
	v_pk_max_f16 v60, v72, v72
	v_pk_add_f16 v106, v0, v28
	v_pk_add_f16 v28, v2, v28
	v_pk_min_f16 v60, v60, v146
	v_pk_add_f16 v64, v1, v33
	v_pk_add_f16 v32, v2, v32
	;; [unrolled: 1-line block ×4, first 2 shown]
	v_pk_min_f16 v28, v53, v28
	v_pk_min_f16 v110, v60, v64
	v_pk_max_f16 v60, v76, v76
	v_pk_min_f16 v119, v28, v29
	v_pk_max_f16 v29, v54, v54
	v_pk_max_f16 v54, v55, v55
	;; [unrolled: 1-line block ×3, first 2 shown]
	v_pk_min_f16 v32, v60, v32
	v_pk_add_f16 v33, v3, v33
	v_pk_add_f16 v147, v4, v34
	v_pk_min_f16 v55, v55, v109
	v_pk_min_f16 v109, v32, v33
	v_pk_max_f16 v32, v80, v80
	v_pk_add_f16 v33, v5, v35
	v_pk_min_f16 v32, v32, v147
	v_pk_add_f16 v148, v6, v34
	v_pk_min_f16 v54, v54, v108
	v_pk_min_f16 v108, v32, v33
	v_pk_max_f16 v32, v85, v85
	v_pk_add_f16 v33, v7, v35
	v_pk_min_f16 v32, v32, v148
	;; [unrolled: 6-line block ×3, first 2 shown]
	v_pk_add_f16 v34, v2, v34
	v_pk_min_f16 v52, v52, v106
	v_pk_min_f16 v106, v32, v33
	v_pk_max_f16 v32, v93, v93
	s_waitcnt lgkmcnt(5)
	v_pk_add_f16 v150, v4, v36
	v_pk_add_f16 v151, v6, v36
	v_pk_add_f16 v152, v0, v36
	v_pk_add_f16 v36, v2, v36
	v_pk_add_f16 v153, v4, v38
	v_pk_add_f16 v154, v6, v38
	v_pk_add_f16 v155, v0, v38
	v_pk_add_f16 v38, v2, v38
	s_waitcnt lgkmcnt(4)
	v_pk_add_f16 v156, v4, v24
	v_pk_add_f16 v157, v6, v24
	v_pk_add_f16 v158, v0, v24
	v_pk_add_f16 v24, v2, v24
	v_pk_add_f16 v159, v4, v26
	v_pk_add_f16 v160, v6, v26
	v_pk_add_f16 v161, v0, v26
	v_pk_add_f16 v26, v2, v26
	;; [unrolled: 9-line block ×3, first 2 shown]
	s_waitcnt lgkmcnt(2)
	v_pk_add_f16 v170, v4, v16
	v_pk_add_f16 v171, v6, v16
	;; [unrolled: 1-line block ×6, first 2 shown]
	v_pk_min_f16 v120, v52, v116
	v_pk_add_f16 v52, v0, v18
	v_pk_add_f16 v18, v2, v18
	s_waitcnt lgkmcnt(1)
	v_pk_add_f16 v28, v4, v12
	v_pk_add_f16 v53, v6, v12
	v_pk_min_f16 v118, v29, v117
	v_pk_add_f16 v29, v0, v12
	v_pk_add_f16 v12, v2, v12
	v_pk_min_f16 v117, v54, v167
	;; [unrolled: 3-line block ×3, first 2 shown]
	v_pk_add_f16 v55, v0, v14
	v_pk_add_f16 v14, v2, v14
	s_waitcnt lgkmcnt(0)
	v_pk_add_f16 v30, v4, v8
	v_pk_add_f16 v31, v6, v8
	;; [unrolled: 1-line block ×9, first 2 shown]
	v_pk_min_f16 v32, v32, v34
	ds_write_b16 v124, v129
	ds_write_b16 v124, v130 offset:512
	ds_write_b16 v125, v50
	ds_write_b16 v125, v51 offset:512
	v_pk_min_f16 v103, v32, v10
	v_pk_max_f16 v32, v98, v98
	v_pk_add_f16 v10, v5, v37
	v_pk_min_f16 v32, v32, v150
	s_waitcnt lgkmcnt(0)
	v_pk_min_f16 v101, v32, v10
	v_pk_max_f16 v32, v100, v100
	v_pk_add_f16 v10, v7, v37
	v_pk_min_f16 v32, v32, v151
	s_barrier
	v_pk_min_f16 v100, v32, v10
	v_pk_max_f16 v32, v99, v99
	v_pk_add_f16 v10, v1, v37
	v_pk_min_f16 v32, v32, v152
	s_nop 0
	v_pk_min_f16 v99, v32, v10
	v_pk_max_f16 v32, v131, v131
	v_pk_add_f16 v10, v3, v37
	v_pk_min_f16 v32, v32, v36
	s_nop 0
	;; [unrolled: 5-line block ×9, first 2 shown]
	v_pk_min_f16 v90, v32, v10
	v_pk_add_f16 v10, v3, v25
	v_pk_max_f16 v25, v133, v133
	s_nop 0
	v_pk_min_f16 v24, v25, v24
	s_nop 0
	v_pk_min_f16 v89, v24, v10
	v_pk_max_f16 v24, v88, v88
	v_pk_add_f16 v10, v5, v27
	v_pk_min_f16 v24, v24, v159
	s_nop 0
	v_pk_min_f16 v88, v24, v10
	v_pk_max_f16 v24, v87, v87
	v_pk_add_f16 v10, v7, v27
	v_pk_min_f16 v24, v24, v160
	s_nop 0
	v_pk_min_f16 v87, v24, v10
	v_pk_max_f16 v24, v86, v86
	v_pk_add_f16 v10, v1, v27
	v_pk_min_f16 v24, v24, v161
	s_nop 0
	v_pk_min_f16 v86, v24, v10
	v_pk_max_f16 v24, v134, v134
	v_pk_add_f16 v10, v3, v27
	v_pk_min_f16 v24, v24, v26
	s_nop 0
	v_pk_min_f16 v85, v24, v10
	v_pk_max_f16 v24, v83, v83
	v_pk_add_f16 v10, v5, v21
	v_pk_min_f16 v24, v24, v162
	s_nop 0
	v_pk_min_f16 v83, v24, v10
	v_pk_max_f16 v24, v82, v82
	v_pk_add_f16 v10, v7, v21
	v_pk_min_f16 v24, v24, v163
	s_nop 0
	v_pk_min_f16 v82, v24, v10
	v_pk_max_f16 v24, v81, v81
	v_pk_add_f16 v10, v1, v21
	v_pk_min_f16 v24, v24, v164
	s_nop 0
	v_pk_min_f16 v81, v24, v10
	v_pk_add_f16 v10, v3, v21
	v_pk_max_f16 v21, v135, v135
	s_nop 0
	v_pk_min_f16 v20, v21, v20
	s_nop 0
	v_pk_min_f16 v80, v20, v10
	v_pk_max_f16 v20, v79, v79
	v_pk_add_f16 v10, v5, v23
	v_pk_min_f16 v20, v20, v165
	s_nop 0
	v_pk_min_f16 v79, v20, v10
	v_pk_max_f16 v20, v78, v78
	v_pk_add_f16 v10, v7, v23
	v_pk_min_f16 v20, v20, v166
	s_nop 0
	v_pk_min_f16 v78, v20, v10
	v_pk_max_f16 v20, v77, v77
	v_pk_add_f16 v10, v1, v23
	v_pk_min_f16 v20, v20, v169
	s_nop 0
	v_pk_min_f16 v77, v20, v10
	v_pk_max_f16 v20, v136, v136
	v_pk_add_f16 v10, v3, v23
	v_pk_min_f16 v20, v20, v22
	s_nop 0
	v_pk_min_f16 v76, v20, v10
	v_pk_max_f16 v20, v75, v75
	v_pk_add_f16 v10, v5, v17
	v_pk_min_f16 v20, v20, v170
	s_nop 0
	v_pk_min_f16 v75, v20, v10
	v_pk_max_f16 v20, v74, v74
	v_pk_add_f16 v10, v7, v17
	v_pk_min_f16 v20, v20, v171
	s_nop 0
	v_pk_min_f16 v74, v20, v10
	v_pk_max_f16 v20, v73, v73
	v_pk_add_f16 v10, v1, v17
	v_pk_min_f16 v20, v20, v48
	s_nop 0
	;; [unrolled: 41-line block ×3, first 2 shown]
	v_pk_min_f16 v65, v16, v10
	v_pk_add_f16 v10, v3, v13
	v_pk_max_f16 v13, v139, v139
	s_nop 0
	v_pk_min_f16 v12, v13, v12
	s_nop 0
	v_pk_min_f16 v64, v12, v10
	v_pk_max_f16 v12, v63, v63
	v_pk_add_f16 v10, v5, v15
	v_pk_min_f16 v12, v12, v54
	s_nop 0
	v_pk_min_f16 v63, v12, v10
	v_pk_max_f16 v12, v62, v62
	v_pk_add_f16 v10, v7, v15
	;; [unrolled: 5-line block ×5, first 2 shown]
	v_pk_min_f16 v12, v12, v30
	v_pk_add_f16 v5, v5, v11
	v_pk_min_f16 v59, v12, v10
	v_pk_max_f16 v12, v58, v58
	v_pk_add_f16 v10, v7, v9
	v_pk_min_f16 v12, v12, v31
	s_nop 0
	v_pk_min_f16 v58, v12, v10
	v_pk_max_f16 v12, v57, v57
	v_pk_add_f16 v10, v1, v9
	v_pk_min_f16 v12, v12, v167
	v_pk_add_f16 v9, v3, v9
	v_pk_min_f16 v57, v12, v10
	v_pk_max_f16 v10, v141, v141
	v_pk_add_f16 v1, v1, v11
	v_pk_min_f16 v8, v10, v8
	s_nop 0
	v_pk_min_f16 v56, v8, v9
	v_pk_max_f16 v8, v142, v142
	s_nop 0
	v_pk_min_f16 v4, v8, v4
	s_nop 0
	v_pk_min_f16 v54, v4, v5
	v_pk_max_f16 v5, v143, v143
	v_pk_add_f16 v4, v7, v11
	v_pk_min_f16 v5, v5, v6
	s_nop 0
	v_pk_min_f16 v53, v5, v4
	v_pk_max_f16 v4, v144, v144
	s_nop 0
	v_pk_min_f16 v0, v4, v0
	s_nop 0
	v_pk_min_f16 v52, v0, v1
	v_pk_max_f16 v1, v145, v145
	v_pk_add_f16 v0, v3, v11
	v_pk_min_f16 v1, v1, v2
	s_nop 0
	v_pk_min_f16 v55, v1, v0
	s_cbranch_scc1 .LBB218_43
.LBB218_27:                             ; =>This Inner Loop Header: Depth=1
	v_add_u32_e32 v48, s34, v102
	v_add_u32_e32 v0, 8, v48
	v_cmp_le_i32_e64 s[8:9], s14, v0
	v_min_i32_e32 v0, s31, v0
	v_ashrrev_i32_e32 v1, 31, v0
	s_or_b64 s[10:11], vcc, s[8:9]
	v_lshl_add_u64 v[2:3], v[0:1], 1, s[20:21]
	v_cndmask_b32_e64 v49, 0, v128, s[10:11]
	s_nor_b64 s[36:37], s[26:27], s[10:11]
	s_and_saveexec_b64 s[10:11], s[36:37]
	s_cbranch_execz .LBB218_29
; %bb.28:                               ;   in Loop: Header=BB218_27 Depth=1
	v_lshl_add_u64 v[4:5], v[40:41], 1, v[2:3]
	flat_load_ushort v4, v[4:5]
	s_waitcnt vmcnt(0) lgkmcnt(0)
	v_mul_f16_e32 v49, s15, v4
.LBB218_29:                             ;   in Loop: Header=BB218_27 Depth=1
	s_or_b64 exec, exec, s[10:11]
	s_or_b64 s[10:11], s[2:3], s[8:9]
	v_cndmask_b32_e64 v50, 0, v128, s[10:11]
	s_nor_b64 s[36:37], s[26:27], s[10:11]
	s_and_saveexec_b64 s[10:11], s[36:37]
	s_cbranch_execz .LBB218_31
; %bb.30:                               ;   in Loop: Header=BB218_27 Depth=1
	v_lshl_add_u64 v[2:3], v[42:43], 1, v[2:3]
	flat_load_ushort v2, v[2:3]
	s_waitcnt vmcnt(0) lgkmcnt(0)
	v_mul_f16_e32 v50, s15, v2
.LBB218_31:                             ;   in Loop: Header=BB218_27 Depth=1
	s_or_b64 exec, exec, s[10:11]
	s_or_b64 s[10:11], s[4:5], s[8:9]
	v_lshl_add_u64 v[0:1], v[0:1], 1, s[22:23]
	v_cndmask_b32_e64 v51, 0, v128, s[10:11]
	s_nor_b64 s[36:37], s[26:27], s[10:11]
	s_and_saveexec_b64 s[10:11], s[36:37]
	s_cbranch_execz .LBB218_33
; %bb.32:                               ;   in Loop: Header=BB218_27 Depth=1
	v_lshl_add_u64 v[2:3], v[44:45], 1, v[0:1]
	flat_load_ushort v2, v[2:3]
	s_waitcnt vmcnt(0) lgkmcnt(0)
	v_mul_f16_e32 v51, s15, v2
.LBB218_33:                             ;   in Loop: Header=BB218_27 Depth=1
	s_or_b64 exec, exec, s[10:11]
	s_or_b64 s[8:9], s[6:7], s[8:9]
	v_cndmask_b32_e64 v129, 0, v128, s[8:9]
	s_nor_b64 s[10:11], s[26:27], s[8:9]
	s_and_saveexec_b64 s[8:9], s[10:11]
	s_cbranch_execz .LBB218_35
; %bb.34:                               ;   in Loop: Header=BB218_27 Depth=1
	v_lshl_add_u64 v[0:1], v[46:47], 1, v[0:1]
	flat_load_ushort v0, v[0:1]
	s_waitcnt vmcnt(0) lgkmcnt(0)
	v_mul_f16_e32 v129, s15, v0
.LBB218_35:                             ;   in Loop: Header=BB218_27 Depth=1
	s_or_b64 exec, exec, s[8:9]
	ds_read2_b64 v[4:7], v126 offset1:32
	ds_read2_b64 v[0:3], v126 offset0:64 offset1:96
	ds_read2_b64 v[36:39], v127 offset1:8
	ds_read2_b64 v[32:35], v127 offset0:16 offset1:24
	ds_read2_b64 v[28:31], v127 offset0:32 offset1:40
	;; [unrolled: 1-line block ×7, first 2 shown]
	v_add_u32_e32 v48, 12, v48
	v_cmp_le_i32_e64 s[8:9], s14, v48
	v_min_i32_e32 v48, s31, v48
	ds_write_b16 v112, v49
	ds_write_b16 v112, v50 offset:512
	ds_write_b16 v123, v51
	ds_write_b16 v123, v129 offset:512
	v_ashrrev_i32_e32 v49, 31, v48
	s_or_b64 s[10:11], vcc, s[8:9]
	v_lshl_add_u64 v[50:51], v[48:49], 1, s[20:21]
	v_cndmask_b32_e64 v129, 0, v128, s[10:11]
	s_nor_b64 s[36:37], s[26:27], s[10:11]
	s_waitcnt lgkmcnt(0)
	s_barrier
	s_and_saveexec_b64 s[10:11], s[36:37]
	s_cbranch_execz .LBB218_37
; %bb.36:                               ;   in Loop: Header=BB218_27 Depth=1
	v_lshl_add_u64 v[130:131], v[40:41], 1, v[50:51]
	flat_load_ushort v129, v[130:131]
	s_waitcnt vmcnt(0) lgkmcnt(0)
	v_mul_f16_e32 v129, s15, v129
.LBB218_37:                             ;   in Loop: Header=BB218_27 Depth=1
	s_or_b64 exec, exec, s[10:11]
	s_or_b64 s[10:11], s[2:3], s[8:9]
	v_cndmask_b32_e64 v130, 0, v128, s[10:11]
	s_nor_b64 s[36:37], s[26:27], s[10:11]
	s_and_saveexec_b64 s[10:11], s[36:37]
	s_cbranch_execz .LBB218_39
; %bb.38:                               ;   in Loop: Header=BB218_27 Depth=1
	v_lshl_add_u64 v[50:51], v[42:43], 1, v[50:51]
	flat_load_ushort v50, v[50:51]
	s_waitcnt vmcnt(0) lgkmcnt(0)
	v_mul_f16_e32 v130, s15, v50
.LBB218_39:                             ;   in Loop: Header=BB218_27 Depth=1
	s_or_b64 exec, exec, s[10:11]
	s_or_b64 s[10:11], s[4:5], s[8:9]
	v_lshl_add_u64 v[48:49], v[48:49], 1, s[22:23]
	v_cndmask_b32_e64 v50, 0, v128, s[10:11]
	s_nor_b64 s[36:37], s[26:27], s[10:11]
	s_and_saveexec_b64 s[10:11], s[36:37]
	s_cbranch_execz .LBB218_41
; %bb.40:                               ;   in Loop: Header=BB218_27 Depth=1
	v_lshl_add_u64 v[50:51], v[44:45], 1, v[48:49]
	flat_load_ushort v50, v[50:51]
	s_waitcnt vmcnt(0) lgkmcnt(0)
	v_mul_f16_e32 v50, s15, v50
.LBB218_41:                             ;   in Loop: Header=BB218_27 Depth=1
	s_or_b64 exec, exec, s[10:11]
	s_or_b64 s[8:9], s[6:7], s[8:9]
	v_cndmask_b32_e64 v51, 0, v128, s[8:9]
	s_nor_b64 s[10:11], s[26:27], s[8:9]
	s_and_saveexec_b64 s[8:9], s[10:11]
	s_cbranch_execz .LBB218_26
; %bb.42:                               ;   in Loop: Header=BB218_27 Depth=1
	v_lshl_add_u64 v[48:49], v[46:47], 1, v[48:49]
	flat_load_ushort v48, v[48:49]
	s_waitcnt vmcnt(0) lgkmcnt(0)
	v_mul_f16_e32 v51, s15, v48
	s_branch .LBB218_26
.LBB218_43:
	v_add_u32_e32 v4, 0x800, v104
	s_load_dwordx2 s[2:3], s[0:1], 0x70
	s_load_dword s21, s[0:1], 0x50
	s_load_dword s20, s[0:1], 0x68
	ds_read2_b64 v[8:11], v105 offset0:128 offset1:160
	ds_read2_b64 v[0:3], v105 offset0:192 offset1:224
	;; [unrolled: 1-line block ×10, first 2 shown]
	s_waitcnt lgkmcnt(0)
	s_lshl_b64 s[0:1], s[2:3], 1
	s_add_u32 s14, s24, s0
	v_add_u32_e32 v40, s29, v84
	v_add_u32_e32 v84, s30, v95
	s_addc_u32 s15, s25, s1
	v_mad_i64_i32 v[42:43], s[0:1], v84, s21, 0
	v_lshl_add_u64 v[50:51], v[42:43], 1, s[16:17]
	v_mad_i64_i32 v[42:43], s[0:1], v84, s20, 0
	v_cmp_gt_i32_e64 s[2:3], s12, v40
	v_cmp_gt_i32_e64 s[10:11], s13, v84
	v_lshl_add_u64 v[48:49], v[42:43], 1, s[14:15]
	v_cndmask_b32_e64 v42, 0, 1, s[18:19]
	v_ashrrev_i32_e32 v41, 31, v40
	s_and_b64 s[6:7], s[2:3], s[10:11]
	v_cmp_ne_u32_e64 s[0:1], 1, v42
	s_and_saveexec_b64 s[4:5], s[6:7]
	s_cbranch_execz .LBB218_48
; %bb.44:
	s_and_b64 vcc, exec, s[0:1]
	s_cbranch_vccnz .LBB218_46
; %bb.45:
	v_lshl_add_u64 v[42:43], v[40:41], 1, v[50:51]
	flat_load_ushort v42, v[42:43]
	s_waitcnt vmcnt(0) lgkmcnt(0)
	v_mul_f16_e32 v42, s28, v42
	v_cvt_f32_f16_e32 v42, v42
	s_branch .LBB218_47
.LBB218_46:
	v_mov_b32_e32 v42, 0
.LBB218_47:
	v_pk_add_f16 v43, v8, v36
	v_max_f16_e32 v44, v122, v122
	v_pk_add_f16 v46, v9, v37
	v_min_f16_e32 v44, v44, v43
	v_lshrrev_b32_e32 v45, 16, v122
	v_lshrrev_b32_e32 v43, 16, v43
	v_lshrrev_b32_e32 v47, 16, v46
	v_min3_f16 v43, v45, v43, v47
	v_min3_f16 v43, v44, v46, v43
	v_cvt_f32_f16_e32 v43, v43
	v_max_f32_e32 v42, v42, v42
	v_min_f32_e32 v42, v42, v43
	v_cvt_f16_f32_e32 v44, v42
	v_lshl_add_u64 v[42:43], v[40:41], 1, v[48:49]
	flat_store_short v[42:43], v44
.LBB218_48:
	s_or_b64 exec, exec, s[4:5]
	v_add_u32_e32 v42, 32, v40
	v_cmp_gt_i32_e64 s[4:5], s12, v42
	v_ashrrev_i32_e32 v43, 31, v42
	s_and_b64 s[8:9], s[4:5], s[10:11]
	s_and_saveexec_b64 s[6:7], s[8:9]
	s_cbranch_execz .LBB218_53
; %bb.49:
	s_and_b64 vcc, exec, s[0:1]
	s_cbranch_vccnz .LBB218_51
; %bb.50:
	v_lshl_add_u64 v[44:45], v[42:43], 1, v[50:51]
	flat_load_ushort v44, v[44:45]
	s_waitcnt vmcnt(0) lgkmcnt(0)
	v_mul_f16_e32 v44, s28, v44
	v_cvt_f32_f16_e32 v44, v44
	s_branch .LBB218_52
.LBB218_51:
	v_mov_b32_e32 v44, 0
.LBB218_52:
	v_pk_add_f16 v45, v10, v36
	v_max_f16_e32 v46, v121, v121
	v_pk_add_f16 v95, v11, v37
	v_min_f16_e32 v46, v46, v45
	v_lshrrev_b32_e32 v47, 16, v121
	v_lshrrev_b32_e32 v45, 16, v45
	v_lshrrev_b32_e32 v102, 16, v95
	v_min3_f16 v45, v47, v45, v102
	v_min3_f16 v45, v46, v95, v45
	v_cvt_f32_f16_e32 v45, v45
	v_max_f32_e32 v44, v44, v44
	v_min_f32_e32 v44, v44, v45
	v_cvt_f16_f32_e32 v46, v44
	v_lshl_add_u64 v[44:45], v[42:43], 1, v[48:49]
	flat_store_short v[44:45], v46
.LBB218_53:
	s_or_b64 exec, exec, s[6:7]
	v_add_u32_e32 v44, 64, v40
	v_cmp_gt_i32_e64 s[6:7], s12, v44
	v_ashrrev_i32_e32 v45, 31, v44
	s_and_b64 s[18:19], s[6:7], s[10:11]
	;; [unrolled: 36-line block ×3, first 2 shown]
	s_and_saveexec_b64 s[10:11], s[18:19]
	s_cbranch_execz .LBB218_63
; %bb.59:
	s_and_b64 vcc, exec, s[0:1]
	s_cbranch_vccnz .LBB218_61
; %bb.60:
	v_lshl_add_u64 v[50:51], v[46:47], 1, v[50:51]
	flat_load_ushort v50, v[50:51]
	s_waitcnt vmcnt(0) lgkmcnt(0)
	v_mul_f16_e32 v50, s28, v50
	v_cvt_f32_f16_e32 v50, v50
	s_branch .LBB218_62
.LBB218_61:
	v_mov_b32_e32 v50, 0
.LBB218_62:
	v_pk_add_f16 v36, v2, v36
	v_max_f16_e32 v51, v119, v119
	v_pk_add_f16 v37, v3, v37
	v_min_f16_e32 v51, v51, v36
	v_lshrrev_b32_e32 v95, 16, v119
	v_lshrrev_b32_e32 v36, 16, v36
	;; [unrolled: 1-line block ×3, first 2 shown]
	v_min3_f16 v36, v95, v36, v102
	v_min3_f16 v36, v51, v37, v36
	v_cvt_f32_f16_e32 v36, v36
	v_max_f32_e32 v37, v50, v50
	v_min_f32_e32 v36, v37, v36
	v_cvt_f16_f32_e32 v50, v36
	v_lshl_add_u64 v[36:37], v[46:47], 1, v[48:49]
	flat_store_short v[36:37], v50
.LBB218_63:
	s_or_b64 exec, exec, s[10:11]
	v_add_u32_e32 v50, 8, v84
	v_mad_i64_i32 v[36:37], s[18:19], v50, s21, 0
	v_cmp_gt_i32_e64 s[10:11], s13, v50
	v_lshl_add_u64 v[48:49], v[36:37], 1, s[16:17]
	v_mad_i64_i32 v[36:37], s[18:19], v50, s20, 0
	v_lshl_add_u64 v[36:37], v[36:37], 1, s[14:15]
	s_and_b64 s[22:23], s[2:3], s[10:11]
	s_and_saveexec_b64 s[18:19], s[22:23]
	s_cbranch_execnz .LBB218_67
; %bb.64:
	s_or_b64 exec, exec, s[18:19]
	s_and_b64 s[22:23], s[4:5], s[10:11]
	s_and_saveexec_b64 s[18:19], s[22:23]
	s_cbranch_execnz .LBB218_71
.LBB218_65:
	s_or_b64 exec, exec, s[18:19]
	s_and_b64 s[22:23], s[6:7], s[10:11]
	s_and_saveexec_b64 s[18:19], s[22:23]
	s_cbranch_execnz .LBB218_75
.LBB218_66:
	s_or_b64 exec, exec, s[18:19]
	s_and_b64 s[18:19], s[8:9], s[10:11]
	s_and_saveexec_b64 s[10:11], s[18:19]
	s_cbranch_execnz .LBB218_79
	s_branch .LBB218_83
.LBB218_67:
	s_and_b64 vcc, exec, s[0:1]
	s_cbranch_vccnz .LBB218_69
; %bb.68:
	v_lshl_add_u64 v[50:51], v[40:41], 1, v[48:49]
	flat_load_ushort v50, v[50:51]
	s_waitcnt vmcnt(0) lgkmcnt(0)
	v_mul_f16_e32 v50, s28, v50
	v_cvt_f32_f16_e32 v50, v50
	s_branch .LBB218_70
.LBB218_69:
	v_mov_b32_e32 v50, 0
.LBB218_70:
	v_pk_add_f16 v51, v8, v38
	v_max_f16_e32 v95, v118, v118
	v_pk_add_f16 v104, v9, v39
	v_min_f16_e32 v95, v95, v51
	v_lshrrev_b32_e32 v102, 16, v118
	v_lshrrev_b32_e32 v51, 16, v51
	;; [unrolled: 1-line block ×3, first 2 shown]
	v_min3_f16 v51, v102, v51, v105
	v_min3_f16 v51, v95, v104, v51
	v_cvt_f32_f16_e32 v51, v51
	v_max_f32_e32 v50, v50, v50
	v_min_f32_e32 v50, v50, v51
	v_cvt_f16_f32_e32 v95, v50
	v_lshl_add_u64 v[50:51], v[40:41], 1, v[36:37]
	flat_store_short v[50:51], v95
	s_or_b64 exec, exec, s[18:19]
	s_and_b64 s[22:23], s[4:5], s[10:11]
	s_and_saveexec_b64 s[18:19], s[22:23]
	s_cbranch_execz .LBB218_65
.LBB218_71:
	s_and_b64 vcc, exec, s[0:1]
	s_cbranch_vccnz .LBB218_73
; %bb.72:
	v_lshl_add_u64 v[50:51], v[42:43], 1, v[48:49]
	flat_load_ushort v50, v[50:51]
	s_waitcnt vmcnt(0) lgkmcnt(0)
	v_mul_f16_e32 v50, s28, v50
	v_cvt_f32_f16_e32 v50, v50
	s_branch .LBB218_74
.LBB218_73:
	v_mov_b32_e32 v50, 0
.LBB218_74:
	v_pk_add_f16 v51, v10, v38
	v_max_f16_e32 v95, v117, v117
	v_pk_add_f16 v104, v11, v39
	v_min_f16_e32 v95, v95, v51
	v_lshrrev_b32_e32 v102, 16, v117
	v_lshrrev_b32_e32 v51, 16, v51
	;; [unrolled: 1-line block ×3, first 2 shown]
	v_min3_f16 v51, v102, v51, v105
	v_min3_f16 v51, v95, v104, v51
	v_cvt_f32_f16_e32 v51, v51
	v_max_f32_e32 v50, v50, v50
	v_min_f32_e32 v50, v50, v51
	v_cvt_f16_f32_e32 v95, v50
	v_lshl_add_u64 v[50:51], v[42:43], 1, v[36:37]
	flat_store_short v[50:51], v95
	s_or_b64 exec, exec, s[18:19]
	s_and_b64 s[22:23], s[6:7], s[10:11]
	s_and_saveexec_b64 s[18:19], s[22:23]
	s_cbranch_execz .LBB218_66
.LBB218_75:
	s_and_b64 vcc, exec, s[0:1]
	s_cbranch_vccnz .LBB218_77
; %bb.76:
	v_lshl_add_u64 v[50:51], v[44:45], 1, v[48:49]
	flat_load_ushort v50, v[50:51]
	s_waitcnt vmcnt(0) lgkmcnt(0)
	v_mul_f16_e32 v50, s28, v50
	v_cvt_f32_f16_e32 v50, v50
	s_branch .LBB218_78
.LBB218_77:
	v_mov_b32_e32 v50, 0
.LBB218_78:
	v_pk_add_f16 v51, v0, v38
	v_max_f16_e32 v95, v116, v116
	v_pk_add_f16 v104, v1, v39
	v_min_f16_e32 v95, v95, v51
	v_lshrrev_b32_e32 v102, 16, v116
	v_lshrrev_b32_e32 v51, 16, v51
	;; [unrolled: 1-line block ×3, first 2 shown]
	v_min3_f16 v51, v102, v51, v105
	v_min3_f16 v51, v95, v104, v51
	v_cvt_f32_f16_e32 v51, v51
	v_max_f32_e32 v50, v50, v50
	v_min_f32_e32 v50, v50, v51
	v_cvt_f16_f32_e32 v95, v50
	v_lshl_add_u64 v[50:51], v[44:45], 1, v[36:37]
	flat_store_short v[50:51], v95
	s_or_b64 exec, exec, s[18:19]
	s_and_b64 s[18:19], s[8:9], s[10:11]
	s_and_saveexec_b64 s[10:11], s[18:19]
	s_cbranch_execz .LBB218_83
.LBB218_79:
	s_and_b64 vcc, exec, s[0:1]
	s_cbranch_vccnz .LBB218_81
; %bb.80:
	v_lshl_add_u64 v[48:49], v[46:47], 1, v[48:49]
	flat_load_ushort v48, v[48:49]
	s_waitcnt vmcnt(0) lgkmcnt(0)
	v_mul_f16_e32 v48, s28, v48
	v_cvt_f32_f16_e32 v48, v48
	s_branch .LBB218_82
.LBB218_81:
	v_mov_b32_e32 v48, 0
.LBB218_82:
	v_pk_add_f16 v38, v2, v38
	v_max_f16_e32 v49, v115, v115
	v_pk_add_f16 v39, v3, v39
	v_min_f16_e32 v49, v49, v38
	v_lshrrev_b32_e32 v50, 16, v115
	v_lshrrev_b32_e32 v38, 16, v38
	;; [unrolled: 1-line block ×3, first 2 shown]
	v_min3_f16 v38, v50, v38, v51
	v_min3_f16 v38, v49, v39, v38
	v_cvt_f32_f16_e32 v38, v38
	v_max_f32_e32 v39, v48, v48
	v_lshl_add_u64 v[36:37], v[46:47], 1, v[36:37]
	v_min_f32_e32 v38, v39, v38
	v_cvt_f16_f32_e32 v38, v38
	flat_store_short v[36:37], v38
.LBB218_83:
	s_or_b64 exec, exec, s[10:11]
	v_add_u32_e32 v48, 16, v84
	v_mad_i64_i32 v[36:37], s[18:19], v48, s21, 0
	v_cmp_gt_i32_e64 s[10:11], s13, v48
	v_lshl_add_u64 v[38:39], v[36:37], 1, s[16:17]
	v_mad_i64_i32 v[36:37], s[18:19], v48, s20, 0
	v_lshl_add_u64 v[36:37], v[36:37], 1, s[14:15]
	s_and_b64 s[22:23], s[2:3], s[10:11]
	s_and_saveexec_b64 s[18:19], s[22:23]
	s_cbranch_execnz .LBB218_87
; %bb.84:
	s_or_b64 exec, exec, s[18:19]
	s_and_b64 s[22:23], s[4:5], s[10:11]
	s_and_saveexec_b64 s[18:19], s[22:23]
	s_cbranch_execnz .LBB218_91
.LBB218_85:
	s_or_b64 exec, exec, s[18:19]
	s_and_b64 s[22:23], s[6:7], s[10:11]
	s_and_saveexec_b64 s[18:19], s[22:23]
	s_cbranch_execnz .LBB218_95
.LBB218_86:
	s_or_b64 exec, exec, s[18:19]
	s_and_b64 s[18:19], s[8:9], s[10:11]
	s_and_saveexec_b64 s[10:11], s[18:19]
	s_cbranch_execnz .LBB218_99
	s_branch .LBB218_103
.LBB218_87:
	s_and_b64 vcc, exec, s[0:1]
	s_cbranch_vccnz .LBB218_89
; %bb.88:
	v_lshl_add_u64 v[48:49], v[40:41], 1, v[38:39]
	flat_load_ushort v48, v[48:49]
	s_waitcnt vmcnt(0) lgkmcnt(0)
	v_mul_f16_e32 v48, s28, v48
	v_cvt_f32_f16_e32 v48, v48
	s_branch .LBB218_90
.LBB218_89:
	v_mov_b32_e32 v48, 0
.LBB218_90:
	v_pk_add_f16 v49, v8, v32
	v_max_f16_e32 v50, v114, v114
	v_pk_add_f16 v95, v9, v33
	v_min_f16_e32 v50, v50, v49
	v_lshrrev_b32_e32 v51, 16, v114
	v_lshrrev_b32_e32 v49, 16, v49
	;; [unrolled: 1-line block ×3, first 2 shown]
	v_min3_f16 v49, v51, v49, v102
	v_min3_f16 v49, v50, v95, v49
	v_cvt_f32_f16_e32 v49, v49
	v_max_f32_e32 v48, v48, v48
	v_min_f32_e32 v48, v48, v49
	v_cvt_f16_f32_e32 v50, v48
	v_lshl_add_u64 v[48:49], v[40:41], 1, v[36:37]
	flat_store_short v[48:49], v50
	s_or_b64 exec, exec, s[18:19]
	s_and_b64 s[22:23], s[4:5], s[10:11]
	s_and_saveexec_b64 s[18:19], s[22:23]
	s_cbranch_execz .LBB218_85
.LBB218_91:
	s_and_b64 vcc, exec, s[0:1]
	s_cbranch_vccnz .LBB218_93
; %bb.92:
	v_lshl_add_u64 v[48:49], v[42:43], 1, v[38:39]
	flat_load_ushort v48, v[48:49]
	s_waitcnt vmcnt(0) lgkmcnt(0)
	v_mul_f16_e32 v48, s28, v48
	v_cvt_f32_f16_e32 v48, v48
	s_branch .LBB218_94
.LBB218_93:
	v_mov_b32_e32 v48, 0
.LBB218_94:
	v_pk_add_f16 v49, v10, v32
	v_max_f16_e32 v50, v111, v111
	v_pk_add_f16 v95, v11, v33
	v_min_f16_e32 v50, v50, v49
	v_lshrrev_b32_e32 v51, 16, v111
	v_lshrrev_b32_e32 v49, 16, v49
	;; [unrolled: 1-line block ×3, first 2 shown]
	v_min3_f16 v49, v51, v49, v102
	v_min3_f16 v49, v50, v95, v49
	v_cvt_f32_f16_e32 v49, v49
	v_max_f32_e32 v48, v48, v48
	v_min_f32_e32 v48, v48, v49
	v_cvt_f16_f32_e32 v50, v48
	v_lshl_add_u64 v[48:49], v[42:43], 1, v[36:37]
	flat_store_short v[48:49], v50
	s_or_b64 exec, exec, s[18:19]
	s_and_b64 s[22:23], s[6:7], s[10:11]
	s_and_saveexec_b64 s[18:19], s[22:23]
	s_cbranch_execz .LBB218_86
.LBB218_95:
	s_and_b64 vcc, exec, s[0:1]
	s_cbranch_vccnz .LBB218_97
; %bb.96:
	v_lshl_add_u64 v[48:49], v[44:45], 1, v[38:39]
	flat_load_ushort v48, v[48:49]
	s_waitcnt vmcnt(0) lgkmcnt(0)
	v_mul_f16_e32 v48, s28, v48
	v_cvt_f32_f16_e32 v48, v48
	s_branch .LBB218_98
.LBB218_97:
	v_mov_b32_e32 v48, 0
.LBB218_98:
	v_pk_add_f16 v49, v0, v32
	v_max_f16_e32 v50, v110, v110
	v_pk_add_f16 v95, v1, v33
	v_min_f16_e32 v50, v50, v49
	v_lshrrev_b32_e32 v51, 16, v110
	v_lshrrev_b32_e32 v49, 16, v49
	;; [unrolled: 1-line block ×3, first 2 shown]
	v_min3_f16 v49, v51, v49, v102
	v_min3_f16 v49, v50, v95, v49
	v_cvt_f32_f16_e32 v49, v49
	v_max_f32_e32 v48, v48, v48
	v_min_f32_e32 v48, v48, v49
	v_cvt_f16_f32_e32 v50, v48
	v_lshl_add_u64 v[48:49], v[44:45], 1, v[36:37]
	flat_store_short v[48:49], v50
	s_or_b64 exec, exec, s[18:19]
	s_and_b64 s[18:19], s[8:9], s[10:11]
	s_and_saveexec_b64 s[10:11], s[18:19]
	s_cbranch_execz .LBB218_103
.LBB218_99:
	s_and_b64 vcc, exec, s[0:1]
	s_cbranch_vccnz .LBB218_101
; %bb.100:
	v_lshl_add_u64 v[38:39], v[46:47], 1, v[38:39]
	flat_load_ushort v38, v[38:39]
	s_waitcnt vmcnt(0) lgkmcnt(0)
	v_mul_f16_e32 v38, s28, v38
	v_cvt_f32_f16_e32 v38, v38
	s_branch .LBB218_102
.LBB218_101:
	v_mov_b32_e32 v38, 0
.LBB218_102:
	v_pk_add_f16 v32, v2, v32
	v_max_f16_e32 v39, v109, v109
	v_pk_add_f16 v33, v3, v33
	v_min_f16_e32 v39, v39, v32
	v_lshrrev_b32_e32 v48, 16, v109
	v_lshrrev_b32_e32 v32, 16, v32
	;; [unrolled: 1-line block ×3, first 2 shown]
	v_min3_f16 v32, v48, v32, v49
	v_min3_f16 v32, v39, v33, v32
	v_cvt_f32_f16_e32 v32, v32
	v_max_f32_e32 v33, v38, v38
	v_min_f32_e32 v32, v33, v32
	v_cvt_f16_f32_e32 v38, v32
	v_lshl_add_u64 v[32:33], v[46:47], 1, v[36:37]
	flat_store_short v[32:33], v38
.LBB218_103:
	s_or_b64 exec, exec, s[10:11]
	v_add_u32_e32 v38, 24, v84
	v_mad_i64_i32 v[32:33], s[18:19], v38, s21, 0
	v_cmp_gt_i32_e64 s[10:11], s13, v38
	v_lshl_add_u64 v[36:37], v[32:33], 1, s[16:17]
	v_mad_i64_i32 v[32:33], s[18:19], v38, s20, 0
	v_lshl_add_u64 v[32:33], v[32:33], 1, s[14:15]
	s_and_b64 s[22:23], s[2:3], s[10:11]
	s_and_saveexec_b64 s[18:19], s[22:23]
	s_cbranch_execnz .LBB218_107
; %bb.104:
	s_or_b64 exec, exec, s[18:19]
	s_and_b64 s[22:23], s[4:5], s[10:11]
	s_and_saveexec_b64 s[18:19], s[22:23]
	s_cbranch_execnz .LBB218_111
.LBB218_105:
	s_or_b64 exec, exec, s[18:19]
	s_and_b64 s[22:23], s[6:7], s[10:11]
	s_and_saveexec_b64 s[18:19], s[22:23]
	s_cbranch_execnz .LBB218_115
.LBB218_106:
	s_or_b64 exec, exec, s[18:19]
	s_and_b64 s[18:19], s[8:9], s[10:11]
	s_and_saveexec_b64 s[10:11], s[18:19]
	s_cbranch_execnz .LBB218_119
	s_branch .LBB218_123
.LBB218_107:
	s_and_b64 vcc, exec, s[0:1]
	s_cbranch_vccnz .LBB218_109
; %bb.108:
	v_lshl_add_u64 v[38:39], v[40:41], 1, v[36:37]
	flat_load_ushort v38, v[38:39]
	s_waitcnt vmcnt(0) lgkmcnt(0)
	v_mul_f16_e32 v38, s28, v38
	v_cvt_f32_f16_e32 v38, v38
	s_branch .LBB218_110
.LBB218_109:
	v_mov_b32_e32 v38, 0
.LBB218_110:
	v_pk_add_f16 v39, v8, v34
	v_max_f16_e32 v48, v108, v108
	v_pk_add_f16 v50, v9, v35
	v_min_f16_e32 v48, v48, v39
	v_lshrrev_b32_e32 v49, 16, v108
	v_lshrrev_b32_e32 v39, 16, v39
	;; [unrolled: 1-line block ×3, first 2 shown]
	v_min3_f16 v39, v49, v39, v51
	v_min3_f16 v39, v48, v50, v39
	v_cvt_f32_f16_e32 v39, v39
	v_max_f32_e32 v38, v38, v38
	v_min_f32_e32 v38, v38, v39
	v_cvt_f16_f32_e32 v48, v38
	v_lshl_add_u64 v[38:39], v[40:41], 1, v[32:33]
	flat_store_short v[38:39], v48
	s_or_b64 exec, exec, s[18:19]
	s_and_b64 s[22:23], s[4:5], s[10:11]
	s_and_saveexec_b64 s[18:19], s[22:23]
	s_cbranch_execz .LBB218_105
.LBB218_111:
	s_and_b64 vcc, exec, s[0:1]
	s_cbranch_vccnz .LBB218_113
; %bb.112:
	v_lshl_add_u64 v[38:39], v[42:43], 1, v[36:37]
	flat_load_ushort v38, v[38:39]
	s_waitcnt vmcnt(0) lgkmcnt(0)
	v_mul_f16_e32 v38, s28, v38
	v_cvt_f32_f16_e32 v38, v38
	s_branch .LBB218_114
.LBB218_113:
	v_mov_b32_e32 v38, 0
.LBB218_114:
	v_pk_add_f16 v39, v10, v34
	v_max_f16_e32 v48, v107, v107
	v_pk_add_f16 v50, v11, v35
	v_min_f16_e32 v48, v48, v39
	v_lshrrev_b32_e32 v49, 16, v107
	v_lshrrev_b32_e32 v39, 16, v39
	;; [unrolled: 1-line block ×3, first 2 shown]
	v_min3_f16 v39, v49, v39, v51
	v_min3_f16 v39, v48, v50, v39
	v_cvt_f32_f16_e32 v39, v39
	v_max_f32_e32 v38, v38, v38
	v_min_f32_e32 v38, v38, v39
	v_cvt_f16_f32_e32 v48, v38
	v_lshl_add_u64 v[38:39], v[42:43], 1, v[32:33]
	flat_store_short v[38:39], v48
	s_or_b64 exec, exec, s[18:19]
	s_and_b64 s[22:23], s[6:7], s[10:11]
	s_and_saveexec_b64 s[18:19], s[22:23]
	s_cbranch_execz .LBB218_106
.LBB218_115:
	s_and_b64 vcc, exec, s[0:1]
	s_cbranch_vccnz .LBB218_117
; %bb.116:
	v_lshl_add_u64 v[38:39], v[44:45], 1, v[36:37]
	flat_load_ushort v38, v[38:39]
	s_waitcnt vmcnt(0) lgkmcnt(0)
	v_mul_f16_e32 v38, s28, v38
	v_cvt_f32_f16_e32 v38, v38
	s_branch .LBB218_118
.LBB218_117:
	v_mov_b32_e32 v38, 0
.LBB218_118:
	v_pk_add_f16 v39, v0, v34
	v_max_f16_e32 v48, v106, v106
	v_pk_add_f16 v50, v1, v35
	v_min_f16_e32 v48, v48, v39
	v_lshrrev_b32_e32 v49, 16, v106
	v_lshrrev_b32_e32 v39, 16, v39
	;; [unrolled: 1-line block ×3, first 2 shown]
	v_min3_f16 v39, v49, v39, v51
	v_min3_f16 v39, v48, v50, v39
	v_cvt_f32_f16_e32 v39, v39
	v_max_f32_e32 v38, v38, v38
	v_min_f32_e32 v38, v38, v39
	v_cvt_f16_f32_e32 v48, v38
	v_lshl_add_u64 v[38:39], v[44:45], 1, v[32:33]
	flat_store_short v[38:39], v48
	s_or_b64 exec, exec, s[18:19]
	s_and_b64 s[18:19], s[8:9], s[10:11]
	s_and_saveexec_b64 s[10:11], s[18:19]
	s_cbranch_execz .LBB218_123
.LBB218_119:
	s_and_b64 vcc, exec, s[0:1]
	s_cbranch_vccnz .LBB218_121
; %bb.120:
	v_lshl_add_u64 v[36:37], v[46:47], 1, v[36:37]
	flat_load_ushort v36, v[36:37]
	s_waitcnt vmcnt(0) lgkmcnt(0)
	v_mul_f16_e32 v36, s28, v36
	v_cvt_f32_f16_e32 v36, v36
	s_branch .LBB218_122
.LBB218_121:
	v_mov_b32_e32 v36, 0
.LBB218_122:
	v_pk_add_f16 v34, v2, v34
	v_max_f16_e32 v37, v103, v103
	v_pk_add_f16 v35, v3, v35
	v_min_f16_e32 v37, v37, v34
	v_lshrrev_b32_e32 v38, 16, v103
	v_lshrrev_b32_e32 v34, 16, v34
	;; [unrolled: 1-line block ×3, first 2 shown]
	v_min3_f16 v34, v38, v34, v39
	v_min3_f16 v34, v37, v35, v34
	v_cvt_f32_f16_e32 v34, v34
	v_max_f32_e32 v35, v36, v36
	v_lshl_add_u64 v[32:33], v[46:47], 1, v[32:33]
	v_min_f32_e32 v34, v35, v34
	v_cvt_f16_f32_e32 v34, v34
	flat_store_short v[32:33], v34
.LBB218_123:
	s_or_b64 exec, exec, s[10:11]
	v_add_u32_e32 v36, 32, v84
	v_mad_i64_i32 v[32:33], s[18:19], v36, s21, 0
	v_cmp_gt_i32_e64 s[10:11], s13, v36
	v_lshl_add_u64 v[34:35], v[32:33], 1, s[16:17]
	v_mad_i64_i32 v[32:33], s[18:19], v36, s20, 0
	v_lshl_add_u64 v[32:33], v[32:33], 1, s[14:15]
	s_and_b64 s[22:23], s[2:3], s[10:11]
	s_and_saveexec_b64 s[18:19], s[22:23]
	s_cbranch_execnz .LBB218_127
; %bb.124:
	s_or_b64 exec, exec, s[18:19]
	s_and_b64 s[22:23], s[4:5], s[10:11]
	s_and_saveexec_b64 s[18:19], s[22:23]
	s_cbranch_execnz .LBB218_131
.LBB218_125:
	s_or_b64 exec, exec, s[18:19]
	s_and_b64 s[22:23], s[6:7], s[10:11]
	s_and_saveexec_b64 s[18:19], s[22:23]
	s_cbranch_execnz .LBB218_135
.LBB218_126:
	s_or_b64 exec, exec, s[18:19]
	s_and_b64 s[18:19], s[8:9], s[10:11]
	s_and_saveexec_b64 s[10:11], s[18:19]
	s_cbranch_execnz .LBB218_139
	s_branch .LBB218_143
.LBB218_127:
	s_and_b64 vcc, exec, s[0:1]
	s_cbranch_vccnz .LBB218_129
; %bb.128:
	v_lshl_add_u64 v[36:37], v[40:41], 1, v[34:35]
	flat_load_ushort v36, v[36:37]
	s_waitcnt vmcnt(0) lgkmcnt(0)
	v_mul_f16_e32 v36, s28, v36
	v_cvt_f32_f16_e32 v36, v36
	s_branch .LBB218_130
.LBB218_129:
	v_mov_b32_e32 v36, 0
.LBB218_130:
	v_pk_add_f16 v37, v8, v28
	v_max_f16_e32 v38, v101, v101
	v_pk_add_f16 v48, v9, v29
	v_min_f16_e32 v38, v38, v37
	v_lshrrev_b32_e32 v39, 16, v101
	v_lshrrev_b32_e32 v37, 16, v37
	;; [unrolled: 1-line block ×3, first 2 shown]
	v_min3_f16 v37, v39, v37, v49
	v_min3_f16 v37, v38, v48, v37
	v_cvt_f32_f16_e32 v37, v37
	v_max_f32_e32 v36, v36, v36
	v_min_f32_e32 v36, v36, v37
	v_cvt_f16_f32_e32 v38, v36
	v_lshl_add_u64 v[36:37], v[40:41], 1, v[32:33]
	flat_store_short v[36:37], v38
	s_or_b64 exec, exec, s[18:19]
	s_and_b64 s[22:23], s[4:5], s[10:11]
	s_and_saveexec_b64 s[18:19], s[22:23]
	s_cbranch_execz .LBB218_125
.LBB218_131:
	s_and_b64 vcc, exec, s[0:1]
	s_cbranch_vccnz .LBB218_133
; %bb.132:
	v_lshl_add_u64 v[36:37], v[42:43], 1, v[34:35]
	flat_load_ushort v36, v[36:37]
	s_waitcnt vmcnt(0) lgkmcnt(0)
	v_mul_f16_e32 v36, s28, v36
	v_cvt_f32_f16_e32 v36, v36
	s_branch .LBB218_134
.LBB218_133:
	v_mov_b32_e32 v36, 0
.LBB218_134:
	v_pk_add_f16 v37, v10, v28
	v_max_f16_e32 v38, v100, v100
	v_pk_add_f16 v48, v11, v29
	v_min_f16_e32 v38, v38, v37
	v_lshrrev_b32_e32 v39, 16, v100
	v_lshrrev_b32_e32 v37, 16, v37
	;; [unrolled: 1-line block ×3, first 2 shown]
	v_min3_f16 v37, v39, v37, v49
	v_min3_f16 v37, v38, v48, v37
	v_cvt_f32_f16_e32 v37, v37
	v_max_f32_e32 v36, v36, v36
	v_min_f32_e32 v36, v36, v37
	v_cvt_f16_f32_e32 v38, v36
	v_lshl_add_u64 v[36:37], v[42:43], 1, v[32:33]
	flat_store_short v[36:37], v38
	s_or_b64 exec, exec, s[18:19]
	s_and_b64 s[22:23], s[6:7], s[10:11]
	s_and_saveexec_b64 s[18:19], s[22:23]
	s_cbranch_execz .LBB218_126
.LBB218_135:
	s_and_b64 vcc, exec, s[0:1]
	s_cbranch_vccnz .LBB218_137
; %bb.136:
	v_lshl_add_u64 v[36:37], v[44:45], 1, v[34:35]
	flat_load_ushort v36, v[36:37]
	s_waitcnt vmcnt(0) lgkmcnt(0)
	v_mul_f16_e32 v36, s28, v36
	v_cvt_f32_f16_e32 v36, v36
	s_branch .LBB218_138
.LBB218_137:
	v_mov_b32_e32 v36, 0
.LBB218_138:
	v_pk_add_f16 v37, v0, v28
	v_max_f16_e32 v38, v99, v99
	v_pk_add_f16 v48, v1, v29
	v_min_f16_e32 v38, v38, v37
	v_lshrrev_b32_e32 v39, 16, v99
	v_lshrrev_b32_e32 v37, 16, v37
	;; [unrolled: 1-line block ×3, first 2 shown]
	v_min3_f16 v37, v39, v37, v49
	v_min3_f16 v37, v38, v48, v37
	v_cvt_f32_f16_e32 v37, v37
	v_max_f32_e32 v36, v36, v36
	v_min_f32_e32 v36, v36, v37
	v_cvt_f16_f32_e32 v38, v36
	v_lshl_add_u64 v[36:37], v[44:45], 1, v[32:33]
	flat_store_short v[36:37], v38
	s_or_b64 exec, exec, s[18:19]
	s_and_b64 s[18:19], s[8:9], s[10:11]
	s_and_saveexec_b64 s[10:11], s[18:19]
	s_cbranch_execz .LBB218_143
.LBB218_139:
	s_and_b64 vcc, exec, s[0:1]
	s_cbranch_vccnz .LBB218_141
; %bb.140:
	v_lshl_add_u64 v[34:35], v[46:47], 1, v[34:35]
	flat_load_ushort v34, v[34:35]
	s_waitcnt vmcnt(0) lgkmcnt(0)
	v_mul_f16_e32 v34, s28, v34
	v_cvt_f32_f16_e32 v34, v34
	s_branch .LBB218_142
.LBB218_141:
	v_mov_b32_e32 v34, 0
.LBB218_142:
	v_pk_add_f16 v28, v2, v28
	v_max_f16_e32 v35, v98, v98
	v_pk_add_f16 v29, v3, v29
	v_min_f16_e32 v35, v35, v28
	v_lshrrev_b32_e32 v36, 16, v98
	v_lshrrev_b32_e32 v28, 16, v28
	v_lshrrev_b32_e32 v37, 16, v29
	v_min3_f16 v28, v36, v28, v37
	v_min3_f16 v28, v35, v29, v28
	v_cvt_f32_f16_e32 v28, v28
	v_max_f32_e32 v29, v34, v34
	v_min_f32_e32 v28, v29, v28
	v_cvt_f16_f32_e32 v34, v28
	v_lshl_add_u64 v[28:29], v[46:47], 1, v[32:33]
	flat_store_short v[28:29], v34
.LBB218_143:
	s_or_b64 exec, exec, s[10:11]
	v_add_u32_e32 v34, 40, v84
	v_mad_i64_i32 v[28:29], s[18:19], v34, s21, 0
	v_cmp_gt_i32_e64 s[10:11], s13, v34
	v_lshl_add_u64 v[32:33], v[28:29], 1, s[16:17]
	v_mad_i64_i32 v[28:29], s[18:19], v34, s20, 0
	v_lshl_add_u64 v[28:29], v[28:29], 1, s[14:15]
	s_and_b64 s[22:23], s[2:3], s[10:11]
	s_and_saveexec_b64 s[18:19], s[22:23]
	s_cbranch_execnz .LBB218_147
; %bb.144:
	s_or_b64 exec, exec, s[18:19]
	s_and_b64 s[22:23], s[4:5], s[10:11]
	s_and_saveexec_b64 s[18:19], s[22:23]
	s_cbranch_execnz .LBB218_151
.LBB218_145:
	s_or_b64 exec, exec, s[18:19]
	s_and_b64 s[22:23], s[6:7], s[10:11]
	s_and_saveexec_b64 s[18:19], s[22:23]
	s_cbranch_execnz .LBB218_155
.LBB218_146:
	s_or_b64 exec, exec, s[18:19]
	s_and_b64 s[18:19], s[8:9], s[10:11]
	s_and_saveexec_b64 s[10:11], s[18:19]
	s_cbranch_execnz .LBB218_159
	s_branch .LBB218_163
.LBB218_147:
	s_and_b64 vcc, exec, s[0:1]
	s_cbranch_vccnz .LBB218_149
; %bb.148:
	v_lshl_add_u64 v[34:35], v[40:41], 1, v[32:33]
	flat_load_ushort v34, v[34:35]
	s_waitcnt vmcnt(0) lgkmcnt(0)
	v_mul_f16_e32 v34, s28, v34
	v_cvt_f32_f16_e32 v34, v34
	s_branch .LBB218_150
.LBB218_149:
	v_mov_b32_e32 v34, 0
.LBB218_150:
	v_pk_add_f16 v35, v8, v30
	v_max_f16_e32 v36, v97, v97
	v_pk_add_f16 v38, v9, v31
	v_min_f16_e32 v36, v36, v35
	v_lshrrev_b32_e32 v37, 16, v97
	v_lshrrev_b32_e32 v35, 16, v35
	;; [unrolled: 1-line block ×3, first 2 shown]
	v_min3_f16 v35, v37, v35, v39
	v_min3_f16 v35, v36, v38, v35
	v_cvt_f32_f16_e32 v35, v35
	v_max_f32_e32 v34, v34, v34
	v_min_f32_e32 v34, v34, v35
	v_cvt_f16_f32_e32 v36, v34
	v_lshl_add_u64 v[34:35], v[40:41], 1, v[28:29]
	flat_store_short v[34:35], v36
	s_or_b64 exec, exec, s[18:19]
	s_and_b64 s[22:23], s[4:5], s[10:11]
	s_and_saveexec_b64 s[18:19], s[22:23]
	s_cbranch_execz .LBB218_145
.LBB218_151:
	s_and_b64 vcc, exec, s[0:1]
	s_cbranch_vccnz .LBB218_153
; %bb.152:
	v_lshl_add_u64 v[34:35], v[42:43], 1, v[32:33]
	flat_load_ushort v34, v[34:35]
	s_waitcnt vmcnt(0) lgkmcnt(0)
	v_mul_f16_e32 v34, s28, v34
	v_cvt_f32_f16_e32 v34, v34
	s_branch .LBB218_154
.LBB218_153:
	v_mov_b32_e32 v34, 0
.LBB218_154:
	v_pk_add_f16 v35, v10, v30
	v_max_f16_e32 v36, v96, v96
	v_pk_add_f16 v38, v11, v31
	v_min_f16_e32 v36, v36, v35
	v_lshrrev_b32_e32 v37, 16, v96
	v_lshrrev_b32_e32 v35, 16, v35
	;; [unrolled: 1-line block ×3, first 2 shown]
	v_min3_f16 v35, v37, v35, v39
	v_min3_f16 v35, v36, v38, v35
	v_cvt_f32_f16_e32 v35, v35
	v_max_f32_e32 v34, v34, v34
	v_min_f32_e32 v34, v34, v35
	v_cvt_f16_f32_e32 v36, v34
	v_lshl_add_u64 v[34:35], v[42:43], 1, v[28:29]
	flat_store_short v[34:35], v36
	s_or_b64 exec, exec, s[18:19]
	s_and_b64 s[22:23], s[6:7], s[10:11]
	s_and_saveexec_b64 s[18:19], s[22:23]
	s_cbranch_execz .LBB218_146
.LBB218_155:
	s_and_b64 vcc, exec, s[0:1]
	s_cbranch_vccnz .LBB218_157
; %bb.156:
	v_lshl_add_u64 v[34:35], v[44:45], 1, v[32:33]
	flat_load_ushort v34, v[34:35]
	s_waitcnt vmcnt(0) lgkmcnt(0)
	v_mul_f16_e32 v34, s28, v34
	v_cvt_f32_f16_e32 v34, v34
	s_branch .LBB218_158
.LBB218_157:
	v_mov_b32_e32 v34, 0
.LBB218_158:
	v_pk_add_f16 v35, v0, v30
	v_max_f16_e32 v36, v94, v94
	v_pk_add_f16 v38, v1, v31
	v_min_f16_e32 v36, v36, v35
	v_lshrrev_b32_e32 v37, 16, v94
	v_lshrrev_b32_e32 v35, 16, v35
	;; [unrolled: 1-line block ×3, first 2 shown]
	v_min3_f16 v35, v37, v35, v39
	v_min3_f16 v35, v36, v38, v35
	v_cvt_f32_f16_e32 v35, v35
	v_max_f32_e32 v34, v34, v34
	v_min_f32_e32 v34, v34, v35
	v_cvt_f16_f32_e32 v36, v34
	v_lshl_add_u64 v[34:35], v[44:45], 1, v[28:29]
	flat_store_short v[34:35], v36
	s_or_b64 exec, exec, s[18:19]
	s_and_b64 s[18:19], s[8:9], s[10:11]
	s_and_saveexec_b64 s[10:11], s[18:19]
	s_cbranch_execz .LBB218_163
.LBB218_159:
	s_and_b64 vcc, exec, s[0:1]
	s_cbranch_vccnz .LBB218_161
; %bb.160:
	v_lshl_add_u64 v[32:33], v[46:47], 1, v[32:33]
	flat_load_ushort v32, v[32:33]
	s_waitcnt vmcnt(0) lgkmcnt(0)
	v_mul_f16_e32 v32, s28, v32
	v_cvt_f32_f16_e32 v32, v32
	s_branch .LBB218_162
.LBB218_161:
	v_mov_b32_e32 v32, 0
.LBB218_162:
	v_pk_add_f16 v30, v2, v30
	v_max_f16_e32 v33, v93, v93
	v_pk_add_f16 v31, v3, v31
	v_min_f16_e32 v33, v33, v30
	v_lshrrev_b32_e32 v34, 16, v93
	v_lshrrev_b32_e32 v30, 16, v30
	;; [unrolled: 1-line block ×3, first 2 shown]
	v_min3_f16 v30, v34, v30, v35
	v_min3_f16 v30, v33, v31, v30
	v_cvt_f32_f16_e32 v30, v30
	v_max_f32_e32 v31, v32, v32
	v_lshl_add_u64 v[28:29], v[46:47], 1, v[28:29]
	v_min_f32_e32 v30, v31, v30
	v_cvt_f16_f32_e32 v30, v30
	flat_store_short v[28:29], v30
.LBB218_163:
	s_or_b64 exec, exec, s[10:11]
	v_add_u32_e32 v32, 48, v84
	v_mad_i64_i32 v[28:29], s[18:19], v32, s21, 0
	v_cmp_gt_i32_e64 s[10:11], s13, v32
	v_lshl_add_u64 v[30:31], v[28:29], 1, s[16:17]
	v_mad_i64_i32 v[28:29], s[18:19], v32, s20, 0
	v_lshl_add_u64 v[28:29], v[28:29], 1, s[14:15]
	s_and_b64 s[22:23], s[2:3], s[10:11]
	s_and_saveexec_b64 s[18:19], s[22:23]
	s_cbranch_execnz .LBB218_167
; %bb.164:
	s_or_b64 exec, exec, s[18:19]
	s_and_b64 s[22:23], s[4:5], s[10:11]
	s_and_saveexec_b64 s[18:19], s[22:23]
	s_cbranch_execnz .LBB218_171
.LBB218_165:
	s_or_b64 exec, exec, s[18:19]
	s_and_b64 s[22:23], s[6:7], s[10:11]
	s_and_saveexec_b64 s[18:19], s[22:23]
	s_cbranch_execnz .LBB218_175
.LBB218_166:
	s_or_b64 exec, exec, s[18:19]
	s_and_b64 s[18:19], s[8:9], s[10:11]
	s_and_saveexec_b64 s[10:11], s[18:19]
	s_cbranch_execnz .LBB218_179
	s_branch .LBB218_183
.LBB218_167:
	s_and_b64 vcc, exec, s[0:1]
	s_cbranch_vccnz .LBB218_169
; %bb.168:
	v_lshl_add_u64 v[32:33], v[40:41], 1, v[30:31]
	flat_load_ushort v32, v[32:33]
	s_waitcnt vmcnt(0) lgkmcnt(0)
	v_mul_f16_e32 v32, s28, v32
	v_cvt_f32_f16_e32 v32, v32
	s_branch .LBB218_170
.LBB218_169:
	v_mov_b32_e32 v32, 0
.LBB218_170:
	v_pk_add_f16 v33, v8, v24
	v_max_f16_e32 v34, v92, v92
	v_pk_add_f16 v36, v9, v25
	v_min_f16_e32 v34, v34, v33
	v_lshrrev_b32_e32 v35, 16, v92
	v_lshrrev_b32_e32 v33, 16, v33
	;; [unrolled: 1-line block ×3, first 2 shown]
	v_min3_f16 v33, v35, v33, v37
	v_min3_f16 v33, v34, v36, v33
	v_cvt_f32_f16_e32 v33, v33
	v_max_f32_e32 v32, v32, v32
	v_min_f32_e32 v32, v32, v33
	v_cvt_f16_f32_e32 v34, v32
	v_lshl_add_u64 v[32:33], v[40:41], 1, v[28:29]
	flat_store_short v[32:33], v34
	s_or_b64 exec, exec, s[18:19]
	s_and_b64 s[22:23], s[4:5], s[10:11]
	s_and_saveexec_b64 s[18:19], s[22:23]
	s_cbranch_execz .LBB218_165
.LBB218_171:
	s_and_b64 vcc, exec, s[0:1]
	s_cbranch_vccnz .LBB218_173
; %bb.172:
	v_lshl_add_u64 v[32:33], v[42:43], 1, v[30:31]
	flat_load_ushort v32, v[32:33]
	s_waitcnt vmcnt(0) lgkmcnt(0)
	v_mul_f16_e32 v32, s28, v32
	v_cvt_f32_f16_e32 v32, v32
	s_branch .LBB218_174
.LBB218_173:
	v_mov_b32_e32 v32, 0
.LBB218_174:
	v_pk_add_f16 v33, v10, v24
	v_max_f16_e32 v34, v91, v91
	v_pk_add_f16 v36, v11, v25
	v_min_f16_e32 v34, v34, v33
	v_lshrrev_b32_e32 v35, 16, v91
	v_lshrrev_b32_e32 v33, 16, v33
	;; [unrolled: 1-line block ×3, first 2 shown]
	v_min3_f16 v33, v35, v33, v37
	v_min3_f16 v33, v34, v36, v33
	v_cvt_f32_f16_e32 v33, v33
	v_max_f32_e32 v32, v32, v32
	v_min_f32_e32 v32, v32, v33
	v_cvt_f16_f32_e32 v34, v32
	v_lshl_add_u64 v[32:33], v[42:43], 1, v[28:29]
	flat_store_short v[32:33], v34
	s_or_b64 exec, exec, s[18:19]
	s_and_b64 s[22:23], s[6:7], s[10:11]
	s_and_saveexec_b64 s[18:19], s[22:23]
	s_cbranch_execz .LBB218_166
.LBB218_175:
	s_and_b64 vcc, exec, s[0:1]
	s_cbranch_vccnz .LBB218_177
; %bb.176:
	v_lshl_add_u64 v[32:33], v[44:45], 1, v[30:31]
	flat_load_ushort v32, v[32:33]
	s_waitcnt vmcnt(0) lgkmcnt(0)
	v_mul_f16_e32 v32, s28, v32
	v_cvt_f32_f16_e32 v32, v32
	s_branch .LBB218_178
.LBB218_177:
	v_mov_b32_e32 v32, 0
.LBB218_178:
	v_pk_add_f16 v33, v0, v24
	v_max_f16_e32 v34, v90, v90
	v_pk_add_f16 v36, v1, v25
	v_min_f16_e32 v34, v34, v33
	v_lshrrev_b32_e32 v35, 16, v90
	v_lshrrev_b32_e32 v33, 16, v33
	;; [unrolled: 1-line block ×3, first 2 shown]
	v_min3_f16 v33, v35, v33, v37
	v_min3_f16 v33, v34, v36, v33
	v_cvt_f32_f16_e32 v33, v33
	v_max_f32_e32 v32, v32, v32
	v_min_f32_e32 v32, v32, v33
	v_cvt_f16_f32_e32 v34, v32
	v_lshl_add_u64 v[32:33], v[44:45], 1, v[28:29]
	flat_store_short v[32:33], v34
	s_or_b64 exec, exec, s[18:19]
	s_and_b64 s[18:19], s[8:9], s[10:11]
	s_and_saveexec_b64 s[10:11], s[18:19]
	s_cbranch_execz .LBB218_183
.LBB218_179:
	s_and_b64 vcc, exec, s[0:1]
	s_cbranch_vccnz .LBB218_181
; %bb.180:
	v_lshl_add_u64 v[30:31], v[46:47], 1, v[30:31]
	flat_load_ushort v30, v[30:31]
	s_waitcnt vmcnt(0) lgkmcnt(0)
	v_mul_f16_e32 v30, s28, v30
	v_cvt_f32_f16_e32 v30, v30
	s_branch .LBB218_182
.LBB218_181:
	v_mov_b32_e32 v30, 0
.LBB218_182:
	v_pk_add_f16 v24, v2, v24
	v_max_f16_e32 v31, v89, v89
	v_pk_add_f16 v25, v3, v25
	v_min_f16_e32 v31, v31, v24
	v_lshrrev_b32_e32 v32, 16, v89
	v_lshrrev_b32_e32 v24, 16, v24
	v_lshrrev_b32_e32 v33, 16, v25
	v_min3_f16 v24, v32, v24, v33
	v_min3_f16 v24, v31, v25, v24
	v_cvt_f32_f16_e32 v24, v24
	v_max_f32_e32 v25, v30, v30
	v_min_f32_e32 v24, v25, v24
	v_cvt_f16_f32_e32 v30, v24
	v_lshl_add_u64 v[24:25], v[46:47], 1, v[28:29]
	flat_store_short v[24:25], v30
.LBB218_183:
	s_or_b64 exec, exec, s[10:11]
	v_add_u32_e32 v30, 56, v84
	v_mad_i64_i32 v[24:25], s[18:19], v30, s21, 0
	v_cmp_gt_i32_e64 s[10:11], s13, v30
	v_lshl_add_u64 v[28:29], v[24:25], 1, s[16:17]
	v_mad_i64_i32 v[24:25], s[18:19], v30, s20, 0
	v_lshl_add_u64 v[24:25], v[24:25], 1, s[14:15]
	s_and_b64 s[22:23], s[2:3], s[10:11]
	s_and_saveexec_b64 s[18:19], s[22:23]
	s_cbranch_execnz .LBB218_187
; %bb.184:
	s_or_b64 exec, exec, s[18:19]
	s_and_b64 s[22:23], s[4:5], s[10:11]
	s_and_saveexec_b64 s[18:19], s[22:23]
	s_cbranch_execnz .LBB218_191
.LBB218_185:
	s_or_b64 exec, exec, s[18:19]
	s_and_b64 s[22:23], s[6:7], s[10:11]
	s_and_saveexec_b64 s[18:19], s[22:23]
	s_cbranch_execnz .LBB218_195
.LBB218_186:
	s_or_b64 exec, exec, s[18:19]
	s_and_b64 s[18:19], s[8:9], s[10:11]
	s_and_saveexec_b64 s[10:11], s[18:19]
	s_cbranch_execnz .LBB218_199
	s_branch .LBB218_203
.LBB218_187:
	s_and_b64 vcc, exec, s[0:1]
	s_cbranch_vccnz .LBB218_189
; %bb.188:
	v_lshl_add_u64 v[30:31], v[40:41], 1, v[28:29]
	flat_load_ushort v30, v[30:31]
	s_waitcnt vmcnt(0) lgkmcnt(0)
	v_mul_f16_e32 v30, s28, v30
	v_cvt_f32_f16_e32 v30, v30
	s_branch .LBB218_190
.LBB218_189:
	v_mov_b32_e32 v30, 0
.LBB218_190:
	v_pk_add_f16 v31, v8, v26
	v_max_f16_e32 v32, v88, v88
	v_pk_add_f16 v34, v9, v27
	v_min_f16_e32 v32, v32, v31
	v_lshrrev_b32_e32 v33, 16, v88
	v_lshrrev_b32_e32 v31, 16, v31
	;; [unrolled: 1-line block ×3, first 2 shown]
	v_min3_f16 v31, v33, v31, v35
	v_min3_f16 v31, v32, v34, v31
	v_cvt_f32_f16_e32 v31, v31
	v_max_f32_e32 v30, v30, v30
	v_min_f32_e32 v30, v30, v31
	v_cvt_f16_f32_e32 v32, v30
	v_lshl_add_u64 v[30:31], v[40:41], 1, v[24:25]
	flat_store_short v[30:31], v32
	s_or_b64 exec, exec, s[18:19]
	s_and_b64 s[22:23], s[4:5], s[10:11]
	s_and_saveexec_b64 s[18:19], s[22:23]
	s_cbranch_execz .LBB218_185
.LBB218_191:
	s_and_b64 vcc, exec, s[0:1]
	s_cbranch_vccnz .LBB218_193
; %bb.192:
	v_lshl_add_u64 v[30:31], v[42:43], 1, v[28:29]
	flat_load_ushort v30, v[30:31]
	s_waitcnt vmcnt(0) lgkmcnt(0)
	v_mul_f16_e32 v30, s28, v30
	v_cvt_f32_f16_e32 v30, v30
	s_branch .LBB218_194
.LBB218_193:
	v_mov_b32_e32 v30, 0
.LBB218_194:
	v_pk_add_f16 v31, v10, v26
	v_max_f16_e32 v32, v87, v87
	v_pk_add_f16 v34, v11, v27
	v_min_f16_e32 v32, v32, v31
	v_lshrrev_b32_e32 v33, 16, v87
	v_lshrrev_b32_e32 v31, 16, v31
	;; [unrolled: 1-line block ×3, first 2 shown]
	v_min3_f16 v31, v33, v31, v35
	v_min3_f16 v31, v32, v34, v31
	v_cvt_f32_f16_e32 v31, v31
	v_max_f32_e32 v30, v30, v30
	v_min_f32_e32 v30, v30, v31
	v_cvt_f16_f32_e32 v32, v30
	v_lshl_add_u64 v[30:31], v[42:43], 1, v[24:25]
	flat_store_short v[30:31], v32
	s_or_b64 exec, exec, s[18:19]
	s_and_b64 s[22:23], s[6:7], s[10:11]
	s_and_saveexec_b64 s[18:19], s[22:23]
	s_cbranch_execz .LBB218_186
.LBB218_195:
	s_and_b64 vcc, exec, s[0:1]
	s_cbranch_vccnz .LBB218_197
; %bb.196:
	v_lshl_add_u64 v[30:31], v[44:45], 1, v[28:29]
	flat_load_ushort v30, v[30:31]
	s_waitcnt vmcnt(0) lgkmcnt(0)
	v_mul_f16_e32 v30, s28, v30
	v_cvt_f32_f16_e32 v30, v30
	s_branch .LBB218_198
.LBB218_197:
	v_mov_b32_e32 v30, 0
.LBB218_198:
	v_pk_add_f16 v31, v0, v26
	v_max_f16_e32 v32, v86, v86
	v_pk_add_f16 v34, v1, v27
	v_min_f16_e32 v32, v32, v31
	v_lshrrev_b32_e32 v33, 16, v86
	v_lshrrev_b32_e32 v31, 16, v31
	;; [unrolled: 1-line block ×3, first 2 shown]
	v_min3_f16 v31, v33, v31, v35
	v_min3_f16 v31, v32, v34, v31
	v_cvt_f32_f16_e32 v31, v31
	v_max_f32_e32 v30, v30, v30
	v_min_f32_e32 v30, v30, v31
	v_cvt_f16_f32_e32 v32, v30
	v_lshl_add_u64 v[30:31], v[44:45], 1, v[24:25]
	flat_store_short v[30:31], v32
	s_or_b64 exec, exec, s[18:19]
	s_and_b64 s[18:19], s[8:9], s[10:11]
	s_and_saveexec_b64 s[10:11], s[18:19]
	s_cbranch_execz .LBB218_203
.LBB218_199:
	s_and_b64 vcc, exec, s[0:1]
	s_cbranch_vccnz .LBB218_201
; %bb.200:
	v_lshl_add_u64 v[28:29], v[46:47], 1, v[28:29]
	flat_load_ushort v28, v[28:29]
	s_waitcnt vmcnt(0) lgkmcnt(0)
	v_mul_f16_e32 v28, s28, v28
	v_cvt_f32_f16_e32 v28, v28
	s_branch .LBB218_202
.LBB218_201:
	v_mov_b32_e32 v28, 0
.LBB218_202:
	v_pk_add_f16 v26, v2, v26
	v_max_f16_e32 v29, v85, v85
	v_pk_add_f16 v27, v3, v27
	v_min_f16_e32 v29, v29, v26
	v_lshrrev_b32_e32 v30, 16, v85
	v_lshrrev_b32_e32 v26, 16, v26
	;; [unrolled: 1-line block ×3, first 2 shown]
	v_min3_f16 v26, v30, v26, v31
	v_min3_f16 v26, v29, v27, v26
	v_cvt_f32_f16_e32 v26, v26
	v_max_f32_e32 v27, v28, v28
	v_lshl_add_u64 v[24:25], v[46:47], 1, v[24:25]
	v_min_f32_e32 v26, v27, v26
	v_cvt_f16_f32_e32 v26, v26
	flat_store_short v[24:25], v26
.LBB218_203:
	s_or_b64 exec, exec, s[10:11]
	v_add_u32_e32 v28, 64, v84
	v_mad_i64_i32 v[24:25], s[18:19], v28, s21, 0
	v_cmp_gt_i32_e64 s[10:11], s13, v28
	v_lshl_add_u64 v[26:27], v[24:25], 1, s[16:17]
	v_mad_i64_i32 v[24:25], s[18:19], v28, s20, 0
	v_lshl_add_u64 v[24:25], v[24:25], 1, s[14:15]
	s_and_b64 s[22:23], s[2:3], s[10:11]
	s_and_saveexec_b64 s[18:19], s[22:23]
	s_cbranch_execnz .LBB218_207
; %bb.204:
	s_or_b64 exec, exec, s[18:19]
	s_and_b64 s[22:23], s[4:5], s[10:11]
	s_and_saveexec_b64 s[18:19], s[22:23]
	s_cbranch_execnz .LBB218_211
.LBB218_205:
	s_or_b64 exec, exec, s[18:19]
	s_and_b64 s[22:23], s[6:7], s[10:11]
	s_and_saveexec_b64 s[18:19], s[22:23]
	s_cbranch_execnz .LBB218_215
.LBB218_206:
	s_or_b64 exec, exec, s[18:19]
	s_and_b64 s[18:19], s[8:9], s[10:11]
	s_and_saveexec_b64 s[10:11], s[18:19]
	s_cbranch_execnz .LBB218_219
	s_branch .LBB218_223
.LBB218_207:
	s_and_b64 vcc, exec, s[0:1]
	s_cbranch_vccnz .LBB218_209
; %bb.208:
	v_lshl_add_u64 v[28:29], v[40:41], 1, v[26:27]
	flat_load_ushort v28, v[28:29]
	s_waitcnt vmcnt(0) lgkmcnt(0)
	v_mul_f16_e32 v28, s28, v28
	v_cvt_f32_f16_e32 v28, v28
	s_branch .LBB218_210
.LBB218_209:
	v_mov_b32_e32 v28, 0
.LBB218_210:
	v_pk_add_f16 v29, v8, v20
	v_max_f16_e32 v30, v83, v83
	v_pk_add_f16 v32, v9, v21
	v_min_f16_e32 v30, v30, v29
	v_lshrrev_b32_e32 v31, 16, v83
	v_lshrrev_b32_e32 v29, 16, v29
	;; [unrolled: 1-line block ×3, first 2 shown]
	v_min3_f16 v29, v31, v29, v33
	v_min3_f16 v29, v30, v32, v29
	v_cvt_f32_f16_e32 v29, v29
	v_max_f32_e32 v28, v28, v28
	v_min_f32_e32 v28, v28, v29
	v_cvt_f16_f32_e32 v30, v28
	v_lshl_add_u64 v[28:29], v[40:41], 1, v[24:25]
	flat_store_short v[28:29], v30
	s_or_b64 exec, exec, s[18:19]
	s_and_b64 s[22:23], s[4:5], s[10:11]
	s_and_saveexec_b64 s[18:19], s[22:23]
	s_cbranch_execz .LBB218_205
.LBB218_211:
	s_and_b64 vcc, exec, s[0:1]
	s_cbranch_vccnz .LBB218_213
; %bb.212:
	v_lshl_add_u64 v[28:29], v[42:43], 1, v[26:27]
	flat_load_ushort v28, v[28:29]
	s_waitcnt vmcnt(0) lgkmcnt(0)
	v_mul_f16_e32 v28, s28, v28
	v_cvt_f32_f16_e32 v28, v28
	s_branch .LBB218_214
.LBB218_213:
	v_mov_b32_e32 v28, 0
.LBB218_214:
	v_pk_add_f16 v29, v10, v20
	v_max_f16_e32 v30, v82, v82
	v_pk_add_f16 v32, v11, v21
	v_min_f16_e32 v30, v30, v29
	v_lshrrev_b32_e32 v31, 16, v82
	v_lshrrev_b32_e32 v29, 16, v29
	;; [unrolled: 1-line block ×3, first 2 shown]
	v_min3_f16 v29, v31, v29, v33
	v_min3_f16 v29, v30, v32, v29
	v_cvt_f32_f16_e32 v29, v29
	v_max_f32_e32 v28, v28, v28
	v_min_f32_e32 v28, v28, v29
	v_cvt_f16_f32_e32 v30, v28
	v_lshl_add_u64 v[28:29], v[42:43], 1, v[24:25]
	flat_store_short v[28:29], v30
	s_or_b64 exec, exec, s[18:19]
	s_and_b64 s[22:23], s[6:7], s[10:11]
	s_and_saveexec_b64 s[18:19], s[22:23]
	s_cbranch_execz .LBB218_206
.LBB218_215:
	s_and_b64 vcc, exec, s[0:1]
	s_cbranch_vccnz .LBB218_217
; %bb.216:
	v_lshl_add_u64 v[28:29], v[44:45], 1, v[26:27]
	flat_load_ushort v28, v[28:29]
	s_waitcnt vmcnt(0) lgkmcnt(0)
	v_mul_f16_e32 v28, s28, v28
	v_cvt_f32_f16_e32 v28, v28
	s_branch .LBB218_218
.LBB218_217:
	v_mov_b32_e32 v28, 0
.LBB218_218:
	v_pk_add_f16 v29, v0, v20
	v_max_f16_e32 v30, v81, v81
	v_pk_add_f16 v32, v1, v21
	v_min_f16_e32 v30, v30, v29
	v_lshrrev_b32_e32 v31, 16, v81
	v_lshrrev_b32_e32 v29, 16, v29
	;; [unrolled: 1-line block ×3, first 2 shown]
	v_min3_f16 v29, v31, v29, v33
	v_min3_f16 v29, v30, v32, v29
	v_cvt_f32_f16_e32 v29, v29
	v_max_f32_e32 v28, v28, v28
	v_min_f32_e32 v28, v28, v29
	v_cvt_f16_f32_e32 v30, v28
	v_lshl_add_u64 v[28:29], v[44:45], 1, v[24:25]
	flat_store_short v[28:29], v30
	s_or_b64 exec, exec, s[18:19]
	s_and_b64 s[18:19], s[8:9], s[10:11]
	s_and_saveexec_b64 s[10:11], s[18:19]
	s_cbranch_execz .LBB218_223
.LBB218_219:
	s_and_b64 vcc, exec, s[0:1]
	s_cbranch_vccnz .LBB218_221
; %bb.220:
	v_lshl_add_u64 v[26:27], v[46:47], 1, v[26:27]
	flat_load_ushort v26, v[26:27]
	s_waitcnt vmcnt(0) lgkmcnt(0)
	v_mul_f16_e32 v26, s28, v26
	v_cvt_f32_f16_e32 v26, v26
	s_branch .LBB218_222
.LBB218_221:
	v_mov_b32_e32 v26, 0
.LBB218_222:
	v_pk_add_f16 v20, v2, v20
	v_max_f16_e32 v27, v80, v80
	v_pk_add_f16 v21, v3, v21
	v_min_f16_e32 v27, v27, v20
	v_lshrrev_b32_e32 v28, 16, v80
	v_lshrrev_b32_e32 v20, 16, v20
	;; [unrolled: 1-line block ×3, first 2 shown]
	v_min3_f16 v20, v28, v20, v29
	v_min3_f16 v20, v27, v21, v20
	v_cvt_f32_f16_e32 v20, v20
	v_max_f32_e32 v21, v26, v26
	v_min_f32_e32 v20, v21, v20
	v_cvt_f16_f32_e32 v26, v20
	v_lshl_add_u64 v[20:21], v[46:47], 1, v[24:25]
	flat_store_short v[20:21], v26
.LBB218_223:
	s_or_b64 exec, exec, s[10:11]
	v_add_u32_e32 v26, 0x48, v84
	v_mad_i64_i32 v[20:21], s[18:19], v26, s21, 0
	v_cmp_gt_i32_e64 s[10:11], s13, v26
	v_lshl_add_u64 v[24:25], v[20:21], 1, s[16:17]
	v_mad_i64_i32 v[20:21], s[18:19], v26, s20, 0
	v_lshl_add_u64 v[20:21], v[20:21], 1, s[14:15]
	s_and_b64 s[22:23], s[2:3], s[10:11]
	s_and_saveexec_b64 s[18:19], s[22:23]
	s_cbranch_execnz .LBB218_227
; %bb.224:
	s_or_b64 exec, exec, s[18:19]
	s_and_b64 s[22:23], s[4:5], s[10:11]
	s_and_saveexec_b64 s[18:19], s[22:23]
	s_cbranch_execnz .LBB218_231
.LBB218_225:
	s_or_b64 exec, exec, s[18:19]
	s_and_b64 s[22:23], s[6:7], s[10:11]
	s_and_saveexec_b64 s[18:19], s[22:23]
	s_cbranch_execnz .LBB218_235
.LBB218_226:
	s_or_b64 exec, exec, s[18:19]
	s_and_b64 s[18:19], s[8:9], s[10:11]
	s_and_saveexec_b64 s[10:11], s[18:19]
	s_cbranch_execnz .LBB218_239
	s_branch .LBB218_243
.LBB218_227:
	s_and_b64 vcc, exec, s[0:1]
	s_cbranch_vccnz .LBB218_229
; %bb.228:
	v_lshl_add_u64 v[26:27], v[40:41], 1, v[24:25]
	flat_load_ushort v26, v[26:27]
	s_waitcnt vmcnt(0) lgkmcnt(0)
	v_mul_f16_e32 v26, s28, v26
	v_cvt_f32_f16_e32 v26, v26
	s_branch .LBB218_230
.LBB218_229:
	v_mov_b32_e32 v26, 0
.LBB218_230:
	v_pk_add_f16 v27, v8, v22
	v_max_f16_e32 v28, v79, v79
	v_pk_add_f16 v30, v9, v23
	v_min_f16_e32 v28, v28, v27
	v_lshrrev_b32_e32 v29, 16, v79
	v_lshrrev_b32_e32 v27, 16, v27
	;; [unrolled: 1-line block ×3, first 2 shown]
	v_min3_f16 v27, v29, v27, v31
	v_min3_f16 v27, v28, v30, v27
	v_cvt_f32_f16_e32 v27, v27
	v_max_f32_e32 v26, v26, v26
	v_min_f32_e32 v26, v26, v27
	v_cvt_f16_f32_e32 v28, v26
	v_lshl_add_u64 v[26:27], v[40:41], 1, v[20:21]
	flat_store_short v[26:27], v28
	s_or_b64 exec, exec, s[18:19]
	s_and_b64 s[22:23], s[4:5], s[10:11]
	s_and_saveexec_b64 s[18:19], s[22:23]
	s_cbranch_execz .LBB218_225
.LBB218_231:
	s_and_b64 vcc, exec, s[0:1]
	s_cbranch_vccnz .LBB218_233
; %bb.232:
	v_lshl_add_u64 v[26:27], v[42:43], 1, v[24:25]
	flat_load_ushort v26, v[26:27]
	s_waitcnt vmcnt(0) lgkmcnt(0)
	v_mul_f16_e32 v26, s28, v26
	v_cvt_f32_f16_e32 v26, v26
	s_branch .LBB218_234
.LBB218_233:
	v_mov_b32_e32 v26, 0
.LBB218_234:
	v_pk_add_f16 v27, v10, v22
	v_max_f16_e32 v28, v78, v78
	v_pk_add_f16 v30, v11, v23
	v_min_f16_e32 v28, v28, v27
	v_lshrrev_b32_e32 v29, 16, v78
	v_lshrrev_b32_e32 v27, 16, v27
	;; [unrolled: 1-line block ×3, first 2 shown]
	v_min3_f16 v27, v29, v27, v31
	v_min3_f16 v27, v28, v30, v27
	v_cvt_f32_f16_e32 v27, v27
	v_max_f32_e32 v26, v26, v26
	v_min_f32_e32 v26, v26, v27
	v_cvt_f16_f32_e32 v28, v26
	v_lshl_add_u64 v[26:27], v[42:43], 1, v[20:21]
	flat_store_short v[26:27], v28
	s_or_b64 exec, exec, s[18:19]
	s_and_b64 s[22:23], s[6:7], s[10:11]
	s_and_saveexec_b64 s[18:19], s[22:23]
	s_cbranch_execz .LBB218_226
.LBB218_235:
	s_and_b64 vcc, exec, s[0:1]
	s_cbranch_vccnz .LBB218_237
; %bb.236:
	v_lshl_add_u64 v[26:27], v[44:45], 1, v[24:25]
	flat_load_ushort v26, v[26:27]
	s_waitcnt vmcnt(0) lgkmcnt(0)
	v_mul_f16_e32 v26, s28, v26
	v_cvt_f32_f16_e32 v26, v26
	s_branch .LBB218_238
.LBB218_237:
	v_mov_b32_e32 v26, 0
.LBB218_238:
	v_pk_add_f16 v27, v0, v22
	v_max_f16_e32 v28, v77, v77
	v_pk_add_f16 v30, v1, v23
	v_min_f16_e32 v28, v28, v27
	v_lshrrev_b32_e32 v29, 16, v77
	v_lshrrev_b32_e32 v27, 16, v27
	;; [unrolled: 1-line block ×3, first 2 shown]
	v_min3_f16 v27, v29, v27, v31
	v_min3_f16 v27, v28, v30, v27
	v_cvt_f32_f16_e32 v27, v27
	v_max_f32_e32 v26, v26, v26
	v_min_f32_e32 v26, v26, v27
	v_cvt_f16_f32_e32 v28, v26
	v_lshl_add_u64 v[26:27], v[44:45], 1, v[20:21]
	flat_store_short v[26:27], v28
	s_or_b64 exec, exec, s[18:19]
	s_and_b64 s[18:19], s[8:9], s[10:11]
	s_and_saveexec_b64 s[10:11], s[18:19]
	s_cbranch_execz .LBB218_243
.LBB218_239:
	s_and_b64 vcc, exec, s[0:1]
	s_cbranch_vccnz .LBB218_241
; %bb.240:
	v_lshl_add_u64 v[24:25], v[46:47], 1, v[24:25]
	flat_load_ushort v24, v[24:25]
	s_waitcnt vmcnt(0) lgkmcnt(0)
	v_mul_f16_e32 v24, s28, v24
	v_cvt_f32_f16_e32 v24, v24
	s_branch .LBB218_242
.LBB218_241:
	v_mov_b32_e32 v24, 0
.LBB218_242:
	v_pk_add_f16 v22, v2, v22
	v_max_f16_e32 v25, v76, v76
	v_pk_add_f16 v23, v3, v23
	v_min_f16_e32 v25, v25, v22
	v_lshrrev_b32_e32 v26, 16, v76
	v_lshrrev_b32_e32 v22, 16, v22
	;; [unrolled: 1-line block ×3, first 2 shown]
	v_min3_f16 v22, v26, v22, v27
	v_min3_f16 v22, v25, v23, v22
	v_cvt_f32_f16_e32 v22, v22
	v_max_f32_e32 v23, v24, v24
	v_lshl_add_u64 v[20:21], v[46:47], 1, v[20:21]
	v_min_f32_e32 v22, v23, v22
	v_cvt_f16_f32_e32 v22, v22
	flat_store_short v[20:21], v22
.LBB218_243:
	s_or_b64 exec, exec, s[10:11]
	v_add_u32_e32 v24, 0x50, v84
	v_mad_i64_i32 v[20:21], s[18:19], v24, s21, 0
	v_cmp_gt_i32_e64 s[10:11], s13, v24
	v_lshl_add_u64 v[22:23], v[20:21], 1, s[16:17]
	v_mad_i64_i32 v[20:21], s[18:19], v24, s20, 0
	v_lshl_add_u64 v[20:21], v[20:21], 1, s[14:15]
	s_and_b64 s[22:23], s[2:3], s[10:11]
	s_and_saveexec_b64 s[18:19], s[22:23]
	s_cbranch_execnz .LBB218_247
; %bb.244:
	s_or_b64 exec, exec, s[18:19]
	s_and_b64 s[22:23], s[4:5], s[10:11]
	s_and_saveexec_b64 s[18:19], s[22:23]
	s_cbranch_execnz .LBB218_251
.LBB218_245:
	s_or_b64 exec, exec, s[18:19]
	s_and_b64 s[22:23], s[6:7], s[10:11]
	s_and_saveexec_b64 s[18:19], s[22:23]
	s_cbranch_execnz .LBB218_255
.LBB218_246:
	s_or_b64 exec, exec, s[18:19]
	s_and_b64 s[18:19], s[8:9], s[10:11]
	s_and_saveexec_b64 s[10:11], s[18:19]
	s_cbranch_execnz .LBB218_259
	s_branch .LBB218_263
.LBB218_247:
	s_and_b64 vcc, exec, s[0:1]
	s_cbranch_vccnz .LBB218_249
; %bb.248:
	v_lshl_add_u64 v[24:25], v[40:41], 1, v[22:23]
	flat_load_ushort v24, v[24:25]
	s_waitcnt vmcnt(0) lgkmcnt(0)
	v_mul_f16_e32 v24, s28, v24
	v_cvt_f32_f16_e32 v24, v24
	s_branch .LBB218_250
.LBB218_249:
	v_mov_b32_e32 v24, 0
.LBB218_250:
	v_pk_add_f16 v25, v8, v16
	v_max_f16_e32 v26, v75, v75
	v_pk_add_f16 v28, v9, v17
	v_min_f16_e32 v26, v26, v25
	v_lshrrev_b32_e32 v27, 16, v75
	v_lshrrev_b32_e32 v25, 16, v25
	v_lshrrev_b32_e32 v29, 16, v28
	v_min3_f16 v25, v27, v25, v29
	v_min3_f16 v25, v26, v28, v25
	v_cvt_f32_f16_e32 v25, v25
	v_max_f32_e32 v24, v24, v24
	v_min_f32_e32 v24, v24, v25
	v_cvt_f16_f32_e32 v26, v24
	v_lshl_add_u64 v[24:25], v[40:41], 1, v[20:21]
	flat_store_short v[24:25], v26
	s_or_b64 exec, exec, s[18:19]
	s_and_b64 s[22:23], s[4:5], s[10:11]
	s_and_saveexec_b64 s[18:19], s[22:23]
	s_cbranch_execz .LBB218_245
.LBB218_251:
	s_and_b64 vcc, exec, s[0:1]
	s_cbranch_vccnz .LBB218_253
; %bb.252:
	v_lshl_add_u64 v[24:25], v[42:43], 1, v[22:23]
	flat_load_ushort v24, v[24:25]
	s_waitcnt vmcnt(0) lgkmcnt(0)
	v_mul_f16_e32 v24, s28, v24
	v_cvt_f32_f16_e32 v24, v24
	s_branch .LBB218_254
.LBB218_253:
	v_mov_b32_e32 v24, 0
.LBB218_254:
	v_pk_add_f16 v25, v10, v16
	v_max_f16_e32 v26, v74, v74
	v_pk_add_f16 v28, v11, v17
	v_min_f16_e32 v26, v26, v25
	v_lshrrev_b32_e32 v27, 16, v74
	v_lshrrev_b32_e32 v25, 16, v25
	;; [unrolled: 1-line block ×3, first 2 shown]
	v_min3_f16 v25, v27, v25, v29
	v_min3_f16 v25, v26, v28, v25
	v_cvt_f32_f16_e32 v25, v25
	v_max_f32_e32 v24, v24, v24
	v_min_f32_e32 v24, v24, v25
	v_cvt_f16_f32_e32 v26, v24
	v_lshl_add_u64 v[24:25], v[42:43], 1, v[20:21]
	flat_store_short v[24:25], v26
	s_or_b64 exec, exec, s[18:19]
	s_and_b64 s[22:23], s[6:7], s[10:11]
	s_and_saveexec_b64 s[18:19], s[22:23]
	s_cbranch_execz .LBB218_246
.LBB218_255:
	s_and_b64 vcc, exec, s[0:1]
	s_cbranch_vccnz .LBB218_257
; %bb.256:
	v_lshl_add_u64 v[24:25], v[44:45], 1, v[22:23]
	flat_load_ushort v24, v[24:25]
	s_waitcnt vmcnt(0) lgkmcnt(0)
	v_mul_f16_e32 v24, s28, v24
	v_cvt_f32_f16_e32 v24, v24
	s_branch .LBB218_258
.LBB218_257:
	v_mov_b32_e32 v24, 0
.LBB218_258:
	v_pk_add_f16 v25, v0, v16
	v_max_f16_e32 v26, v73, v73
	v_pk_add_f16 v28, v1, v17
	v_min_f16_e32 v26, v26, v25
	v_lshrrev_b32_e32 v27, 16, v73
	v_lshrrev_b32_e32 v25, 16, v25
	v_lshrrev_b32_e32 v29, 16, v28
	v_min3_f16 v25, v27, v25, v29
	v_min3_f16 v25, v26, v28, v25
	v_cvt_f32_f16_e32 v25, v25
	v_max_f32_e32 v24, v24, v24
	v_min_f32_e32 v24, v24, v25
	v_cvt_f16_f32_e32 v26, v24
	v_lshl_add_u64 v[24:25], v[44:45], 1, v[20:21]
	flat_store_short v[24:25], v26
	s_or_b64 exec, exec, s[18:19]
	s_and_b64 s[18:19], s[8:9], s[10:11]
	s_and_saveexec_b64 s[10:11], s[18:19]
	s_cbranch_execz .LBB218_263
.LBB218_259:
	s_and_b64 vcc, exec, s[0:1]
	s_cbranch_vccnz .LBB218_261
; %bb.260:
	v_lshl_add_u64 v[22:23], v[46:47], 1, v[22:23]
	flat_load_ushort v22, v[22:23]
	s_waitcnt vmcnt(0) lgkmcnt(0)
	v_mul_f16_e32 v22, s28, v22
	v_cvt_f32_f16_e32 v22, v22
	s_branch .LBB218_262
.LBB218_261:
	v_mov_b32_e32 v22, 0
.LBB218_262:
	v_pk_add_f16 v16, v2, v16
	v_max_f16_e32 v23, v72, v72
	v_pk_add_f16 v17, v3, v17
	v_min_f16_e32 v23, v23, v16
	v_lshrrev_b32_e32 v24, 16, v72
	v_lshrrev_b32_e32 v16, 16, v16
	;; [unrolled: 1-line block ×3, first 2 shown]
	v_min3_f16 v16, v24, v16, v25
	v_min3_f16 v16, v23, v17, v16
	v_cvt_f32_f16_e32 v16, v16
	v_max_f32_e32 v17, v22, v22
	v_min_f32_e32 v16, v17, v16
	v_cvt_f16_f32_e32 v22, v16
	v_lshl_add_u64 v[16:17], v[46:47], 1, v[20:21]
	flat_store_short v[16:17], v22
.LBB218_263:
	s_or_b64 exec, exec, s[10:11]
	v_add_u32_e32 v22, 0x58, v84
	v_mad_i64_i32 v[16:17], s[18:19], v22, s21, 0
	v_cmp_gt_i32_e64 s[10:11], s13, v22
	v_lshl_add_u64 v[20:21], v[16:17], 1, s[16:17]
	v_mad_i64_i32 v[16:17], s[18:19], v22, s20, 0
	v_lshl_add_u64 v[16:17], v[16:17], 1, s[14:15]
	s_and_b64 s[22:23], s[2:3], s[10:11]
	s_and_saveexec_b64 s[18:19], s[22:23]
	s_cbranch_execnz .LBB218_267
; %bb.264:
	s_or_b64 exec, exec, s[18:19]
	s_and_b64 s[22:23], s[4:5], s[10:11]
	s_and_saveexec_b64 s[18:19], s[22:23]
	s_cbranch_execnz .LBB218_271
.LBB218_265:
	s_or_b64 exec, exec, s[18:19]
	s_and_b64 s[22:23], s[6:7], s[10:11]
	s_and_saveexec_b64 s[18:19], s[22:23]
	s_cbranch_execnz .LBB218_275
.LBB218_266:
	s_or_b64 exec, exec, s[18:19]
	s_and_b64 s[18:19], s[8:9], s[10:11]
	s_and_saveexec_b64 s[10:11], s[18:19]
	s_cbranch_execnz .LBB218_279
	s_branch .LBB218_283
.LBB218_267:
	s_and_b64 vcc, exec, s[0:1]
	s_cbranch_vccnz .LBB218_269
; %bb.268:
	v_lshl_add_u64 v[22:23], v[40:41], 1, v[20:21]
	flat_load_ushort v22, v[22:23]
	s_waitcnt vmcnt(0) lgkmcnt(0)
	v_mul_f16_e32 v22, s28, v22
	v_cvt_f32_f16_e32 v22, v22
	s_branch .LBB218_270
.LBB218_269:
	v_mov_b32_e32 v22, 0
.LBB218_270:
	v_pk_add_f16 v23, v8, v18
	v_max_f16_e32 v24, v71, v71
	v_pk_add_f16 v26, v9, v19
	v_min_f16_e32 v24, v24, v23
	v_lshrrev_b32_e32 v25, 16, v71
	v_lshrrev_b32_e32 v23, 16, v23
	;; [unrolled: 1-line block ×3, first 2 shown]
	v_min3_f16 v23, v25, v23, v27
	v_min3_f16 v23, v24, v26, v23
	v_cvt_f32_f16_e32 v23, v23
	v_max_f32_e32 v22, v22, v22
	v_min_f32_e32 v22, v22, v23
	v_cvt_f16_f32_e32 v24, v22
	v_lshl_add_u64 v[22:23], v[40:41], 1, v[16:17]
	flat_store_short v[22:23], v24
	s_or_b64 exec, exec, s[18:19]
	s_and_b64 s[22:23], s[4:5], s[10:11]
	s_and_saveexec_b64 s[18:19], s[22:23]
	s_cbranch_execz .LBB218_265
.LBB218_271:
	s_and_b64 vcc, exec, s[0:1]
	s_cbranch_vccnz .LBB218_273
; %bb.272:
	v_lshl_add_u64 v[22:23], v[42:43], 1, v[20:21]
	flat_load_ushort v22, v[22:23]
	s_waitcnt vmcnt(0) lgkmcnt(0)
	v_mul_f16_e32 v22, s28, v22
	v_cvt_f32_f16_e32 v22, v22
	s_branch .LBB218_274
.LBB218_273:
	v_mov_b32_e32 v22, 0
.LBB218_274:
	v_pk_add_f16 v23, v10, v18
	v_max_f16_e32 v24, v70, v70
	v_pk_add_f16 v26, v11, v19
	v_min_f16_e32 v24, v24, v23
	v_lshrrev_b32_e32 v25, 16, v70
	v_lshrrev_b32_e32 v23, 16, v23
	;; [unrolled: 1-line block ×3, first 2 shown]
	v_min3_f16 v23, v25, v23, v27
	v_min3_f16 v23, v24, v26, v23
	v_cvt_f32_f16_e32 v23, v23
	v_max_f32_e32 v22, v22, v22
	v_min_f32_e32 v22, v22, v23
	v_cvt_f16_f32_e32 v24, v22
	v_lshl_add_u64 v[22:23], v[42:43], 1, v[16:17]
	flat_store_short v[22:23], v24
	s_or_b64 exec, exec, s[18:19]
	s_and_b64 s[22:23], s[6:7], s[10:11]
	s_and_saveexec_b64 s[18:19], s[22:23]
	s_cbranch_execz .LBB218_266
.LBB218_275:
	s_and_b64 vcc, exec, s[0:1]
	s_cbranch_vccnz .LBB218_277
; %bb.276:
	v_lshl_add_u64 v[22:23], v[44:45], 1, v[20:21]
	flat_load_ushort v22, v[22:23]
	s_waitcnt vmcnt(0) lgkmcnt(0)
	v_mul_f16_e32 v22, s28, v22
	v_cvt_f32_f16_e32 v22, v22
	s_branch .LBB218_278
.LBB218_277:
	v_mov_b32_e32 v22, 0
.LBB218_278:
	v_pk_add_f16 v23, v0, v18
	v_max_f16_e32 v24, v69, v69
	v_pk_add_f16 v26, v1, v19
	v_min_f16_e32 v24, v24, v23
	v_lshrrev_b32_e32 v25, 16, v69
	v_lshrrev_b32_e32 v23, 16, v23
	;; [unrolled: 1-line block ×3, first 2 shown]
	v_min3_f16 v23, v25, v23, v27
	v_min3_f16 v23, v24, v26, v23
	v_cvt_f32_f16_e32 v23, v23
	v_max_f32_e32 v22, v22, v22
	v_min_f32_e32 v22, v22, v23
	v_cvt_f16_f32_e32 v24, v22
	v_lshl_add_u64 v[22:23], v[44:45], 1, v[16:17]
	flat_store_short v[22:23], v24
	s_or_b64 exec, exec, s[18:19]
	s_and_b64 s[18:19], s[8:9], s[10:11]
	s_and_saveexec_b64 s[10:11], s[18:19]
	s_cbranch_execz .LBB218_283
.LBB218_279:
	s_and_b64 vcc, exec, s[0:1]
	s_cbranch_vccnz .LBB218_281
; %bb.280:
	v_lshl_add_u64 v[20:21], v[46:47], 1, v[20:21]
	flat_load_ushort v20, v[20:21]
	s_waitcnt vmcnt(0) lgkmcnt(0)
	v_mul_f16_e32 v20, s28, v20
	v_cvt_f32_f16_e32 v20, v20
	s_branch .LBB218_282
.LBB218_281:
	v_mov_b32_e32 v20, 0
.LBB218_282:
	v_pk_add_f16 v18, v2, v18
	v_max_f16_e32 v21, v68, v68
	v_pk_add_f16 v19, v3, v19
	v_min_f16_e32 v21, v21, v18
	v_lshrrev_b32_e32 v22, 16, v68
	v_lshrrev_b32_e32 v18, 16, v18
	;; [unrolled: 1-line block ×3, first 2 shown]
	v_min3_f16 v18, v22, v18, v23
	v_min3_f16 v18, v21, v19, v18
	v_cvt_f32_f16_e32 v18, v18
	v_max_f32_e32 v19, v20, v20
	v_lshl_add_u64 v[16:17], v[46:47], 1, v[16:17]
	v_min_f32_e32 v18, v19, v18
	v_cvt_f16_f32_e32 v18, v18
	flat_store_short v[16:17], v18
.LBB218_283:
	s_or_b64 exec, exec, s[10:11]
	v_add_u32_e32 v20, 0x60, v84
	v_mad_i64_i32 v[16:17], s[18:19], v20, s21, 0
	v_cmp_gt_i32_e64 s[10:11], s13, v20
	v_lshl_add_u64 v[18:19], v[16:17], 1, s[16:17]
	v_mad_i64_i32 v[16:17], s[18:19], v20, s20, 0
	v_lshl_add_u64 v[16:17], v[16:17], 1, s[14:15]
	s_and_b64 s[22:23], s[2:3], s[10:11]
	s_and_saveexec_b64 s[18:19], s[22:23]
	s_cbranch_execnz .LBB218_287
; %bb.284:
	s_or_b64 exec, exec, s[18:19]
	s_and_b64 s[22:23], s[4:5], s[10:11]
	s_and_saveexec_b64 s[18:19], s[22:23]
	s_cbranch_execnz .LBB218_291
.LBB218_285:
	s_or_b64 exec, exec, s[18:19]
	s_and_b64 s[22:23], s[6:7], s[10:11]
	s_and_saveexec_b64 s[18:19], s[22:23]
	s_cbranch_execnz .LBB218_295
.LBB218_286:
	s_or_b64 exec, exec, s[18:19]
	s_and_b64 s[18:19], s[8:9], s[10:11]
	s_and_saveexec_b64 s[10:11], s[18:19]
	s_cbranch_execnz .LBB218_299
	s_branch .LBB218_303
.LBB218_287:
	s_and_b64 vcc, exec, s[0:1]
	s_cbranch_vccnz .LBB218_289
; %bb.288:
	v_lshl_add_u64 v[20:21], v[40:41], 1, v[18:19]
	flat_load_ushort v20, v[20:21]
	s_waitcnt vmcnt(0) lgkmcnt(0)
	v_mul_f16_e32 v20, s28, v20
	v_cvt_f32_f16_e32 v20, v20
	s_branch .LBB218_290
.LBB218_289:
	v_mov_b32_e32 v20, 0
.LBB218_290:
	v_pk_add_f16 v21, v8, v12
	v_max_f16_e32 v22, v67, v67
	v_pk_add_f16 v24, v9, v13
	v_min_f16_e32 v22, v22, v21
	v_lshrrev_b32_e32 v23, 16, v67
	v_lshrrev_b32_e32 v21, 16, v21
	;; [unrolled: 1-line block ×3, first 2 shown]
	v_min3_f16 v21, v23, v21, v25
	v_min3_f16 v21, v22, v24, v21
	v_cvt_f32_f16_e32 v21, v21
	v_max_f32_e32 v20, v20, v20
	v_min_f32_e32 v20, v20, v21
	v_cvt_f16_f32_e32 v22, v20
	v_lshl_add_u64 v[20:21], v[40:41], 1, v[16:17]
	flat_store_short v[20:21], v22
	s_or_b64 exec, exec, s[18:19]
	s_and_b64 s[22:23], s[4:5], s[10:11]
	s_and_saveexec_b64 s[18:19], s[22:23]
	s_cbranch_execz .LBB218_285
.LBB218_291:
	s_and_b64 vcc, exec, s[0:1]
	s_cbranch_vccnz .LBB218_293
; %bb.292:
	v_lshl_add_u64 v[20:21], v[42:43], 1, v[18:19]
	flat_load_ushort v20, v[20:21]
	s_waitcnt vmcnt(0) lgkmcnt(0)
	v_mul_f16_e32 v20, s28, v20
	v_cvt_f32_f16_e32 v20, v20
	s_branch .LBB218_294
.LBB218_293:
	v_mov_b32_e32 v20, 0
.LBB218_294:
	v_pk_add_f16 v21, v10, v12
	v_max_f16_e32 v22, v66, v66
	v_pk_add_f16 v24, v11, v13
	v_min_f16_e32 v22, v22, v21
	v_lshrrev_b32_e32 v23, 16, v66
	v_lshrrev_b32_e32 v21, 16, v21
	;; [unrolled: 1-line block ×3, first 2 shown]
	v_min3_f16 v21, v23, v21, v25
	v_min3_f16 v21, v22, v24, v21
	v_cvt_f32_f16_e32 v21, v21
	v_max_f32_e32 v20, v20, v20
	v_min_f32_e32 v20, v20, v21
	v_cvt_f16_f32_e32 v22, v20
	v_lshl_add_u64 v[20:21], v[42:43], 1, v[16:17]
	flat_store_short v[20:21], v22
	s_or_b64 exec, exec, s[18:19]
	s_and_b64 s[22:23], s[6:7], s[10:11]
	s_and_saveexec_b64 s[18:19], s[22:23]
	s_cbranch_execz .LBB218_286
.LBB218_295:
	s_and_b64 vcc, exec, s[0:1]
	s_cbranch_vccnz .LBB218_297
; %bb.296:
	v_lshl_add_u64 v[20:21], v[44:45], 1, v[18:19]
	flat_load_ushort v20, v[20:21]
	s_waitcnt vmcnt(0) lgkmcnt(0)
	v_mul_f16_e32 v20, s28, v20
	v_cvt_f32_f16_e32 v20, v20
	s_branch .LBB218_298
.LBB218_297:
	v_mov_b32_e32 v20, 0
.LBB218_298:
	v_pk_add_f16 v21, v0, v12
	v_max_f16_e32 v22, v65, v65
	v_pk_add_f16 v24, v1, v13
	v_min_f16_e32 v22, v22, v21
	v_lshrrev_b32_e32 v23, 16, v65
	v_lshrrev_b32_e32 v21, 16, v21
	;; [unrolled: 1-line block ×3, first 2 shown]
	v_min3_f16 v21, v23, v21, v25
	v_min3_f16 v21, v22, v24, v21
	v_cvt_f32_f16_e32 v21, v21
	v_max_f32_e32 v20, v20, v20
	v_min_f32_e32 v20, v20, v21
	v_cvt_f16_f32_e32 v22, v20
	v_lshl_add_u64 v[20:21], v[44:45], 1, v[16:17]
	flat_store_short v[20:21], v22
	s_or_b64 exec, exec, s[18:19]
	s_and_b64 s[18:19], s[8:9], s[10:11]
	s_and_saveexec_b64 s[10:11], s[18:19]
	s_cbranch_execz .LBB218_303
.LBB218_299:
	s_and_b64 vcc, exec, s[0:1]
	s_cbranch_vccnz .LBB218_301
; %bb.300:
	v_lshl_add_u64 v[18:19], v[46:47], 1, v[18:19]
	flat_load_ushort v18, v[18:19]
	s_waitcnt vmcnt(0) lgkmcnt(0)
	v_mul_f16_e32 v18, s28, v18
	v_cvt_f32_f16_e32 v18, v18
	s_branch .LBB218_302
.LBB218_301:
	v_mov_b32_e32 v18, 0
.LBB218_302:
	v_pk_add_f16 v12, v2, v12
	v_max_f16_e32 v19, v64, v64
	v_pk_add_f16 v13, v3, v13
	v_min_f16_e32 v19, v19, v12
	v_lshrrev_b32_e32 v20, 16, v64
	v_lshrrev_b32_e32 v12, 16, v12
	;; [unrolled: 1-line block ×3, first 2 shown]
	v_min3_f16 v12, v20, v12, v21
	v_min3_f16 v12, v19, v13, v12
	v_cvt_f32_f16_e32 v12, v12
	v_max_f32_e32 v13, v18, v18
	v_min_f32_e32 v12, v13, v12
	v_cvt_f16_f32_e32 v18, v12
	v_lshl_add_u64 v[12:13], v[46:47], 1, v[16:17]
	flat_store_short v[12:13], v18
.LBB218_303:
	s_or_b64 exec, exec, s[10:11]
	v_add_u32_e32 v18, 0x68, v84
	v_mad_i64_i32 v[12:13], s[18:19], v18, s21, 0
	v_cmp_gt_i32_e64 s[10:11], s13, v18
	v_lshl_add_u64 v[16:17], v[12:13], 1, s[16:17]
	v_mad_i64_i32 v[12:13], s[18:19], v18, s20, 0
	v_lshl_add_u64 v[12:13], v[12:13], 1, s[14:15]
	s_and_b64 s[22:23], s[2:3], s[10:11]
	s_and_saveexec_b64 s[18:19], s[22:23]
	s_cbranch_execnz .LBB218_307
; %bb.304:
	s_or_b64 exec, exec, s[18:19]
	s_and_b64 s[22:23], s[4:5], s[10:11]
	s_and_saveexec_b64 s[18:19], s[22:23]
	s_cbranch_execnz .LBB218_311
.LBB218_305:
	s_or_b64 exec, exec, s[18:19]
	s_and_b64 s[22:23], s[6:7], s[10:11]
	s_and_saveexec_b64 s[18:19], s[22:23]
	s_cbranch_execnz .LBB218_315
.LBB218_306:
	s_or_b64 exec, exec, s[18:19]
	s_and_b64 s[18:19], s[8:9], s[10:11]
	s_and_saveexec_b64 s[10:11], s[18:19]
	s_cbranch_execnz .LBB218_319
	s_branch .LBB218_323
.LBB218_307:
	s_and_b64 vcc, exec, s[0:1]
	s_cbranch_vccnz .LBB218_309
; %bb.308:
	v_lshl_add_u64 v[18:19], v[40:41], 1, v[16:17]
	flat_load_ushort v18, v[18:19]
	s_waitcnt vmcnt(0) lgkmcnt(0)
	v_mul_f16_e32 v18, s28, v18
	v_cvt_f32_f16_e32 v18, v18
	s_branch .LBB218_310
.LBB218_309:
	v_mov_b32_e32 v18, 0
.LBB218_310:
	v_pk_add_f16 v19, v8, v14
	v_max_f16_e32 v20, v63, v63
	v_pk_add_f16 v22, v9, v15
	v_min_f16_e32 v20, v20, v19
	v_lshrrev_b32_e32 v21, 16, v63
	v_lshrrev_b32_e32 v19, 16, v19
	;; [unrolled: 1-line block ×3, first 2 shown]
	v_min3_f16 v19, v21, v19, v23
	v_min3_f16 v19, v20, v22, v19
	v_cvt_f32_f16_e32 v19, v19
	v_max_f32_e32 v18, v18, v18
	v_min_f32_e32 v18, v18, v19
	v_cvt_f16_f32_e32 v20, v18
	v_lshl_add_u64 v[18:19], v[40:41], 1, v[12:13]
	flat_store_short v[18:19], v20
	s_or_b64 exec, exec, s[18:19]
	s_and_b64 s[22:23], s[4:5], s[10:11]
	s_and_saveexec_b64 s[18:19], s[22:23]
	s_cbranch_execz .LBB218_305
.LBB218_311:
	s_and_b64 vcc, exec, s[0:1]
	s_cbranch_vccnz .LBB218_313
; %bb.312:
	v_lshl_add_u64 v[18:19], v[42:43], 1, v[16:17]
	flat_load_ushort v18, v[18:19]
	s_waitcnt vmcnt(0) lgkmcnt(0)
	v_mul_f16_e32 v18, s28, v18
	v_cvt_f32_f16_e32 v18, v18
	s_branch .LBB218_314
.LBB218_313:
	v_mov_b32_e32 v18, 0
.LBB218_314:
	v_pk_add_f16 v19, v10, v14
	v_max_f16_e32 v20, v62, v62
	v_pk_add_f16 v22, v11, v15
	v_min_f16_e32 v20, v20, v19
	v_lshrrev_b32_e32 v21, 16, v62
	v_lshrrev_b32_e32 v19, 16, v19
	;; [unrolled: 1-line block ×3, first 2 shown]
	v_min3_f16 v19, v21, v19, v23
	v_min3_f16 v19, v20, v22, v19
	v_cvt_f32_f16_e32 v19, v19
	v_max_f32_e32 v18, v18, v18
	v_min_f32_e32 v18, v18, v19
	v_cvt_f16_f32_e32 v20, v18
	v_lshl_add_u64 v[18:19], v[42:43], 1, v[12:13]
	flat_store_short v[18:19], v20
	s_or_b64 exec, exec, s[18:19]
	s_and_b64 s[22:23], s[6:7], s[10:11]
	s_and_saveexec_b64 s[18:19], s[22:23]
	s_cbranch_execz .LBB218_306
.LBB218_315:
	s_and_b64 vcc, exec, s[0:1]
	s_cbranch_vccnz .LBB218_317
; %bb.316:
	v_lshl_add_u64 v[18:19], v[44:45], 1, v[16:17]
	flat_load_ushort v18, v[18:19]
	s_waitcnt vmcnt(0) lgkmcnt(0)
	v_mul_f16_e32 v18, s28, v18
	v_cvt_f32_f16_e32 v18, v18
	s_branch .LBB218_318
.LBB218_317:
	v_mov_b32_e32 v18, 0
.LBB218_318:
	v_pk_add_f16 v19, v0, v14
	v_max_f16_e32 v20, v61, v61
	v_pk_add_f16 v22, v1, v15
	v_min_f16_e32 v20, v20, v19
	v_lshrrev_b32_e32 v21, 16, v61
	v_lshrrev_b32_e32 v19, 16, v19
	;; [unrolled: 1-line block ×3, first 2 shown]
	v_min3_f16 v19, v21, v19, v23
	v_min3_f16 v19, v20, v22, v19
	v_cvt_f32_f16_e32 v19, v19
	v_max_f32_e32 v18, v18, v18
	v_min_f32_e32 v18, v18, v19
	v_cvt_f16_f32_e32 v20, v18
	v_lshl_add_u64 v[18:19], v[44:45], 1, v[12:13]
	flat_store_short v[18:19], v20
	s_or_b64 exec, exec, s[18:19]
	s_and_b64 s[18:19], s[8:9], s[10:11]
	s_and_saveexec_b64 s[10:11], s[18:19]
	s_cbranch_execz .LBB218_323
.LBB218_319:
	s_and_b64 vcc, exec, s[0:1]
	s_cbranch_vccnz .LBB218_321
; %bb.320:
	v_lshl_add_u64 v[16:17], v[46:47], 1, v[16:17]
	flat_load_ushort v16, v[16:17]
	s_waitcnt vmcnt(0) lgkmcnt(0)
	v_mul_f16_e32 v16, s28, v16
	v_cvt_f32_f16_e32 v16, v16
	s_branch .LBB218_322
.LBB218_321:
	v_mov_b32_e32 v16, 0
.LBB218_322:
	v_pk_add_f16 v14, v2, v14
	v_max_f16_e32 v17, v60, v60
	v_pk_add_f16 v15, v3, v15
	v_min_f16_e32 v17, v17, v14
	v_lshrrev_b32_e32 v18, 16, v60
	v_lshrrev_b32_e32 v14, 16, v14
	v_lshrrev_b32_e32 v19, 16, v15
	v_min3_f16 v14, v18, v14, v19
	v_min3_f16 v14, v17, v15, v14
	v_cvt_f32_f16_e32 v14, v14
	v_max_f32_e32 v15, v16, v16
	v_lshl_add_u64 v[12:13], v[46:47], 1, v[12:13]
	v_min_f32_e32 v14, v15, v14
	v_cvt_f16_f32_e32 v14, v14
	flat_store_short v[12:13], v14
.LBB218_323:
	s_or_b64 exec, exec, s[10:11]
	v_add_u32_e32 v16, 0x70, v84
	v_mad_i64_i32 v[12:13], s[18:19], v16, s21, 0
	v_cmp_gt_i32_e64 s[10:11], s13, v16
	v_lshl_add_u64 v[14:15], v[12:13], 1, s[16:17]
	v_mad_i64_i32 v[12:13], s[18:19], v16, s20, 0
	v_lshl_add_u64 v[12:13], v[12:13], 1, s[14:15]
	s_and_b64 s[22:23], s[2:3], s[10:11]
	s_and_saveexec_b64 s[18:19], s[22:23]
	s_cbranch_execnz .LBB218_327
; %bb.324:
	s_or_b64 exec, exec, s[18:19]
	s_and_b64 s[22:23], s[4:5], s[10:11]
	s_and_saveexec_b64 s[18:19], s[22:23]
	s_cbranch_execnz .LBB218_331
.LBB218_325:
	s_or_b64 exec, exec, s[18:19]
	s_and_b64 s[22:23], s[6:7], s[10:11]
	s_and_saveexec_b64 s[18:19], s[22:23]
	s_cbranch_execnz .LBB218_335
.LBB218_326:
	s_or_b64 exec, exec, s[18:19]
	s_and_b64 s[18:19], s[8:9], s[10:11]
	s_and_saveexec_b64 s[10:11], s[18:19]
	s_cbranch_execnz .LBB218_339
	s_branch .LBB218_343
.LBB218_327:
	s_and_b64 vcc, exec, s[0:1]
	s_cbranch_vccnz .LBB218_329
; %bb.328:
	v_lshl_add_u64 v[16:17], v[40:41], 1, v[14:15]
	flat_load_ushort v16, v[16:17]
	s_waitcnt vmcnt(0) lgkmcnt(0)
	v_mul_f16_e32 v16, s28, v16
	v_cvt_f32_f16_e32 v16, v16
	s_branch .LBB218_330
.LBB218_329:
	v_mov_b32_e32 v16, 0
.LBB218_330:
	v_pk_add_f16 v17, v8, v4
	v_max_f16_e32 v18, v59, v59
	v_pk_add_f16 v20, v9, v5
	v_min_f16_e32 v18, v18, v17
	v_lshrrev_b32_e32 v19, 16, v59
	v_lshrrev_b32_e32 v17, 16, v17
	;; [unrolled: 1-line block ×3, first 2 shown]
	v_min3_f16 v17, v19, v17, v21
	v_min3_f16 v17, v18, v20, v17
	v_cvt_f32_f16_e32 v17, v17
	v_max_f32_e32 v16, v16, v16
	v_min_f32_e32 v16, v16, v17
	v_cvt_f16_f32_e32 v18, v16
	v_lshl_add_u64 v[16:17], v[40:41], 1, v[12:13]
	flat_store_short v[16:17], v18
	s_or_b64 exec, exec, s[18:19]
	s_and_b64 s[22:23], s[4:5], s[10:11]
	s_and_saveexec_b64 s[18:19], s[22:23]
	s_cbranch_execz .LBB218_325
.LBB218_331:
	s_and_b64 vcc, exec, s[0:1]
	s_cbranch_vccnz .LBB218_333
; %bb.332:
	v_lshl_add_u64 v[16:17], v[42:43], 1, v[14:15]
	flat_load_ushort v16, v[16:17]
	s_waitcnt vmcnt(0) lgkmcnt(0)
	v_mul_f16_e32 v16, s28, v16
	v_cvt_f32_f16_e32 v16, v16
	s_branch .LBB218_334
.LBB218_333:
	v_mov_b32_e32 v16, 0
.LBB218_334:
	v_pk_add_f16 v17, v10, v4
	v_max_f16_e32 v18, v58, v58
	v_pk_add_f16 v20, v11, v5
	v_min_f16_e32 v18, v18, v17
	v_lshrrev_b32_e32 v19, 16, v58
	v_lshrrev_b32_e32 v17, 16, v17
	;; [unrolled: 1-line block ×3, first 2 shown]
	v_min3_f16 v17, v19, v17, v21
	v_min3_f16 v17, v18, v20, v17
	v_cvt_f32_f16_e32 v17, v17
	v_max_f32_e32 v16, v16, v16
	v_min_f32_e32 v16, v16, v17
	v_cvt_f16_f32_e32 v18, v16
	v_lshl_add_u64 v[16:17], v[42:43], 1, v[12:13]
	flat_store_short v[16:17], v18
	s_or_b64 exec, exec, s[18:19]
	s_and_b64 s[22:23], s[6:7], s[10:11]
	s_and_saveexec_b64 s[18:19], s[22:23]
	s_cbranch_execz .LBB218_326
.LBB218_335:
	s_and_b64 vcc, exec, s[0:1]
	s_cbranch_vccnz .LBB218_337
; %bb.336:
	v_lshl_add_u64 v[16:17], v[44:45], 1, v[14:15]
	flat_load_ushort v16, v[16:17]
	s_waitcnt vmcnt(0) lgkmcnt(0)
	v_mul_f16_e32 v16, s28, v16
	v_cvt_f32_f16_e32 v16, v16
	s_branch .LBB218_338
.LBB218_337:
	v_mov_b32_e32 v16, 0
.LBB218_338:
	v_pk_add_f16 v17, v0, v4
	v_max_f16_e32 v18, v57, v57
	v_pk_add_f16 v20, v1, v5
	v_min_f16_e32 v18, v18, v17
	v_lshrrev_b32_e32 v19, 16, v57
	v_lshrrev_b32_e32 v17, 16, v17
	v_lshrrev_b32_e32 v21, 16, v20
	v_min3_f16 v17, v19, v17, v21
	v_min3_f16 v17, v18, v20, v17
	v_cvt_f32_f16_e32 v17, v17
	v_max_f32_e32 v16, v16, v16
	v_min_f32_e32 v16, v16, v17
	v_cvt_f16_f32_e32 v18, v16
	v_lshl_add_u64 v[16:17], v[44:45], 1, v[12:13]
	flat_store_short v[16:17], v18
	s_or_b64 exec, exec, s[18:19]
	s_and_b64 s[18:19], s[8:9], s[10:11]
	s_and_saveexec_b64 s[10:11], s[18:19]
	s_cbranch_execz .LBB218_343
.LBB218_339:
	s_and_b64 vcc, exec, s[0:1]
	s_cbranch_vccnz .LBB218_341
; %bb.340:
	v_lshl_add_u64 v[14:15], v[46:47], 1, v[14:15]
	flat_load_ushort v14, v[14:15]
	s_waitcnt vmcnt(0) lgkmcnt(0)
	v_mul_f16_e32 v14, s28, v14
	v_cvt_f32_f16_e32 v14, v14
	s_branch .LBB218_342
.LBB218_341:
	v_mov_b32_e32 v14, 0
.LBB218_342:
	v_pk_add_f16 v4, v2, v4
	v_max_f16_e32 v15, v56, v56
	v_pk_add_f16 v5, v3, v5
	v_min_f16_e32 v15, v15, v4
	v_lshrrev_b32_e32 v16, 16, v56
	v_lshrrev_b32_e32 v4, 16, v4
	;; [unrolled: 1-line block ×3, first 2 shown]
	v_min3_f16 v4, v16, v4, v17
	v_min3_f16 v4, v15, v5, v4
	v_cvt_f32_f16_e32 v4, v4
	v_max_f32_e32 v5, v14, v14
	v_min_f32_e32 v4, v5, v4
	v_cvt_f16_f32_e32 v14, v4
	v_lshl_add_u64 v[4:5], v[46:47], 1, v[12:13]
	flat_store_short v[4:5], v14
.LBB218_343:
	s_or_b64 exec, exec, s[10:11]
	v_add_u32_e32 v14, 0x78, v84
	v_cmp_gt_i32_e64 s[10:11], s13, v14
	v_mad_i64_i32 v[4:5], s[12:13], v14, s21, 0
	v_lshl_add_u64 v[12:13], v[4:5], 1, s[16:17]
	v_mad_i64_i32 v[4:5], s[12:13], v14, s20, 0
	v_lshl_add_u64 v[4:5], v[4:5], 1, s[14:15]
	s_and_b64 s[12:13], s[2:3], s[10:11]
	s_and_saveexec_b64 s[2:3], s[12:13]
	s_cbranch_execnz .LBB218_348
; %bb.344:
	s_or_b64 exec, exec, s[2:3]
	s_and_b64 s[4:5], s[4:5], s[10:11]
	s_and_saveexec_b64 s[2:3], s[4:5]
	s_cbranch_execnz .LBB218_352
.LBB218_345:
	s_or_b64 exec, exec, s[2:3]
	s_and_b64 s[4:5], s[6:7], s[10:11]
	s_and_saveexec_b64 s[2:3], s[4:5]
	s_cbranch_execnz .LBB218_356
.LBB218_346:
	s_or_b64 exec, exec, s[2:3]
	s_and_b64 s[2:3], s[8:9], s[10:11]
	s_and_saveexec_b64 s[4:5], s[2:3]
	s_cbranch_execnz .LBB218_360
.LBB218_347:
	s_endpgm
.LBB218_348:
	s_and_b64 vcc, exec, s[0:1]
	s_cbranch_vccnz .LBB218_350
; %bb.349:
	v_lshl_add_u64 v[14:15], v[40:41], 1, v[12:13]
	flat_load_ushort v14, v[14:15]
	s_waitcnt vmcnt(0) lgkmcnt(0)
	v_mul_f16_e32 v14, s28, v14
	v_cvt_f32_f16_e32 v14, v14
	s_branch .LBB218_351
.LBB218_350:
	v_mov_b32_e32 v14, 0
.LBB218_351:
	v_pk_add_f16 v8, v8, v6
	v_max_f16_e32 v15, v54, v54
	v_pk_add_f16 v9, v9, v7
	v_min_f16_e32 v15, v15, v8
	v_lshrrev_b32_e32 v16, 16, v54
	v_lshrrev_b32_e32 v8, 16, v8
	;; [unrolled: 1-line block ×3, first 2 shown]
	v_min3_f16 v8, v16, v8, v17
	v_min3_f16 v8, v15, v9, v8
	v_cvt_f32_f16_e32 v8, v8
	v_max_f32_e32 v9, v14, v14
	v_min_f32_e32 v8, v9, v8
	v_cvt_f16_f32_e32 v14, v8
	v_lshl_add_u64 v[8:9], v[40:41], 1, v[4:5]
	flat_store_short v[8:9], v14
	s_or_b64 exec, exec, s[2:3]
	s_and_b64 s[4:5], s[4:5], s[10:11]
	s_and_saveexec_b64 s[2:3], s[4:5]
	s_cbranch_execz .LBB218_345
.LBB218_352:
	s_and_b64 vcc, exec, s[0:1]
	s_cbranch_vccnz .LBB218_354
; %bb.353:
	v_lshl_add_u64 v[8:9], v[42:43], 1, v[12:13]
	flat_load_ushort v8, v[8:9]
	s_waitcnt vmcnt(0) lgkmcnt(0)
	v_mul_f16_e32 v8, s28, v8
	v_cvt_f32_f16_e32 v8, v8
	s_branch .LBB218_355
.LBB218_354:
	v_mov_b32_e32 v8, 0
.LBB218_355:
	v_pk_add_f16 v9, v10, v6
	v_max_f16_e32 v10, v53, v53
	v_pk_add_f16 v11, v11, v7
	v_min_f16_e32 v10, v10, v9
	v_lshrrev_b32_e32 v14, 16, v53
	v_lshrrev_b32_e32 v9, 16, v9
	;; [unrolled: 1-line block ×3, first 2 shown]
	v_min3_f16 v9, v14, v9, v15
	v_min3_f16 v9, v10, v11, v9
	v_cvt_f32_f16_e32 v9, v9
	v_max_f32_e32 v8, v8, v8
	v_min_f32_e32 v8, v8, v9
	v_cvt_f16_f32_e32 v10, v8
	v_lshl_add_u64 v[8:9], v[42:43], 1, v[4:5]
	flat_store_short v[8:9], v10
	s_or_b64 exec, exec, s[2:3]
	s_and_b64 s[4:5], s[6:7], s[10:11]
	s_and_saveexec_b64 s[2:3], s[4:5]
	s_cbranch_execz .LBB218_346
.LBB218_356:
	s_and_b64 vcc, exec, s[0:1]
	s_cbranch_vccnz .LBB218_358
; %bb.357:
	v_lshl_add_u64 v[8:9], v[44:45], 1, v[12:13]
	flat_load_ushort v8, v[8:9]
	s_waitcnt vmcnt(0) lgkmcnt(0)
	v_mul_f16_e32 v8, s28, v8
	v_cvt_f32_f16_e32 v8, v8
	s_branch .LBB218_359
.LBB218_358:
	v_mov_b32_e32 v8, 0
.LBB218_359:
	v_pk_add_f16 v0, v0, v6
	v_max_f16_e32 v9, v52, v52
	v_pk_add_f16 v1, v1, v7
	v_min_f16_e32 v9, v9, v0
	v_lshrrev_b32_e32 v10, 16, v52
	v_lshrrev_b32_e32 v0, 16, v0
	;; [unrolled: 1-line block ×3, first 2 shown]
	v_min3_f16 v0, v10, v0, v11
	v_min3_f16 v0, v9, v1, v0
	v_cvt_f32_f16_e32 v0, v0
	v_max_f32_e32 v1, v8, v8
	v_min_f32_e32 v0, v1, v0
	v_cvt_f16_f32_e32 v8, v0
	v_lshl_add_u64 v[0:1], v[44:45], 1, v[4:5]
	flat_store_short v[0:1], v8
	s_or_b64 exec, exec, s[2:3]
	s_and_b64 s[2:3], s[8:9], s[10:11]
	s_and_saveexec_b64 s[4:5], s[2:3]
	s_cbranch_execz .LBB218_347
.LBB218_360:
	s_and_b64 vcc, exec, s[0:1]
	s_cbranch_vccnz .LBB218_362
; %bb.361:
	v_lshl_add_u64 v[0:1], v[46:47], 1, v[12:13]
	flat_load_ushort v0, v[0:1]
	s_waitcnt vmcnt(0) lgkmcnt(0)
	v_mul_f16_e32 v0, s28, v0
	v_cvt_f32_f16_e32 v0, v0
	s_branch .LBB218_363
.LBB218_362:
	v_mov_b32_e32 v0, 0
.LBB218_363:
	v_pk_add_f16 v1, v2, v6
	v_max_f16_e32 v2, v55, v55
	v_pk_add_f16 v3, v3, v7
	v_min_f16_e32 v2, v2, v1
	v_lshrrev_b32_e32 v6, 16, v55
	v_lshrrev_b32_e32 v1, 16, v1
	;; [unrolled: 1-line block ×3, first 2 shown]
	v_min3_f16 v1, v6, v1, v7
	v_min3_f16 v1, v2, v3, v1
	v_cvt_f32_f16_e32 v1, v1
	v_max_f32_e32 v0, v0, v0
	v_min_f32_e32 v0, v0, v1
	v_cvt_f16_f32_e32 v2, v0
	v_lshl_add_u64 v[0:1], v[46:47], 1, v[4:5]
	flat_store_short v[0:1], v2
	s_endpgm
	.section	.rodata,"a",@progbits
	.p2align	6, 0x0
	.amdhsa_kernel _ZN12_GLOBAL__N_120geam_min_plus_kernelIDF16_Dv2_DF16_S1_Li32ELi8ELi128ELi128ELi4ELi4ELi64ELi4ELi64ELc84ELc78ELb0ELb1ELb1EDF16_KPKDF16_KPDF16_EEviiiT16_PT17_ilS9_ilS7_S9_ilPT18_ili26rocblas_geam_ex_operation_
		.amdhsa_group_segment_fixed_size 4096
		.amdhsa_private_segment_fixed_size 0
		.amdhsa_kernarg_size 128
		.amdhsa_user_sgpr_count 2
		.amdhsa_user_sgpr_dispatch_ptr 0
		.amdhsa_user_sgpr_queue_ptr 0
		.amdhsa_user_sgpr_kernarg_segment_ptr 1
		.amdhsa_user_sgpr_dispatch_id 0
		.amdhsa_user_sgpr_kernarg_preload_length 0
		.amdhsa_user_sgpr_kernarg_preload_offset 0
		.amdhsa_user_sgpr_private_segment_size 0
		.amdhsa_uses_dynamic_stack 0
		.amdhsa_enable_private_segment 0
		.amdhsa_system_sgpr_workgroup_id_x 1
		.amdhsa_system_sgpr_workgroup_id_y 0
		.amdhsa_system_sgpr_workgroup_id_z 1
		.amdhsa_system_sgpr_workgroup_info 0
		.amdhsa_system_vgpr_workitem_id 1
		.amdhsa_next_free_vgpr 173
		.amdhsa_next_free_sgpr 38
		.amdhsa_accum_offset 176
		.amdhsa_reserve_vcc 1
		.amdhsa_float_round_mode_32 0
		.amdhsa_float_round_mode_16_64 0
		.amdhsa_float_denorm_mode_32 3
		.amdhsa_float_denorm_mode_16_64 3
		.amdhsa_dx10_clamp 1
		.amdhsa_ieee_mode 1
		.amdhsa_fp16_overflow 0
		.amdhsa_tg_split 0
		.amdhsa_exception_fp_ieee_invalid_op 0
		.amdhsa_exception_fp_denorm_src 0
		.amdhsa_exception_fp_ieee_div_zero 0
		.amdhsa_exception_fp_ieee_overflow 0
		.amdhsa_exception_fp_ieee_underflow 0
		.amdhsa_exception_fp_ieee_inexact 0
		.amdhsa_exception_int_div_zero 0
	.end_amdhsa_kernel
	.section	.text._ZN12_GLOBAL__N_120geam_min_plus_kernelIDF16_Dv2_DF16_S1_Li32ELi8ELi128ELi128ELi4ELi4ELi64ELi4ELi64ELc84ELc78ELb0ELb1ELb1EDF16_KPKDF16_KPDF16_EEviiiT16_PT17_ilS9_ilS7_S9_ilPT18_ili26rocblas_geam_ex_operation_,"axG",@progbits,_ZN12_GLOBAL__N_120geam_min_plus_kernelIDF16_Dv2_DF16_S1_Li32ELi8ELi128ELi128ELi4ELi4ELi64ELi4ELi64ELc84ELc78ELb0ELb1ELb1EDF16_KPKDF16_KPDF16_EEviiiT16_PT17_ilS9_ilS7_S9_ilPT18_ili26rocblas_geam_ex_operation_,comdat
.Lfunc_end218:
	.size	_ZN12_GLOBAL__N_120geam_min_plus_kernelIDF16_Dv2_DF16_S1_Li32ELi8ELi128ELi128ELi4ELi4ELi64ELi4ELi64ELc84ELc78ELb0ELb1ELb1EDF16_KPKDF16_KPDF16_EEviiiT16_PT17_ilS9_ilS7_S9_ilPT18_ili26rocblas_geam_ex_operation_, .Lfunc_end218-_ZN12_GLOBAL__N_120geam_min_plus_kernelIDF16_Dv2_DF16_S1_Li32ELi8ELi128ELi128ELi4ELi4ELi64ELi4ELi64ELc84ELc78ELb0ELb1ELb1EDF16_KPKDF16_KPDF16_EEviiiT16_PT17_ilS9_ilS7_S9_ilPT18_ili26rocblas_geam_ex_operation_
                                        ; -- End function
	.set _ZN12_GLOBAL__N_120geam_min_plus_kernelIDF16_Dv2_DF16_S1_Li32ELi8ELi128ELi128ELi4ELi4ELi64ELi4ELi64ELc84ELc78ELb0ELb1ELb1EDF16_KPKDF16_KPDF16_EEviiiT16_PT17_ilS9_ilS7_S9_ilPT18_ili26rocblas_geam_ex_operation_.num_vgpr, 173
	.set _ZN12_GLOBAL__N_120geam_min_plus_kernelIDF16_Dv2_DF16_S1_Li32ELi8ELi128ELi128ELi4ELi4ELi64ELi4ELi64ELc84ELc78ELb0ELb1ELb1EDF16_KPKDF16_KPDF16_EEviiiT16_PT17_ilS9_ilS7_S9_ilPT18_ili26rocblas_geam_ex_operation_.num_agpr, 0
	.set _ZN12_GLOBAL__N_120geam_min_plus_kernelIDF16_Dv2_DF16_S1_Li32ELi8ELi128ELi128ELi4ELi4ELi64ELi4ELi64ELc84ELc78ELb0ELb1ELb1EDF16_KPKDF16_KPDF16_EEviiiT16_PT17_ilS9_ilS7_S9_ilPT18_ili26rocblas_geam_ex_operation_.numbered_sgpr, 38
	.set _ZN12_GLOBAL__N_120geam_min_plus_kernelIDF16_Dv2_DF16_S1_Li32ELi8ELi128ELi128ELi4ELi4ELi64ELi4ELi64ELc84ELc78ELb0ELb1ELb1EDF16_KPKDF16_KPDF16_EEviiiT16_PT17_ilS9_ilS7_S9_ilPT18_ili26rocblas_geam_ex_operation_.num_named_barrier, 0
	.set _ZN12_GLOBAL__N_120geam_min_plus_kernelIDF16_Dv2_DF16_S1_Li32ELi8ELi128ELi128ELi4ELi4ELi64ELi4ELi64ELc84ELc78ELb0ELb1ELb1EDF16_KPKDF16_KPDF16_EEviiiT16_PT17_ilS9_ilS7_S9_ilPT18_ili26rocblas_geam_ex_operation_.private_seg_size, 0
	.set _ZN12_GLOBAL__N_120geam_min_plus_kernelIDF16_Dv2_DF16_S1_Li32ELi8ELi128ELi128ELi4ELi4ELi64ELi4ELi64ELc84ELc78ELb0ELb1ELb1EDF16_KPKDF16_KPDF16_EEviiiT16_PT17_ilS9_ilS7_S9_ilPT18_ili26rocblas_geam_ex_operation_.uses_vcc, 1
	.set _ZN12_GLOBAL__N_120geam_min_plus_kernelIDF16_Dv2_DF16_S1_Li32ELi8ELi128ELi128ELi4ELi4ELi64ELi4ELi64ELc84ELc78ELb0ELb1ELb1EDF16_KPKDF16_KPDF16_EEviiiT16_PT17_ilS9_ilS7_S9_ilPT18_ili26rocblas_geam_ex_operation_.uses_flat_scratch, 0
	.set _ZN12_GLOBAL__N_120geam_min_plus_kernelIDF16_Dv2_DF16_S1_Li32ELi8ELi128ELi128ELi4ELi4ELi64ELi4ELi64ELc84ELc78ELb0ELb1ELb1EDF16_KPKDF16_KPDF16_EEviiiT16_PT17_ilS9_ilS7_S9_ilPT18_ili26rocblas_geam_ex_operation_.has_dyn_sized_stack, 0
	.set _ZN12_GLOBAL__N_120geam_min_plus_kernelIDF16_Dv2_DF16_S1_Li32ELi8ELi128ELi128ELi4ELi4ELi64ELi4ELi64ELc84ELc78ELb0ELb1ELb1EDF16_KPKDF16_KPDF16_EEviiiT16_PT17_ilS9_ilS7_S9_ilPT18_ili26rocblas_geam_ex_operation_.has_recursion, 0
	.set _ZN12_GLOBAL__N_120geam_min_plus_kernelIDF16_Dv2_DF16_S1_Li32ELi8ELi128ELi128ELi4ELi4ELi64ELi4ELi64ELc84ELc78ELb0ELb1ELb1EDF16_KPKDF16_KPDF16_EEviiiT16_PT17_ilS9_ilS7_S9_ilPT18_ili26rocblas_geam_ex_operation_.has_indirect_call, 0
	.section	.AMDGPU.csdata,"",@progbits
; Kernel info:
; codeLenInByte = 20928
; TotalNumSgprs: 44
; NumVgprs: 173
; NumAgprs: 0
; TotalNumVgprs: 173
; ScratchSize: 0
; MemoryBound: 0
; FloatMode: 240
; IeeeMode: 1
; LDSByteSize: 4096 bytes/workgroup (compile time only)
; SGPRBlocks: 5
; VGPRBlocks: 21
; NumSGPRsForWavesPerEU: 44
; NumVGPRsForWavesPerEU: 173
; AccumOffset: 176
; Occupancy: 2
; WaveLimiterHint : 1
; COMPUTE_PGM_RSRC2:SCRATCH_EN: 0
; COMPUTE_PGM_RSRC2:USER_SGPR: 2
; COMPUTE_PGM_RSRC2:TRAP_HANDLER: 0
; COMPUTE_PGM_RSRC2:TGID_X_EN: 1
; COMPUTE_PGM_RSRC2:TGID_Y_EN: 0
; COMPUTE_PGM_RSRC2:TGID_Z_EN: 1
; COMPUTE_PGM_RSRC2:TIDIG_COMP_CNT: 1
; COMPUTE_PGM_RSRC3_GFX90A:ACCUM_OFFSET: 43
; COMPUTE_PGM_RSRC3_GFX90A:TG_SPLIT: 0
	.section	.text._ZN12_GLOBAL__N_120geam_min_plus_kernelIDF16_Dv2_DF16_S1_Li8ELi32ELi64ELi256ELi4ELi64ELi4ELi64ELi4ELc78ELc84ELb0ELb0ELb1EPKDF16_KS3_KPDF16_EEviiiT16_PT17_ilS9_ilS7_S9_ilPT18_ili26rocblas_geam_ex_operation_,"axG",@progbits,_ZN12_GLOBAL__N_120geam_min_plus_kernelIDF16_Dv2_DF16_S1_Li8ELi32ELi64ELi256ELi4ELi64ELi4ELi64ELi4ELc78ELc84ELb0ELb0ELb1EPKDF16_KS3_KPDF16_EEviiiT16_PT17_ilS9_ilS7_S9_ilPT18_ili26rocblas_geam_ex_operation_,comdat
	.globl	_ZN12_GLOBAL__N_120geam_min_plus_kernelIDF16_Dv2_DF16_S1_Li8ELi32ELi64ELi256ELi4ELi64ELi4ELi64ELi4ELc78ELc84ELb0ELb0ELb1EPKDF16_KS3_KPDF16_EEviiiT16_PT17_ilS9_ilS7_S9_ilPT18_ili26rocblas_geam_ex_operation_ ; -- Begin function _ZN12_GLOBAL__N_120geam_min_plus_kernelIDF16_Dv2_DF16_S1_Li8ELi32ELi64ELi256ELi4ELi64ELi4ELi64ELi4ELc78ELc84ELb0ELb0ELb1EPKDF16_KS3_KPDF16_EEviiiT16_PT17_ilS9_ilS7_S9_ilPT18_ili26rocblas_geam_ex_operation_
	.p2align	8
	.type	_ZN12_GLOBAL__N_120geam_min_plus_kernelIDF16_Dv2_DF16_S1_Li8ELi32ELi64ELi256ELi4ELi64ELi4ELi64ELi4ELc78ELc84ELb0ELb0ELb1EPKDF16_KS3_KPDF16_EEviiiT16_PT17_ilS9_ilS7_S9_ilPT18_ili26rocblas_geam_ex_operation_,@function
_ZN12_GLOBAL__N_120geam_min_plus_kernelIDF16_Dv2_DF16_S1_Li8ELi32ELi64ELi256ELi4ELi64ELi4ELi64ELi4ELc78ELc84ELb0ELb0ELb1EPKDF16_KS3_KPDF16_EEviiiT16_PT17_ilS9_ilS7_S9_ilPT18_ili26rocblas_geam_ex_operation_: ; @_ZN12_GLOBAL__N_120geam_min_plus_kernelIDF16_Dv2_DF16_S1_Li8ELi32ELi64ELi256ELi4ELi64ELi4ELi64ELi4ELc78ELc84ELb0ELb0ELb1EPKDF16_KS3_KPDF16_EEviiiT16_PT17_ilS9_ilS7_S9_ilPT18_ili26rocblas_geam_ex_operation_
; %bb.0:
	s_load_dwordx4 s[4:7], s[0:1], 0x10
	s_load_dwordx4 s[12:15], s[0:1], 0x28
	s_mov_b32 s22, s3
	s_mov_b32 s23, 0
	s_lshl_b64 s[8:9], s[22:23], 1
	s_waitcnt lgkmcnt(0)
	s_add_u32 s4, s4, s8
	s_addc_u32 s5, s5, s9
	v_mov_b32_e32 v1, 0
	global_load_ushort v87, v1, s[4:5]
	s_load_dwordx4 s[16:19], s[0:1], 0x40
	s_load_dwordx2 s[10:11], s[0:1], 0x50
	s_mov_b64 s[20:21], 0
	s_waitcnt lgkmcnt(0)
	s_add_u32 s24, s18, s8
	s_addc_u32 s25, s19, s9
	s_mov_b64 s[18:19], 0
	s_waitcnt vmcnt(0)
	v_cmp_eq_f16_e32 vcc, 0, v87
	s_and_b64 s[4:5], exec, vcc
	v_cmp_neq_f16_e64 s[8:9], 0, v87
	s_mov_b64 vcc, s[4:5]
	s_cbranch_vccnz .LBB219_2
; %bb.1:
	s_lshl_b64 s[18:19], s[22:23], 3
	s_add_u32 s6, s6, s18
	s_addc_u32 s7, s7, s19
	s_load_dwordx2 s[6:7], s[6:7], 0x0
	s_lshl_b64 s[12:13], s[12:13], 1
	s_waitcnt lgkmcnt(0)
	s_add_u32 s18, s6, s12
	s_addc_u32 s19, s7, s13
.LBB219_2:
	global_load_ushort v54, v1, s[24:25]
	v_cndmask_b32_e64 v1, 0, 1, s[8:9]
	v_cmp_ne_u32_e64 s[6:7], 1, v1
	s_andn2_b64 vcc, exec, s[8:9]
	s_cbranch_vccnz .LBB219_4
; %bb.3:
	s_lshl_b64 s[8:9], s[22:23], 3
	s_add_u32 s8, s14, s8
	s_addc_u32 s9, s15, s9
	s_load_dwordx2 s[8:9], s[8:9], 0x0
	s_lshl_b64 s[12:13], s[16:17], 1
	s_waitcnt lgkmcnt(0)
	s_add_u32 s20, s8, s12
	s_addc_u32 s21, s9, s13
.LBB219_4:
	s_load_dwordx4 s[12:15], s[0:1], 0x60
	s_waitcnt vmcnt(0)
	v_cmp_eq_f16_e32 vcc, 0, v54
	s_and_b64 s[8:9], exec, vcc
	s_mov_b64 vcc, s[8:9]
	s_cbranch_vccnz .LBB219_6
; %bb.5:
	s_lshl_b64 s[16:17], s[22:23], 3
	s_add_u32 s10, s10, s16
	s_addc_u32 s11, s11, s17
	s_load_dwordx2 s[10:11], s[10:11], 0x0
	s_waitcnt lgkmcnt(0)
	s_lshl_b64 s[12:13], s[12:13], 1
	s_add_u32 s10, s10, s12
	s_addc_u32 s11, s11, s13
	s_branch .LBB219_7
.LBB219_6:
	s_mov_b64 s[10:11], 0
.LBB219_7:
	s_load_dword s16, s[0:1], 0x20
	s_load_dword s3, s[0:1], 0x0
	s_waitcnt lgkmcnt(0)
	s_lshl_b64 s[12:13], s[22:23], 3
	v_and_b32_e32 v82, 0x3ff, v0
	v_bfe_u32 v83, v0, 10, 10
	s_ashr_i32 s17, s16, 31
	s_add_u32 s14, s14, s12
	s_addc_u32 s15, s15, s13
	s_add_i32 s3, s3, -1
	s_ashr_i32 s12, s3, 31
	s_lshr_b32 s12, s12, 26
	s_add_i32 s3, s3, s12
	s_ashr_i32 s3, s3, 6
	s_add_i32 s13, s3, 1
	v_cvt_f32_u32_e32 v1, s13
	s_not_b32 s3, s3
	v_lshl_add_u32 v0, v83, 3, v82
	v_and_b32_e32 v29, 63, v0
	v_rcp_iflag_f32_e32 v1, v1
	v_mov_b32_e32 v7, 0
	v_lshrrev_b32_e32 v28, 6, v0
	v_mov_b32_e32 v6, 0
	v_mul_f32_e32 v1, 0x4f7ffffe, v1
	v_cvt_u32_f32_e32 v1, v1
	s_nop 0
	v_readfirstlane_b32 s12, v1
	s_mul_i32 s3, s3, s12
	s_mul_hi_u32 s3, s12, s3
	s_add_i32 s12, s12, s3
	s_mul_hi_u32 s3, s2, s12
	s_mul_i32 s12, s3, s13
	s_sub_i32 s12, s2, s12
	s_add_i32 s22, s3, 1
	s_sub_i32 s23, s12, s13
	s_cmp_ge_u32 s12, s13
	s_cselect_b32 s3, s22, s3
	s_cselect_b32 s12, s23, s12
	s_add_i32 s22, s3, 1
	s_cmp_ge_u32 s12, s13
	s_cselect_b32 s12, s22, s3
	s_mul_i32 s3, s12, s13
	s_sub_i32 s13, s2, s3
	s_lshl_b32 s24, s13, 6
	v_or_b32_e32 v2, s24, v29
	s_and_b64 vcc, exec, s[6:7]
	v_ashrrev_i32_e32 v3, 31, v2
	s_cbranch_vccnz .LBB219_9
; %bb.8:
	v_mad_i64_i32 v[0:1], s[22:23], s16, v28, 0
	v_lshl_add_u64 v[0:1], v[0:1], 1, s[18:19]
	v_lshl_add_u64 v[0:1], v[2:3], 1, v[0:1]
	flat_load_ushort v0, v[0:1]
	s_waitcnt vmcnt(0) lgkmcnt(0)
	v_mul_f16_e32 v6, v87, v0
.LBB219_9:
	s_load_dword s22, s[0:1], 0x38
	s_lshl_b32 s25, s12, 8
	v_or_b32_e32 v0, s25, v29
	s_and_b64 vcc, exec, s[6:7]
	v_ashrrev_i32_e32 v1, 31, v0
	s_waitcnt lgkmcnt(0)
	v_mad_i64_i32 v[4:5], s[12:13], v28, s22, 0
	v_lshl_add_u64 v[4:5], v[4:5], 1, s[20:21]
	s_cbranch_vccnz .LBB219_11
; %bb.10:
	v_lshl_add_u64 v[8:9], v[0:1], 1, v[4:5]
	flat_load_ushort v7, v[8:9]
	flat_load_ushort v10, v[8:9] offset:128
	s_waitcnt vmcnt(0) lgkmcnt(0)
	v_mul_f16_e32 v8, v87, v7
	v_mul_f16_e32 v7, v87, v10
	v_pack_b32_f16 v9, v8, 0
	s_branch .LBB219_12
.LBB219_11:
	v_mov_b32_e32 v9, 0
.LBB219_12:
	s_mov_b32 s12, 0x5040100
	v_mov_b32_e32 v8, 0
	s_ashr_i32 s23, s22, 31
	v_perm_b32 v32, v7, v9, s12
	s_mov_b64 vcc, s[4:5]
	s_cbranch_vccz .LBB219_14
; %bb.13:
	v_and_b32_e32 v33, 0xffff0000, v8
	v_mov_b32_e32 v31, 0
	v_mov_b32_e32 v30, 0
	s_cbranch_execz .LBB219_15
	s_branch .LBB219_16
.LBB219_14:
	v_mov_b32_e32 v31, 0
	v_mov_b32_e32 v30, 0
.LBB219_15:
	v_lshl_add_u64 v[4:5], v[0:1], 1, v[4:5]
	flat_load_ushort v7, v[4:5] offset:256
	flat_load_ushort v9, v[4:5] offset:384
	s_mov_b32 s12, 0xffff
	s_waitcnt vmcnt(0) lgkmcnt(0)
	v_mul_f16_e32 v4, v87, v7
	v_bfi_b32 v33, s12, v4, v8
	v_mul_f16_e32 v30, v87, v9
.LBB219_16:
	s_and_b64 vcc, exec, s[6:7]
	v_add_u32_e32 v4, 4, v28
	s_cbranch_vccnz .LBB219_18
; %bb.17:
	v_mad_i64_i32 v[8:9], s[12:13], s16, v4, 0
	v_lshl_add_u64 v[8:9], v[8:9], 1, s[18:19]
	v_lshl_add_u64 v[2:3], v[2:3], 1, v[8:9]
	flat_load_ushort v2, v[2:3]
	s_waitcnt vmcnt(0) lgkmcnt(0)
	v_mul_f16_e32 v31, v87, v2
.LBB219_18:
	v_mad_i64_i32 v[2:3], s[12:13], v4, s22, 0
	s_and_b64 vcc, exec, s[6:7]
	v_lshl_add_u64 v[2:3], v[2:3], 1, s[20:21]
	s_cbranch_vccnz .LBB219_20
; %bb.19:
	v_lshl_add_u64 v[4:5], v[0:1], 1, v[2:3]
	flat_load_ushort v7, v[4:5]
	flat_load_ushort v8, v[4:5] offset:128
	s_waitcnt vmcnt(0) lgkmcnt(0)
	v_mul_f16_e32 v4, v87, v7
	v_mul_f16_e32 v5, v87, v8
	v_pack_b32_f16 v7, v4, 0
	s_branch .LBB219_21
.LBB219_20:
	v_mov_b32_e32 v7, 0
	v_mov_b32_e32 v5, 0
.LBB219_21:
	s_mov_b32 s12, 0x5040100
	v_mov_b32_e32 v4, 0
	v_perm_b32 v46, v5, v7, s12
	s_mov_b64 vcc, s[4:5]
	s_cbranch_vccz .LBB219_23
; %bb.22:
	v_and_b32_e32 v47, 0xffff0000, v4
	v_mov_b32_e32 v34, 0
	s_cbranch_execz .LBB219_24
	s_branch .LBB219_25
.LBB219_23:
	v_mov_b32_e32 v34, 0
.LBB219_24:
	v_lshl_add_u64 v[0:1], v[0:1], 1, v[2:3]
	flat_load_ushort v2, v[0:1] offset:256
	flat_load_ushort v3, v[0:1] offset:384
	s_mov_b32 s12, 0xffff
	s_waitcnt vmcnt(0) lgkmcnt(0)
	v_mul_f16_e32 v0, v87, v2
	v_bfi_b32 v47, s12, v0, v4
	v_mul_f16_e32 v34, v87, v3
.LBB219_25:
	v_lshlrev_b32_e32 v0, 3, v29
	v_lshlrev_b32_e32 v96, 3, v82
	v_lshl_add_u32 v107, v28, 1, v0
	v_add_u32_e32 v108, 0x1000, v96
	s_load_dwordx2 s[12:13], s[14:15], 0x0
	s_load_dword s26, s[0:1], 0x8
	ds_write_b16 v107, v6 offset:4096
	ds_write_b16 v107, v32
	ds_write_b16_d16_hi v107, v32 offset:512
	ds_write_b16 v107, v33 offset:1024
	ds_write_b16 v107, v30 offset:1536
	s_waitcnt lgkmcnt(0)
	s_barrier
	v_lshlrev_b32_e32 v94, 3, v83
	ds_read2_b64 v[16:19], v108 offset1:8
	ds_read2_b64 v[12:15], v108 offset0:16 offset1:24
	ds_read2_b64 v[4:7], v108 offset0:32 offset1:40
	ds_read2_b64 v[36:39], v94 offset1:32
	ds_read2_b64 v[0:3], v108 offset0:48 offset1:56
	ds_read2_b64 v[24:27], v94 offset0:64 offset1:96
	;; [unrolled: 1-line block ×4, first 2 shown]
	s_waitcnt lgkmcnt(4)
	v_pk_add_f16 v35, v16, v36
	s_movk_i32 s14, 0x7c00
	v_pk_add_f16 v40, v18, v36
	v_pk_add_f16 v41, v12, v36
	;; [unrolled: 1-line block ×5, first 2 shown]
	s_waitcnt lgkmcnt(3)
	v_pk_add_f16 v45, v0, v36
	v_pk_add_f16 v36, v2, v36
	v_pk_add_f16 v48, v16, v38
	v_pk_add_f16 v49, v18, v38
	v_pk_add_f16 v50, v12, v38
	v_pk_add_f16 v51, v14, v38
	v_pk_add_f16 v52, v4, v38
	v_pk_add_f16 v53, v6, v38
	v_pk_add_f16 v55, v0, v38
	v_pk_add_f16 v38, v2, v38
	s_waitcnt lgkmcnt(2)
	v_pk_add_f16 v56, v16, v24
	v_pk_add_f16 v57, v18, v24
	v_pk_add_f16 v58, v12, v24
	v_pk_add_f16 v59, v14, v24
	v_pk_add_f16 v60, v4, v24
	v_pk_add_f16 v61, v6, v24
	v_pk_add_f16 v62, v0, v24
	v_pk_add_f16 v24, v2, v24
	v_pk_add_f16 v63, v16, v26
	v_pk_add_f16 v64, v18, v26
	v_pk_add_f16 v65, v12, v26
	v_pk_add_f16 v66, v14, v26
	v_pk_add_f16 v67, v4, v26
	v_pk_add_f16 v68, v6, v26
	v_pk_add_f16 v69, v0, v26
	v_pk_add_f16 v26, v2, v26
	s_waitcnt lgkmcnt(1)
	v_pk_add_f16 v70, v16, v20
	v_pk_add_f16 v71, v18, v20
	v_pk_add_f16 v72, v12, v20
	v_pk_add_f16 v73, v14, v20
	v_pk_add_f16 v74, v4, v20
	v_pk_add_f16 v75, v6, v20
	;; [unrolled: 17-line block ×3, first 2 shown]
	v_pk_add_f16 v138, v0, v8
	v_pk_add_f16 v8, v2, v8
	;; [unrolled: 1-line block ×11, first 2 shown]
	v_pk_min_f16 v10, v35, s14 op_sel_hi:[1,0]
	v_pk_min_f16 v8, v8, s14 op_sel_hi:[1,0]
	v_pk_min_f16 v125, v10, v2
	v_pk_add_f16 v2, v19, v37
	v_pk_min_f16 v10, v40, s14 op_sel_hi:[1,0]
	v_pk_min_f16 v4, v4, s14 op_sel_hi:[1,0]
	v_pk_min_f16 v124, v10, v2
	v_pk_add_f16 v2, v13, v37
	;; [unrolled: 4-line block ×3, first 2 shown]
	v_pk_min_f16 v10, v42, s14 op_sel_hi:[1,0]
	s_cmp_lt_i32 s26, 9
	v_pk_min_f16 v122, v10, v2
	v_pk_add_f16 v2, v5, v37
	v_pk_min_f16 v10, v43, s14 op_sel_hi:[1,0]
	ds_write_b16 v107, v31 offset:4608
	ds_write_b16 v107, v46 offset:2048
	ds_write_b16_d16_hi v107, v46 offset:2560
	ds_write_b16 v107, v47 offset:3072
	ds_write_b16 v107, v34 offset:3584
	v_pk_min_f16 v121, v10, v2
	v_pk_add_f16 v2, v7, v37
	v_pk_min_f16 v10, v44, s14 op_sel_hi:[1,0]
	s_waitcnt lgkmcnt(0)
	v_pk_min_f16 v120, v10, v2
	v_pk_add_f16 v2, v1, v37
	v_pk_min_f16 v10, v45, s14 op_sel_hi:[1,0]
	s_barrier
	v_pk_min_f16 v119, v10, v2
	v_pk_add_f16 v2, v3, v37
	v_pk_min_f16 v10, v36, s14 op_sel_hi:[1,0]
	s_nop 0
	v_pk_min_f16 v118, v10, v2
	v_pk_add_f16 v2, v17, v39
	v_pk_min_f16 v10, v48, s14 op_sel_hi:[1,0]
	s_nop 0
	v_pk_min_f16 v117, v10, v2
	v_pk_add_f16 v2, v19, v39
	v_pk_min_f16 v10, v49, s14 op_sel_hi:[1,0]
	s_nop 0
	v_pk_min_f16 v116, v10, v2
	v_pk_add_f16 v2, v13, v39
	v_pk_min_f16 v10, v50, s14 op_sel_hi:[1,0]
	s_nop 0
	v_pk_min_f16 v115, v10, v2
	v_pk_add_f16 v2, v15, v39
	v_pk_min_f16 v10, v51, s14 op_sel_hi:[1,0]
	s_nop 0
	v_pk_min_f16 v114, v10, v2
	v_pk_add_f16 v2, v5, v39
	v_pk_min_f16 v10, v52, s14 op_sel_hi:[1,0]
	s_nop 0
	v_pk_min_f16 v113, v10, v2
	v_pk_add_f16 v2, v7, v39
	v_pk_min_f16 v10, v53, s14 op_sel_hi:[1,0]
	s_nop 0
	v_pk_min_f16 v112, v10, v2
	v_pk_add_f16 v2, v1, v39
	v_pk_min_f16 v10, v55, s14 op_sel_hi:[1,0]
	s_nop 0
	v_pk_min_f16 v111, v10, v2
	v_pk_add_f16 v2, v3, v39
	v_pk_min_f16 v10, v38, s14 op_sel_hi:[1,0]
	s_nop 0
	v_pk_min_f16 v110, v10, v2
	v_pk_add_f16 v2, v17, v25
	v_pk_min_f16 v10, v56, s14 op_sel_hi:[1,0]
	s_nop 0
	v_pk_min_f16 v109, v10, v2
	v_pk_add_f16 v2, v19, v25
	v_pk_min_f16 v10, v57, s14 op_sel_hi:[1,0]
	s_nop 0
	v_pk_min_f16 v106, v10, v2
	v_pk_add_f16 v2, v13, v25
	v_pk_min_f16 v10, v58, s14 op_sel_hi:[1,0]
	s_nop 0
	v_pk_min_f16 v105, v10, v2
	v_pk_add_f16 v2, v15, v25
	v_pk_min_f16 v10, v59, s14 op_sel_hi:[1,0]
	s_nop 0
	v_pk_min_f16 v104, v10, v2
	v_pk_add_f16 v2, v5, v25
	v_pk_min_f16 v10, v60, s14 op_sel_hi:[1,0]
	s_nop 0
	v_pk_min_f16 v103, v10, v2
	v_pk_add_f16 v2, v7, v25
	v_pk_min_f16 v10, v61, s14 op_sel_hi:[1,0]
	s_nop 0
	v_pk_min_f16 v102, v10, v2
	v_pk_add_f16 v2, v1, v25
	v_pk_min_f16 v10, v62, s14 op_sel_hi:[1,0]
	s_nop 0
	v_pk_min_f16 v101, v10, v2
	v_pk_add_f16 v2, v3, v25
	v_pk_min_f16 v10, v24, s14 op_sel_hi:[1,0]
	s_nop 0
	v_pk_min_f16 v100, v10, v2
	v_pk_add_f16 v2, v17, v27
	v_pk_min_f16 v10, v63, s14 op_sel_hi:[1,0]
	s_nop 0
	v_pk_min_f16 v99, v10, v2
	v_pk_add_f16 v2, v19, v27
	v_pk_min_f16 v10, v64, s14 op_sel_hi:[1,0]
	s_nop 0
	v_pk_min_f16 v98, v10, v2
	v_pk_add_f16 v2, v13, v27
	v_pk_min_f16 v10, v65, s14 op_sel_hi:[1,0]
	s_nop 0
	v_pk_min_f16 v97, v10, v2
	v_pk_add_f16 v2, v15, v27
	v_pk_min_f16 v10, v66, s14 op_sel_hi:[1,0]
	s_nop 0
	v_pk_min_f16 v95, v10, v2
	v_pk_add_f16 v2, v5, v27
	v_pk_min_f16 v10, v67, s14 op_sel_hi:[1,0]
	s_nop 0
	v_pk_min_f16 v93, v10, v2
	v_pk_add_f16 v2, v7, v27
	v_pk_min_f16 v10, v68, s14 op_sel_hi:[1,0]
	s_nop 0
	v_pk_min_f16 v92, v10, v2
	v_pk_add_f16 v2, v1, v27
	v_pk_min_f16 v10, v69, s14 op_sel_hi:[1,0]
	s_nop 0
	v_pk_min_f16 v91, v10, v2
	v_pk_add_f16 v2, v3, v27
	v_pk_min_f16 v10, v26, s14 op_sel_hi:[1,0]
	s_nop 0
	v_pk_min_f16 v90, v10, v2
	v_pk_add_f16 v2, v17, v21
	v_pk_min_f16 v10, v70, s14 op_sel_hi:[1,0]
	s_nop 0
	v_pk_min_f16 v89, v10, v2
	v_pk_add_f16 v2, v19, v21
	v_pk_min_f16 v10, v71, s14 op_sel_hi:[1,0]
	s_nop 0
	v_pk_min_f16 v88, v10, v2
	v_pk_add_f16 v2, v13, v21
	v_pk_min_f16 v10, v72, s14 op_sel_hi:[1,0]
	s_nop 0
	v_pk_min_f16 v86, v10, v2
	v_pk_add_f16 v2, v15, v21
	v_pk_min_f16 v10, v73, s14 op_sel_hi:[1,0]
	s_nop 0
	v_pk_min_f16 v85, v10, v2
	v_pk_add_f16 v2, v5, v21
	v_pk_min_f16 v10, v74, s14 op_sel_hi:[1,0]
	s_nop 0
	v_pk_min_f16 v84, v10, v2
	v_pk_add_f16 v2, v7, v21
	v_pk_min_f16 v10, v75, s14 op_sel_hi:[1,0]
	s_nop 0
	v_pk_min_f16 v81, v10, v2
	v_pk_add_f16 v2, v1, v21
	v_pk_min_f16 v10, v76, s14 op_sel_hi:[1,0]
	s_nop 0
	v_pk_min_f16 v80, v10, v2
	v_pk_add_f16 v2, v3, v21
	v_pk_min_f16 v10, v20, s14 op_sel_hi:[1,0]
	s_nop 0
	v_pk_min_f16 v79, v10, v2
	v_pk_add_f16 v2, v17, v23
	v_pk_min_f16 v10, v77, s14 op_sel_hi:[1,0]
	s_nop 0
	v_pk_min_f16 v78, v10, v2
	v_pk_add_f16 v2, v19, v23
	v_pk_min_f16 v10, v126, s14 op_sel_hi:[1,0]
	s_nop 0
	v_pk_min_f16 v77, v10, v2
	v_pk_add_f16 v2, v13, v23
	v_pk_min_f16 v10, v127, s14 op_sel_hi:[1,0]
	s_nop 0
	v_pk_min_f16 v76, v10, v2
	v_pk_add_f16 v2, v15, v23
	v_pk_min_f16 v10, v128, s14 op_sel_hi:[1,0]
	s_nop 0
	v_pk_min_f16 v75, v10, v2
	v_pk_add_f16 v2, v5, v23
	v_pk_min_f16 v10, v129, s14 op_sel_hi:[1,0]
	s_nop 0
	v_pk_min_f16 v74, v10, v2
	v_pk_add_f16 v2, v7, v23
	v_pk_min_f16 v10, v130, s14 op_sel_hi:[1,0]
	s_nop 0
	v_pk_min_f16 v73, v10, v2
	v_pk_add_f16 v2, v1, v23
	v_pk_min_f16 v10, v131, s14 op_sel_hi:[1,0]
	s_nop 0
	v_pk_min_f16 v72, v10, v2
	v_pk_add_f16 v2, v3, v23
	v_pk_min_f16 v10, v22, s14 op_sel_hi:[1,0]
	s_nop 0
	v_pk_min_f16 v71, v10, v2
	v_pk_add_f16 v2, v17, v9
	v_pk_min_f16 v10, v132, s14 op_sel_hi:[1,0]
	s_nop 0
	v_pk_min_f16 v70, v10, v2
	v_pk_add_f16 v2, v19, v9
	v_pk_min_f16 v10, v133, s14 op_sel_hi:[1,0]
	s_nop 0
	v_pk_min_f16 v69, v10, v2
	v_pk_add_f16 v2, v13, v9
	v_pk_min_f16 v10, v134, s14 op_sel_hi:[1,0]
	s_nop 0
	v_pk_min_f16 v68, v10, v2
	v_pk_add_f16 v2, v15, v9
	v_pk_min_f16 v10, v135, s14 op_sel_hi:[1,0]
	s_nop 0
	v_pk_min_f16 v67, v10, v2
	v_pk_add_f16 v2, v5, v9
	v_pk_min_f16 v10, v136, s14 op_sel_hi:[1,0]
	s_nop 0
	v_pk_min_f16 v66, v10, v2
	v_pk_add_f16 v2, v7, v9
	v_pk_min_f16 v10, v137, s14 op_sel_hi:[1,0]
	s_nop 0
	v_pk_min_f16 v65, v10, v2
	v_pk_add_f16 v2, v1, v9
	v_pk_min_f16 v10, v138, s14 op_sel_hi:[1,0]
	v_pk_add_f16 v1, v1, v11
	v_pk_min_f16 v64, v10, v2
	v_pk_add_f16 v2, v3, v9
	s_nop 0
	v_pk_min_f16 v63, v8, v2
	v_pk_add_f16 v2, v17, v11
	v_pk_min_f16 v8, v16, s14 op_sel_hi:[1,0]
	s_nop 0
	v_pk_min_f16 v62, v8, v2
	v_pk_add_f16 v2, v19, v11
	v_pk_min_f16 v8, v18, s14 op_sel_hi:[1,0]
	;; [unrolled: 4-line block ×4, first 2 shown]
	s_nop 0
	v_pk_min_f16 v58, v8, v2
	v_pk_add_f16 v2, v5, v11
	s_nop 0
	v_pk_min_f16 v57, v4, v2
	v_pk_add_f16 v2, v7, v11
	v_pk_min_f16 v4, v6, s14 op_sel_hi:[1,0]
	s_nop 0
	v_pk_min_f16 v55, v4, v2
	v_pk_min_f16 v2, v139, s14 op_sel_hi:[1,0]
	s_nop 0
	v_pk_min_f16 v56, v2, v1
	v_pk_add_f16 v1, v3, v11
	s_nop 0
	v_pk_min_f16 v60, v0, v1
	s_cbranch_scc1 .LBB219_48
; %bb.26:
	v_mov_b32_e32 v0, 0x1200
	v_lshl_add_u32 v129, v82, 3, v0
	v_mov_b32_e32 v0, 0x800
	v_add_u32_e32 v2, 12, v28
	s_mov_b32 s27, 0x5040100
	v_lshl_add_u32 v130, v83, 3, v0
	v_mad_i64_i32 v[0:1], s[14:15], v2, s16, 0
	v_perm_b32 v47, v34, v47, s27
	v_lshlrev_b64 v[34:35], 1, v[0:1]
	v_lshl_or_b32 v0, s2, 6, v29
	s_lshl_b32 s2, s3, 6
	v_subrev_u32_e32 v0, s2, v0
	v_ashrrev_i32_e32 v1, 31, v0
	v_lshl_add_u64 v[36:37], v[0:1], 1, s[18:19]
	v_mad_i64_i32 v[0:1], s[14:15], v2, s22, 0
	v_lshlrev_b64 v[38:39], 1, v[0:1]
	v_add_u32_e32 v0, s25, v29
	v_ashrrev_i32_e32 v1, 31, v0
	v_add_u32_e32 v2, 8, v28
	s_lshl_b64 s[2:3], s[16:17], 4
	v_lshl_add_u64 v[40:41], v[0:1], 1, s[20:21]
	v_mad_i64_i32 v[0:1], s[16:17], v2, s16, 0
	v_lshlrev_b64 v[42:43], 1, v[0:1]
	v_mad_i64_i32 v[0:1], s[16:17], v2, s22, 0
	v_or_b32_e32 v126, 0x1000, v107
	v_add_u32_e32 v127, 0x1200, v107
	v_or_b32_e32 v128, 0x800, v107
	s_add_i32 s26, s26, -8
	v_perm_b32 v33, v30, v33, s27
	s_lshl_b64 s[14:15], s[22:23], 4
	v_lshlrev_b64 v[44:45], 1, v[0:1]
	s_mov_b32 s18, 0
	s_mov_b32 s19, 0xffff
	s_and_b64 vcc, exec, s[6:7]
	s_cbranch_vccz .LBB219_29
	s_branch .LBB219_28
.LBB219_27:
	v_mov_b32_e32 v46, v48
	s_and_b64 vcc, exec, s[6:7]
	s_cbranch_vccz .LBB219_29
.LBB219_28:
	v_mov_b32_e32 v48, 0
	s_mov_b64 s[16:17], -1
	s_mov_b64 vcc, s[4:5]
                                        ; implicit-def: $vgpr0_vgpr1
	s_cbranch_vccnz .LBB219_30
	s_branch .LBB219_31
.LBB219_29:
	v_lshl_add_u64 v[0:1], v[36:37], 0, v[42:43]
	flat_load_ushort v0, v[0:1]
	s_waitcnt vmcnt(0) lgkmcnt(0)
	v_mul_f16_e32 v48, v87, v0
	s_mov_b64 s[16:17], -1
	s_mov_b64 vcc, s[4:5]
                                        ; implicit-def: $vgpr0_vgpr1
	s_cbranch_vccz .LBB219_31
.LBB219_30:
	v_and_b32_e32 v0, 0xffff0000, v32
	v_mov_b32_e32 v1, v33
	s_mov_b64 s[16:17], 0
.LBB219_31:
	v_mov_b32_e32 v4, 0
	s_andn2_b64 vcc, exec, s[16:17]
	v_lshl_add_u64 v[2:3], v[40:41], 0, v[44:45]
	s_cbranch_vccnz .LBB219_39
; %bb.32:
	flat_load_ushort v0, v[2:3]
	flat_load_ushort v1, v[2:3] offset:128
	s_waitcnt vmcnt(0) lgkmcnt(0)
	v_mul_f16_e32 v0, v87, v0
	v_bfi_b32 v32, s19, v0, v32
	v_mul_f16_e32 v4, v87, v1
	v_mov_b64_e32 v[0:1], v[32:33]
	v_perm_b32 v32, v4, v0, s27
	s_mov_b64 s[16:17], -1
	s_mov_b64 vcc, s[4:5]
	s_cbranch_vccnz .LBB219_40
.LBB219_33:
	v_mov_b32_e32 v131, 0
	s_andn2_b64 vcc, exec, s[16:17]
	v_mov_b32_e32 v132, 0
	s_cbranch_vccnz .LBB219_35
.LBB219_34:
	flat_load_ushort v0, v[2:3] offset:256
	flat_load_ushort v4, v[2:3] offset:384
	s_waitcnt vmcnt(0) lgkmcnt(0)
	v_mul_f16_e32 v0, v87, v0
	v_bfi_b32 v33, s19, v0, v1
	v_mul_f16_e32 v132, v87, v4
.LBB219_35:
	ds_read2_b64 v[12:15], v129 offset1:8
	ds_read2_b64 v[8:11], v129 offset0:16 offset1:24
	ds_read2_b64 v[4:7], v129 offset0:32 offset1:40
	;; [unrolled: 1-line block ×3, first 2 shown]
	ds_read2_b64 v[28:31], v130 offset1:32
	ds_read2_b64 v[24:27], v130 offset0:64 offset1:96
	ds_read2_b64 v[20:23], v130 offset0:128 offset1:160
	;; [unrolled: 1-line block ×3, first 2 shown]
	s_and_b64 vcc, exec, s[6:7]
	ds_write_b16 v126, v48
	ds_write_b16 v107, v32
	ds_write_b16_d16_hi v107, v32 offset:512
	ds_write_b16 v107, v33 offset:1024
	ds_write_b16 v107, v132 offset:1536
	s_waitcnt lgkmcnt(0)
	s_barrier
	s_cbranch_vccnz .LBB219_37
; %bb.36:
	v_lshl_add_u64 v[48:49], v[36:37], 0, v[34:35]
	flat_load_ushort v48, v[48:49]
	s_waitcnt vmcnt(0) lgkmcnt(0)
	v_mul_f16_e32 v131, v87, v48
.LBB219_37:
	s_mov_b64 s[16:17], -1
	s_mov_b64 vcc, s[4:5]
                                        ; implicit-def: $vgpr50_vgpr51
	s_cbranch_vccz .LBB219_41
; %bb.38:
	v_and_b32_e32 v50, 0xffff0000, v46
	v_mov_b32_e32 v51, v47
	v_mov_b32_e32 v48, 0
	v_lshl_add_u64 v[52:53], v[40:41], 0, v[38:39]
	s_cbranch_execnz .LBB219_43
	s_branch .LBB219_42
.LBB219_39:
	v_perm_b32 v32, v4, v0, s27
	s_mov_b64 s[16:17], -1
	s_mov_b64 vcc, s[4:5]
	s_cbranch_vccz .LBB219_33
.LBB219_40:
	v_and_b32_e32 v33, 0xffff0000, v1
	v_mov_b32_e32 v131, 0
	v_mov_b32_e32 v132, 0
	s_cbranch_execz .LBB219_34
	s_branch .LBB219_35
.LBB219_41:
	v_mov_b32_e32 v48, 0
	s_andn2_b64 vcc, exec, s[16:17]
	v_lshl_add_u64 v[52:53], v[40:41], 0, v[38:39]
	s_cbranch_vccnz .LBB219_43
.LBB219_42:
	flat_load_ushort v48, v[52:53]
	flat_load_ushort v49, v[52:53] offset:128
	s_waitcnt vmcnt(0) lgkmcnt(0)
	v_mul_f16_e32 v48, v87, v48
	v_bfi_b32 v46, s19, v48, v46
	v_mul_f16_e32 v48, v87, v49
	v_mov_b64_e32 v[50:51], v[46:47]
.LBB219_43:
	v_perm_b32 v48, v48, v50, s27
	s_mov_b64 s[16:17], -1
	s_mov_b64 vcc, s[4:5]
                                        ; implicit-def: $vgpr49
	s_cbranch_vccz .LBB219_45
; %bb.44:
	v_and_b32_e32 v49, 0xffff0000, v51
	v_mov_b32_e32 v50, 0
	s_cbranch_execz .LBB219_46
	s_branch .LBB219_47
.LBB219_45:
	s_andn2_b64 vcc, exec, s[16:17]
	v_mov_b32_e32 v50, 0
	s_cbranch_vccnz .LBB219_47
.LBB219_46:
	flat_load_ushort v46, v[52:53] offset:256
	flat_load_ushort v47, v[52:53] offset:384
	s_waitcnt vmcnt(0) lgkmcnt(0)
	v_mul_f16_e32 v46, v87, v46
	v_bfi_b32 v49, s19, v46, v51
	v_mul_f16_e32 v50, v87, v47
.LBB219_47:
	v_pk_add_f16 v46, v12, v28
	v_pk_max_f16 v47, v125, v125
	v_pk_max_f16 v51, v124, v124
	v_pk_min_f16 v46, v47, v46
	v_pk_add_f16 v47, v14, v28
	v_pk_max_f16 v52, v123, v123
	v_pk_min_f16 v47, v51, v47
	v_pk_add_f16 v51, v8, v28
	v_pk_max_f16 v53, v122, v122
	v_pk_min_f16 v51, v52, v51
	v_pk_add_f16 v52, v10, v28
	v_pk_max_f16 v121, v121, v121
	v_pk_min_f16 v52, v53, v52
	v_pk_add_f16 v53, v4, v28
	v_pk_max_f16 v120, v120, v120
	v_pk_min_f16 v53, v121, v53
	v_pk_add_f16 v121, v6, v28
	v_pk_max_f16 v118, v118, v118
	v_pk_min_f16 v120, v120, v121
	v_pk_add_f16 v121, v0, v28
	v_pk_add_f16 v28, v2, v28
	v_pk_max_f16 v117, v117, v117
	v_pk_min_f16 v28, v118, v28
	v_pk_add_f16 v118, v12, v30
	v_pk_max_f16 v116, v116, v116
	v_pk_min_f16 v117, v117, v118
	v_pk_add_f16 v118, v14, v30
	v_pk_max_f16 v115, v115, v115
	v_pk_min_f16 v116, v116, v118
	v_pk_add_f16 v118, v8, v30
	v_pk_max_f16 v114, v114, v114
	v_pk_min_f16 v115, v115, v118
	v_pk_add_f16 v118, v10, v30
	v_pk_max_f16 v113, v113, v113
	v_pk_min_f16 v114, v114, v118
	v_pk_add_f16 v118, v4, v30
	v_pk_max_f16 v112, v112, v112
	v_pk_min_f16 v113, v113, v118
	v_pk_add_f16 v118, v6, v30
	v_pk_max_f16 v110, v110, v110
	v_pk_min_f16 v112, v112, v118
	v_pk_add_f16 v118, v0, v30
	v_pk_add_f16 v30, v2, v30
	v_pk_max_f16 v109, v109, v109
	v_pk_min_f16 v30, v110, v30
	v_pk_add_f16 v110, v12, v24
	;; [unrolled: 22-line block ×6, first 2 shown]
	v_pk_max_f16 v69, v69, v69
	v_pk_min_f16 v70, v70, v71
	v_pk_add_f16 v71, v14, v16
	v_pk_max_f16 v68, v68, v68
	v_pk_min_f16 v69, v69, v71
	v_pk_add_f16 v71, v8, v16
	;; [unrolled: 3-line block ×5, first 2 shown]
	v_pk_add_f16 v12, v12, v18
	v_pk_min_f16 v65, v65, v71
	v_pk_add_f16 v71, v0, v16
	v_pk_add_f16 v16, v2, v16
	;; [unrolled: 1-line block ×9, first 2 shown]
	v_pk_max_f16 v18, v60, v60
	v_pk_max_f16 v55, v55, v55
	v_pk_min_f16 v2, v18, v2
	v_pk_add_f16 v18, v13, v29
	v_pk_max_f16 v119, v119, v119
	v_pk_min_f16 v46, v46, v18
	v_pk_add_f16 v18, v15, v29
	v_pk_min_f16 v6, v55, v6
	v_pk_min_f16 v47, v47, v18
	v_pk_add_f16 v18, v9, v29
	v_pk_max_f16 v55, v56, v56
	v_pk_min_f16 v51, v51, v18
	v_pk_add_f16 v18, v11, v29
	v_pk_min_f16 v119, v119, v121
	v_pk_min_f16 v52, v52, v18
	v_pk_add_f16 v18, v5, v29
	v_pk_min_f16 v0, v55, v0
	v_pk_min_f16 v53, v53, v18
	v_pk_add_f16 v18, v7, v29
	v_pk_max_f16 v57, v57, v57
	v_pk_min_f16 v55, v120, v18
	v_pk_add_f16 v18, v1, v29
	v_pk_max_f16 v58, v58, v58
	v_pk_min_f16 v56, v119, v18
	v_pk_add_f16 v18, v3, v29
	v_pk_min_f16 v4, v57, v4
	v_pk_min_f16 v57, v28, v18
	v_pk_add_f16 v18, v13, v31
	v_pk_max_f16 v59, v59, v59
	v_pk_min_f16 v10, v58, v10
	v_pk_min_f16 v58, v117, v18
	v_pk_add_f16 v18, v15, v31
	v_pk_min_f16 v8, v59, v8
	v_pk_min_f16 v59, v116, v18
	v_pk_add_f16 v18, v9, v31
	v_pk_max_f16 v61, v61, v61
	v_pk_min_f16 v60, v115, v18
	v_pk_add_f16 v18, v11, v31
	v_pk_max_f16 v62, v62, v62
	v_pk_min_f16 v14, v61, v14
	v_pk_min_f16 v61, v114, v18
	v_pk_add_f16 v18, v5, v31
	v_pk_max_f16 v111, v111, v111
	v_pk_max_f16 v63, v63, v63
	v_pk_min_f16 v12, v62, v12
	v_pk_min_f16 v62, v113, v18
	v_pk_add_f16 v18, v7, v31
	v_pk_min_f16 v111, v111, v118
	v_pk_max_f16 v64, v64, v64
	v_pk_min_f16 v16, v63, v16
	v_pk_min_f16 v63, v112, v18
	v_pk_add_f16 v18, v1, v31
	v_pk_max_f16 v72, v72, v72
	v_pk_min_f16 v64, v64, v71
	v_pk_min_f16 v71, v111, v18
	v_pk_add_f16 v18, v3, v31
	;; [unrolled: 4-line block ×4, first 2 shown]
	v_pk_min_f16 v91, v91, v100
	v_pk_min_f16 v100, v106, v18
	v_pk_add_f16 v18, v9, v25
	v_pk_max_f16 v101, v101, v101
	v_pk_min_f16 v105, v105, v18
	v_pk_add_f16 v18, v11, v25
	v_pk_min_f16 v101, v101, v110
	v_pk_min_f16 v104, v104, v18
	v_pk_add_f16 v18, v5, v25
	v_pk_max_f16 v61, v61, v61
	v_pk_min_f16 v103, v103, v18
	v_pk_add_f16 v18, v7, v25
	v_pk_max_f16 v56, v56, v56
	;; [unrolled: 3-line block ×7, first 2 shown]
	v_pk_min_f16 v97, v97, v18
	v_pk_add_f16 v18, v11, v27
	v_perm_b32 v33, v132, v33, s27
	v_pk_min_f16 v95, v95, v18
	v_pk_add_f16 v18, v5, v27
	v_pk_max_f16 v46, v46, v46
	v_pk_min_f16 v93, v93, v18
	v_pk_add_f16 v18, v7, v27
	v_pk_max_f16 v51, v51, v51
	;; [unrolled: 3-line block ×3, first 2 shown]
	v_pk_min_f16 v91, v91, v18
	v_pk_add_f16 v18, v3, v27
	s_add_i32 s18, s18, 8
	v_pk_min_f16 v134, v26, v18
	v_pk_add_f16 v18, v13, v21
	v_lshl_add_u64 v[36:37], v[36:37], 0, s[2:3]
	v_pk_min_f16 v89, v89, v18
	v_pk_add_f16 v18, v15, v21
	s_cmp_ge_i32 s18, s26
	v_pk_min_f16 v88, v88, v18
	v_pk_add_f16 v18, v9, v21
	v_lshl_add_u64 v[40:41], v[40:41], 0, s[14:15]
	v_pk_min_f16 v86, v86, v18
	v_pk_add_f16 v18, v11, v21
	s_nop 0
	v_pk_min_f16 v85, v85, v18
	v_pk_add_f16 v18, v5, v21
	s_nop 0
	;; [unrolled: 3-line block ×13, first 2 shown]
	v_pk_min_f16 v136, v22, v18
	v_pk_add_f16 v18, v13, v17
	v_pk_add_f16 v13, v13, v19
	v_pk_min_f16 v70, v70, v18
	v_pk_add_f16 v18, v15, v17
	v_pk_min_f16 v138, v12, v13
	v_pk_min_f16 v69, v69, v18
	v_pk_add_f16 v18, v9, v17
	v_pk_add_f16 v9, v9, v19
	v_pk_min_f16 v68, v68, v18
	v_pk_add_f16 v18, v11, v17
	v_pk_add_f16 v12, v15, v19
	;; [unrolled: 3-line block ×3, first 2 shown]
	v_pk_min_f16 v66, v66, v18
	v_pk_add_f16 v18, v7, v17
	v_pk_min_f16 v140, v8, v9
	v_pk_min_f16 v65, v65, v18
	v_pk_add_f16 v18, v1, v17
	v_pk_add_f16 v1, v1, v19
	;; [unrolled: 1-line block ×4, first 2 shown]
	v_pk_min_f16 v142, v4, v5
	v_pk_add_f16 v4, v7, v19
	v_pk_min_f16 v144, v0, v1
	v_pk_add_f16 v0, v3, v19
	v_pk_min_f16 v64, v64, v18
	v_pk_min_f16 v137, v16, v17
	;; [unrolled: 1-line block ×6, first 2 shown]
	ds_read2_b64 v[16:19], v108 offset1:8
	ds_read2_b64 v[8:11], v108 offset0:16 offset1:24
	ds_read2_b64 v[4:7], v108 offset0:32 offset1:40
	ds_read2_b64 v[28:31], v94 offset1:32
	ds_read2_b64 v[0:3], v108 offset0:48 offset1:56
	ds_read2_b64 v[24:27], v94 offset0:64 offset1:96
	;; [unrolled: 1-line block ×4, first 2 shown]
	s_waitcnt lgkmcnt(4)
	v_pk_add_f16 v146, v10, v30
	s_waitcnt lgkmcnt(3)
	v_pk_add_f16 v114, v0, v28
	v_pk_add_f16 v168, v11, v31
	v_pk_min_f16 v61, v61, v146
	v_pk_add_f16 v147, v4, v30
	v_pk_min_f16 v56, v56, v114
	v_pk_min_f16 v114, v61, v168
	v_pk_max_f16 v61, v62, v62
	v_pk_add_f16 v113, v6, v28
	v_pk_add_f16 v169, v5, v31
	v_pk_min_f16 v61, v61, v147
	v_pk_add_f16 v148, v6, v30
	v_pk_min_f16 v55, v55, v113
	v_pk_min_f16 v113, v61, v169
	v_pk_max_f16 v61, v63, v63
	;; [unrolled: 7-line block ×3, first 2 shown]
	v_pk_add_f16 v106, v16, v28
	v_pk_add_f16 v109, v18, v28
	v_pk_add_f16 v110, v8, v28
	v_pk_add_f16 v111, v10, v28
	v_pk_add_f16 v28, v2, v28
	v_pk_add_f16 v171, v1, v31
	v_pk_min_f16 v61, v61, v149
	v_pk_add_f16 v115, v16, v30
	v_pk_add_f16 v116, v18, v30
	;; [unrolled: 1-line block ×12, first 2 shown]
	v_pk_min_f16 v47, v47, v109
	v_pk_min_f16 v52, v52, v111
	;; [unrolled: 1-line block ×4, first 2 shown]
	v_pk_max_f16 v61, v79, v79
	v_pk_add_f16 v165, v17, v31
	v_pk_add_f16 v166, v19, v31
	;; [unrolled: 1-line block ×4, first 2 shown]
	v_pk_min_f16 v124, v47, v118
	v_pk_min_f16 v118, v28, v29
	v_pk_max_f16 v29, v58, v58
	v_pk_max_f16 v58, v59, v59
	v_pk_min_f16 v30, v61, v30
	s_waitcnt lgkmcnt(2)
	v_pk_add_f16 v150, v16, v24
	v_pk_min_f16 v46, v46, v106
	v_pk_min_f16 v51, v51, v110
	v_pk_min_f16 v29, v29, v115
	v_pk_min_f16 v58, v58, v116
	v_pk_min_f16 v60, v60, v132
	v_pk_min_f16 v110, v30, v31
	v_pk_max_f16 v30, v90, v90
	v_pk_add_f16 v151, v18, v24
	v_pk_add_f16 v152, v8, v24
	;; [unrolled: 1-line block ×15, first 2 shown]
	s_waitcnt lgkmcnt(1)
	v_pk_add_f16 v173, v16, v20
	v_pk_add_f16 v174, v18, v20
	v_pk_min_f16 v125, v46, v117
	v_pk_add_f16 v46, v8, v20
	v_pk_add_f16 v175, v10, v20
	;; [unrolled: 1-line block ×4, first 2 shown]
	v_pk_min_f16 v123, v51, v119
	v_pk_add_f16 v51, v0, v20
	v_pk_add_f16 v20, v2, v20
	v_pk_min_f16 v122, v52, v120
	v_pk_add_f16 v52, v16, v22
	v_pk_add_f16 v177, v18, v22
	;; [unrolled: 3-line block ×5, first 2 shown]
	s_waitcnt lgkmcnt(0)
	v_pk_add_f16 v28, v16, v12
	v_pk_add_f16 v57, v18, v12
	v_pk_min_f16 v117, v29, v165
	v_pk_add_f16 v29, v8, v12
	v_pk_add_f16 v59, v10, v12
	v_pk_min_f16 v116, v58, v166
	;; [unrolled: 3-line block ×3, first 2 shown]
	v_pk_add_f16 v60, v0, v12
	v_pk_add_f16 v12, v2, v12
	;; [unrolled: 1-line block ×11, first 2 shown]
	v_pk_min_f16 v30, v30, v150
	ds_write_b16 v127, v131
	ds_write_b16 v128, v48
	ds_write_b16_d16_hi v128, v48 offset:512
	ds_write_b16 v128, v49 offset:1024
	ds_write_b16 v128, v50 offset:1536
	v_pk_min_f16 v109, v30, v14
	v_pk_max_f16 v30, v100, v100
	v_pk_add_f16 v14, v19, v25
	v_pk_min_f16 v30, v30, v151
	s_waitcnt lgkmcnt(0)
	v_pk_min_f16 v106, v30, v14
	v_pk_max_f16 v30, v105, v105
	v_pk_add_f16 v14, v9, v25
	v_pk_min_f16 v30, v30, v152
	s_barrier
	v_pk_min_f16 v105, v30, v14
	v_pk_max_f16 v30, v104, v104
	v_pk_add_f16 v14, v11, v25
	v_pk_min_f16 v30, v30, v153
	s_nop 0
	v_pk_min_f16 v104, v30, v14
	v_pk_max_f16 v30, v103, v103
	v_pk_add_f16 v14, v5, v25
	v_pk_min_f16 v30, v30, v154
	s_nop 0
	;; [unrolled: 5-line block ×4, first 2 shown]
	v_pk_min_f16 v101, v30, v14
	v_pk_add_f16 v14, v3, v25
	v_pk_max_f16 v25, v133, v133
	s_nop 0
	v_pk_min_f16 v24, v25, v24
	s_nop 0
	v_pk_min_f16 v100, v24, v14
	v_pk_max_f16 v24, v99, v99
	v_pk_add_f16 v14, v17, v27
	v_pk_min_f16 v24, v24, v157
	s_nop 0
	v_pk_min_f16 v99, v24, v14
	v_pk_max_f16 v24, v98, v98
	v_pk_add_f16 v14, v19, v27
	v_pk_min_f16 v24, v24, v158
	s_nop 0
	v_pk_min_f16 v98, v24, v14
	v_pk_max_f16 v24, v97, v97
	v_pk_add_f16 v14, v9, v27
	v_pk_min_f16 v24, v24, v159
	s_nop 0
	v_pk_min_f16 v97, v24, v14
	v_pk_max_f16 v24, v95, v95
	v_pk_add_f16 v14, v11, v27
	v_pk_min_f16 v24, v24, v160
	s_nop 0
	v_pk_min_f16 v95, v24, v14
	v_pk_max_f16 v24, v93, v93
	v_pk_add_f16 v14, v5, v27
	v_pk_min_f16 v24, v24, v161
	s_nop 0
	v_pk_min_f16 v93, v24, v14
	v_pk_max_f16 v24, v92, v92
	v_pk_add_f16 v14, v7, v27
	v_pk_min_f16 v24, v24, v162
	s_nop 0
	v_pk_min_f16 v92, v24, v14
	v_pk_max_f16 v24, v91, v91
	v_pk_add_f16 v14, v1, v27
	v_pk_min_f16 v24, v24, v172
	s_nop 0
	v_pk_min_f16 v91, v24, v14
	v_pk_max_f16 v24, v134, v134
	v_pk_add_f16 v14, v3, v27
	v_pk_min_f16 v24, v24, v26
	s_nop 0
	v_pk_min_f16 v90, v24, v14
	v_pk_max_f16 v24, v89, v89
	v_pk_add_f16 v14, v17, v21
	v_pk_min_f16 v24, v24, v173
	s_nop 0
	v_pk_min_f16 v89, v24, v14
	v_pk_max_f16 v24, v88, v88
	v_pk_add_f16 v14, v19, v21
	v_pk_min_f16 v24, v24, v174
	s_nop 0
	v_pk_min_f16 v88, v24, v14
	v_pk_max_f16 v24, v86, v86
	v_pk_add_f16 v14, v9, v21
	v_pk_min_f16 v24, v24, v46
	s_nop 0
	v_pk_min_f16 v86, v24, v14
	v_pk_max_f16 v24, v85, v85
	v_pk_add_f16 v14, v11, v21
	v_pk_min_f16 v24, v24, v175
	s_nop 0
	v_pk_min_f16 v85, v24, v14
	v_pk_max_f16 v24, v84, v84
	v_pk_add_f16 v14, v5, v21
	v_pk_min_f16 v24, v24, v47
	v_perm_b32 v47, v50, v49, s27
	v_pk_min_f16 v84, v24, v14
	v_pk_max_f16 v24, v81, v81
	v_pk_add_f16 v14, v7, v21
	v_pk_min_f16 v24, v24, v176
	s_nop 0
	v_pk_min_f16 v81, v24, v14
	v_pk_max_f16 v24, v80, v80
	v_pk_add_f16 v14, v1, v21
	v_pk_min_f16 v24, v24, v51
	s_nop 0
	v_pk_min_f16 v80, v24, v14
	v_pk_add_f16 v14, v3, v21
	v_pk_max_f16 v21, v135, v135
	s_nop 0
	v_pk_min_f16 v20, v21, v20
	s_nop 0
	v_pk_min_f16 v79, v20, v14
	v_pk_max_f16 v20, v78, v78
	v_pk_add_f16 v14, v17, v23
	v_pk_min_f16 v20, v20, v52
	s_nop 0
	v_pk_min_f16 v78, v20, v14
	v_pk_max_f16 v20, v77, v77
	v_pk_add_f16 v14, v19, v23
	;; [unrolled: 5-line block ×11, first 2 shown]
	v_pk_min_f16 v20, v20, v29
	v_pk_add_f16 v9, v9, v15
	v_pk_min_f16 v68, v20, v14
	v_pk_max_f16 v20, v67, v67
	v_pk_add_f16 v14, v11, v13
	v_pk_min_f16 v20, v20, v59
	s_nop 0
	v_pk_min_f16 v67, v20, v14
	v_pk_max_f16 v20, v66, v66
	v_pk_add_f16 v14, v5, v13
	v_pk_min_f16 v20, v20, v58
	v_pk_add_f16 v5, v5, v15
	v_pk_min_f16 v66, v20, v14
	v_pk_max_f16 v20, v65, v65
	v_pk_add_f16 v14, v7, v13
	v_pk_min_f16 v20, v20, v132
	s_nop 0
	v_pk_min_f16 v65, v20, v14
	v_pk_max_f16 v20, v64, v64
	v_pk_add_f16 v14, v1, v13
	;; [unrolled: 10-line block ×3, first 2 shown]
	v_pk_min_f16 v13, v13, v16
	s_nop 0
	v_pk_min_f16 v62, v13, v12
	v_pk_max_f16 v13, v139, v139
	v_pk_add_f16 v12, v19, v15
	v_pk_min_f16 v13, v13, v18
	s_nop 0
	v_pk_min_f16 v61, v13, v12
	v_pk_max_f16 v12, v140, v140
	s_nop 0
	v_pk_min_f16 v8, v12, v8
	s_nop 0
	v_pk_min_f16 v59, v8, v9
	v_pk_max_f16 v9, v141, v141
	v_pk_add_f16 v8, v11, v15
	v_pk_min_f16 v9, v9, v10
	s_nop 0
	v_pk_min_f16 v58, v9, v8
	v_pk_max_f16 v8, v142, v142
	s_nop 0
	;; [unrolled: 10-line block ×3, first 2 shown]
	v_pk_min_f16 v0, v4, v0
	s_nop 0
	v_pk_min_f16 v56, v0, v1
	v_pk_max_f16 v1, v145, v145
	v_pk_add_f16 v0, v3, v15
	v_pk_min_f16 v1, v1, v2
	s_nop 0
	v_pk_min_f16 v60, v1, v0
	s_cbranch_scc0 .LBB219_27
.LBB219_48:
	s_load_dword s6, s[0:1], 0x58
	ds_read_b64 v[30:31], v96 offset:4608
	ds_read_b64 v[46:47], v94 offset:2048
	v_add_u32_e32 v52, s25, v83
	v_cmp_neq_f16_e64 s[4:5], 0, v54
	v_add_u32_e32 v28, s24, v82
	s_waitcnt lgkmcnt(0)
	v_mad_i64_i32 v[0:1], s[2:3], v52, s6, 0
	v_ashrrev_i32_e32 v29, 31, v28
	v_lshl_add_u64 v[48:49], v[0:1], 1, s[10:11]
	v_mov_b32_e32 v34, 0
	s_and_b64 vcc, exec, s[4:5]
	v_mov_b32_e32 v35, 0
	s_cbranch_vccz .LBB219_50
; %bb.49:
	v_lshl_add_u64 v[0:1], v[28:29], 1, v[48:49]
	flat_load_ushort v0, v[0:1]
	s_waitcnt vmcnt(0) lgkmcnt(0)
	v_mul_f16_e32 v0, v54, v0
	v_cvt_f32_f16_e32 v35, v0
.LBB219_50:
	v_pk_add_f16 v32, v30, v46
	v_max_f16_e32 v33, v125, v125
	v_pk_add_f16 v37, v31, v47
	v_min_f16_e32 v36, v33, v32
	v_lshrrev_b32_e32 v33, 16, v125
	v_lshrrev_b32_e32 v32, 16, v32
	;; [unrolled: 1-line block ×3, first 2 shown]
	v_add_u32_e32 v0, 0x1000, v96
	v_min3_f16 v38, v33, v32, v38
	ds_read2_b64 v[8:11], v0 offset0:72 offset1:80
	ds_read2_b64 v[4:7], v0 offset0:88 offset1:96
	;; [unrolled: 1-line block ×3, first 2 shown]
	ds_read_b64 v[24:25], v96 offset:5056
	s_load_dword s7, s[0:1], 0x70
	s_load_dwordx2 s[2:3], s[0:1], 0x78
	v_min3_f16 v36, v36, v37, v38
	v_cvt_f32_f16_e32 v38, v36
	v_add_u32_e32 v12, 0x800, v94
	ds_read2_b64 v[20:23], v12 offset0:32 offset1:64
	ds_read2_b64 v[16:19], v12 offset0:96 offset1:128
	;; [unrolled: 1-line block ×3, first 2 shown]
	ds_read_b64 v[26:27], v94 offset:3840
	v_max_f32_e32 v35, v35, v35
	s_waitcnt lgkmcnt(0)
	s_lshl_b64 s[0:1], s[2:3], 1
	v_min_f32_e32 v35, v35, v38
	s_add_u32 s2, s12, s0
	v_cvt_f16_f32_e32 v35, v35
	s_addc_u32 s3, s13, s1
	v_mad_i64_i32 v[36:37], s[0:1], v52, s7, 0
	v_add_u32_e32 v32, 8, v28
	v_lshl_add_u64 v[50:51], v[36:37], 1, s[2:3]
	v_cndmask_b32_e64 v38, 0, 1, s[4:5]
	v_ashrrev_i32_e32 v33, 31, v32
	v_lshl_add_u64 v[36:37], v[28:29], 1, v[50:51]
	v_cmp_ne_u32_e64 s[0:1], 1, v38
	s_andn2_b64 vcc, exec, s[4:5]
	flat_store_short v[36:37], v35
	s_cbranch_vccnz .LBB219_52
; %bb.51:
	v_lshl_add_u64 v[34:35], v[32:33], 1, v[48:49]
	flat_load_ushort v34, v[34:35]
	s_waitcnt vmcnt(0) lgkmcnt(0)
	v_mul_f16_e32 v34, v54, v34
	v_cvt_f32_f16_e32 v34, v34
.LBB219_52:
	v_pk_add_f16 v35, v8, v46
	v_max_f16_e32 v36, v124, v124
	v_pk_add_f16 v38, v9, v47
	v_min_f16_e32 v36, v36, v35
	v_lshrrev_b32_e32 v37, 16, v124
	v_lshrrev_b32_e32 v35, 16, v35
	;; [unrolled: 1-line block ×3, first 2 shown]
	v_min3_f16 v35, v37, v35, v39
	v_min3_f16 v35, v36, v38, v35
	v_cvt_f32_f16_e32 v35, v35
	v_max_f32_e32 v34, v34, v34
	v_lshl_add_u64 v[36:37], v[32:33], 1, v[50:51]
	s_and_b64 vcc, exec, s[0:1]
	v_min_f32_e32 v34, v34, v35
	v_cvt_f16_f32_e32 v38, v34
	v_add_u32_e32 v34, 16, v28
	v_ashrrev_i32_e32 v35, 31, v34
	flat_store_short v[36:37], v38
	v_mov_b32_e32 v38, 0
	v_mov_b32_e32 v37, 0
	s_cbranch_vccnz .LBB219_54
; %bb.53:
	v_lshl_add_u64 v[36:37], v[34:35], 1, v[48:49]
	flat_load_ushort v36, v[36:37]
	s_waitcnt vmcnt(0) lgkmcnt(0)
	v_mul_f16_e32 v36, v54, v36
	v_cvt_f32_f16_e32 v37, v36
.LBB219_54:
	v_pk_add_f16 v36, v10, v46
	v_max_f16_e32 v39, v123, v123
	v_pk_add_f16 v41, v11, v47
	v_min_f16_e32 v39, v39, v36
	v_lshrrev_b32_e32 v40, 16, v123
	v_lshrrev_b32_e32 v36, 16, v36
	v_lshrrev_b32_e32 v42, 16, v41
	v_min3_f16 v36, v40, v36, v42
	v_min3_f16 v36, v39, v41, v36
	v_cvt_f32_f16_e32 v39, v36
	v_max_f32_e32 v37, v37, v37
	v_add_u32_e32 v36, 24, v28
	v_lshl_add_u64 v[40:41], v[34:35], 1, v[50:51]
	v_min_f32_e32 v37, v37, v39
	v_cvt_f16_f32_e32 v39, v37
	v_ashrrev_i32_e32 v37, 31, v36
	s_and_b64 vcc, exec, s[0:1]
	flat_store_short v[40:41], v39
	s_cbranch_vccnz .LBB219_56
; %bb.55:
	v_lshl_add_u64 v[38:39], v[36:37], 1, v[48:49]
	flat_load_ushort v38, v[38:39]
	s_waitcnt vmcnt(0) lgkmcnt(0)
	v_mul_f16_e32 v38, v54, v38
	v_cvt_f32_f16_e32 v38, v38
.LBB219_56:
	v_pk_add_f16 v39, v4, v46
	v_max_f16_e32 v40, v122, v122
	v_pk_add_f16 v42, v5, v47
	v_min_f16_e32 v40, v40, v39
	v_lshrrev_b32_e32 v41, 16, v122
	v_lshrrev_b32_e32 v39, 16, v39
	;; [unrolled: 1-line block ×3, first 2 shown]
	v_min3_f16 v39, v41, v39, v43
	v_min3_f16 v39, v40, v42, v39
	v_cvt_f32_f16_e32 v39, v39
	v_max_f32_e32 v38, v38, v38
	v_add_u32_e32 v40, 32, v28
	v_ashrrev_i32_e32 v41, 31, v40
	v_min_f32_e32 v38, v38, v39
	v_cvt_f16_f32_e32 v42, v38
	v_lshl_add_u64 v[38:39], v[36:37], 1, v[50:51]
	s_and_b64 vcc, exec, s[0:1]
	flat_store_short v[38:39], v42
	v_mov_b32_e32 v42, 0
	v_mov_b32_e32 v39, 0
	s_cbranch_vccnz .LBB219_58
; %bb.57:
	v_lshl_add_u64 v[38:39], v[40:41], 1, v[48:49]
	flat_load_ushort v38, v[38:39]
	s_waitcnt vmcnt(0) lgkmcnt(0)
	v_mul_f16_e32 v38, v54, v38
	v_cvt_f32_f16_e32 v39, v38
.LBB219_58:
	v_pk_add_f16 v38, v6, v46
	v_max_f16_e32 v43, v121, v121
	v_pk_add_f16 v45, v7, v47
	v_min_f16_e32 v43, v43, v38
	v_lshrrev_b32_e32 v44, 16, v121
	v_lshrrev_b32_e32 v38, 16, v38
	v_lshrrev_b32_e32 v53, 16, v45
	v_min3_f16 v38, v44, v38, v53
	v_min3_f16 v38, v43, v45, v38
	v_cvt_f32_f16_e32 v43, v38
	v_max_f32_e32 v39, v39, v39
	v_add_u32_e32 v38, 40, v28
	v_lshl_add_u64 v[44:45], v[40:41], 1, v[50:51]
	v_min_f32_e32 v39, v39, v43
	v_cvt_f16_f32_e32 v43, v39
	v_ashrrev_i32_e32 v39, 31, v38
	s_and_b64 vcc, exec, s[0:1]
	flat_store_short v[44:45], v43
	s_cbranch_vccnz .LBB219_60
; %bb.59:
	v_lshl_add_u64 v[42:43], v[38:39], 1, v[48:49]
	flat_load_ushort v42, v[42:43]
	s_waitcnt vmcnt(0) lgkmcnt(0)
	v_mul_f16_e32 v42, v54, v42
	v_cvt_f32_f16_e32 v42, v42
.LBB219_60:
	v_pk_add_f16 v43, v0, v46
	v_max_f16_e32 v44, v120, v120
	v_pk_add_f16 v53, v1, v47
	v_min_f16_e32 v44, v44, v43
	v_lshrrev_b32_e32 v45, 16, v120
	v_lshrrev_b32_e32 v43, 16, v43
	;; [unrolled: 1-line block ×3, first 2 shown]
	v_min3_f16 v43, v45, v43, v82
	v_min3_f16 v43, v44, v53, v43
	v_cvt_f32_f16_e32 v43, v43
	v_max_f32_e32 v42, v42, v42
	v_lshl_add_u64 v[44:45], v[38:39], 1, v[50:51]
	s_and_b64 vcc, exec, s[0:1]
	v_min_f32_e32 v42, v42, v43
	v_cvt_f16_f32_e32 v53, v42
	v_add_u32_e32 v42, 48, v28
	v_ashrrev_i32_e32 v43, 31, v42
	flat_store_short v[44:45], v53
	v_mov_b32_e32 v53, 0
	v_mov_b32_e32 v45, 0
	s_cbranch_vccnz .LBB219_62
; %bb.61:
	v_lshl_add_u64 v[44:45], v[42:43], 1, v[48:49]
	flat_load_ushort v44, v[44:45]
	s_waitcnt vmcnt(0) lgkmcnt(0)
	v_mul_f16_e32 v44, v54, v44
	v_cvt_f32_f16_e32 v45, v44
.LBB219_62:
	v_pk_add_f16 v44, v2, v46
	v_max_f16_e32 v82, v119, v119
	v_pk_add_f16 v87, v3, v47
	v_min_f16_e32 v82, v82, v44
	v_lshrrev_b32_e32 v83, 16, v119
	v_lshrrev_b32_e32 v44, 16, v44
	;; [unrolled: 1-line block ×3, first 2 shown]
	v_min3_f16 v44, v83, v44, v94
	v_min3_f16 v44, v82, v87, v44
	v_cvt_f32_f16_e32 v82, v44
	v_max_f32_e32 v45, v45, v45
	v_add_u32_e32 v44, 56, v28
	s_and_b64 vcc, exec, s[0:1]
	v_min_f32_e32 v45, v45, v82
	v_cvt_f16_f32_e32 v87, v45
	v_ashrrev_i32_e32 v45, 31, v44
	v_lshl_add_u64 v[82:83], v[42:43], 1, v[50:51]
	flat_store_short v[82:83], v87
	s_cbranch_vccnz .LBB219_64
; %bb.63:
	v_lshl_add_u64 v[48:49], v[44:45], 1, v[48:49]
	flat_load_ushort v48, v[48:49]
	s_waitcnt vmcnt(0) lgkmcnt(0)
	v_mul_f16_e32 v48, v54, v48
	v_cvt_f32_f16_e32 v53, v48
.LBB219_64:
	v_pk_add_f16 v46, v24, v46
	v_max_f16_e32 v48, v118, v118
	v_pk_add_f16 v47, v25, v47
	v_min_f16_e32 v48, v48, v46
	v_lshrrev_b32_e32 v49, 16, v118
	v_lshrrev_b32_e32 v46, 16, v46
	;; [unrolled: 1-line block ×3, first 2 shown]
	v_min3_f16 v46, v49, v46, v82
	v_min3_f16 v46, v48, v47, v46
	v_cvt_f32_f16_e32 v46, v46
	v_max_f32_e32 v47, v53, v53
	s_and_b64 vcc, exec, s[0:1]
	v_mov_b32_e32 v49, 0
	v_min_f32_e32 v46, v47, v46
	v_cvt_f16_f32_e32 v48, v46
	v_lshl_add_u64 v[46:47], v[44:45], 1, v[50:51]
	v_mov_b32_e32 v50, 0
	flat_store_short v[46:47], v48
	v_add_u32_e32 v48, 32, v52
	v_mad_i64_i32 v[46:47], s[4:5], v48, s6, 0
	v_lshl_add_u64 v[46:47], v[46:47], 1, s[10:11]
	s_cbranch_vccnz .LBB219_66
; %bb.65:
	v_lshl_add_u64 v[82:83], v[28:29], 1, v[46:47]
	flat_load_ushort v49, v[82:83]
	s_waitcnt vmcnt(0) lgkmcnt(0)
	v_mul_f16_e32 v49, v54, v49
	v_cvt_f32_f16_e32 v49, v49
.LBB219_66:
	v_pk_add_f16 v51, v30, v20
	v_max_f16_e32 v53, v117, v117
	v_pk_add_f16 v83, v31, v21
	v_min_f16_e32 v53, v53, v51
	v_lshrrev_b32_e32 v82, 16, v117
	v_lshrrev_b32_e32 v51, 16, v51
	;; [unrolled: 1-line block ×3, first 2 shown]
	v_min3_f16 v51, v82, v51, v87
	v_min3_f16 v51, v53, v83, v51
	v_cvt_f32_f16_e32 v51, v51
	v_mad_i64_i32 v[82:83], s[4:5], v48, s7, 0
	v_max_f32_e32 v48, v49, v49
	v_min_f32_e32 v48, v48, v51
	v_cvt_f16_f32_e32 v51, v48
	v_lshl_add_u64 v[48:49], v[82:83], 1, s[2:3]
	v_lshl_add_u64 v[82:83], v[28:29], 1, v[48:49]
	s_and_b64 vcc, exec, s[0:1]
	flat_store_short v[82:83], v51
	s_cbranch_vccnz .LBB219_68
; %bb.67:
	v_lshl_add_u64 v[50:51], v[32:33], 1, v[46:47]
	flat_load_ushort v50, v[50:51]
	s_waitcnt vmcnt(0) lgkmcnt(0)
	v_mul_f16_e32 v50, v54, v50
	v_cvt_f32_f16_e32 v50, v50
.LBB219_68:
	v_pk_add_f16 v51, v8, v20
	v_max_f16_e32 v53, v116, v116
	v_pk_add_f16 v83, v9, v21
	v_min_f16_e32 v53, v53, v51
	v_lshrrev_b32_e32 v82, 16, v116
	v_lshrrev_b32_e32 v51, 16, v51
	v_lshrrev_b32_e32 v87, 16, v83
	v_min3_f16 v51, v82, v51, v87
	v_min3_f16 v51, v53, v83, v51
	v_cvt_f32_f16_e32 v51, v51
	v_max_f32_e32 v50, v50, v50
	s_and_b64 vcc, exec, s[0:1]
	v_min_f32_e32 v50, v50, v51
	v_cvt_f16_f32_e32 v53, v50
	v_lshl_add_u64 v[50:51], v[32:33], 1, v[48:49]
	flat_store_short v[50:51], v53
	v_mov_b32_e32 v50, 0
	v_mov_b32_e32 v51, 0
	s_cbranch_vccnz .LBB219_70
; %bb.69:
	v_lshl_add_u64 v[82:83], v[34:35], 1, v[46:47]
	flat_load_ushort v51, v[82:83]
	s_waitcnt vmcnt(0) lgkmcnt(0)
	v_mul_f16_e32 v51, v54, v51
	v_cvt_f32_f16_e32 v51, v51
.LBB219_70:
	v_pk_add_f16 v53, v10, v20
	v_max_f16_e32 v82, v115, v115
	v_pk_add_f16 v87, v11, v21
	v_min_f16_e32 v82, v82, v53
	v_lshrrev_b32_e32 v83, 16, v115
	v_lshrrev_b32_e32 v53, 16, v53
	v_lshrrev_b32_e32 v94, 16, v87
	v_min3_f16 v53, v83, v53, v94
	v_min3_f16 v53, v82, v87, v53
	v_cvt_f32_f16_e32 v53, v53
	v_max_f32_e32 v51, v51, v51
	v_lshl_add_u64 v[82:83], v[34:35], 1, v[48:49]
	s_and_b64 vcc, exec, s[0:1]
	v_min_f32_e32 v51, v51, v53
	v_cvt_f16_f32_e32 v51, v51
	flat_store_short v[82:83], v51
	s_cbranch_vccnz .LBB219_72
; %bb.71:
	v_lshl_add_u64 v[50:51], v[36:37], 1, v[46:47]
	flat_load_ushort v50, v[50:51]
	s_waitcnt vmcnt(0) lgkmcnt(0)
	v_mul_f16_e32 v50, v54, v50
	v_cvt_f32_f16_e32 v50, v50
.LBB219_72:
	v_pk_add_f16 v51, v4, v20
	v_max_f16_e32 v53, v114, v114
	v_pk_add_f16 v83, v5, v21
	v_min_f16_e32 v53, v53, v51
	v_lshrrev_b32_e32 v82, 16, v114
	v_lshrrev_b32_e32 v51, 16, v51
	v_lshrrev_b32_e32 v87, 16, v83
	v_min3_f16 v51, v82, v51, v87
	v_min3_f16 v51, v53, v83, v51
	v_cvt_f32_f16_e32 v51, v51
	v_max_f32_e32 v50, v50, v50
	s_and_b64 vcc, exec, s[0:1]
	v_min_f32_e32 v50, v50, v51
	v_cvt_f16_f32_e32 v53, v50
	v_lshl_add_u64 v[50:51], v[36:37], 1, v[48:49]
	flat_store_short v[50:51], v53
	v_mov_b32_e32 v50, 0
	v_mov_b32_e32 v51, 0
	s_cbranch_vccnz .LBB219_74
; %bb.73:
	v_lshl_add_u64 v[82:83], v[40:41], 1, v[46:47]
	flat_load_ushort v51, v[82:83]
	s_waitcnt vmcnt(0) lgkmcnt(0)
	v_mul_f16_e32 v51, v54, v51
	v_cvt_f32_f16_e32 v51, v51
.LBB219_74:
	v_pk_add_f16 v53, v6, v20
	v_max_f16_e32 v82, v113, v113
	v_pk_add_f16 v87, v7, v21
	v_min_f16_e32 v82, v82, v53
	v_lshrrev_b32_e32 v83, 16, v113
	v_lshrrev_b32_e32 v53, 16, v53
	v_lshrrev_b32_e32 v94, 16, v87
	v_min3_f16 v53, v83, v53, v94
	v_min3_f16 v53, v82, v87, v53
	v_cvt_f32_f16_e32 v53, v53
	v_max_f32_e32 v51, v51, v51
	v_lshl_add_u64 v[82:83], v[40:41], 1, v[48:49]
	s_and_b64 vcc, exec, s[0:1]
	v_min_f32_e32 v51, v51, v53
	v_cvt_f16_f32_e32 v51, v51
	;; [unrolled: 50-line block ×3, first 2 shown]
	flat_store_short v[82:83], v51
	s_cbranch_vccnz .LBB219_80
; %bb.79:
	v_lshl_add_u64 v[46:47], v[44:45], 1, v[46:47]
	flat_load_ushort v46, v[46:47]
	s_waitcnt vmcnt(0) lgkmcnt(0)
	v_mul_f16_e32 v46, v54, v46
	v_cvt_f32_f16_e32 v50, v46
.LBB219_80:
	v_pk_add_f16 v20, v24, v20
	v_max_f16_e32 v46, v110, v110
	v_pk_add_f16 v21, v25, v21
	v_min_f16_e32 v46, v46, v20
	v_lshrrev_b32_e32 v47, 16, v110
	v_lshrrev_b32_e32 v20, 16, v20
	;; [unrolled: 1-line block ×3, first 2 shown]
	v_min3_f16 v20, v47, v20, v51
	v_min3_f16 v20, v46, v21, v20
	v_cvt_f32_f16_e32 v20, v20
	v_max_f32_e32 v21, v50, v50
	s_and_b64 vcc, exec, s[0:1]
	v_mov_b32_e32 v47, 0
	v_min_f32_e32 v20, v21, v20
	v_cvt_f16_f32_e32 v46, v20
	v_lshl_add_u64 v[20:21], v[44:45], 1, v[48:49]
	v_mov_b32_e32 v48, 0
	flat_store_short v[20:21], v46
	v_add_u32_e32 v46, 64, v52
	v_mad_i64_i32 v[20:21], s[4:5], v46, s6, 0
	v_lshl_add_u64 v[20:21], v[20:21], 1, s[10:11]
	s_cbranch_vccnz .LBB219_82
; %bb.81:
	v_lshl_add_u64 v[50:51], v[28:29], 1, v[20:21]
	flat_load_ushort v47, v[50:51]
	s_waitcnt vmcnt(0) lgkmcnt(0)
	v_mul_f16_e32 v47, v54, v47
	v_cvt_f32_f16_e32 v47, v47
.LBB219_82:
	v_pk_add_f16 v49, v30, v22
	v_max_f16_e32 v50, v109, v109
	v_pk_add_f16 v53, v31, v23
	v_min_f16_e32 v50, v50, v49
	v_lshrrev_b32_e32 v51, 16, v109
	v_lshrrev_b32_e32 v49, 16, v49
	;; [unrolled: 1-line block ×3, first 2 shown]
	v_min3_f16 v49, v51, v49, v82
	v_min3_f16 v49, v50, v53, v49
	v_cvt_f32_f16_e32 v49, v49
	v_mad_i64_i32 v[50:51], s[4:5], v46, s7, 0
	v_max_f32_e32 v46, v47, v47
	v_min_f32_e32 v46, v46, v49
	v_cvt_f16_f32_e32 v49, v46
	v_lshl_add_u64 v[46:47], v[50:51], 1, s[2:3]
	v_lshl_add_u64 v[50:51], v[28:29], 1, v[46:47]
	s_and_b64 vcc, exec, s[0:1]
	flat_store_short v[50:51], v49
	s_cbranch_vccnz .LBB219_84
; %bb.83:
	v_lshl_add_u64 v[48:49], v[32:33], 1, v[20:21]
	flat_load_ushort v48, v[48:49]
	s_waitcnt vmcnt(0) lgkmcnt(0)
	v_mul_f16_e32 v48, v54, v48
	v_cvt_f32_f16_e32 v48, v48
.LBB219_84:
	v_pk_add_f16 v49, v8, v22
	v_max_f16_e32 v50, v106, v106
	v_pk_add_f16 v53, v9, v23
	v_min_f16_e32 v50, v50, v49
	v_lshrrev_b32_e32 v51, 16, v106
	v_lshrrev_b32_e32 v49, 16, v49
	v_lshrrev_b32_e32 v82, 16, v53
	v_min3_f16 v49, v51, v49, v82
	v_min3_f16 v49, v50, v53, v49
	v_cvt_f32_f16_e32 v49, v49
	v_max_f32_e32 v48, v48, v48
	s_and_b64 vcc, exec, s[0:1]
	v_min_f32_e32 v48, v48, v49
	v_cvt_f16_f32_e32 v50, v48
	v_lshl_add_u64 v[48:49], v[32:33], 1, v[46:47]
	flat_store_short v[48:49], v50
	v_mov_b32_e32 v48, 0
	v_mov_b32_e32 v49, 0
	s_cbranch_vccnz .LBB219_86
; %bb.85:
	v_lshl_add_u64 v[50:51], v[34:35], 1, v[20:21]
	flat_load_ushort v49, v[50:51]
	s_waitcnt vmcnt(0) lgkmcnt(0)
	v_mul_f16_e32 v49, v54, v49
	v_cvt_f32_f16_e32 v49, v49
.LBB219_86:
	v_pk_add_f16 v50, v10, v22
	v_max_f16_e32 v51, v105, v105
	v_pk_add_f16 v82, v11, v23
	v_min_f16_e32 v51, v51, v50
	v_lshrrev_b32_e32 v53, 16, v105
	v_lshrrev_b32_e32 v50, 16, v50
	v_lshrrev_b32_e32 v83, 16, v82
	v_min3_f16 v50, v53, v50, v83
	v_min3_f16 v50, v51, v82, v50
	v_cvt_f32_f16_e32 v50, v50
	v_max_f32_e32 v49, v49, v49
	s_and_b64 vcc, exec, s[0:1]
	v_min_f32_e32 v49, v49, v50
	v_cvt_f16_f32_e32 v49, v49
	v_lshl_add_u64 v[50:51], v[34:35], 1, v[46:47]
	flat_store_short v[50:51], v49
	s_cbranch_vccnz .LBB219_88
; %bb.87:
	v_lshl_add_u64 v[48:49], v[36:37], 1, v[20:21]
	flat_load_ushort v48, v[48:49]
	s_waitcnt vmcnt(0) lgkmcnt(0)
	v_mul_f16_e32 v48, v54, v48
	v_cvt_f32_f16_e32 v48, v48
.LBB219_88:
	v_pk_add_f16 v49, v4, v22
	v_max_f16_e32 v50, v104, v104
	v_pk_add_f16 v53, v5, v23
	v_min_f16_e32 v50, v50, v49
	v_lshrrev_b32_e32 v51, 16, v104
	v_lshrrev_b32_e32 v49, 16, v49
	v_lshrrev_b32_e32 v82, 16, v53
	v_min3_f16 v49, v51, v49, v82
	v_min3_f16 v49, v50, v53, v49
	v_cvt_f32_f16_e32 v49, v49
	v_max_f32_e32 v48, v48, v48
	s_and_b64 vcc, exec, s[0:1]
	v_min_f32_e32 v48, v48, v49
	v_cvt_f16_f32_e32 v50, v48
	v_lshl_add_u64 v[48:49], v[36:37], 1, v[46:47]
	flat_store_short v[48:49], v50
	v_mov_b32_e32 v48, 0
	v_mov_b32_e32 v49, 0
	s_cbranch_vccnz .LBB219_90
; %bb.89:
	v_lshl_add_u64 v[50:51], v[40:41], 1, v[20:21]
	flat_load_ushort v49, v[50:51]
	s_waitcnt vmcnt(0) lgkmcnt(0)
	v_mul_f16_e32 v49, v54, v49
	v_cvt_f32_f16_e32 v49, v49
.LBB219_90:
	v_pk_add_f16 v50, v6, v22
	v_max_f16_e32 v51, v103, v103
	v_pk_add_f16 v82, v7, v23
	v_min_f16_e32 v51, v51, v50
	v_lshrrev_b32_e32 v53, 16, v103
	v_lshrrev_b32_e32 v50, 16, v50
	v_lshrrev_b32_e32 v83, 16, v82
	v_min3_f16 v50, v53, v50, v83
	v_min3_f16 v50, v51, v82, v50
	v_cvt_f32_f16_e32 v50, v50
	v_max_f32_e32 v49, v49, v49
	s_and_b64 vcc, exec, s[0:1]
	v_min_f32_e32 v49, v49, v50
	v_cvt_f16_f32_e32 v49, v49
	v_lshl_add_u64 v[50:51], v[40:41], 1, v[46:47]
	;; [unrolled: 50-line block ×3, first 2 shown]
	flat_store_short v[50:51], v49
	s_cbranch_vccnz .LBB219_96
; %bb.95:
	v_lshl_add_u64 v[20:21], v[44:45], 1, v[20:21]
	flat_load_ushort v20, v[20:21]
	s_waitcnt vmcnt(0) lgkmcnt(0)
	v_mul_f16_e32 v20, v54, v20
	v_cvt_f32_f16_e32 v48, v20
.LBB219_96:
	v_pk_add_f16 v20, v24, v22
	v_max_f16_e32 v21, v100, v100
	v_pk_add_f16 v23, v25, v23
	v_min_f16_e32 v21, v21, v20
	v_lshrrev_b32_e32 v22, 16, v100
	v_lshrrev_b32_e32 v20, 16, v20
	;; [unrolled: 1-line block ×3, first 2 shown]
	v_min3_f16 v20, v22, v20, v49
	v_min3_f16 v20, v21, v23, v20
	v_cvt_f32_f16_e32 v20, v20
	v_max_f32_e32 v21, v48, v48
	s_and_b64 vcc, exec, s[0:1]
	v_mov_b32_e32 v23, 0
	v_min_f32_e32 v20, v21, v20
	v_cvt_f16_f32_e32 v22, v20
	v_lshl_add_u64 v[20:21], v[44:45], 1, v[46:47]
	v_mov_b32_e32 v46, 0
	flat_store_short v[20:21], v22
	v_add_u32_e32 v22, 0x60, v52
	v_mad_i64_i32 v[20:21], s[4:5], v22, s6, 0
	v_lshl_add_u64 v[20:21], v[20:21], 1, s[10:11]
	s_cbranch_vccnz .LBB219_98
; %bb.97:
	v_lshl_add_u64 v[48:49], v[28:29], 1, v[20:21]
	flat_load_ushort v23, v[48:49]
	s_waitcnt vmcnt(0) lgkmcnt(0)
	v_mul_f16_e32 v23, v54, v23
	v_cvt_f32_f16_e32 v23, v23
.LBB219_98:
	v_pk_add_f16 v47, v30, v16
	v_max_f16_e32 v48, v99, v99
	v_pk_add_f16 v50, v31, v17
	v_min_f16_e32 v48, v48, v47
	v_lshrrev_b32_e32 v49, 16, v99
	v_lshrrev_b32_e32 v47, 16, v47
	;; [unrolled: 1-line block ×3, first 2 shown]
	v_min3_f16 v47, v49, v47, v51
	v_min3_f16 v47, v48, v50, v47
	v_cvt_f32_f16_e32 v47, v47
	v_mad_i64_i32 v[48:49], s[4:5], v22, s7, 0
	v_max_f32_e32 v22, v23, v23
	v_min_f32_e32 v22, v22, v47
	v_cvt_f16_f32_e32 v47, v22
	v_lshl_add_u64 v[22:23], v[48:49], 1, s[2:3]
	v_lshl_add_u64 v[48:49], v[28:29], 1, v[22:23]
	s_and_b64 vcc, exec, s[0:1]
	flat_store_short v[48:49], v47
	s_cbranch_vccnz .LBB219_100
; %bb.99:
	v_lshl_add_u64 v[46:47], v[32:33], 1, v[20:21]
	flat_load_ushort v46, v[46:47]
	s_waitcnt vmcnt(0) lgkmcnt(0)
	v_mul_f16_e32 v46, v54, v46
	v_cvt_f32_f16_e32 v46, v46
.LBB219_100:
	v_pk_add_f16 v47, v8, v16
	v_max_f16_e32 v48, v98, v98
	v_pk_add_f16 v50, v9, v17
	v_min_f16_e32 v48, v48, v47
	v_lshrrev_b32_e32 v49, 16, v98
	v_lshrrev_b32_e32 v47, 16, v47
	v_lshrrev_b32_e32 v51, 16, v50
	v_min3_f16 v47, v49, v47, v51
	v_min3_f16 v47, v48, v50, v47
	v_cvt_f32_f16_e32 v47, v47
	v_max_f32_e32 v46, v46, v46
	s_and_b64 vcc, exec, s[0:1]
	v_min_f32_e32 v46, v46, v47
	v_cvt_f16_f32_e32 v48, v46
	v_lshl_add_u64 v[46:47], v[32:33], 1, v[22:23]
	flat_store_short v[46:47], v48
	v_mov_b32_e32 v46, 0
	v_mov_b32_e32 v47, 0
	s_cbranch_vccnz .LBB219_102
; %bb.101:
	v_lshl_add_u64 v[48:49], v[34:35], 1, v[20:21]
	flat_load_ushort v47, v[48:49]
	s_waitcnt vmcnt(0) lgkmcnt(0)
	v_mul_f16_e32 v47, v54, v47
	v_cvt_f32_f16_e32 v47, v47
.LBB219_102:
	v_pk_add_f16 v48, v10, v16
	v_max_f16_e32 v49, v97, v97
	v_pk_add_f16 v51, v11, v17
	v_min_f16_e32 v49, v49, v48
	v_lshrrev_b32_e32 v50, 16, v97
	v_lshrrev_b32_e32 v48, 16, v48
	v_lshrrev_b32_e32 v53, 16, v51
	v_min3_f16 v48, v50, v48, v53
	v_min3_f16 v48, v49, v51, v48
	v_cvt_f32_f16_e32 v48, v48
	v_max_f32_e32 v47, v47, v47
	s_and_b64 vcc, exec, s[0:1]
	v_min_f32_e32 v47, v47, v48
	v_cvt_f16_f32_e32 v47, v47
	v_lshl_add_u64 v[48:49], v[34:35], 1, v[22:23]
	flat_store_short v[48:49], v47
	s_cbranch_vccnz .LBB219_104
; %bb.103:
	v_lshl_add_u64 v[46:47], v[36:37], 1, v[20:21]
	flat_load_ushort v46, v[46:47]
	s_waitcnt vmcnt(0) lgkmcnt(0)
	v_mul_f16_e32 v46, v54, v46
	v_cvt_f32_f16_e32 v46, v46
.LBB219_104:
	v_pk_add_f16 v47, v4, v16
	v_max_f16_e32 v48, v95, v95
	v_pk_add_f16 v50, v5, v17
	v_min_f16_e32 v48, v48, v47
	v_lshrrev_b32_e32 v49, 16, v95
	v_lshrrev_b32_e32 v47, 16, v47
	v_lshrrev_b32_e32 v51, 16, v50
	v_min3_f16 v47, v49, v47, v51
	v_min3_f16 v47, v48, v50, v47
	v_cvt_f32_f16_e32 v47, v47
	v_max_f32_e32 v46, v46, v46
	s_and_b64 vcc, exec, s[0:1]
	v_min_f32_e32 v46, v46, v47
	v_cvt_f16_f32_e32 v48, v46
	v_lshl_add_u64 v[46:47], v[36:37], 1, v[22:23]
	flat_store_short v[46:47], v48
	v_mov_b32_e32 v46, 0
	v_mov_b32_e32 v47, 0
	s_cbranch_vccnz .LBB219_106
; %bb.105:
	v_lshl_add_u64 v[48:49], v[40:41], 1, v[20:21]
	flat_load_ushort v47, v[48:49]
	s_waitcnt vmcnt(0) lgkmcnt(0)
	v_mul_f16_e32 v47, v54, v47
	v_cvt_f32_f16_e32 v47, v47
.LBB219_106:
	v_pk_add_f16 v48, v6, v16
	v_max_f16_e32 v49, v93, v93
	v_pk_add_f16 v51, v7, v17
	v_min_f16_e32 v49, v49, v48
	v_lshrrev_b32_e32 v50, 16, v93
	v_lshrrev_b32_e32 v48, 16, v48
	v_lshrrev_b32_e32 v53, 16, v51
	v_min3_f16 v48, v50, v48, v53
	v_min3_f16 v48, v49, v51, v48
	v_cvt_f32_f16_e32 v48, v48
	v_max_f32_e32 v47, v47, v47
	s_and_b64 vcc, exec, s[0:1]
	v_min_f32_e32 v47, v47, v48
	v_cvt_f16_f32_e32 v47, v47
	v_lshl_add_u64 v[48:49], v[40:41], 1, v[22:23]
	;; [unrolled: 50-line block ×3, first 2 shown]
	flat_store_short v[48:49], v47
	s_cbranch_vccnz .LBB219_112
; %bb.111:
	v_lshl_add_u64 v[20:21], v[44:45], 1, v[20:21]
	flat_load_ushort v20, v[20:21]
	s_waitcnt vmcnt(0) lgkmcnt(0)
	v_mul_f16_e32 v20, v54, v20
	v_cvt_f32_f16_e32 v46, v20
.LBB219_112:
	v_pk_add_f16 v16, v24, v16
	v_max_f16_e32 v20, v90, v90
	v_pk_add_f16 v17, v25, v17
	v_min_f16_e32 v20, v20, v16
	v_lshrrev_b32_e32 v21, 16, v90
	v_lshrrev_b32_e32 v16, 16, v16
	;; [unrolled: 1-line block ×3, first 2 shown]
	v_min3_f16 v16, v21, v16, v47
	v_min3_f16 v16, v20, v17, v16
	v_cvt_f32_f16_e32 v16, v16
	v_max_f32_e32 v17, v46, v46
	s_and_b64 vcc, exec, s[0:1]
	v_mov_b32_e32 v21, 0
	v_min_f32_e32 v16, v17, v16
	v_cvt_f16_f32_e32 v20, v16
	v_lshl_add_u64 v[16:17], v[44:45], 1, v[22:23]
	v_mov_b32_e32 v22, 0
	flat_store_short v[16:17], v20
	v_add_u32_e32 v20, 0x80, v52
	v_mad_i64_i32 v[16:17], s[4:5], v20, s6, 0
	v_lshl_add_u64 v[16:17], v[16:17], 1, s[10:11]
	s_cbranch_vccnz .LBB219_114
; %bb.113:
	v_lshl_add_u64 v[46:47], v[28:29], 1, v[16:17]
	flat_load_ushort v21, v[46:47]
	s_waitcnt vmcnt(0) lgkmcnt(0)
	v_mul_f16_e32 v21, v54, v21
	v_cvt_f32_f16_e32 v21, v21
.LBB219_114:
	v_pk_add_f16 v23, v30, v18
	v_max_f16_e32 v46, v89, v89
	v_pk_add_f16 v48, v31, v19
	v_min_f16_e32 v46, v46, v23
	v_lshrrev_b32_e32 v47, 16, v89
	v_lshrrev_b32_e32 v23, 16, v23
	;; [unrolled: 1-line block ×3, first 2 shown]
	v_min3_f16 v23, v47, v23, v49
	v_min3_f16 v23, v46, v48, v23
	v_cvt_f32_f16_e32 v23, v23
	v_mad_i64_i32 v[46:47], s[4:5], v20, s7, 0
	v_max_f32_e32 v20, v21, v21
	v_min_f32_e32 v20, v20, v23
	v_cvt_f16_f32_e32 v23, v20
	v_lshl_add_u64 v[20:21], v[46:47], 1, s[2:3]
	v_lshl_add_u64 v[46:47], v[28:29], 1, v[20:21]
	s_and_b64 vcc, exec, s[0:1]
	flat_store_short v[46:47], v23
	s_cbranch_vccnz .LBB219_116
; %bb.115:
	v_lshl_add_u64 v[22:23], v[32:33], 1, v[16:17]
	flat_load_ushort v22, v[22:23]
	s_waitcnt vmcnt(0) lgkmcnt(0)
	v_mul_f16_e32 v22, v54, v22
	v_cvt_f32_f16_e32 v22, v22
.LBB219_116:
	v_pk_add_f16 v23, v8, v18
	v_max_f16_e32 v46, v88, v88
	v_pk_add_f16 v48, v9, v19
	v_min_f16_e32 v46, v46, v23
	v_lshrrev_b32_e32 v47, 16, v88
	v_lshrrev_b32_e32 v23, 16, v23
	v_lshrrev_b32_e32 v49, 16, v48
	v_min3_f16 v23, v47, v23, v49
	v_min3_f16 v23, v46, v48, v23
	v_cvt_f32_f16_e32 v23, v23
	v_max_f32_e32 v22, v22, v22
	s_and_b64 vcc, exec, s[0:1]
	v_min_f32_e32 v22, v22, v23
	v_cvt_f16_f32_e32 v46, v22
	v_lshl_add_u64 v[22:23], v[32:33], 1, v[20:21]
	flat_store_short v[22:23], v46
	v_mov_b32_e32 v22, 0
	v_mov_b32_e32 v23, 0
	s_cbranch_vccnz .LBB219_118
; %bb.117:
	v_lshl_add_u64 v[46:47], v[34:35], 1, v[16:17]
	flat_load_ushort v23, v[46:47]
	s_waitcnt vmcnt(0) lgkmcnt(0)
	v_mul_f16_e32 v23, v54, v23
	v_cvt_f32_f16_e32 v23, v23
.LBB219_118:
	v_pk_add_f16 v46, v10, v18
	v_max_f16_e32 v47, v86, v86
	v_pk_add_f16 v49, v11, v19
	v_min_f16_e32 v47, v47, v46
	v_lshrrev_b32_e32 v48, 16, v86
	v_lshrrev_b32_e32 v46, 16, v46
	v_lshrrev_b32_e32 v50, 16, v49
	v_min3_f16 v46, v48, v46, v50
	v_min3_f16 v46, v47, v49, v46
	v_cvt_f32_f16_e32 v46, v46
	v_max_f32_e32 v23, v23, v23
	s_and_b64 vcc, exec, s[0:1]
	v_min_f32_e32 v23, v23, v46
	v_cvt_f16_f32_e32 v23, v23
	v_lshl_add_u64 v[46:47], v[34:35], 1, v[20:21]
	flat_store_short v[46:47], v23
	s_cbranch_vccnz .LBB219_120
; %bb.119:
	v_lshl_add_u64 v[22:23], v[36:37], 1, v[16:17]
	flat_load_ushort v22, v[22:23]
	s_waitcnt vmcnt(0) lgkmcnt(0)
	v_mul_f16_e32 v22, v54, v22
	v_cvt_f32_f16_e32 v22, v22
.LBB219_120:
	v_pk_add_f16 v23, v4, v18
	v_max_f16_e32 v46, v85, v85
	v_pk_add_f16 v48, v5, v19
	v_min_f16_e32 v46, v46, v23
	v_lshrrev_b32_e32 v47, 16, v85
	v_lshrrev_b32_e32 v23, 16, v23
	v_lshrrev_b32_e32 v49, 16, v48
	v_min3_f16 v23, v47, v23, v49
	v_min3_f16 v23, v46, v48, v23
	v_cvt_f32_f16_e32 v23, v23
	v_max_f32_e32 v22, v22, v22
	s_and_b64 vcc, exec, s[0:1]
	v_min_f32_e32 v22, v22, v23
	v_cvt_f16_f32_e32 v46, v22
	v_lshl_add_u64 v[22:23], v[36:37], 1, v[20:21]
	flat_store_short v[22:23], v46
	v_mov_b32_e32 v22, 0
	v_mov_b32_e32 v23, 0
	s_cbranch_vccnz .LBB219_122
; %bb.121:
	v_lshl_add_u64 v[46:47], v[40:41], 1, v[16:17]
	flat_load_ushort v23, v[46:47]
	s_waitcnt vmcnt(0) lgkmcnt(0)
	v_mul_f16_e32 v23, v54, v23
	v_cvt_f32_f16_e32 v23, v23
.LBB219_122:
	v_pk_add_f16 v46, v6, v18
	v_max_f16_e32 v47, v84, v84
	v_pk_add_f16 v49, v7, v19
	v_min_f16_e32 v47, v47, v46
	v_lshrrev_b32_e32 v48, 16, v84
	v_lshrrev_b32_e32 v46, 16, v46
	v_lshrrev_b32_e32 v50, 16, v49
	v_min3_f16 v46, v48, v46, v50
	v_min3_f16 v46, v47, v49, v46
	v_cvt_f32_f16_e32 v46, v46
	v_max_f32_e32 v23, v23, v23
	s_and_b64 vcc, exec, s[0:1]
	v_min_f32_e32 v23, v23, v46
	v_cvt_f16_f32_e32 v23, v23
	v_lshl_add_u64 v[46:47], v[40:41], 1, v[20:21]
	;; [unrolled: 50-line block ×3, first 2 shown]
	flat_store_short v[46:47], v23
	s_cbranch_vccnz .LBB219_128
; %bb.127:
	v_lshl_add_u64 v[16:17], v[44:45], 1, v[16:17]
	flat_load_ushort v16, v[16:17]
	s_waitcnt vmcnt(0) lgkmcnt(0)
	v_mul_f16_e32 v16, v54, v16
	v_cvt_f32_f16_e32 v22, v16
.LBB219_128:
	v_pk_add_f16 v16, v24, v18
	v_max_f16_e32 v17, v79, v79
	v_pk_add_f16 v19, v25, v19
	v_min_f16_e32 v17, v17, v16
	v_lshrrev_b32_e32 v18, 16, v79
	v_lshrrev_b32_e32 v16, 16, v16
	;; [unrolled: 1-line block ×3, first 2 shown]
	v_min3_f16 v16, v18, v16, v23
	v_min3_f16 v16, v17, v19, v16
	v_cvt_f32_f16_e32 v16, v16
	v_max_f32_e32 v17, v22, v22
	s_and_b64 vcc, exec, s[0:1]
	v_mov_b32_e32 v19, 0
	v_min_f32_e32 v16, v17, v16
	v_cvt_f16_f32_e32 v18, v16
	v_lshl_add_u64 v[16:17], v[44:45], 1, v[20:21]
	v_mov_b32_e32 v20, 0
	flat_store_short v[16:17], v18
	v_add_u32_e32 v18, 0xa0, v52
	v_mad_i64_i32 v[16:17], s[4:5], v18, s6, 0
	v_lshl_add_u64 v[16:17], v[16:17], 1, s[10:11]
	s_cbranch_vccnz .LBB219_130
; %bb.129:
	v_lshl_add_u64 v[22:23], v[28:29], 1, v[16:17]
	flat_load_ushort v19, v[22:23]
	s_waitcnt vmcnt(0) lgkmcnt(0)
	v_mul_f16_e32 v19, v54, v19
	v_cvt_f32_f16_e32 v19, v19
.LBB219_130:
	v_pk_add_f16 v21, v30, v12
	v_max_f16_e32 v22, v78, v78
	v_pk_add_f16 v46, v31, v13
	v_min_f16_e32 v22, v22, v21
	v_lshrrev_b32_e32 v23, 16, v78
	v_lshrrev_b32_e32 v21, 16, v21
	;; [unrolled: 1-line block ×3, first 2 shown]
	v_min3_f16 v21, v23, v21, v47
	v_min3_f16 v21, v22, v46, v21
	v_cvt_f32_f16_e32 v21, v21
	v_mad_i64_i32 v[22:23], s[4:5], v18, s7, 0
	v_max_f32_e32 v18, v19, v19
	v_min_f32_e32 v18, v18, v21
	v_cvt_f16_f32_e32 v21, v18
	v_lshl_add_u64 v[18:19], v[22:23], 1, s[2:3]
	v_lshl_add_u64 v[22:23], v[28:29], 1, v[18:19]
	s_and_b64 vcc, exec, s[0:1]
	flat_store_short v[22:23], v21
	s_cbranch_vccnz .LBB219_132
; %bb.131:
	v_lshl_add_u64 v[20:21], v[32:33], 1, v[16:17]
	flat_load_ushort v20, v[20:21]
	s_waitcnt vmcnt(0) lgkmcnt(0)
	v_mul_f16_e32 v20, v54, v20
	v_cvt_f32_f16_e32 v20, v20
.LBB219_132:
	v_pk_add_f16 v21, v8, v12
	v_max_f16_e32 v22, v77, v77
	v_pk_add_f16 v46, v9, v13
	v_min_f16_e32 v22, v22, v21
	v_lshrrev_b32_e32 v23, 16, v77
	v_lshrrev_b32_e32 v21, 16, v21
	v_lshrrev_b32_e32 v47, 16, v46
	v_min3_f16 v21, v23, v21, v47
	v_min3_f16 v21, v22, v46, v21
	v_cvt_f32_f16_e32 v21, v21
	v_max_f32_e32 v20, v20, v20
	s_and_b64 vcc, exec, s[0:1]
	v_min_f32_e32 v20, v20, v21
	v_cvt_f16_f32_e32 v22, v20
	v_lshl_add_u64 v[20:21], v[32:33], 1, v[18:19]
	flat_store_short v[20:21], v22
	v_mov_b32_e32 v20, 0
	v_mov_b32_e32 v21, 0
	s_cbranch_vccnz .LBB219_134
; %bb.133:
	v_lshl_add_u64 v[22:23], v[34:35], 1, v[16:17]
	flat_load_ushort v21, v[22:23]
	s_waitcnt vmcnt(0) lgkmcnt(0)
	v_mul_f16_e32 v21, v54, v21
	v_cvt_f32_f16_e32 v21, v21
.LBB219_134:
	v_pk_add_f16 v22, v10, v12
	v_max_f16_e32 v23, v76, v76
	v_pk_add_f16 v47, v11, v13
	v_min_f16_e32 v23, v23, v22
	v_lshrrev_b32_e32 v46, 16, v76
	v_lshrrev_b32_e32 v22, 16, v22
	v_lshrrev_b32_e32 v48, 16, v47
	v_min3_f16 v22, v46, v22, v48
	v_min3_f16 v22, v23, v47, v22
	v_cvt_f32_f16_e32 v22, v22
	v_max_f32_e32 v21, v21, v21
	s_and_b64 vcc, exec, s[0:1]
	v_min_f32_e32 v21, v21, v22
	v_cvt_f16_f32_e32 v21, v21
	v_lshl_add_u64 v[22:23], v[34:35], 1, v[18:19]
	flat_store_short v[22:23], v21
	s_cbranch_vccnz .LBB219_136
; %bb.135:
	v_lshl_add_u64 v[20:21], v[36:37], 1, v[16:17]
	flat_load_ushort v20, v[20:21]
	s_waitcnt vmcnt(0) lgkmcnt(0)
	v_mul_f16_e32 v20, v54, v20
	v_cvt_f32_f16_e32 v20, v20
.LBB219_136:
	v_pk_add_f16 v21, v4, v12
	v_max_f16_e32 v22, v75, v75
	v_pk_add_f16 v46, v5, v13
	v_min_f16_e32 v22, v22, v21
	v_lshrrev_b32_e32 v23, 16, v75
	v_lshrrev_b32_e32 v21, 16, v21
	v_lshrrev_b32_e32 v47, 16, v46
	v_min3_f16 v21, v23, v21, v47
	v_min3_f16 v21, v22, v46, v21
	v_cvt_f32_f16_e32 v21, v21
	v_max_f32_e32 v20, v20, v20
	s_and_b64 vcc, exec, s[0:1]
	v_min_f32_e32 v20, v20, v21
	v_cvt_f16_f32_e32 v22, v20
	v_lshl_add_u64 v[20:21], v[36:37], 1, v[18:19]
	flat_store_short v[20:21], v22
	v_mov_b32_e32 v20, 0
	v_mov_b32_e32 v21, 0
	s_cbranch_vccnz .LBB219_138
; %bb.137:
	v_lshl_add_u64 v[22:23], v[40:41], 1, v[16:17]
	flat_load_ushort v21, v[22:23]
	s_waitcnt vmcnt(0) lgkmcnt(0)
	v_mul_f16_e32 v21, v54, v21
	v_cvt_f32_f16_e32 v21, v21
.LBB219_138:
	v_pk_add_f16 v22, v6, v12
	v_max_f16_e32 v23, v74, v74
	v_pk_add_f16 v47, v7, v13
	v_min_f16_e32 v23, v23, v22
	v_lshrrev_b32_e32 v46, 16, v74
	v_lshrrev_b32_e32 v22, 16, v22
	v_lshrrev_b32_e32 v48, 16, v47
	v_min3_f16 v22, v46, v22, v48
	v_min3_f16 v22, v23, v47, v22
	v_cvt_f32_f16_e32 v22, v22
	v_max_f32_e32 v21, v21, v21
	s_and_b64 vcc, exec, s[0:1]
	v_min_f32_e32 v21, v21, v22
	v_cvt_f16_f32_e32 v21, v21
	v_lshl_add_u64 v[22:23], v[40:41], 1, v[18:19]
	;; [unrolled: 50-line block ×3, first 2 shown]
	flat_store_short v[22:23], v21
	s_cbranch_vccnz .LBB219_144
; %bb.143:
	v_lshl_add_u64 v[16:17], v[44:45], 1, v[16:17]
	flat_load_ushort v16, v[16:17]
	s_waitcnt vmcnt(0) lgkmcnt(0)
	v_mul_f16_e32 v16, v54, v16
	v_cvt_f32_f16_e32 v20, v16
.LBB219_144:
	v_pk_add_f16 v12, v24, v12
	v_max_f16_e32 v16, v71, v71
	v_pk_add_f16 v13, v25, v13
	v_min_f16_e32 v16, v16, v12
	v_lshrrev_b32_e32 v17, 16, v71
	v_lshrrev_b32_e32 v12, 16, v12
	;; [unrolled: 1-line block ×3, first 2 shown]
	v_min3_f16 v12, v17, v12, v21
	v_min3_f16 v12, v16, v13, v12
	v_cvt_f32_f16_e32 v12, v12
	v_max_f32_e32 v13, v20, v20
	s_and_b64 vcc, exec, s[0:1]
	v_mov_b32_e32 v17, 0
	v_min_f32_e32 v12, v13, v12
	v_cvt_f16_f32_e32 v16, v12
	v_lshl_add_u64 v[12:13], v[44:45], 1, v[18:19]
	v_mov_b32_e32 v18, 0
	flat_store_short v[12:13], v16
	v_add_u32_e32 v16, 0xc0, v52
	v_mad_i64_i32 v[12:13], s[4:5], v16, s6, 0
	v_lshl_add_u64 v[12:13], v[12:13], 1, s[10:11]
	s_cbranch_vccnz .LBB219_146
; %bb.145:
	v_lshl_add_u64 v[20:21], v[28:29], 1, v[12:13]
	flat_load_ushort v17, v[20:21]
	s_waitcnt vmcnt(0) lgkmcnt(0)
	v_mul_f16_e32 v17, v54, v17
	v_cvt_f32_f16_e32 v17, v17
.LBB219_146:
	v_pk_add_f16 v19, v30, v14
	v_max_f16_e32 v20, v70, v70
	v_pk_add_f16 v22, v31, v15
	v_min_f16_e32 v20, v20, v19
	v_lshrrev_b32_e32 v21, 16, v70
	v_lshrrev_b32_e32 v19, 16, v19
	;; [unrolled: 1-line block ×3, first 2 shown]
	v_min3_f16 v19, v21, v19, v23
	v_min3_f16 v19, v20, v22, v19
	v_cvt_f32_f16_e32 v19, v19
	v_mad_i64_i32 v[20:21], s[4:5], v16, s7, 0
	v_max_f32_e32 v16, v17, v17
	v_min_f32_e32 v16, v16, v19
	v_cvt_f16_f32_e32 v19, v16
	v_lshl_add_u64 v[16:17], v[20:21], 1, s[2:3]
	v_lshl_add_u64 v[20:21], v[28:29], 1, v[16:17]
	s_and_b64 vcc, exec, s[0:1]
	flat_store_short v[20:21], v19
	s_cbranch_vccnz .LBB219_148
; %bb.147:
	v_lshl_add_u64 v[18:19], v[32:33], 1, v[12:13]
	flat_load_ushort v18, v[18:19]
	s_waitcnt vmcnt(0) lgkmcnt(0)
	v_mul_f16_e32 v18, v54, v18
	v_cvt_f32_f16_e32 v18, v18
.LBB219_148:
	v_pk_add_f16 v19, v8, v14
	v_max_f16_e32 v20, v69, v69
	v_pk_add_f16 v22, v9, v15
	v_min_f16_e32 v20, v20, v19
	v_lshrrev_b32_e32 v21, 16, v69
	v_lshrrev_b32_e32 v19, 16, v19
	v_lshrrev_b32_e32 v23, 16, v22
	v_min3_f16 v19, v21, v19, v23
	v_min3_f16 v19, v20, v22, v19
	v_cvt_f32_f16_e32 v19, v19
	v_max_f32_e32 v18, v18, v18
	s_and_b64 vcc, exec, s[0:1]
	v_min_f32_e32 v18, v18, v19
	v_cvt_f16_f32_e32 v20, v18
	v_lshl_add_u64 v[18:19], v[32:33], 1, v[16:17]
	flat_store_short v[18:19], v20
	v_mov_b32_e32 v18, 0
	v_mov_b32_e32 v19, 0
	s_cbranch_vccnz .LBB219_150
; %bb.149:
	v_lshl_add_u64 v[20:21], v[34:35], 1, v[12:13]
	flat_load_ushort v19, v[20:21]
	s_waitcnt vmcnt(0) lgkmcnt(0)
	v_mul_f16_e32 v19, v54, v19
	v_cvt_f32_f16_e32 v19, v19
.LBB219_150:
	v_pk_add_f16 v20, v10, v14
	v_max_f16_e32 v21, v68, v68
	v_pk_add_f16 v23, v11, v15
	v_min_f16_e32 v21, v21, v20
	v_lshrrev_b32_e32 v22, 16, v68
	v_lshrrev_b32_e32 v20, 16, v20
	v_lshrrev_b32_e32 v46, 16, v23
	v_min3_f16 v20, v22, v20, v46
	v_min3_f16 v20, v21, v23, v20
	v_cvt_f32_f16_e32 v20, v20
	v_max_f32_e32 v19, v19, v19
	s_and_b64 vcc, exec, s[0:1]
	v_min_f32_e32 v19, v19, v20
	v_cvt_f16_f32_e32 v19, v19
	v_lshl_add_u64 v[20:21], v[34:35], 1, v[16:17]
	flat_store_short v[20:21], v19
	s_cbranch_vccnz .LBB219_152
; %bb.151:
	v_lshl_add_u64 v[18:19], v[36:37], 1, v[12:13]
	flat_load_ushort v18, v[18:19]
	s_waitcnt vmcnt(0) lgkmcnt(0)
	v_mul_f16_e32 v18, v54, v18
	v_cvt_f32_f16_e32 v18, v18
.LBB219_152:
	v_pk_add_f16 v19, v4, v14
	v_max_f16_e32 v20, v67, v67
	v_pk_add_f16 v22, v5, v15
	v_min_f16_e32 v20, v20, v19
	v_lshrrev_b32_e32 v21, 16, v67
	v_lshrrev_b32_e32 v19, 16, v19
	v_lshrrev_b32_e32 v23, 16, v22
	v_min3_f16 v19, v21, v19, v23
	v_min3_f16 v19, v20, v22, v19
	v_cvt_f32_f16_e32 v19, v19
	v_max_f32_e32 v18, v18, v18
	s_and_b64 vcc, exec, s[0:1]
	v_min_f32_e32 v18, v18, v19
	v_cvt_f16_f32_e32 v20, v18
	v_lshl_add_u64 v[18:19], v[36:37], 1, v[16:17]
	flat_store_short v[18:19], v20
	v_mov_b32_e32 v18, 0
	v_mov_b32_e32 v19, 0
	s_cbranch_vccnz .LBB219_154
; %bb.153:
	v_lshl_add_u64 v[20:21], v[40:41], 1, v[12:13]
	flat_load_ushort v19, v[20:21]
	s_waitcnt vmcnt(0) lgkmcnt(0)
	v_mul_f16_e32 v19, v54, v19
	v_cvt_f32_f16_e32 v19, v19
.LBB219_154:
	v_pk_add_f16 v20, v6, v14
	v_max_f16_e32 v21, v66, v66
	v_pk_add_f16 v23, v7, v15
	v_min_f16_e32 v21, v21, v20
	v_lshrrev_b32_e32 v22, 16, v66
	v_lshrrev_b32_e32 v20, 16, v20
	v_lshrrev_b32_e32 v46, 16, v23
	v_min3_f16 v20, v22, v20, v46
	v_min3_f16 v20, v21, v23, v20
	v_cvt_f32_f16_e32 v20, v20
	v_max_f32_e32 v19, v19, v19
	s_and_b64 vcc, exec, s[0:1]
	v_min_f32_e32 v19, v19, v20
	v_cvt_f16_f32_e32 v19, v19
	v_lshl_add_u64 v[20:21], v[40:41], 1, v[16:17]
	;; [unrolled: 50-line block ×3, first 2 shown]
	flat_store_short v[20:21], v19
	s_cbranch_vccnz .LBB219_160
; %bb.159:
	v_lshl_add_u64 v[12:13], v[44:45], 1, v[12:13]
	flat_load_ushort v12, v[12:13]
	s_waitcnt vmcnt(0) lgkmcnt(0)
	v_mul_f16_e32 v12, v54, v12
	v_cvt_f32_f16_e32 v18, v12
.LBB219_160:
	v_pk_add_f16 v12, v24, v14
	v_max_f16_e32 v13, v63, v63
	v_pk_add_f16 v15, v25, v15
	v_min_f16_e32 v13, v13, v12
	v_lshrrev_b32_e32 v14, 16, v63
	v_lshrrev_b32_e32 v12, 16, v12
	;; [unrolled: 1-line block ×3, first 2 shown]
	v_min3_f16 v12, v14, v12, v19
	v_min3_f16 v12, v13, v15, v12
	v_cvt_f32_f16_e32 v12, v12
	v_max_f32_e32 v13, v18, v18
	s_and_b64 vcc, exec, s[0:1]
	v_mov_b32_e32 v15, 0
	v_min_f32_e32 v12, v13, v12
	v_cvt_f16_f32_e32 v14, v12
	v_lshl_add_u64 v[12:13], v[44:45], 1, v[16:17]
	v_mov_b32_e32 v16, 0
	flat_store_short v[12:13], v14
	v_add_u32_e32 v14, 0xe0, v52
	v_mad_i64_i32 v[12:13], s[4:5], v14, s6, 0
	v_lshl_add_u64 v[12:13], v[12:13], 1, s[10:11]
	s_cbranch_vccnz .LBB219_162
; %bb.161:
	v_lshl_add_u64 v[18:19], v[28:29], 1, v[12:13]
	flat_load_ushort v15, v[18:19]
	s_waitcnt vmcnt(0) lgkmcnt(0)
	v_mul_f16_e32 v15, v54, v15
	v_cvt_f32_f16_e32 v15, v15
.LBB219_162:
	v_pk_add_f16 v17, v30, v26
	v_max_f16_e32 v18, v62, v62
	v_pk_add_f16 v20, v31, v27
	v_min_f16_e32 v18, v18, v17
	v_lshrrev_b32_e32 v19, 16, v62
	v_lshrrev_b32_e32 v17, 16, v17
	;; [unrolled: 1-line block ×3, first 2 shown]
	v_min3_f16 v17, v19, v17, v21
	v_min3_f16 v17, v18, v20, v17
	v_cvt_f32_f16_e32 v17, v17
	v_mad_i64_i32 v[18:19], s[4:5], v14, s7, 0
	v_max_f32_e32 v14, v15, v15
	v_min_f32_e32 v14, v14, v17
	v_cvt_f16_f32_e32 v17, v14
	v_lshl_add_u64 v[14:15], v[18:19], 1, s[2:3]
	v_lshl_add_u64 v[18:19], v[28:29], 1, v[14:15]
	s_and_b64 vcc, exec, s[0:1]
	flat_store_short v[18:19], v17
	s_cbranch_vccnz .LBB219_164
; %bb.163:
	v_lshl_add_u64 v[16:17], v[32:33], 1, v[12:13]
	flat_load_ushort v16, v[16:17]
	s_waitcnt vmcnt(0) lgkmcnt(0)
	v_mul_f16_e32 v16, v54, v16
	v_cvt_f32_f16_e32 v16, v16
.LBB219_164:
	v_pk_add_f16 v8, v8, v26
	v_max_f16_e32 v17, v61, v61
	v_pk_add_f16 v9, v9, v27
	v_min_f16_e32 v17, v17, v8
	v_lshrrev_b32_e32 v18, 16, v61
	v_lshrrev_b32_e32 v8, 16, v8
	;; [unrolled: 1-line block ×3, first 2 shown]
	v_min3_f16 v8, v18, v8, v19
	v_min3_f16 v8, v17, v9, v8
	v_cvt_f32_f16_e32 v8, v8
	v_max_f32_e32 v9, v16, v16
	s_and_b64 vcc, exec, s[0:1]
	v_min_f32_e32 v8, v9, v8
	v_cvt_f16_f32_e32 v16, v8
	v_lshl_add_u64 v[8:9], v[32:33], 1, v[14:15]
	flat_store_short v[8:9], v16
	v_mov_b32_e32 v8, 0
	v_mov_b32_e32 v9, 0
	s_cbranch_vccnz .LBB219_166
; %bb.165:
	v_lshl_add_u64 v[16:17], v[34:35], 1, v[12:13]
	flat_load_ushort v9, v[16:17]
	s_waitcnt vmcnt(0) lgkmcnt(0)
	v_mul_f16_e32 v9, v54, v9
	v_cvt_f32_f16_e32 v9, v9
.LBB219_166:
	v_pk_add_f16 v10, v10, v26
	v_max_f16_e32 v16, v59, v59
	v_pk_add_f16 v11, v11, v27
	v_min_f16_e32 v16, v16, v10
	v_lshrrev_b32_e32 v17, 16, v59
	v_lshrrev_b32_e32 v10, 16, v10
	;; [unrolled: 1-line block ×3, first 2 shown]
	v_min3_f16 v10, v17, v10, v18
	v_min3_f16 v10, v16, v11, v10
	v_cvt_f32_f16_e32 v10, v10
	v_max_f32_e32 v9, v9, v9
	s_and_b64 vcc, exec, s[0:1]
	v_min_f32_e32 v9, v9, v10
	v_cvt_f16_f32_e32 v9, v9
	v_lshl_add_u64 v[10:11], v[34:35], 1, v[14:15]
	flat_store_short v[10:11], v9
	s_cbranch_vccnz .LBB219_168
; %bb.167:
	v_lshl_add_u64 v[8:9], v[36:37], 1, v[12:13]
	flat_load_ushort v8, v[8:9]
	s_waitcnt vmcnt(0) lgkmcnt(0)
	v_mul_f16_e32 v8, v54, v8
	v_cvt_f32_f16_e32 v8, v8
.LBB219_168:
	v_pk_add_f16 v4, v4, v26
	v_max_f16_e32 v9, v58, v58
	v_pk_add_f16 v5, v5, v27
	v_min_f16_e32 v9, v9, v4
	v_lshrrev_b32_e32 v10, 16, v58
	v_lshrrev_b32_e32 v4, 16, v4
	;; [unrolled: 1-line block ×3, first 2 shown]
	v_min3_f16 v4, v10, v4, v11
	v_min3_f16 v4, v9, v5, v4
	v_cvt_f32_f16_e32 v4, v4
	v_max_f32_e32 v5, v8, v8
	s_and_b64 vcc, exec, s[0:1]
	v_min_f32_e32 v4, v5, v4
	v_cvt_f16_f32_e32 v8, v4
	v_lshl_add_u64 v[4:5], v[36:37], 1, v[14:15]
	flat_store_short v[4:5], v8
	v_mov_b32_e32 v4, 0
	v_mov_b32_e32 v5, 0
	s_cbranch_vccnz .LBB219_170
; %bb.169:
	v_lshl_add_u64 v[8:9], v[40:41], 1, v[12:13]
	flat_load_ushort v5, v[8:9]
	s_waitcnt vmcnt(0) lgkmcnt(0)
	v_mul_f16_e32 v5, v54, v5
	v_cvt_f32_f16_e32 v5, v5
.LBB219_170:
	v_pk_add_f16 v6, v6, v26
	v_max_f16_e32 v8, v57, v57
	v_pk_add_f16 v7, v7, v27
	v_min_f16_e32 v8, v8, v6
	v_lshrrev_b32_e32 v9, 16, v57
	v_lshrrev_b32_e32 v6, 16, v6
	v_lshrrev_b32_e32 v10, 16, v7
	v_min3_f16 v6, v9, v6, v10
	v_min3_f16 v6, v8, v7, v6
	v_cvt_f32_f16_e32 v6, v6
	v_max_f32_e32 v5, v5, v5
	s_and_b64 vcc, exec, s[0:1]
	v_min_f32_e32 v5, v5, v6
	v_cvt_f16_f32_e32 v5, v5
	v_lshl_add_u64 v[6:7], v[40:41], 1, v[14:15]
	flat_store_short v[6:7], v5
	s_cbranch_vccnz .LBB219_172
; %bb.171:
	v_lshl_add_u64 v[4:5], v[38:39], 1, v[12:13]
	flat_load_ushort v4, v[4:5]
	s_waitcnt vmcnt(0) lgkmcnt(0)
	v_mul_f16_e32 v4, v54, v4
	v_cvt_f32_f16_e32 v4, v4
.LBB219_172:
	v_pk_add_f16 v0, v0, v26
	v_max_f16_e32 v5, v55, v55
	v_pk_add_f16 v1, v1, v27
	v_min_f16_e32 v5, v5, v0
	v_lshrrev_b32_e32 v6, 16, v55
	v_lshrrev_b32_e32 v0, 16, v0
	;; [unrolled: 1-line block ×3, first 2 shown]
	v_min3_f16 v0, v6, v0, v7
	v_min3_f16 v0, v5, v1, v0
	v_cvt_f32_f16_e32 v0, v0
	v_max_f32_e32 v4, v4, v4
	v_pk_add_f16 v1, v2, v26
	v_max_f16_e32 v2, v56, v56
	v_min_f32_e32 v0, v4, v0
	v_cvt_f16_f32_e32 v4, v0
	v_pk_add_f16 v3, v3, v27
	v_min_f16_e32 v2, v2, v1
	v_lshrrev_b32_e32 v5, 16, v56
	v_lshrrev_b32_e32 v1, 16, v1
	;; [unrolled: 1-line block ×3, first 2 shown]
	v_min3_f16 v5, v5, v1, v0
	v_lshl_add_u64 v[0:1], v[38:39], 1, v[14:15]
	flat_store_short v[0:1], v4
	v_min3_f16 v0, v2, v3, v5
	s_mov_b64 s[0:1], -1
	s_mov_b64 vcc, s[8:9]
	s_cbranch_vccz .LBB219_174
; %bb.173:
	v_cvt_f32_f16_e32 v1, v0
	v_lshl_add_u64 v[2:3], v[42:43], 1, v[14:15]
	s_mov_b64 s[0:1], 0
	v_min_f32_e32 v1, 0, v1
	v_cvt_f16_f32_e32 v1, v1
	flat_store_short v[2:3], v1
.LBB219_174:
	s_andn2_b64 vcc, exec, s[0:1]
	v_mov_b32_e32 v1, 0
	s_cbranch_vccnz .LBB219_176
; %bb.175:
	v_lshlrev_b64 v[2:3], 1, v[42:43]
	v_lshl_add_u64 v[4:5], v[12:13], 0, v[2:3]
	flat_load_ushort v4, v[4:5]
	v_max_f16_e32 v5, v0, v0
	v_lshl_add_u64 v[0:1], v[14:15], 0, v[2:3]
	s_waitcnt vmcnt(0) lgkmcnt(0)
	v_mul_f16_e32 v2, v54, v4
	v_min_f16_e32 v2, v2, v5
	flat_store_short v[0:1], v2
	v_lshl_add_u64 v[0:1], v[44:45], 1, v[12:13]
	flat_load_ushort v0, v[0:1]
	s_waitcnt vmcnt(0) lgkmcnt(0)
	v_mul_f16_e32 v0, v54, v0
	v_cvt_f32_f16_e32 v1, v0
.LBB219_176:
	v_pk_add_f16 v0, v24, v26
	v_max_f16_e32 v2, v60, v60
	v_pk_add_f16 v3, v25, v27
	v_min_f16_e32 v2, v2, v0
	v_lshrrev_b32_e32 v4, 16, v60
	v_lshrrev_b32_e32 v0, 16, v0
	;; [unrolled: 1-line block ×3, first 2 shown]
	v_min3_f16 v0, v4, v0, v5
	v_min3_f16 v0, v2, v3, v0
	v_cvt_f32_f16_e32 v0, v0
	v_max_f32_e32 v1, v1, v1
	v_min_f32_e32 v0, v1, v0
	v_cvt_f16_f32_e32 v2, v0
	v_lshl_add_u64 v[0:1], v[44:45], 1, v[14:15]
	flat_store_short v[0:1], v2
	s_endpgm
	.section	.rodata,"a",@progbits
	.p2align	6, 0x0
	.amdhsa_kernel _ZN12_GLOBAL__N_120geam_min_plus_kernelIDF16_Dv2_DF16_S1_Li8ELi32ELi64ELi256ELi4ELi64ELi4ELi64ELi4ELc78ELc84ELb0ELb0ELb1EPKDF16_KS3_KPDF16_EEviiiT16_PT17_ilS9_ilS7_S9_ilPT18_ili26rocblas_geam_ex_operation_
		.amdhsa_group_segment_fixed_size 5120
		.amdhsa_private_segment_fixed_size 0
		.amdhsa_kernarg_size 136
		.amdhsa_user_sgpr_count 2
		.amdhsa_user_sgpr_dispatch_ptr 0
		.amdhsa_user_sgpr_queue_ptr 0
		.amdhsa_user_sgpr_kernarg_segment_ptr 1
		.amdhsa_user_sgpr_dispatch_id 0
		.amdhsa_user_sgpr_kernarg_preload_length 0
		.amdhsa_user_sgpr_kernarg_preload_offset 0
		.amdhsa_user_sgpr_private_segment_size 0
		.amdhsa_uses_dynamic_stack 0
		.amdhsa_enable_private_segment 0
		.amdhsa_system_sgpr_workgroup_id_x 1
		.amdhsa_system_sgpr_workgroup_id_y 0
		.amdhsa_system_sgpr_workgroup_id_z 1
		.amdhsa_system_sgpr_workgroup_info 0
		.amdhsa_system_vgpr_workitem_id 1
		.amdhsa_next_free_vgpr 179
		.amdhsa_next_free_sgpr 28
		.amdhsa_accum_offset 180
		.amdhsa_reserve_vcc 1
		.amdhsa_float_round_mode_32 0
		.amdhsa_float_round_mode_16_64 0
		.amdhsa_float_denorm_mode_32 3
		.amdhsa_float_denorm_mode_16_64 3
		.amdhsa_dx10_clamp 1
		.amdhsa_ieee_mode 1
		.amdhsa_fp16_overflow 0
		.amdhsa_tg_split 0
		.amdhsa_exception_fp_ieee_invalid_op 0
		.amdhsa_exception_fp_denorm_src 0
		.amdhsa_exception_fp_ieee_div_zero 0
		.amdhsa_exception_fp_ieee_overflow 0
		.amdhsa_exception_fp_ieee_underflow 0
		.amdhsa_exception_fp_ieee_inexact 0
		.amdhsa_exception_int_div_zero 0
	.end_amdhsa_kernel
	.section	.text._ZN12_GLOBAL__N_120geam_min_plus_kernelIDF16_Dv2_DF16_S1_Li8ELi32ELi64ELi256ELi4ELi64ELi4ELi64ELi4ELc78ELc84ELb0ELb0ELb1EPKDF16_KS3_KPDF16_EEviiiT16_PT17_ilS9_ilS7_S9_ilPT18_ili26rocblas_geam_ex_operation_,"axG",@progbits,_ZN12_GLOBAL__N_120geam_min_plus_kernelIDF16_Dv2_DF16_S1_Li8ELi32ELi64ELi256ELi4ELi64ELi4ELi64ELi4ELc78ELc84ELb0ELb0ELb1EPKDF16_KS3_KPDF16_EEviiiT16_PT17_ilS9_ilS7_S9_ilPT18_ili26rocblas_geam_ex_operation_,comdat
.Lfunc_end219:
	.size	_ZN12_GLOBAL__N_120geam_min_plus_kernelIDF16_Dv2_DF16_S1_Li8ELi32ELi64ELi256ELi4ELi64ELi4ELi64ELi4ELc78ELc84ELb0ELb0ELb1EPKDF16_KS3_KPDF16_EEviiiT16_PT17_ilS9_ilS7_S9_ilPT18_ili26rocblas_geam_ex_operation_, .Lfunc_end219-_ZN12_GLOBAL__N_120geam_min_plus_kernelIDF16_Dv2_DF16_S1_Li8ELi32ELi64ELi256ELi4ELi64ELi4ELi64ELi4ELc78ELc84ELb0ELb0ELb1EPKDF16_KS3_KPDF16_EEviiiT16_PT17_ilS9_ilS7_S9_ilPT18_ili26rocblas_geam_ex_operation_
                                        ; -- End function
	.set _ZN12_GLOBAL__N_120geam_min_plus_kernelIDF16_Dv2_DF16_S1_Li8ELi32ELi64ELi256ELi4ELi64ELi4ELi64ELi4ELc78ELc84ELb0ELb0ELb1EPKDF16_KS3_KPDF16_EEviiiT16_PT17_ilS9_ilS7_S9_ilPT18_ili26rocblas_geam_ex_operation_.num_vgpr, 179
	.set _ZN12_GLOBAL__N_120geam_min_plus_kernelIDF16_Dv2_DF16_S1_Li8ELi32ELi64ELi256ELi4ELi64ELi4ELi64ELi4ELc78ELc84ELb0ELb0ELb1EPKDF16_KS3_KPDF16_EEviiiT16_PT17_ilS9_ilS7_S9_ilPT18_ili26rocblas_geam_ex_operation_.num_agpr, 0
	.set _ZN12_GLOBAL__N_120geam_min_plus_kernelIDF16_Dv2_DF16_S1_Li8ELi32ELi64ELi256ELi4ELi64ELi4ELi64ELi4ELc78ELc84ELb0ELb0ELb1EPKDF16_KS3_KPDF16_EEviiiT16_PT17_ilS9_ilS7_S9_ilPT18_ili26rocblas_geam_ex_operation_.numbered_sgpr, 28
	.set _ZN12_GLOBAL__N_120geam_min_plus_kernelIDF16_Dv2_DF16_S1_Li8ELi32ELi64ELi256ELi4ELi64ELi4ELi64ELi4ELc78ELc84ELb0ELb0ELb1EPKDF16_KS3_KPDF16_EEviiiT16_PT17_ilS9_ilS7_S9_ilPT18_ili26rocblas_geam_ex_operation_.num_named_barrier, 0
	.set _ZN12_GLOBAL__N_120geam_min_plus_kernelIDF16_Dv2_DF16_S1_Li8ELi32ELi64ELi256ELi4ELi64ELi4ELi64ELi4ELc78ELc84ELb0ELb0ELb1EPKDF16_KS3_KPDF16_EEviiiT16_PT17_ilS9_ilS7_S9_ilPT18_ili26rocblas_geam_ex_operation_.private_seg_size, 0
	.set _ZN12_GLOBAL__N_120geam_min_plus_kernelIDF16_Dv2_DF16_S1_Li8ELi32ELi64ELi256ELi4ELi64ELi4ELi64ELi4ELc78ELc84ELb0ELb0ELb1EPKDF16_KS3_KPDF16_EEviiiT16_PT17_ilS9_ilS7_S9_ilPT18_ili26rocblas_geam_ex_operation_.uses_vcc, 1
	.set _ZN12_GLOBAL__N_120geam_min_plus_kernelIDF16_Dv2_DF16_S1_Li8ELi32ELi64ELi256ELi4ELi64ELi4ELi64ELi4ELc78ELc84ELb0ELb0ELb1EPKDF16_KS3_KPDF16_EEviiiT16_PT17_ilS9_ilS7_S9_ilPT18_ili26rocblas_geam_ex_operation_.uses_flat_scratch, 0
	.set _ZN12_GLOBAL__N_120geam_min_plus_kernelIDF16_Dv2_DF16_S1_Li8ELi32ELi64ELi256ELi4ELi64ELi4ELi64ELi4ELc78ELc84ELb0ELb0ELb1EPKDF16_KS3_KPDF16_EEviiiT16_PT17_ilS9_ilS7_S9_ilPT18_ili26rocblas_geam_ex_operation_.has_dyn_sized_stack, 0
	.set _ZN12_GLOBAL__N_120geam_min_plus_kernelIDF16_Dv2_DF16_S1_Li8ELi32ELi64ELi256ELi4ELi64ELi4ELi64ELi4ELc78ELc84ELb0ELb0ELb1EPKDF16_KS3_KPDF16_EEviiiT16_PT17_ilS9_ilS7_S9_ilPT18_ili26rocblas_geam_ex_operation_.has_recursion, 0
	.set _ZN12_GLOBAL__N_120geam_min_plus_kernelIDF16_Dv2_DF16_S1_Li8ELi32ELi64ELi256ELi4ELi64ELi4ELi64ELi4ELc78ELc84ELb0ELb0ELb1EPKDF16_KS3_KPDF16_EEviiiT16_PT17_ilS9_ilS7_S9_ilPT18_ili26rocblas_geam_ex_operation_.has_indirect_call, 0
	.section	.AMDGPU.csdata,"",@progbits
; Kernel info:
; codeLenInByte = 18372
; TotalNumSgprs: 34
; NumVgprs: 179
; NumAgprs: 0
; TotalNumVgprs: 179
; ScratchSize: 0
; MemoryBound: 0
; FloatMode: 240
; IeeeMode: 1
; LDSByteSize: 5120 bytes/workgroup (compile time only)
; SGPRBlocks: 4
; VGPRBlocks: 22
; NumSGPRsForWavesPerEU: 34
; NumVGPRsForWavesPerEU: 179
; AccumOffset: 180
; Occupancy: 2
; WaveLimiterHint : 1
; COMPUTE_PGM_RSRC2:SCRATCH_EN: 0
; COMPUTE_PGM_RSRC2:USER_SGPR: 2
; COMPUTE_PGM_RSRC2:TRAP_HANDLER: 0
; COMPUTE_PGM_RSRC2:TGID_X_EN: 1
; COMPUTE_PGM_RSRC2:TGID_Y_EN: 0
; COMPUTE_PGM_RSRC2:TGID_Z_EN: 1
; COMPUTE_PGM_RSRC2:TIDIG_COMP_CNT: 1
; COMPUTE_PGM_RSRC3_GFX90A:ACCUM_OFFSET: 44
; COMPUTE_PGM_RSRC3_GFX90A:TG_SPLIT: 0
	.section	.text._ZN12_GLOBAL__N_120geam_min_plus_kernelIDF16_Dv2_DF16_S1_Li8ELi32ELi64ELi256ELi4ELi64ELi4ELi64ELi4ELc78ELc84ELb1ELb0ELb1EDF16_KPKDF16_KPDF16_EEviiiT16_PT17_ilS9_ilS7_S9_ilPT18_ili26rocblas_geam_ex_operation_,"axG",@progbits,_ZN12_GLOBAL__N_120geam_min_plus_kernelIDF16_Dv2_DF16_S1_Li8ELi32ELi64ELi256ELi4ELi64ELi4ELi64ELi4ELc78ELc84ELb1ELb0ELb1EDF16_KPKDF16_KPDF16_EEviiiT16_PT17_ilS9_ilS7_S9_ilPT18_ili26rocblas_geam_ex_operation_,comdat
	.globl	_ZN12_GLOBAL__N_120geam_min_plus_kernelIDF16_Dv2_DF16_S1_Li8ELi32ELi64ELi256ELi4ELi64ELi4ELi64ELi4ELc78ELc84ELb1ELb0ELb1EDF16_KPKDF16_KPDF16_EEviiiT16_PT17_ilS9_ilS7_S9_ilPT18_ili26rocblas_geam_ex_operation_ ; -- Begin function _ZN12_GLOBAL__N_120geam_min_plus_kernelIDF16_Dv2_DF16_S1_Li8ELi32ELi64ELi256ELi4ELi64ELi4ELi64ELi4ELc78ELc84ELb1ELb0ELb1EDF16_KPKDF16_KPDF16_EEviiiT16_PT17_ilS9_ilS7_S9_ilPT18_ili26rocblas_geam_ex_operation_
	.p2align	8
	.type	_ZN12_GLOBAL__N_120geam_min_plus_kernelIDF16_Dv2_DF16_S1_Li8ELi32ELi64ELi256ELi4ELi64ELi4ELi64ELi4ELc78ELc84ELb1ELb0ELb1EDF16_KPKDF16_KPDF16_EEviiiT16_PT17_ilS9_ilS7_S9_ilPT18_ili26rocblas_geam_ex_operation_,@function
_ZN12_GLOBAL__N_120geam_min_plus_kernelIDF16_Dv2_DF16_S1_Li8ELi32ELi64ELi256ELi4ELi64ELi4ELi64ELi4ELc78ELc84ELb1ELb0ELb1EDF16_KPKDF16_KPDF16_EEviiiT16_PT17_ilS9_ilS7_S9_ilPT18_ili26rocblas_geam_ex_operation_: ; @_ZN12_GLOBAL__N_120geam_min_plus_kernelIDF16_Dv2_DF16_S1_Li8ELi32ELi64ELi256ELi4ELi64ELi4ELi64ELi4ELc78ELc84ELb1ELb0ELb1EDF16_KPKDF16_KPDF16_EEviiiT16_PT17_ilS9_ilS7_S9_ilPT18_ili26rocblas_geam_ex_operation_
; %bb.0:
	s_load_dwordx2 s[14:15], s[0:1], 0x8
	s_load_dwordx4 s[4:7], s[0:1], 0x20
	s_mov_b32 s8, s3
	s_mov_b32 s9, 0
	s_waitcnt lgkmcnt(0)
	v_cmp_eq_f16_e64 s[10:11], s15, 0
	s_and_b64 vcc, exec, s[10:11]
	s_cbranch_vccnz .LBB220_3
; %bb.1:
	s_load_dwordx2 s[12:13], s[0:1], 0x10
	s_lshl_b64 s[16:17], s[8:9], 3
	s_waitcnt lgkmcnt(0)
	s_add_u32 s12, s12, s16
	s_addc_u32 s13, s13, s17
	s_load_dwordx2 s[12:13], s[12:13], 0x0
	s_lshl_b64 s[4:5], s[4:5], 1
	s_waitcnt lgkmcnt(0)
	s_add_u32 s16, s12, s4
	s_addc_u32 s17, s13, s5
	s_andn2_b64 vcc, exec, s[10:11]
	s_cbranch_vccnz .LBB220_4
.LBB220_2:
	s_mov_b32 s25, 0
	s_mov_b32 s24, s8
	s_mov_b64 s[12:13], 0
	s_mov_b64 s[18:19], 0
	s_cbranch_execz .LBB220_5
	s_branch .LBB220_6
.LBB220_3:
	s_mov_b64 s[16:17], 0
	s_andn2_b64 vcc, exec, s[10:11]
	s_cbranch_vccz .LBB220_2
.LBB220_4:
	s_mov_b64 s[24:25], s[8:9]
	s_mov_b64 s[12:13], 0
	;; [unrolled: 1-line block ×3, first 2 shown]
.LBB220_5:
	s_lshl_b64 s[8:9], s[8:9], 3
	s_add_u32 s6, s6, s8
	s_load_dwordx2 s[4:5], s[0:1], 0x38
	s_addc_u32 s7, s7, s9
	s_load_dwordx2 s[6:7], s[6:7], 0x0
	s_waitcnt lgkmcnt(0)
	s_lshl_b64 s[4:5], s[4:5], 1
	s_add_u32 s18, s6, s4
	s_addc_u32 s19, s7, s5
.LBB220_6:
	s_load_dword s15, s[0:1], 0x40
	s_load_dwordx4 s[8:11], s[0:1], 0x58
	s_waitcnt lgkmcnt(0)
	v_cmp_eq_f16_e64 s[4:5], s15, 0
	s_and_b64 s[4:5], exec, s[4:5]
	s_mov_b64 vcc, s[4:5]
	s_cbranch_vccnz .LBB220_8
; %bb.7:
	s_load_dwordx2 s[6:7], s[0:1], 0x48
	s_lshl_b64 s[12:13], s[24:25], 3
	s_waitcnt lgkmcnt(0)
	s_add_u32 s6, s6, s12
	s_addc_u32 s7, s7, s13
	s_load_dwordx2 s[6:7], s[6:7], 0x0
	s_lshl_b64 s[8:9], s[8:9], 1
	s_waitcnt lgkmcnt(0)
	s_add_u32 s12, s6, s8
	s_addc_u32 s13, s7, s9
.LBB220_8:
	s_load_dword s3, s[0:1], 0x0
	s_load_dword s20, s[0:1], 0x18
	;; [unrolled: 1-line block ×3, first 2 shown]
	s_lshl_b64 s[6:7], s[24:25], 3
	s_add_u32 s6, s10, s6
	s_addc_u32 s7, s11, s7
	s_waitcnt lgkmcnt(0)
	s_add_i32 s3, s3, -1
	s_ashr_i32 s8, s3, 31
	s_lshr_b32 s8, s8, 26
	s_add_i32 s3, s3, s8
	s_ashr_i32 s3, s3, 6
	s_add_i32 s8, s3, 1
	v_cvt_f32_u32_e32 v1, s8
	v_and_b32_e32 v65, 0x3ff, v0
	v_bfe_u32 v66, v0, 10, 10
	s_not_b32 s3, s3
	v_rcp_iflag_f32_e32 v1, v1
	v_lshlrev_b32_e32 v62, 3, v66
	v_lshlrev_b32_e32 v70, 3, v65
	v_add_u32_e32 v78, 0x1000, v70
	v_mul_f32_e32 v0, 0x4f7ffffe, v1
	v_cvt_u32_f32_e32 v0, v0
	v_add_u32_e32 v1, v62, v65
	v_and_b32_e32 v8, 63, v1
	v_lshrrev_b32_e32 v38, 6, v1
	v_readfirstlane_b32 s9, v0
	s_mul_i32 s3, s3, s9
	s_mul_hi_u32 s3, s9, s3
	s_add_i32 s9, s9, s3
	s_mul_hi_u32 s3, s2, s9
	s_mul_i32 s9, s3, s8
	s_sub_i32 s9, s2, s9
	s_add_i32 s10, s3, 1
	s_sub_i32 s11, s9, s8
	s_cmp_ge_u32 s9, s8
	s_cselect_b32 s3, s10, s3
	s_cselect_b32 s9, s11, s9
	s_add_i32 s10, s3, 1
	s_cmp_ge_u32 s9, s8
	s_cselect_b32 s3, s10, s3
	s_mul_i32 s8, s3, s8
	s_sub_i32 s2, s2, s8
	s_lshl_b32 s11, s3, 8
	s_lshl_b32 s10, s2, 6
	v_or_b32_e32 v30, s11, v8
	v_or_b32_e32 v28, s10, v8
	v_mad_i64_i32 v[4:5], s[2:3], s22, v38, 0
	v_ashrrev_i32_e32 v31, 31, v30
	v_mad_i64_i32 v[0:1], s[2:3], s20, v38, 0
	v_ashrrev_i32_e32 v29, 31, v28
	v_lshl_add_u64 v[4:5], v[4:5], 1, s[18:19]
	v_lshlrev_b64 v[6:7], 1, v[30:31]
	v_lshl_add_u64 v[0:1], v[0:1], 1, s[16:17]
	v_lshlrev_b64 v[2:3], 1, v[28:29]
	v_lshl_add_u64 v[4:5], v[4:5], 0, v[6:7]
	v_lshl_add_u64 v[0:1], v[0:1], 0, v[2:3]
	flat_load_ushort v9, v[4:5]
	flat_load_ushort v10, v[4:5] offset:128
	flat_load_ushort v11, v[4:5] offset:256
	;; [unrolled: 1-line block ×3, first 2 shown]
	flat_load_ushort v13, v[0:1]
	v_add_u32_e32 v4, 4, v38
	s_load_dwordx2 s[2:3], s[6:7], 0x0
	v_mad_i64_i32 v[0:1], s[6:7], s20, v4, 0
	v_mad_i64_i32 v[4:5], s[6:7], s22, v4, 0
	v_lshl_add_u64 v[0:1], v[0:1], 1, s[16:17]
	v_lshl_add_u64 v[4:5], v[4:5], 1, s[18:19]
	;; [unrolled: 1-line block ×4, first 2 shown]
	flat_load_ushort v32, v[4:5]
	flat_load_ushort v33, v[4:5] offset:128
	flat_load_ushort v34, v[4:5] offset:256
	;; [unrolled: 1-line block ×3, first 2 shown]
	flat_load_ushort v36, v[0:1]
	v_lshlrev_b32_e32 v8, 3, v8
	v_lshl_add_u32 v79, v38, 1, v8
	s_movk_i32 s6, 0x7c00
	s_cmp_lt_i32 s14, 9
	s_waitcnt vmcnt(0) lgkmcnt(0)
	ds_write_b16 v79, v9
	ds_write_b16 v79, v10 offset:512
	ds_write_b16 v79, v11 offset:1024
	;; [unrolled: 1-line block ×4, first 2 shown]
	s_waitcnt lgkmcnt(0)
	s_barrier
	ds_read2_b64 v[16:19], v78 offset1:8
	ds_read2_b64 v[12:15], v78 offset0:16 offset1:24
	ds_read2_b64 v[4:7], v78 offset0:32 offset1:40
	ds_read2_b64 v[40:43], v62 offset1:32
	ds_read2_b64 v[0:3], v78 offset0:48 offset1:56
	ds_read2_b64 v[24:27], v62 offset0:64 offset1:96
	ds_read2_b64 v[20:23], v62 offset0:128 offset1:160
	ds_read2_b64 v[8:11], v62 offset0:192 offset1:224
	s_waitcnt lgkmcnt(4)
	v_pk_add_f16 v37, v16, v40
	v_pk_add_f16 v39, v18, v40
	;; [unrolled: 1-line block ×6, first 2 shown]
	s_waitcnt lgkmcnt(3)
	v_pk_add_f16 v48, v0, v40
	v_pk_add_f16 v40, v2, v40
	v_pk_add_f16 v49, v16, v42
	v_pk_add_f16 v50, v18, v42
	v_pk_add_f16 v51, v12, v42
	v_pk_add_f16 v52, v14, v42
	v_pk_add_f16 v53, v4, v42
	v_pk_add_f16 v54, v6, v42
	v_pk_add_f16 v55, v0, v42
	v_pk_add_f16 v42, v2, v42
	s_waitcnt lgkmcnt(2)
	v_pk_add_f16 v56, v16, v24
	v_pk_add_f16 v57, v18, v24
	v_pk_add_f16 v58, v12, v24
	v_pk_add_f16 v59, v14, v24
	v_pk_add_f16 v60, v4, v24
	v_pk_add_f16 v61, v6, v24
	v_pk_add_f16 v63, v0, v24
	v_pk_add_f16 v24, v2, v24
	v_pk_add_f16 v64, v16, v26
	v_pk_add_f16 v67, v18, v26
	v_pk_add_f16 v68, v12, v26
	v_pk_add_f16 v69, v14, v26
	v_pk_add_f16 v71, v4, v26
	v_pk_add_f16 v72, v6, v26
	v_pk_add_f16 v73, v0, v26
	v_pk_add_f16 v26, v2, v26
	s_waitcnt lgkmcnt(1)
	v_pk_add_f16 v74, v16, v20
	v_pk_add_f16 v75, v18, v20
	v_pk_add_f16 v76, v12, v20
	v_pk_add_f16 v77, v14, v20
	v_pk_add_f16 v80, v4, v20
	v_pk_add_f16 v81, v6, v20
	v_pk_add_f16 v82, v0, v20
	v_pk_add_f16 v20, v2, v20
	v_pk_add_f16 v101, v16, v22
	v_pk_add_f16 v102, v18, v22
	v_pk_add_f16 v103, v12, v22
	v_pk_add_f16 v104, v14, v22
	v_pk_add_f16 v105, v4, v22
	v_pk_add_f16 v127, v6, v22
	v_pk_add_f16 v128, v0, v22
	v_pk_add_f16 v22, v2, v22
	s_waitcnt lgkmcnt(0)
	v_pk_add_f16 v129, v16, v8
	v_pk_add_f16 v130, v18, v8
	v_pk_add_f16 v131, v12, v8
	v_pk_add_f16 v132, v14, v8
	v_pk_add_f16 v133, v4, v8
	v_pk_add_f16 v134, v6, v8
	v_pk_add_f16 v135, v0, v8
	v_pk_add_f16 v8, v2, v8
	;; [unrolled: 1-line block ×11, first 2 shown]
	v_pk_min_f16 v10, v37, s6 op_sel_hi:[1,0]
	v_pk_min_f16 v8, v8, s6 op_sel_hi:[1,0]
	v_pk_min_f16 v126, v10, v2
	v_pk_add_f16 v2, v19, v41
	v_pk_min_f16 v10, v39, s6 op_sel_hi:[1,0]
	v_pk_min_f16 v4, v4, s6 op_sel_hi:[1,0]
	v_pk_min_f16 v125, v10, v2
	v_pk_add_f16 v2, v13, v41
	;; [unrolled: 4-line block ×3, first 2 shown]
	v_pk_min_f16 v10, v45, s6 op_sel_hi:[1,0]
	ds_write_b16 v79, v36 offset:4608
	ds_write_b16 v79, v32 offset:2048
	;; [unrolled: 1-line block ×5, first 2 shown]
	v_pk_min_f16 v123, v10, v2
	v_pk_add_f16 v2, v5, v41
	v_pk_min_f16 v10, v46, s6 op_sel_hi:[1,0]
	s_waitcnt lgkmcnt(0)
	v_pk_min_f16 v122, v10, v2
	v_pk_add_f16 v2, v7, v41
	v_pk_min_f16 v10, v47, s6 op_sel_hi:[1,0]
	s_barrier
	v_pk_min_f16 v121, v10, v2
	v_pk_add_f16 v2, v1, v41
	v_pk_min_f16 v10, v48, s6 op_sel_hi:[1,0]
	s_nop 0
	v_pk_min_f16 v120, v10, v2
	v_pk_add_f16 v2, v3, v41
	v_pk_min_f16 v10, v40, s6 op_sel_hi:[1,0]
	s_nop 0
	;; [unrolled: 4-line block ×48, first 2 shown]
	v_pk_min_f16 v63, v10, v2
	v_pk_add_f16 v2, v1, v9
	v_pk_min_f16 v10, v135, s6 op_sel_hi:[1,0]
	v_pk_add_f16 v1, v1, v11
	v_pk_min_f16 v61, v10, v2
	v_pk_add_f16 v2, v3, v9
	s_nop 0
	v_pk_min_f16 v60, v8, v2
	v_pk_add_f16 v2, v17, v11
	v_pk_min_f16 v8, v16, s6 op_sel_hi:[1,0]
	s_nop 0
	v_pk_min_f16 v59, v8, v2
	v_pk_add_f16 v2, v19, v11
	v_pk_min_f16 v8, v18, s6 op_sel_hi:[1,0]
	;; [unrolled: 4-line block ×4, first 2 shown]
	s_nop 0
	v_pk_min_f16 v56, v8, v2
	v_pk_add_f16 v2, v5, v11
	s_nop 0
	v_pk_min_f16 v55, v4, v2
	v_pk_add_f16 v2, v7, v11
	v_pk_min_f16 v4, v6, s6 op_sel_hi:[1,0]
	s_nop 0
	v_pk_min_f16 v54, v4, v2
	v_pk_min_f16 v2, v136, s6 op_sel_hi:[1,0]
	s_nop 0
	v_pk_min_f16 v52, v2, v1
	v_pk_add_f16 v1, v3, v11
	s_nop 0
	v_pk_min_f16 v53, v0, v1
	s_cbranch_scc1 .LBB220_11
; %bb.9:
	v_mov_b32_e32 v0, 0x1200
	v_add_u32_e32 v2, 8, v38
	v_lshl_add_u32 v104, v65, 3, v0
	v_mad_i64_i32 v[0:1], s[6:7], v2, s22, 0
	v_add_u32_e32 v3, 12, v38
	v_lshlrev_b64 v[36:37], 1, v[0:1]
	v_mad_i64_i32 v[0:1], s[8:9], v3, s20, 0
	v_lshl_add_u64 v[32:33], v[28:29], 1, s[16:17]
	v_lshlrev_b64 v[38:39], 1, v[0:1]
	v_mad_i64_i32 v[0:1], s[16:17], v3, s22, 0
	s_ashr_i32 s21, s20, 31
	s_ashr_i32 s23, s22, 31
	v_lshlrev_b64 v[40:41], 1, v[0:1]
	v_mad_i64_i32 v[0:1], s[16:17], v2, s20, 0
	v_or_b32_e32 v101, 0x1000, v79
	v_add_u32_e32 v102, 0x1200, v79
	v_or_b32_e32 v103, 0x800, v79
	s_add_i32 s14, s14, -8
	v_add_u32_e32 v105, 0x800, v62
	v_lshl_add_u64 v[34:35], v[30:31], 1, s[18:19]
	s_lshl_b64 s[6:7], s[22:23], 4
	s_lshl_b64 s[8:9], s[20:21], 4
	v_lshlrev_b64 v[42:43], 1, v[0:1]
	s_mov_b32 s16, 0
.LBB220_10:                             ; =>This Inner Loop Header: Depth=1
	v_lshl_add_u64 v[46:47], v[32:33], 0, v[42:43]
	v_lshl_add_u64 v[44:45], v[34:35], 0, v[36:37]
	ds_read2_b64 v[12:15], v104 offset1:8
	ds_read2_b64 v[8:11], v104 offset0:16 offset1:24
	ds_read2_b64 v[4:7], v104 offset0:32 offset1:40
	;; [unrolled: 1-line block ×3, first 2 shown]
	ds_read2_b64 v[28:31], v105 offset1:32
	ds_read2_b64 v[24:27], v105 offset0:64 offset1:96
	ds_read2_b64 v[20:23], v105 offset0:128 offset1:160
	;; [unrolled: 1-line block ×3, first 2 shown]
	flat_load_ushort v46, v[46:47]
	s_nop 0
	flat_load_ushort v47, v[44:45]
	flat_load_ushort v127, v[44:45] offset:128
	flat_load_ushort v128, v[44:45] offset:256
	s_nop 0
	flat_load_ushort v44, v[44:45] offset:384
	v_lshl_add_u64 v[50:51], v[32:33], 0, v[38:39]
	v_lshl_add_u64 v[48:49], v[34:35], 0, v[40:41]
	v_pk_max_f16 v126, v126, v126
	v_pk_max_f16 v124, v124, v124
	;; [unrolled: 1-line block ×28, first 2 shown]
	s_waitcnt lgkmcnt(0)
	v_pk_add_f16 v45, v12, v28
	v_pk_add_f16 v129, v14, v28
	v_pk_add_f16 v130, v8, v28
	v_pk_add_f16 v131, v10, v28
	v_pk_add_f16 v132, v4, v28
	v_pk_add_f16 v133, v6, v28
	v_pk_add_f16 v134, v0, v28
	v_pk_add_f16 v28, v2, v28
	v_pk_add_f16 v135, v12, v30
	v_pk_add_f16 v136, v14, v30
	v_pk_add_f16 v137, v8, v30
	v_pk_add_f16 v138, v10, v30
	v_pk_add_f16 v139, v4, v30
	v_pk_add_f16 v140, v6, v30
	v_pk_add_f16 v141, v0, v30
	v_pk_add_f16 v30, v2, v30
	v_pk_add_f16 v142, v12, v24
	v_pk_add_f16 v143, v14, v24
	v_pk_add_f16 v144, v8, v24
	v_pk_add_f16 v145, v10, v24
	v_pk_add_f16 v146, v4, v24
	v_pk_add_f16 v147, v6, v24
	v_pk_add_f16 v148, v0, v24
	v_pk_add_f16 v24, v2, v24
	v_pk_add_f16 v149, v12, v26
	v_pk_add_f16 v150, v14, v26
	v_pk_add_f16 v151, v8, v26
	v_pk_add_f16 v152, v10, v26
	v_pk_add_f16 v153, v4, v26
	v_pk_add_f16 v154, v6, v26
	v_pk_add_f16 v155, v0, v26
	v_pk_add_f16 v26, v2, v26
	v_pk_add_f16 v156, v12, v20
	v_pk_add_f16 v157, v14, v20
	v_pk_add_f16 v158, v8, v20
	v_pk_add_f16 v159, v10, v20
	v_pk_add_f16 v160, v4, v20
	v_pk_add_f16 v161, v6, v20
	v_pk_add_f16 v162, v0, v20
	v_pk_add_f16 v20, v2, v20
	v_pk_add_f16 v163, v12, v22
	v_pk_add_f16 v164, v14, v22
	v_pk_add_f16 v165, v8, v22
	v_pk_add_f16 v166, v10, v22
	v_pk_add_f16 v167, v4, v22
	v_pk_add_f16 v168, v6, v22
	v_pk_add_f16 v169, v0, v22
	s_waitcnt vmcnt(0)
	ds_write_b16 v101, v46
	ds_write_b16 v79, v47
	ds_write_b16 v79, v127 offset:512
	ds_write_b16 v79, v128 offset:1024
	;; [unrolled: 1-line block ×3, first 2 shown]
	s_waitcnt lgkmcnt(0)
	s_barrier
	flat_load_ushort v44, v[50:51]
	flat_load_ushort v46, v[48:49]
	flat_load_ushort v47, v[48:49] offset:128
	s_nop 0
	flat_load_ushort v50, v[48:49] offset:256
	flat_load_ushort v51, v[48:49] offset:384
	v_pk_add_f16 v22, v2, v22
	v_pk_add_f16 v170, v12, v16
	v_pk_add_f16 v171, v14, v16
	v_pk_add_f16 v172, v8, v16
	v_pk_add_f16 v173, v10, v16
	v_pk_add_f16 v174, v4, v16
	v_pk_add_f16 v175, v6, v16
	v_pk_add_f16 v176, v0, v16
	v_pk_add_f16 v16, v2, v16
	v_pk_add_f16 v12, v12, v18
	v_pk_add_f16 v14, v14, v18
	v_pk_add_f16 v8, v8, v18
	v_pk_add_f16 v10, v10, v18
	v_pk_add_f16 v4, v4, v18
	v_pk_add_f16 v6, v6, v18
	v_pk_add_f16 v0, v0, v18
	v_pk_add_f16 v2, v2, v18
	v_pk_max_f16 v125, v125, v125
	v_pk_add_f16 v18, v13, v29
	v_pk_add_f16 v177, v15, v29
	;; [unrolled: 1-line block ×64, first 2 shown]
	v_pk_min_f16 v19, v126, v45
	v_pk_min_f16 v124, v124, v130
	;; [unrolled: 1-line block ×57, first 2 shown]
	ds_read2_b64 v[0:3], v78 offset1:8
	ds_read2_b64 v[4:7], v78 offset0:16 offset1:24
	ds_read2_b64 v[8:11], v78 offset0:32 offset1:40
	ds_read2_b64 v[12:15], v62 offset1:32
	ds_read2_b64 v[16:19], v78 offset0:48 offset1:56
	ds_read2_b64 v[20:23], v62 offset0:64 offset1:96
	;; [unrolled: 1-line block ×4, first 2 shown]
	v_pk_max_f16 v110, v110, v110
	v_pk_max_f16 v109, v109, v109
	;; [unrolled: 1-line block ×35, first 2 shown]
	v_pk_min_f16 v110, v110, v142
	v_pk_min_f16 v109, v109, v143
	;; [unrolled: 1-line block ×71, first 2 shown]
	s_waitcnt lgkmcnt(0)
	v_pk_add_f16 v48, v0, v12
	v_pk_add_f16 v49, v2, v12
	;; [unrolled: 1-line block ×64, first 2 shown]
	s_add_i32 s16, s16, 8
	v_pk_add_f16 v30, v1, v13
	v_pk_add_f16 v173, v3, v13
	;; [unrolled: 1-line block ×64, first 2 shown]
	v_pk_min_f16 v31, v52, v48
	v_pk_min_f16 v45, v45, v49
	;; [unrolled: 1-line block ×64, first 2 shown]
	v_lshl_add_u64 v[34:35], v[34:35], 0, s[6:7]
	v_lshl_add_u64 v[32:33], v[32:33], 0, s[8:9]
	s_cmp_ge_i32 s16, s14
	v_pk_min_f16 v126, v31, v30
	v_pk_min_f16 v125, v45, v173
	;; [unrolled: 1-line block ×64, first 2 shown]
	s_waitcnt vmcnt(0)
	ds_write_b16 v102, v44
	ds_write_b16 v103, v46
	ds_write_b16 v103, v47 offset:512
	ds_write_b16 v103, v50 offset:1024
	;; [unrolled: 1-line block ×3, first 2 shown]
	s_waitcnt lgkmcnt(0)
	s_barrier
	s_cbranch_scc0 .LBB220_10
.LBB220_11:
	s_load_dword s8, s[0:1], 0x50
	ds_read_b64 v[30:31], v70 offset:4608
	ds_read_b64 v[46:47], v62 offset:2048
	v_add_u32_e32 v28, s10, v65
	v_add_u32_e32 v65, s11, v66
	v_cmp_neq_f16_e64 s[6:7], s15, 0
	s_waitcnt lgkmcnt(0)
	v_mad_i64_i32 v[0:1], s[10:11], v65, s8, 0
	v_ashrrev_i32_e32 v29, 31, v28
	v_lshl_add_u64 v[48:49], v[0:1], 1, s[12:13]
	v_mov_b32_e32 v34, 0
	s_and_b64 vcc, exec, s[6:7]
	v_mov_b32_e32 v35, 0
	s_cbranch_vccz .LBB220_13
; %bb.12:
	v_lshl_add_u64 v[0:1], v[28:29], 1, v[48:49]
	flat_load_ushort v0, v[0:1]
	s_waitcnt vmcnt(0) lgkmcnt(0)
	v_mul_f16_e32 v0, s15, v0
	v_cvt_f32_f16_e32 v35, v0
.LBB220_13:
	v_pk_add_f16 v32, v30, v46
	v_max_f16_e32 v33, v126, v126
	v_pk_add_f16 v37, v31, v47
	v_min_f16_e32 v36, v33, v32
	v_lshrrev_b32_e32 v33, 16, v126
	v_lshrrev_b32_e32 v32, 16, v32
	;; [unrolled: 1-line block ×3, first 2 shown]
	v_add_u32_e32 v0, 0x1000, v70
	v_min3_f16 v38, v33, v32, v38
	ds_read2_b64 v[8:11], v0 offset0:72 offset1:80
	ds_read2_b64 v[4:7], v0 offset0:88 offset1:96
	ds_read2_b64 v[0:3], v0 offset0:104 offset1:112
	ds_read_b64 v[24:25], v70 offset:5056
	s_load_dword s9, s[0:1], 0x68
	s_load_dwordx2 s[10:11], s[0:1], 0x70
	v_min3_f16 v36, v36, v37, v38
	v_cvt_f32_f16_e32 v38, v36
	v_add_u32_e32 v12, 0x800, v62
	ds_read2_b64 v[20:23], v12 offset0:32 offset1:64
	ds_read2_b64 v[16:19], v12 offset0:96 offset1:128
	;; [unrolled: 1-line block ×3, first 2 shown]
	ds_read_b64 v[26:27], v62 offset:3840
	v_max_f32_e32 v35, v35, v35
	s_waitcnt lgkmcnt(0)
	s_lshl_b64 s[0:1], s[10:11], 1
	v_min_f32_e32 v35, v35, v38
	s_add_u32 s2, s2, s0
	v_cvt_f16_f32_e32 v35, v35
	s_addc_u32 s3, s3, s1
	v_mad_i64_i32 v[36:37], s[0:1], v65, s9, 0
	v_add_u32_e32 v32, 8, v28
	v_lshl_add_u64 v[50:51], v[36:37], 1, s[2:3]
	v_cndmask_b32_e64 v38, 0, 1, s[6:7]
	v_ashrrev_i32_e32 v33, 31, v32
	v_lshl_add_u64 v[36:37], v[28:29], 1, v[50:51]
	v_cmp_ne_u32_e64 s[0:1], 1, v38
	s_andn2_b64 vcc, exec, s[6:7]
	flat_store_short v[36:37], v35
	s_cbranch_vccnz .LBB220_15
; %bb.14:
	v_lshl_add_u64 v[34:35], v[32:33], 1, v[48:49]
	flat_load_ushort v34, v[34:35]
	s_waitcnt vmcnt(0) lgkmcnt(0)
	v_mul_f16_e32 v34, s15, v34
	v_cvt_f32_f16_e32 v34, v34
.LBB220_15:
	v_pk_add_f16 v35, v8, v46
	v_max_f16_e32 v36, v125, v125
	v_pk_add_f16 v38, v9, v47
	v_min_f16_e32 v36, v36, v35
	v_lshrrev_b32_e32 v37, 16, v125
	v_lshrrev_b32_e32 v35, 16, v35
	;; [unrolled: 1-line block ×3, first 2 shown]
	v_min3_f16 v35, v37, v35, v39
	v_min3_f16 v35, v36, v38, v35
	v_cvt_f32_f16_e32 v35, v35
	v_max_f32_e32 v34, v34, v34
	v_lshl_add_u64 v[36:37], v[32:33], 1, v[50:51]
	s_and_b64 vcc, exec, s[0:1]
	v_min_f32_e32 v34, v34, v35
	v_cvt_f16_f32_e32 v38, v34
	v_add_u32_e32 v34, 16, v28
	v_ashrrev_i32_e32 v35, 31, v34
	flat_store_short v[36:37], v38
	v_mov_b32_e32 v38, 0
	v_mov_b32_e32 v37, 0
	s_cbranch_vccnz .LBB220_17
; %bb.16:
	v_lshl_add_u64 v[36:37], v[34:35], 1, v[48:49]
	flat_load_ushort v36, v[36:37]
	s_waitcnt vmcnt(0) lgkmcnt(0)
	v_mul_f16_e32 v36, s15, v36
	v_cvt_f32_f16_e32 v37, v36
.LBB220_17:
	v_pk_add_f16 v36, v10, v46
	v_max_f16_e32 v39, v124, v124
	v_pk_add_f16 v41, v11, v47
	v_min_f16_e32 v39, v39, v36
	v_lshrrev_b32_e32 v40, 16, v124
	v_lshrrev_b32_e32 v36, 16, v36
	;; [unrolled: 1-line block ×3, first 2 shown]
	v_min3_f16 v36, v40, v36, v42
	v_min3_f16 v36, v39, v41, v36
	v_cvt_f32_f16_e32 v39, v36
	v_max_f32_e32 v37, v37, v37
	v_add_u32_e32 v36, 24, v28
	v_lshl_add_u64 v[40:41], v[34:35], 1, v[50:51]
	v_min_f32_e32 v37, v37, v39
	v_cvt_f16_f32_e32 v39, v37
	v_ashrrev_i32_e32 v37, 31, v36
	s_and_b64 vcc, exec, s[0:1]
	flat_store_short v[40:41], v39
	s_cbranch_vccnz .LBB220_19
; %bb.18:
	v_lshl_add_u64 v[38:39], v[36:37], 1, v[48:49]
	flat_load_ushort v38, v[38:39]
	s_waitcnt vmcnt(0) lgkmcnt(0)
	v_mul_f16_e32 v38, s15, v38
	v_cvt_f32_f16_e32 v38, v38
.LBB220_19:
	v_pk_add_f16 v39, v4, v46
	v_max_f16_e32 v40, v123, v123
	v_pk_add_f16 v42, v5, v47
	v_min_f16_e32 v40, v40, v39
	v_lshrrev_b32_e32 v41, 16, v123
	v_lshrrev_b32_e32 v39, 16, v39
	;; [unrolled: 1-line block ×3, first 2 shown]
	v_min3_f16 v39, v41, v39, v43
	v_min3_f16 v39, v40, v42, v39
	v_cvt_f32_f16_e32 v39, v39
	v_max_f32_e32 v38, v38, v38
	v_add_u32_e32 v40, 32, v28
	v_ashrrev_i32_e32 v41, 31, v40
	v_min_f32_e32 v38, v38, v39
	v_cvt_f16_f32_e32 v42, v38
	v_lshl_add_u64 v[38:39], v[36:37], 1, v[50:51]
	s_and_b64 vcc, exec, s[0:1]
	flat_store_short v[38:39], v42
	v_mov_b32_e32 v42, 0
	v_mov_b32_e32 v39, 0
	s_cbranch_vccnz .LBB220_21
; %bb.20:
	v_lshl_add_u64 v[38:39], v[40:41], 1, v[48:49]
	flat_load_ushort v38, v[38:39]
	s_waitcnt vmcnt(0) lgkmcnt(0)
	v_mul_f16_e32 v38, s15, v38
	v_cvt_f32_f16_e32 v39, v38
.LBB220_21:
	v_pk_add_f16 v38, v6, v46
	v_max_f16_e32 v43, v122, v122
	v_pk_add_f16 v45, v7, v47
	v_min_f16_e32 v43, v43, v38
	v_lshrrev_b32_e32 v44, 16, v122
	v_lshrrev_b32_e32 v38, 16, v38
	;; [unrolled: 1-line block ×3, first 2 shown]
	v_min3_f16 v38, v44, v38, v62
	v_min3_f16 v38, v43, v45, v38
	v_cvt_f32_f16_e32 v43, v38
	v_max_f32_e32 v39, v39, v39
	v_add_u32_e32 v38, 40, v28
	v_lshl_add_u64 v[44:45], v[40:41], 1, v[50:51]
	v_min_f32_e32 v39, v39, v43
	v_cvt_f16_f32_e32 v43, v39
	v_ashrrev_i32_e32 v39, 31, v38
	s_and_b64 vcc, exec, s[0:1]
	flat_store_short v[44:45], v43
	s_cbranch_vccnz .LBB220_23
; %bb.22:
	v_lshl_add_u64 v[42:43], v[38:39], 1, v[48:49]
	flat_load_ushort v42, v[42:43]
	s_waitcnt vmcnt(0) lgkmcnt(0)
	v_mul_f16_e32 v42, s15, v42
	v_cvt_f32_f16_e32 v42, v42
.LBB220_23:
	v_pk_add_f16 v43, v0, v46
	v_max_f16_e32 v44, v121, v121
	v_pk_add_f16 v62, v1, v47
	v_min_f16_e32 v44, v44, v43
	v_lshrrev_b32_e32 v45, 16, v121
	v_lshrrev_b32_e32 v43, 16, v43
	;; [unrolled: 1-line block ×3, first 2 shown]
	v_min3_f16 v43, v45, v43, v66
	v_min3_f16 v43, v44, v62, v43
	v_cvt_f32_f16_e32 v43, v43
	v_max_f32_e32 v42, v42, v42
	v_lshl_add_u64 v[44:45], v[38:39], 1, v[50:51]
	s_and_b64 vcc, exec, s[0:1]
	v_min_f32_e32 v42, v42, v43
	v_cvt_f16_f32_e32 v62, v42
	v_add_u32_e32 v42, 48, v28
	v_ashrrev_i32_e32 v43, 31, v42
	flat_store_short v[44:45], v62
	v_mov_b32_e32 v62, 0
	v_mov_b32_e32 v45, 0
	s_cbranch_vccnz .LBB220_25
; %bb.24:
	v_lshl_add_u64 v[44:45], v[42:43], 1, v[48:49]
	flat_load_ushort v44, v[44:45]
	s_waitcnt vmcnt(0) lgkmcnt(0)
	v_mul_f16_e32 v44, s15, v44
	v_cvt_f32_f16_e32 v45, v44
.LBB220_25:
	v_pk_add_f16 v44, v2, v46
	v_max_f16_e32 v66, v120, v120
	v_pk_add_f16 v78, v3, v47
	v_min_f16_e32 v66, v66, v44
	v_lshrrev_b32_e32 v70, 16, v120
	v_lshrrev_b32_e32 v44, 16, v44
	;; [unrolled: 1-line block ×3, first 2 shown]
	v_min3_f16 v44, v70, v44, v79
	v_min3_f16 v44, v66, v78, v44
	v_cvt_f32_f16_e32 v66, v44
	v_max_f32_e32 v45, v45, v45
	v_add_u32_e32 v44, 56, v28
	v_lshl_add_u64 v[78:79], v[42:43], 1, v[50:51]
	v_min_f32_e32 v45, v45, v66
	v_cvt_f16_f32_e32 v66, v45
	v_ashrrev_i32_e32 v45, 31, v44
	s_and_b64 vcc, exec, s[0:1]
	flat_store_short v[78:79], v66
	s_cbranch_vccnz .LBB220_27
; %bb.26:
	v_lshl_add_u64 v[48:49], v[44:45], 1, v[48:49]
	flat_load_ushort v48, v[48:49]
	s_waitcnt vmcnt(0) lgkmcnt(0)
	v_mul_f16_e32 v48, s15, v48
	v_cvt_f32_f16_e32 v62, v48
.LBB220_27:
	v_pk_add_f16 v46, v24, v46
	v_max_f16_e32 v48, v119, v119
	v_pk_add_f16 v47, v25, v47
	v_min_f16_e32 v48, v48, v46
	v_lshrrev_b32_e32 v49, 16, v119
	v_lshrrev_b32_e32 v46, 16, v46
	;; [unrolled: 1-line block ×3, first 2 shown]
	v_min3_f16 v46, v49, v46, v66
	v_min3_f16 v46, v48, v47, v46
	v_cvt_f32_f16_e32 v46, v46
	v_max_f32_e32 v47, v62, v62
	s_and_b64 vcc, exec, s[0:1]
	v_mov_b32_e32 v49, 0
	v_min_f32_e32 v46, v47, v46
	v_cvt_f16_f32_e32 v48, v46
	v_lshl_add_u64 v[46:47], v[44:45], 1, v[50:51]
	v_mov_b32_e32 v50, 0
	flat_store_short v[46:47], v48
	v_add_u32_e32 v48, 32, v65
	v_mad_i64_i32 v[46:47], s[6:7], v48, s8, 0
	v_lshl_add_u64 v[46:47], v[46:47], 1, s[12:13]
	s_cbranch_vccnz .LBB220_29
; %bb.28:
	v_lshl_add_u64 v[78:79], v[28:29], 1, v[46:47]
	flat_load_ushort v49, v[78:79]
	s_waitcnt vmcnt(0) lgkmcnt(0)
	v_mul_f16_e32 v49, s15, v49
	v_cvt_f32_f16_e32 v49, v49
.LBB220_29:
	v_pk_add_f16 v51, v30, v20
	v_max_f16_e32 v62, v118, v118
	v_pk_add_f16 v70, v31, v21
	v_min_f16_e32 v62, v62, v51
	v_lshrrev_b32_e32 v66, 16, v118
	v_lshrrev_b32_e32 v51, 16, v51
	;; [unrolled: 1-line block ×3, first 2 shown]
	v_min3_f16 v51, v66, v51, v78
	v_min3_f16 v51, v62, v70, v51
	v_cvt_f32_f16_e32 v51, v51
	v_mad_i64_i32 v[78:79], s[6:7], v48, s9, 0
	v_max_f32_e32 v48, v49, v49
	v_min_f32_e32 v48, v48, v51
	v_cvt_f16_f32_e32 v51, v48
	v_lshl_add_u64 v[48:49], v[78:79], 1, s[2:3]
	v_lshl_add_u64 v[78:79], v[28:29], 1, v[48:49]
	s_and_b64 vcc, exec, s[0:1]
	flat_store_short v[78:79], v51
	s_cbranch_vccnz .LBB220_31
; %bb.30:
	v_lshl_add_u64 v[50:51], v[32:33], 1, v[46:47]
	flat_load_ushort v50, v[50:51]
	s_waitcnt vmcnt(0) lgkmcnt(0)
	v_mul_f16_e32 v50, s15, v50
	v_cvt_f32_f16_e32 v50, v50
.LBB220_31:
	v_pk_add_f16 v51, v8, v20
	v_max_f16_e32 v62, v117, v117
	v_pk_add_f16 v70, v9, v21
	v_min_f16_e32 v62, v62, v51
	v_lshrrev_b32_e32 v66, 16, v117
	v_lshrrev_b32_e32 v51, 16, v51
	v_lshrrev_b32_e32 v78, 16, v70
	v_min3_f16 v51, v66, v51, v78
	v_min3_f16 v51, v62, v70, v51
	v_cvt_f32_f16_e32 v51, v51
	v_max_f32_e32 v50, v50, v50
	s_and_b64 vcc, exec, s[0:1]
	v_min_f32_e32 v50, v50, v51
	v_cvt_f16_f32_e32 v62, v50
	v_lshl_add_u64 v[50:51], v[32:33], 1, v[48:49]
	flat_store_short v[50:51], v62
	v_mov_b32_e32 v50, 0
	v_mov_b32_e32 v51, 0
	s_cbranch_vccnz .LBB220_33
; %bb.32:
	v_lshl_add_u64 v[78:79], v[34:35], 1, v[46:47]
	flat_load_ushort v51, v[78:79]
	s_waitcnt vmcnt(0) lgkmcnt(0)
	v_mul_f16_e32 v51, s15, v51
	v_cvt_f32_f16_e32 v51, v51
.LBB220_33:
	v_pk_add_f16 v62, v10, v20
	v_max_f16_e32 v66, v116, v116
	v_pk_add_f16 v78, v11, v21
	v_min_f16_e32 v66, v66, v62
	v_lshrrev_b32_e32 v70, 16, v116
	v_lshrrev_b32_e32 v62, 16, v62
	v_lshrrev_b32_e32 v79, 16, v78
	v_min3_f16 v62, v70, v62, v79
	v_min3_f16 v62, v66, v78, v62
	v_cvt_f32_f16_e32 v62, v62
	v_max_f32_e32 v51, v51, v51
	v_lshl_add_u64 v[78:79], v[34:35], 1, v[48:49]
	s_and_b64 vcc, exec, s[0:1]
	v_min_f32_e32 v51, v51, v62
	v_cvt_f16_f32_e32 v51, v51
	flat_store_short v[78:79], v51
	s_cbranch_vccnz .LBB220_35
; %bb.34:
	v_lshl_add_u64 v[50:51], v[36:37], 1, v[46:47]
	flat_load_ushort v50, v[50:51]
	s_waitcnt vmcnt(0) lgkmcnt(0)
	v_mul_f16_e32 v50, s15, v50
	v_cvt_f32_f16_e32 v50, v50
.LBB220_35:
	v_pk_add_f16 v51, v4, v20
	v_max_f16_e32 v62, v115, v115
	v_pk_add_f16 v70, v5, v21
	v_min_f16_e32 v62, v62, v51
	v_lshrrev_b32_e32 v66, 16, v115
	v_lshrrev_b32_e32 v51, 16, v51
	v_lshrrev_b32_e32 v78, 16, v70
	v_min3_f16 v51, v66, v51, v78
	v_min3_f16 v51, v62, v70, v51
	v_cvt_f32_f16_e32 v51, v51
	v_max_f32_e32 v50, v50, v50
	s_and_b64 vcc, exec, s[0:1]
	v_min_f32_e32 v50, v50, v51
	v_cvt_f16_f32_e32 v62, v50
	v_lshl_add_u64 v[50:51], v[36:37], 1, v[48:49]
	flat_store_short v[50:51], v62
	v_mov_b32_e32 v50, 0
	v_mov_b32_e32 v51, 0
	s_cbranch_vccnz .LBB220_37
; %bb.36:
	v_lshl_add_u64 v[78:79], v[40:41], 1, v[46:47]
	flat_load_ushort v51, v[78:79]
	s_waitcnt vmcnt(0) lgkmcnt(0)
	v_mul_f16_e32 v51, s15, v51
	v_cvt_f32_f16_e32 v51, v51
.LBB220_37:
	v_pk_add_f16 v62, v6, v20
	v_max_f16_e32 v66, v114, v114
	v_pk_add_f16 v78, v7, v21
	v_min_f16_e32 v66, v66, v62
	v_lshrrev_b32_e32 v70, 16, v114
	v_lshrrev_b32_e32 v62, 16, v62
	v_lshrrev_b32_e32 v79, 16, v78
	v_min3_f16 v62, v70, v62, v79
	v_min3_f16 v62, v66, v78, v62
	v_cvt_f32_f16_e32 v62, v62
	v_max_f32_e32 v51, v51, v51
	v_lshl_add_u64 v[78:79], v[40:41], 1, v[48:49]
	s_and_b64 vcc, exec, s[0:1]
	v_min_f32_e32 v51, v51, v62
	v_cvt_f16_f32_e32 v51, v51
	;; [unrolled: 50-line block ×3, first 2 shown]
	flat_store_short v[78:79], v51
	s_cbranch_vccnz .LBB220_43
; %bb.42:
	v_lshl_add_u64 v[46:47], v[44:45], 1, v[46:47]
	flat_load_ushort v46, v[46:47]
	s_waitcnt vmcnt(0) lgkmcnt(0)
	v_mul_f16_e32 v46, s15, v46
	v_cvt_f32_f16_e32 v50, v46
.LBB220_43:
	v_pk_add_f16 v20, v24, v20
	v_max_f16_e32 v46, v111, v111
	v_pk_add_f16 v21, v25, v21
	v_min_f16_e32 v46, v46, v20
	v_lshrrev_b32_e32 v47, 16, v111
	v_lshrrev_b32_e32 v20, 16, v20
	;; [unrolled: 1-line block ×3, first 2 shown]
	v_min3_f16 v20, v47, v20, v51
	v_min3_f16 v20, v46, v21, v20
	v_cvt_f32_f16_e32 v20, v20
	v_max_f32_e32 v21, v50, v50
	s_and_b64 vcc, exec, s[0:1]
	v_mov_b32_e32 v47, 0
	v_min_f32_e32 v20, v21, v20
	v_cvt_f16_f32_e32 v46, v20
	v_lshl_add_u64 v[20:21], v[44:45], 1, v[48:49]
	v_mov_b32_e32 v48, 0
	flat_store_short v[20:21], v46
	v_add_u32_e32 v46, 64, v65
	v_mad_i64_i32 v[20:21], s[6:7], v46, s8, 0
	v_lshl_add_u64 v[20:21], v[20:21], 1, s[12:13]
	s_cbranch_vccnz .LBB220_45
; %bb.44:
	v_lshl_add_u64 v[50:51], v[28:29], 1, v[20:21]
	flat_load_ushort v47, v[50:51]
	s_waitcnt vmcnt(0) lgkmcnt(0)
	v_mul_f16_e32 v47, s15, v47
	v_cvt_f32_f16_e32 v47, v47
.LBB220_45:
	v_pk_add_f16 v49, v30, v22
	v_max_f16_e32 v50, v110, v110
	v_pk_add_f16 v62, v31, v23
	v_min_f16_e32 v50, v50, v49
	v_lshrrev_b32_e32 v51, 16, v110
	v_lshrrev_b32_e32 v49, 16, v49
	v_lshrrev_b32_e32 v66, 16, v62
	v_min3_f16 v49, v51, v49, v66
	v_min3_f16 v49, v50, v62, v49
	v_cvt_f32_f16_e32 v49, v49
	v_mad_i64_i32 v[50:51], s[6:7], v46, s9, 0
	v_max_f32_e32 v46, v47, v47
	v_min_f32_e32 v46, v46, v49
	v_cvt_f16_f32_e32 v49, v46
	v_lshl_add_u64 v[46:47], v[50:51], 1, s[2:3]
	v_lshl_add_u64 v[50:51], v[28:29], 1, v[46:47]
	s_and_b64 vcc, exec, s[0:1]
	flat_store_short v[50:51], v49
	s_cbranch_vccnz .LBB220_47
; %bb.46:
	v_lshl_add_u64 v[48:49], v[32:33], 1, v[20:21]
	flat_load_ushort v48, v[48:49]
	s_waitcnt vmcnt(0) lgkmcnt(0)
	v_mul_f16_e32 v48, s15, v48
	v_cvt_f32_f16_e32 v48, v48
.LBB220_47:
	v_pk_add_f16 v49, v8, v22
	v_max_f16_e32 v50, v109, v109
	v_pk_add_f16 v62, v9, v23
	v_min_f16_e32 v50, v50, v49
	v_lshrrev_b32_e32 v51, 16, v109
	v_lshrrev_b32_e32 v49, 16, v49
	v_lshrrev_b32_e32 v66, 16, v62
	v_min3_f16 v49, v51, v49, v66
	v_min3_f16 v49, v50, v62, v49
	v_cvt_f32_f16_e32 v49, v49
	v_max_f32_e32 v48, v48, v48
	s_and_b64 vcc, exec, s[0:1]
	v_min_f32_e32 v48, v48, v49
	v_cvt_f16_f32_e32 v50, v48
	v_lshl_add_u64 v[48:49], v[32:33], 1, v[46:47]
	flat_store_short v[48:49], v50
	v_mov_b32_e32 v48, 0
	v_mov_b32_e32 v49, 0
	s_cbranch_vccnz .LBB220_49
; %bb.48:
	v_lshl_add_u64 v[50:51], v[34:35], 1, v[20:21]
	flat_load_ushort v49, v[50:51]
	s_waitcnt vmcnt(0) lgkmcnt(0)
	v_mul_f16_e32 v49, s15, v49
	v_cvt_f32_f16_e32 v49, v49
.LBB220_49:
	v_pk_add_f16 v50, v10, v22
	v_max_f16_e32 v51, v108, v108
	v_pk_add_f16 v66, v11, v23
	v_min_f16_e32 v51, v51, v50
	v_lshrrev_b32_e32 v62, 16, v108
	v_lshrrev_b32_e32 v50, 16, v50
	v_lshrrev_b32_e32 v70, 16, v66
	v_min3_f16 v50, v62, v50, v70
	v_min3_f16 v50, v51, v66, v50
	v_cvt_f32_f16_e32 v50, v50
	v_max_f32_e32 v49, v49, v49
	s_and_b64 vcc, exec, s[0:1]
	v_min_f32_e32 v49, v49, v50
	v_cvt_f16_f32_e32 v49, v49
	v_lshl_add_u64 v[50:51], v[34:35], 1, v[46:47]
	flat_store_short v[50:51], v49
	s_cbranch_vccnz .LBB220_51
; %bb.50:
	v_lshl_add_u64 v[48:49], v[36:37], 1, v[20:21]
	flat_load_ushort v48, v[48:49]
	s_waitcnt vmcnt(0) lgkmcnt(0)
	v_mul_f16_e32 v48, s15, v48
	v_cvt_f32_f16_e32 v48, v48
.LBB220_51:
	v_pk_add_f16 v49, v4, v22
	v_max_f16_e32 v50, v107, v107
	v_pk_add_f16 v62, v5, v23
	v_min_f16_e32 v50, v50, v49
	v_lshrrev_b32_e32 v51, 16, v107
	v_lshrrev_b32_e32 v49, 16, v49
	v_lshrrev_b32_e32 v66, 16, v62
	v_min3_f16 v49, v51, v49, v66
	v_min3_f16 v49, v50, v62, v49
	v_cvt_f32_f16_e32 v49, v49
	v_max_f32_e32 v48, v48, v48
	s_and_b64 vcc, exec, s[0:1]
	v_min_f32_e32 v48, v48, v49
	v_cvt_f16_f32_e32 v50, v48
	v_lshl_add_u64 v[48:49], v[36:37], 1, v[46:47]
	flat_store_short v[48:49], v50
	v_mov_b32_e32 v48, 0
	v_mov_b32_e32 v49, 0
	s_cbranch_vccnz .LBB220_53
; %bb.52:
	v_lshl_add_u64 v[50:51], v[40:41], 1, v[20:21]
	flat_load_ushort v49, v[50:51]
	s_waitcnt vmcnt(0) lgkmcnt(0)
	v_mul_f16_e32 v49, s15, v49
	v_cvt_f32_f16_e32 v49, v49
.LBB220_53:
	v_pk_add_f16 v50, v6, v22
	v_max_f16_e32 v51, v106, v106
	v_pk_add_f16 v66, v7, v23
	v_min_f16_e32 v51, v51, v50
	v_lshrrev_b32_e32 v62, 16, v106
	v_lshrrev_b32_e32 v50, 16, v50
	v_lshrrev_b32_e32 v70, 16, v66
	v_min3_f16 v50, v62, v50, v70
	v_min3_f16 v50, v51, v66, v50
	v_cvt_f32_f16_e32 v50, v50
	v_max_f32_e32 v49, v49, v49
	s_and_b64 vcc, exec, s[0:1]
	v_min_f32_e32 v49, v49, v50
	v_cvt_f16_f32_e32 v49, v49
	v_lshl_add_u64 v[50:51], v[40:41], 1, v[46:47]
	;; [unrolled: 50-line block ×3, first 2 shown]
	flat_store_short v[50:51], v49
	s_cbranch_vccnz .LBB220_59
; %bb.58:
	v_lshl_add_u64 v[20:21], v[44:45], 1, v[20:21]
	flat_load_ushort v20, v[20:21]
	s_waitcnt vmcnt(0) lgkmcnt(0)
	v_mul_f16_e32 v20, s15, v20
	v_cvt_f32_f16_e32 v48, v20
.LBB220_59:
	v_pk_add_f16 v20, v24, v22
	v_max_f16_e32 v21, v98, v98
	v_pk_add_f16 v23, v25, v23
	v_min_f16_e32 v21, v21, v20
	v_lshrrev_b32_e32 v22, 16, v98
	v_lshrrev_b32_e32 v20, 16, v20
	v_lshrrev_b32_e32 v49, 16, v23
	v_min3_f16 v20, v22, v20, v49
	v_min3_f16 v20, v21, v23, v20
	v_cvt_f32_f16_e32 v20, v20
	v_max_f32_e32 v21, v48, v48
	s_and_b64 vcc, exec, s[0:1]
	v_mov_b32_e32 v23, 0
	v_min_f32_e32 v20, v21, v20
	v_cvt_f16_f32_e32 v22, v20
	v_lshl_add_u64 v[20:21], v[44:45], 1, v[46:47]
	v_mov_b32_e32 v46, 0
	flat_store_short v[20:21], v22
	v_add_u32_e32 v22, 0x60, v65
	v_mad_i64_i32 v[20:21], s[6:7], v22, s8, 0
	v_lshl_add_u64 v[20:21], v[20:21], 1, s[12:13]
	s_cbranch_vccnz .LBB220_61
; %bb.60:
	v_lshl_add_u64 v[48:49], v[28:29], 1, v[20:21]
	flat_load_ushort v23, v[48:49]
	s_waitcnt vmcnt(0) lgkmcnt(0)
	v_mul_f16_e32 v23, s15, v23
	v_cvt_f32_f16_e32 v23, v23
.LBB220_61:
	v_pk_add_f16 v47, v30, v16
	v_max_f16_e32 v48, v97, v97
	v_pk_add_f16 v50, v31, v17
	v_min_f16_e32 v48, v48, v47
	v_lshrrev_b32_e32 v49, 16, v97
	v_lshrrev_b32_e32 v47, 16, v47
	;; [unrolled: 1-line block ×3, first 2 shown]
	v_min3_f16 v47, v49, v47, v51
	v_min3_f16 v47, v48, v50, v47
	v_cvt_f32_f16_e32 v47, v47
	v_mad_i64_i32 v[48:49], s[6:7], v22, s9, 0
	v_max_f32_e32 v22, v23, v23
	v_min_f32_e32 v22, v22, v47
	v_cvt_f16_f32_e32 v47, v22
	v_lshl_add_u64 v[22:23], v[48:49], 1, s[2:3]
	v_lshl_add_u64 v[48:49], v[28:29], 1, v[22:23]
	s_and_b64 vcc, exec, s[0:1]
	flat_store_short v[48:49], v47
	s_cbranch_vccnz .LBB220_63
; %bb.62:
	v_lshl_add_u64 v[46:47], v[32:33], 1, v[20:21]
	flat_load_ushort v46, v[46:47]
	s_waitcnt vmcnt(0) lgkmcnt(0)
	v_mul_f16_e32 v46, s15, v46
	v_cvt_f32_f16_e32 v46, v46
.LBB220_63:
	v_pk_add_f16 v47, v8, v16
	v_max_f16_e32 v48, v96, v96
	v_pk_add_f16 v50, v9, v17
	v_min_f16_e32 v48, v48, v47
	v_lshrrev_b32_e32 v49, 16, v96
	v_lshrrev_b32_e32 v47, 16, v47
	v_lshrrev_b32_e32 v51, 16, v50
	v_min3_f16 v47, v49, v47, v51
	v_min3_f16 v47, v48, v50, v47
	v_cvt_f32_f16_e32 v47, v47
	v_max_f32_e32 v46, v46, v46
	s_and_b64 vcc, exec, s[0:1]
	v_min_f32_e32 v46, v46, v47
	v_cvt_f16_f32_e32 v48, v46
	v_lshl_add_u64 v[46:47], v[32:33], 1, v[22:23]
	flat_store_short v[46:47], v48
	v_mov_b32_e32 v46, 0
	v_mov_b32_e32 v47, 0
	s_cbranch_vccnz .LBB220_65
; %bb.64:
	v_lshl_add_u64 v[48:49], v[34:35], 1, v[20:21]
	flat_load_ushort v47, v[48:49]
	s_waitcnt vmcnt(0) lgkmcnt(0)
	v_mul_f16_e32 v47, s15, v47
	v_cvt_f32_f16_e32 v47, v47
.LBB220_65:
	v_pk_add_f16 v48, v10, v16
	v_max_f16_e32 v49, v95, v95
	v_pk_add_f16 v51, v11, v17
	v_min_f16_e32 v49, v49, v48
	v_lshrrev_b32_e32 v50, 16, v95
	v_lshrrev_b32_e32 v48, 16, v48
	v_lshrrev_b32_e32 v62, 16, v51
	v_min3_f16 v48, v50, v48, v62
	v_min3_f16 v48, v49, v51, v48
	v_cvt_f32_f16_e32 v48, v48
	v_max_f32_e32 v47, v47, v47
	s_and_b64 vcc, exec, s[0:1]
	v_min_f32_e32 v47, v47, v48
	v_cvt_f16_f32_e32 v47, v47
	v_lshl_add_u64 v[48:49], v[34:35], 1, v[22:23]
	flat_store_short v[48:49], v47
	s_cbranch_vccnz .LBB220_67
; %bb.66:
	v_lshl_add_u64 v[46:47], v[36:37], 1, v[20:21]
	flat_load_ushort v46, v[46:47]
	s_waitcnt vmcnt(0) lgkmcnt(0)
	v_mul_f16_e32 v46, s15, v46
	v_cvt_f32_f16_e32 v46, v46
.LBB220_67:
	v_pk_add_f16 v47, v4, v16
	v_max_f16_e32 v48, v94, v94
	v_pk_add_f16 v50, v5, v17
	v_min_f16_e32 v48, v48, v47
	v_lshrrev_b32_e32 v49, 16, v94
	v_lshrrev_b32_e32 v47, 16, v47
	v_lshrrev_b32_e32 v51, 16, v50
	v_min3_f16 v47, v49, v47, v51
	v_min3_f16 v47, v48, v50, v47
	v_cvt_f32_f16_e32 v47, v47
	v_max_f32_e32 v46, v46, v46
	s_and_b64 vcc, exec, s[0:1]
	v_min_f32_e32 v46, v46, v47
	v_cvt_f16_f32_e32 v48, v46
	v_lshl_add_u64 v[46:47], v[36:37], 1, v[22:23]
	flat_store_short v[46:47], v48
	v_mov_b32_e32 v46, 0
	v_mov_b32_e32 v47, 0
	s_cbranch_vccnz .LBB220_69
; %bb.68:
	v_lshl_add_u64 v[48:49], v[40:41], 1, v[20:21]
	flat_load_ushort v47, v[48:49]
	s_waitcnt vmcnt(0) lgkmcnt(0)
	v_mul_f16_e32 v47, s15, v47
	v_cvt_f32_f16_e32 v47, v47
.LBB220_69:
	v_pk_add_f16 v48, v6, v16
	v_max_f16_e32 v49, v93, v93
	v_pk_add_f16 v51, v7, v17
	v_min_f16_e32 v49, v49, v48
	v_lshrrev_b32_e32 v50, 16, v93
	v_lshrrev_b32_e32 v48, 16, v48
	v_lshrrev_b32_e32 v62, 16, v51
	v_min3_f16 v48, v50, v48, v62
	v_min3_f16 v48, v49, v51, v48
	v_cvt_f32_f16_e32 v48, v48
	v_max_f32_e32 v47, v47, v47
	s_and_b64 vcc, exec, s[0:1]
	v_min_f32_e32 v47, v47, v48
	v_cvt_f16_f32_e32 v47, v47
	v_lshl_add_u64 v[48:49], v[40:41], 1, v[22:23]
	;; [unrolled: 50-line block ×3, first 2 shown]
	flat_store_short v[48:49], v47
	s_cbranch_vccnz .LBB220_75
; %bb.74:
	v_lshl_add_u64 v[20:21], v[44:45], 1, v[20:21]
	flat_load_ushort v20, v[20:21]
	s_waitcnt vmcnt(0) lgkmcnt(0)
	v_mul_f16_e32 v20, s15, v20
	v_cvt_f32_f16_e32 v46, v20
.LBB220_75:
	v_pk_add_f16 v16, v24, v16
	v_max_f16_e32 v20, v90, v90
	v_pk_add_f16 v17, v25, v17
	v_min_f16_e32 v20, v20, v16
	v_lshrrev_b32_e32 v21, 16, v90
	v_lshrrev_b32_e32 v16, 16, v16
	;; [unrolled: 1-line block ×3, first 2 shown]
	v_min3_f16 v16, v21, v16, v47
	v_min3_f16 v16, v20, v17, v16
	v_cvt_f32_f16_e32 v16, v16
	v_max_f32_e32 v17, v46, v46
	s_and_b64 vcc, exec, s[0:1]
	v_mov_b32_e32 v21, 0
	v_min_f32_e32 v16, v17, v16
	v_cvt_f16_f32_e32 v20, v16
	v_lshl_add_u64 v[16:17], v[44:45], 1, v[22:23]
	v_mov_b32_e32 v22, 0
	flat_store_short v[16:17], v20
	v_add_u32_e32 v20, 0x80, v65
	v_mad_i64_i32 v[16:17], s[6:7], v20, s8, 0
	v_lshl_add_u64 v[16:17], v[16:17], 1, s[12:13]
	s_cbranch_vccnz .LBB220_77
; %bb.76:
	v_lshl_add_u64 v[46:47], v[28:29], 1, v[16:17]
	flat_load_ushort v21, v[46:47]
	s_waitcnt vmcnt(0) lgkmcnt(0)
	v_mul_f16_e32 v21, s15, v21
	v_cvt_f32_f16_e32 v21, v21
.LBB220_77:
	v_pk_add_f16 v23, v30, v18
	v_max_f16_e32 v46, v89, v89
	v_pk_add_f16 v48, v31, v19
	v_min_f16_e32 v46, v46, v23
	v_lshrrev_b32_e32 v47, 16, v89
	v_lshrrev_b32_e32 v23, 16, v23
	;; [unrolled: 1-line block ×3, first 2 shown]
	v_min3_f16 v23, v47, v23, v49
	v_min3_f16 v23, v46, v48, v23
	v_cvt_f32_f16_e32 v23, v23
	v_mad_i64_i32 v[46:47], s[6:7], v20, s9, 0
	v_max_f32_e32 v20, v21, v21
	v_min_f32_e32 v20, v20, v23
	v_cvt_f16_f32_e32 v23, v20
	v_lshl_add_u64 v[20:21], v[46:47], 1, s[2:3]
	v_lshl_add_u64 v[46:47], v[28:29], 1, v[20:21]
	s_and_b64 vcc, exec, s[0:1]
	flat_store_short v[46:47], v23
	s_cbranch_vccnz .LBB220_79
; %bb.78:
	v_lshl_add_u64 v[22:23], v[32:33], 1, v[16:17]
	flat_load_ushort v22, v[22:23]
	s_waitcnt vmcnt(0) lgkmcnt(0)
	v_mul_f16_e32 v22, s15, v22
	v_cvt_f32_f16_e32 v22, v22
.LBB220_79:
	v_pk_add_f16 v23, v8, v18
	v_max_f16_e32 v46, v88, v88
	v_pk_add_f16 v48, v9, v19
	v_min_f16_e32 v46, v46, v23
	v_lshrrev_b32_e32 v47, 16, v88
	v_lshrrev_b32_e32 v23, 16, v23
	v_lshrrev_b32_e32 v49, 16, v48
	v_min3_f16 v23, v47, v23, v49
	v_min3_f16 v23, v46, v48, v23
	v_cvt_f32_f16_e32 v23, v23
	v_max_f32_e32 v22, v22, v22
	s_and_b64 vcc, exec, s[0:1]
	v_min_f32_e32 v22, v22, v23
	v_cvt_f16_f32_e32 v46, v22
	v_lshl_add_u64 v[22:23], v[32:33], 1, v[20:21]
	flat_store_short v[22:23], v46
	v_mov_b32_e32 v22, 0
	v_mov_b32_e32 v23, 0
	s_cbranch_vccnz .LBB220_81
; %bb.80:
	v_lshl_add_u64 v[46:47], v[34:35], 1, v[16:17]
	flat_load_ushort v23, v[46:47]
	s_waitcnt vmcnt(0) lgkmcnt(0)
	v_mul_f16_e32 v23, s15, v23
	v_cvt_f32_f16_e32 v23, v23
.LBB220_81:
	v_pk_add_f16 v46, v10, v18
	v_max_f16_e32 v47, v87, v87
	v_pk_add_f16 v49, v11, v19
	v_min_f16_e32 v47, v47, v46
	v_lshrrev_b32_e32 v48, 16, v87
	v_lshrrev_b32_e32 v46, 16, v46
	v_lshrrev_b32_e32 v50, 16, v49
	v_min3_f16 v46, v48, v46, v50
	v_min3_f16 v46, v47, v49, v46
	v_cvt_f32_f16_e32 v46, v46
	v_max_f32_e32 v23, v23, v23
	s_and_b64 vcc, exec, s[0:1]
	v_min_f32_e32 v23, v23, v46
	v_cvt_f16_f32_e32 v23, v23
	v_lshl_add_u64 v[46:47], v[34:35], 1, v[20:21]
	flat_store_short v[46:47], v23
	s_cbranch_vccnz .LBB220_83
; %bb.82:
	v_lshl_add_u64 v[22:23], v[36:37], 1, v[16:17]
	flat_load_ushort v22, v[22:23]
	s_waitcnt vmcnt(0) lgkmcnt(0)
	v_mul_f16_e32 v22, s15, v22
	v_cvt_f32_f16_e32 v22, v22
.LBB220_83:
	v_pk_add_f16 v23, v4, v18
	v_max_f16_e32 v46, v86, v86
	v_pk_add_f16 v48, v5, v19
	v_min_f16_e32 v46, v46, v23
	v_lshrrev_b32_e32 v47, 16, v86
	v_lshrrev_b32_e32 v23, 16, v23
	v_lshrrev_b32_e32 v49, 16, v48
	v_min3_f16 v23, v47, v23, v49
	v_min3_f16 v23, v46, v48, v23
	v_cvt_f32_f16_e32 v23, v23
	v_max_f32_e32 v22, v22, v22
	s_and_b64 vcc, exec, s[0:1]
	v_min_f32_e32 v22, v22, v23
	v_cvt_f16_f32_e32 v46, v22
	v_lshl_add_u64 v[22:23], v[36:37], 1, v[20:21]
	flat_store_short v[22:23], v46
	v_mov_b32_e32 v22, 0
	v_mov_b32_e32 v23, 0
	s_cbranch_vccnz .LBB220_85
; %bb.84:
	v_lshl_add_u64 v[46:47], v[40:41], 1, v[16:17]
	flat_load_ushort v23, v[46:47]
	s_waitcnt vmcnt(0) lgkmcnt(0)
	v_mul_f16_e32 v23, s15, v23
	v_cvt_f32_f16_e32 v23, v23
.LBB220_85:
	v_pk_add_f16 v46, v6, v18
	v_max_f16_e32 v47, v85, v85
	v_pk_add_f16 v49, v7, v19
	v_min_f16_e32 v47, v47, v46
	v_lshrrev_b32_e32 v48, 16, v85
	v_lshrrev_b32_e32 v46, 16, v46
	v_lshrrev_b32_e32 v50, 16, v49
	v_min3_f16 v46, v48, v46, v50
	v_min3_f16 v46, v47, v49, v46
	v_cvt_f32_f16_e32 v46, v46
	v_max_f32_e32 v23, v23, v23
	s_and_b64 vcc, exec, s[0:1]
	v_min_f32_e32 v23, v23, v46
	v_cvt_f16_f32_e32 v23, v23
	v_lshl_add_u64 v[46:47], v[40:41], 1, v[20:21]
	;; [unrolled: 50-line block ×3, first 2 shown]
	flat_store_short v[46:47], v23
	s_cbranch_vccnz .LBB220_91
; %bb.90:
	v_lshl_add_u64 v[16:17], v[44:45], 1, v[16:17]
	flat_load_ushort v16, v[16:17]
	s_waitcnt vmcnt(0) lgkmcnt(0)
	v_mul_f16_e32 v16, s15, v16
	v_cvt_f32_f16_e32 v22, v16
.LBB220_91:
	v_pk_add_f16 v16, v24, v18
	v_max_f16_e32 v17, v82, v82
	v_pk_add_f16 v19, v25, v19
	v_min_f16_e32 v17, v17, v16
	v_lshrrev_b32_e32 v18, 16, v82
	v_lshrrev_b32_e32 v16, 16, v16
	;; [unrolled: 1-line block ×3, first 2 shown]
	v_min3_f16 v16, v18, v16, v23
	v_min3_f16 v16, v17, v19, v16
	v_cvt_f32_f16_e32 v16, v16
	v_max_f32_e32 v17, v22, v22
	s_and_b64 vcc, exec, s[0:1]
	v_mov_b32_e32 v19, 0
	v_min_f32_e32 v16, v17, v16
	v_cvt_f16_f32_e32 v18, v16
	v_lshl_add_u64 v[16:17], v[44:45], 1, v[20:21]
	v_mov_b32_e32 v20, 0
	flat_store_short v[16:17], v18
	v_add_u32_e32 v18, 0xa0, v65
	v_mad_i64_i32 v[16:17], s[6:7], v18, s8, 0
	v_lshl_add_u64 v[16:17], v[16:17], 1, s[12:13]
	s_cbranch_vccnz .LBB220_93
; %bb.92:
	v_lshl_add_u64 v[22:23], v[28:29], 1, v[16:17]
	flat_load_ushort v19, v[22:23]
	s_waitcnt vmcnt(0) lgkmcnt(0)
	v_mul_f16_e32 v19, s15, v19
	v_cvt_f32_f16_e32 v19, v19
.LBB220_93:
	v_pk_add_f16 v21, v30, v12
	v_max_f16_e32 v22, v81, v81
	v_pk_add_f16 v46, v31, v13
	v_min_f16_e32 v22, v22, v21
	v_lshrrev_b32_e32 v23, 16, v81
	v_lshrrev_b32_e32 v21, 16, v21
	v_lshrrev_b32_e32 v47, 16, v46
	v_min3_f16 v21, v23, v21, v47
	v_min3_f16 v21, v22, v46, v21
	v_cvt_f32_f16_e32 v21, v21
	v_mad_i64_i32 v[22:23], s[6:7], v18, s9, 0
	v_max_f32_e32 v18, v19, v19
	v_min_f32_e32 v18, v18, v21
	v_cvt_f16_f32_e32 v21, v18
	v_lshl_add_u64 v[18:19], v[22:23], 1, s[2:3]
	v_lshl_add_u64 v[22:23], v[28:29], 1, v[18:19]
	s_and_b64 vcc, exec, s[0:1]
	flat_store_short v[22:23], v21
	s_cbranch_vccnz .LBB220_95
; %bb.94:
	v_lshl_add_u64 v[20:21], v[32:33], 1, v[16:17]
	flat_load_ushort v20, v[20:21]
	s_waitcnt vmcnt(0) lgkmcnt(0)
	v_mul_f16_e32 v20, s15, v20
	v_cvt_f32_f16_e32 v20, v20
.LBB220_95:
	v_pk_add_f16 v21, v8, v12
	v_max_f16_e32 v22, v80, v80
	v_pk_add_f16 v46, v9, v13
	v_min_f16_e32 v22, v22, v21
	v_lshrrev_b32_e32 v23, 16, v80
	v_lshrrev_b32_e32 v21, 16, v21
	v_lshrrev_b32_e32 v47, 16, v46
	v_min3_f16 v21, v23, v21, v47
	v_min3_f16 v21, v22, v46, v21
	v_cvt_f32_f16_e32 v21, v21
	v_max_f32_e32 v20, v20, v20
	s_and_b64 vcc, exec, s[0:1]
	v_min_f32_e32 v20, v20, v21
	v_cvt_f16_f32_e32 v22, v20
	v_lshl_add_u64 v[20:21], v[32:33], 1, v[18:19]
	flat_store_short v[20:21], v22
	v_mov_b32_e32 v20, 0
	v_mov_b32_e32 v21, 0
	s_cbranch_vccnz .LBB220_97
; %bb.96:
	v_lshl_add_u64 v[22:23], v[34:35], 1, v[16:17]
	flat_load_ushort v21, v[22:23]
	s_waitcnt vmcnt(0) lgkmcnt(0)
	v_mul_f16_e32 v21, s15, v21
	v_cvt_f32_f16_e32 v21, v21
.LBB220_97:
	v_pk_add_f16 v22, v10, v12
	v_max_f16_e32 v23, v77, v77
	v_pk_add_f16 v47, v11, v13
	v_min_f16_e32 v23, v23, v22
	v_lshrrev_b32_e32 v46, 16, v77
	v_lshrrev_b32_e32 v22, 16, v22
	v_lshrrev_b32_e32 v48, 16, v47
	v_min3_f16 v22, v46, v22, v48
	v_min3_f16 v22, v23, v47, v22
	v_cvt_f32_f16_e32 v22, v22
	v_max_f32_e32 v21, v21, v21
	s_and_b64 vcc, exec, s[0:1]
	v_min_f32_e32 v21, v21, v22
	v_cvt_f16_f32_e32 v21, v21
	v_lshl_add_u64 v[22:23], v[34:35], 1, v[18:19]
	flat_store_short v[22:23], v21
	s_cbranch_vccnz .LBB220_99
; %bb.98:
	v_lshl_add_u64 v[20:21], v[36:37], 1, v[16:17]
	flat_load_ushort v20, v[20:21]
	s_waitcnt vmcnt(0) lgkmcnt(0)
	v_mul_f16_e32 v20, s15, v20
	v_cvt_f32_f16_e32 v20, v20
.LBB220_99:
	v_pk_add_f16 v21, v4, v12
	v_max_f16_e32 v22, v76, v76
	v_pk_add_f16 v46, v5, v13
	v_min_f16_e32 v22, v22, v21
	v_lshrrev_b32_e32 v23, 16, v76
	v_lshrrev_b32_e32 v21, 16, v21
	v_lshrrev_b32_e32 v47, 16, v46
	v_min3_f16 v21, v23, v21, v47
	v_min3_f16 v21, v22, v46, v21
	v_cvt_f32_f16_e32 v21, v21
	v_max_f32_e32 v20, v20, v20
	s_and_b64 vcc, exec, s[0:1]
	v_min_f32_e32 v20, v20, v21
	v_cvt_f16_f32_e32 v22, v20
	v_lshl_add_u64 v[20:21], v[36:37], 1, v[18:19]
	flat_store_short v[20:21], v22
	v_mov_b32_e32 v20, 0
	v_mov_b32_e32 v21, 0
	s_cbranch_vccnz .LBB220_101
; %bb.100:
	v_lshl_add_u64 v[22:23], v[40:41], 1, v[16:17]
	flat_load_ushort v21, v[22:23]
	s_waitcnt vmcnt(0) lgkmcnt(0)
	v_mul_f16_e32 v21, s15, v21
	v_cvt_f32_f16_e32 v21, v21
.LBB220_101:
	v_pk_add_f16 v22, v6, v12
	v_max_f16_e32 v23, v75, v75
	v_pk_add_f16 v47, v7, v13
	v_min_f16_e32 v23, v23, v22
	v_lshrrev_b32_e32 v46, 16, v75
	v_lshrrev_b32_e32 v22, 16, v22
	v_lshrrev_b32_e32 v48, 16, v47
	v_min3_f16 v22, v46, v22, v48
	v_min3_f16 v22, v23, v47, v22
	v_cvt_f32_f16_e32 v22, v22
	v_max_f32_e32 v21, v21, v21
	s_and_b64 vcc, exec, s[0:1]
	v_min_f32_e32 v21, v21, v22
	v_cvt_f16_f32_e32 v21, v21
	v_lshl_add_u64 v[22:23], v[40:41], 1, v[18:19]
	;; [unrolled: 50-line block ×3, first 2 shown]
	flat_store_short v[22:23], v21
	s_cbranch_vccnz .LBB220_107
; %bb.106:
	v_lshl_add_u64 v[16:17], v[44:45], 1, v[16:17]
	flat_load_ushort v16, v[16:17]
	s_waitcnt vmcnt(0) lgkmcnt(0)
	v_mul_f16_e32 v16, s15, v16
	v_cvt_f32_f16_e32 v20, v16
.LBB220_107:
	v_pk_add_f16 v12, v24, v12
	v_max_f16_e32 v16, v72, v72
	v_pk_add_f16 v13, v25, v13
	v_min_f16_e32 v16, v16, v12
	v_lshrrev_b32_e32 v17, 16, v72
	v_lshrrev_b32_e32 v12, 16, v12
	;; [unrolled: 1-line block ×3, first 2 shown]
	v_min3_f16 v12, v17, v12, v21
	v_min3_f16 v12, v16, v13, v12
	v_cvt_f32_f16_e32 v12, v12
	v_max_f32_e32 v13, v20, v20
	s_and_b64 vcc, exec, s[0:1]
	v_mov_b32_e32 v17, 0
	v_min_f32_e32 v12, v13, v12
	v_cvt_f16_f32_e32 v16, v12
	v_lshl_add_u64 v[12:13], v[44:45], 1, v[18:19]
	v_mov_b32_e32 v18, 0
	flat_store_short v[12:13], v16
	v_add_u32_e32 v16, 0xc0, v65
	v_mad_i64_i32 v[12:13], s[6:7], v16, s8, 0
	v_lshl_add_u64 v[12:13], v[12:13], 1, s[12:13]
	s_cbranch_vccnz .LBB220_109
; %bb.108:
	v_lshl_add_u64 v[20:21], v[28:29], 1, v[12:13]
	flat_load_ushort v17, v[20:21]
	s_waitcnt vmcnt(0) lgkmcnt(0)
	v_mul_f16_e32 v17, s15, v17
	v_cvt_f32_f16_e32 v17, v17
.LBB220_109:
	v_pk_add_f16 v19, v30, v14
	v_max_f16_e32 v20, v71, v71
	v_pk_add_f16 v22, v31, v15
	v_min_f16_e32 v20, v20, v19
	v_lshrrev_b32_e32 v21, 16, v71
	v_lshrrev_b32_e32 v19, 16, v19
	;; [unrolled: 1-line block ×3, first 2 shown]
	v_min3_f16 v19, v21, v19, v23
	v_min3_f16 v19, v20, v22, v19
	v_cvt_f32_f16_e32 v19, v19
	v_mad_i64_i32 v[20:21], s[6:7], v16, s9, 0
	v_max_f32_e32 v16, v17, v17
	v_min_f32_e32 v16, v16, v19
	v_cvt_f16_f32_e32 v19, v16
	v_lshl_add_u64 v[16:17], v[20:21], 1, s[2:3]
	v_lshl_add_u64 v[20:21], v[28:29], 1, v[16:17]
	s_and_b64 vcc, exec, s[0:1]
	flat_store_short v[20:21], v19
	s_cbranch_vccnz .LBB220_111
; %bb.110:
	v_lshl_add_u64 v[18:19], v[32:33], 1, v[12:13]
	flat_load_ushort v18, v[18:19]
	s_waitcnt vmcnt(0) lgkmcnt(0)
	v_mul_f16_e32 v18, s15, v18
	v_cvt_f32_f16_e32 v18, v18
.LBB220_111:
	v_pk_add_f16 v19, v8, v14
	v_max_f16_e32 v20, v69, v69
	v_pk_add_f16 v22, v9, v15
	v_min_f16_e32 v20, v20, v19
	v_lshrrev_b32_e32 v21, 16, v69
	v_lshrrev_b32_e32 v19, 16, v19
	v_lshrrev_b32_e32 v23, 16, v22
	v_min3_f16 v19, v21, v19, v23
	v_min3_f16 v19, v20, v22, v19
	v_cvt_f32_f16_e32 v19, v19
	v_max_f32_e32 v18, v18, v18
	s_and_b64 vcc, exec, s[0:1]
	v_min_f32_e32 v18, v18, v19
	v_cvt_f16_f32_e32 v20, v18
	v_lshl_add_u64 v[18:19], v[32:33], 1, v[16:17]
	flat_store_short v[18:19], v20
	v_mov_b32_e32 v18, 0
	v_mov_b32_e32 v19, 0
	s_cbranch_vccnz .LBB220_113
; %bb.112:
	v_lshl_add_u64 v[20:21], v[34:35], 1, v[12:13]
	flat_load_ushort v19, v[20:21]
	s_waitcnt vmcnt(0) lgkmcnt(0)
	v_mul_f16_e32 v19, s15, v19
	v_cvt_f32_f16_e32 v19, v19
.LBB220_113:
	v_pk_add_f16 v20, v10, v14
	v_max_f16_e32 v21, v68, v68
	v_pk_add_f16 v23, v11, v15
	v_min_f16_e32 v21, v21, v20
	v_lshrrev_b32_e32 v22, 16, v68
	v_lshrrev_b32_e32 v20, 16, v20
	v_lshrrev_b32_e32 v46, 16, v23
	v_min3_f16 v20, v22, v20, v46
	v_min3_f16 v20, v21, v23, v20
	v_cvt_f32_f16_e32 v20, v20
	v_max_f32_e32 v19, v19, v19
	s_and_b64 vcc, exec, s[0:1]
	v_min_f32_e32 v19, v19, v20
	v_cvt_f16_f32_e32 v19, v19
	v_lshl_add_u64 v[20:21], v[34:35], 1, v[16:17]
	flat_store_short v[20:21], v19
	s_cbranch_vccnz .LBB220_115
; %bb.114:
	v_lshl_add_u64 v[18:19], v[36:37], 1, v[12:13]
	flat_load_ushort v18, v[18:19]
	s_waitcnt vmcnt(0) lgkmcnt(0)
	v_mul_f16_e32 v18, s15, v18
	v_cvt_f32_f16_e32 v18, v18
.LBB220_115:
	v_pk_add_f16 v19, v4, v14
	v_max_f16_e32 v20, v67, v67
	v_pk_add_f16 v22, v5, v15
	v_min_f16_e32 v20, v20, v19
	v_lshrrev_b32_e32 v21, 16, v67
	v_lshrrev_b32_e32 v19, 16, v19
	v_lshrrev_b32_e32 v23, 16, v22
	v_min3_f16 v19, v21, v19, v23
	v_min3_f16 v19, v20, v22, v19
	v_cvt_f32_f16_e32 v19, v19
	v_max_f32_e32 v18, v18, v18
	s_and_b64 vcc, exec, s[0:1]
	v_min_f32_e32 v18, v18, v19
	v_cvt_f16_f32_e32 v20, v18
	v_lshl_add_u64 v[18:19], v[36:37], 1, v[16:17]
	flat_store_short v[18:19], v20
	v_mov_b32_e32 v18, 0
	v_mov_b32_e32 v19, 0
	s_cbranch_vccnz .LBB220_117
; %bb.116:
	v_lshl_add_u64 v[20:21], v[40:41], 1, v[12:13]
	flat_load_ushort v19, v[20:21]
	s_waitcnt vmcnt(0) lgkmcnt(0)
	v_mul_f16_e32 v19, s15, v19
	v_cvt_f32_f16_e32 v19, v19
.LBB220_117:
	v_pk_add_f16 v20, v6, v14
	v_max_f16_e32 v21, v64, v64
	v_pk_add_f16 v23, v7, v15
	v_min_f16_e32 v21, v21, v20
	v_lshrrev_b32_e32 v22, 16, v64
	v_lshrrev_b32_e32 v20, 16, v20
	v_lshrrev_b32_e32 v46, 16, v23
	v_min3_f16 v20, v22, v20, v46
	v_min3_f16 v20, v21, v23, v20
	v_cvt_f32_f16_e32 v20, v20
	v_max_f32_e32 v19, v19, v19
	s_and_b64 vcc, exec, s[0:1]
	v_min_f32_e32 v19, v19, v20
	v_cvt_f16_f32_e32 v19, v19
	v_lshl_add_u64 v[20:21], v[40:41], 1, v[16:17]
	;; [unrolled: 50-line block ×3, first 2 shown]
	flat_store_short v[20:21], v19
	s_cbranch_vccnz .LBB220_123
; %bb.122:
	v_lshl_add_u64 v[12:13], v[44:45], 1, v[12:13]
	flat_load_ushort v12, v[12:13]
	s_waitcnt vmcnt(0) lgkmcnt(0)
	v_mul_f16_e32 v12, s15, v12
	v_cvt_f32_f16_e32 v18, v12
.LBB220_123:
	v_pk_add_f16 v12, v24, v14
	v_max_f16_e32 v13, v60, v60
	v_pk_add_f16 v15, v25, v15
	v_min_f16_e32 v13, v13, v12
	v_lshrrev_b32_e32 v14, 16, v60
	v_lshrrev_b32_e32 v12, 16, v12
	;; [unrolled: 1-line block ×3, first 2 shown]
	v_min3_f16 v12, v14, v12, v19
	v_min3_f16 v12, v13, v15, v12
	v_cvt_f32_f16_e32 v12, v12
	v_max_f32_e32 v13, v18, v18
	s_and_b64 vcc, exec, s[0:1]
	v_mov_b32_e32 v15, 0
	v_min_f32_e32 v12, v13, v12
	v_cvt_f16_f32_e32 v14, v12
	v_lshl_add_u64 v[12:13], v[44:45], 1, v[16:17]
	v_mov_b32_e32 v16, 0
	flat_store_short v[12:13], v14
	v_add_u32_e32 v14, 0xe0, v65
	v_mad_i64_i32 v[12:13], s[6:7], v14, s8, 0
	v_lshl_add_u64 v[12:13], v[12:13], 1, s[12:13]
	s_cbranch_vccnz .LBB220_125
; %bb.124:
	v_lshl_add_u64 v[18:19], v[28:29], 1, v[12:13]
	flat_load_ushort v15, v[18:19]
	s_waitcnt vmcnt(0) lgkmcnt(0)
	v_mul_f16_e32 v15, s15, v15
	v_cvt_f32_f16_e32 v15, v15
.LBB220_125:
	v_pk_add_f16 v17, v30, v26
	v_max_f16_e32 v18, v59, v59
	v_pk_add_f16 v20, v31, v27
	v_min_f16_e32 v18, v18, v17
	v_lshrrev_b32_e32 v19, 16, v59
	v_lshrrev_b32_e32 v17, 16, v17
	;; [unrolled: 1-line block ×3, first 2 shown]
	v_min3_f16 v17, v19, v17, v21
	v_min3_f16 v17, v18, v20, v17
	v_cvt_f32_f16_e32 v17, v17
	v_mad_i64_i32 v[18:19], s[6:7], v14, s9, 0
	v_max_f32_e32 v14, v15, v15
	v_min_f32_e32 v14, v14, v17
	v_cvt_f16_f32_e32 v17, v14
	v_lshl_add_u64 v[14:15], v[18:19], 1, s[2:3]
	v_lshl_add_u64 v[18:19], v[28:29], 1, v[14:15]
	s_and_b64 vcc, exec, s[0:1]
	flat_store_short v[18:19], v17
	s_cbranch_vccnz .LBB220_127
; %bb.126:
	v_lshl_add_u64 v[16:17], v[32:33], 1, v[12:13]
	flat_load_ushort v16, v[16:17]
	s_waitcnt vmcnt(0) lgkmcnt(0)
	v_mul_f16_e32 v16, s15, v16
	v_cvt_f32_f16_e32 v16, v16
.LBB220_127:
	v_pk_add_f16 v8, v8, v26
	v_max_f16_e32 v17, v58, v58
	v_pk_add_f16 v9, v9, v27
	v_min_f16_e32 v17, v17, v8
	v_lshrrev_b32_e32 v18, 16, v58
	v_lshrrev_b32_e32 v8, 16, v8
	;; [unrolled: 1-line block ×3, first 2 shown]
	v_min3_f16 v8, v18, v8, v19
	v_min3_f16 v8, v17, v9, v8
	v_cvt_f32_f16_e32 v8, v8
	v_max_f32_e32 v9, v16, v16
	s_and_b64 vcc, exec, s[0:1]
	v_min_f32_e32 v8, v9, v8
	v_cvt_f16_f32_e32 v16, v8
	v_lshl_add_u64 v[8:9], v[32:33], 1, v[14:15]
	flat_store_short v[8:9], v16
	v_mov_b32_e32 v8, 0
	v_mov_b32_e32 v9, 0
	s_cbranch_vccnz .LBB220_129
; %bb.128:
	v_lshl_add_u64 v[16:17], v[34:35], 1, v[12:13]
	flat_load_ushort v9, v[16:17]
	s_waitcnt vmcnt(0) lgkmcnt(0)
	v_mul_f16_e32 v9, s15, v9
	v_cvt_f32_f16_e32 v9, v9
.LBB220_129:
	v_pk_add_f16 v10, v10, v26
	v_max_f16_e32 v16, v57, v57
	v_pk_add_f16 v11, v11, v27
	v_min_f16_e32 v16, v16, v10
	v_lshrrev_b32_e32 v17, 16, v57
	v_lshrrev_b32_e32 v10, 16, v10
	;; [unrolled: 1-line block ×3, first 2 shown]
	v_min3_f16 v10, v17, v10, v18
	v_min3_f16 v10, v16, v11, v10
	v_cvt_f32_f16_e32 v10, v10
	v_max_f32_e32 v9, v9, v9
	s_and_b64 vcc, exec, s[0:1]
	v_min_f32_e32 v9, v9, v10
	v_cvt_f16_f32_e32 v9, v9
	v_lshl_add_u64 v[10:11], v[34:35], 1, v[14:15]
	flat_store_short v[10:11], v9
	s_cbranch_vccnz .LBB220_131
; %bb.130:
	v_lshl_add_u64 v[8:9], v[36:37], 1, v[12:13]
	flat_load_ushort v8, v[8:9]
	s_waitcnt vmcnt(0) lgkmcnt(0)
	v_mul_f16_e32 v8, s15, v8
	v_cvt_f32_f16_e32 v8, v8
.LBB220_131:
	v_pk_add_f16 v4, v4, v26
	v_max_f16_e32 v9, v56, v56
	v_pk_add_f16 v5, v5, v27
	v_min_f16_e32 v9, v9, v4
	v_lshrrev_b32_e32 v10, 16, v56
	v_lshrrev_b32_e32 v4, 16, v4
	;; [unrolled: 1-line block ×3, first 2 shown]
	v_min3_f16 v4, v10, v4, v11
	v_min3_f16 v4, v9, v5, v4
	v_cvt_f32_f16_e32 v4, v4
	v_max_f32_e32 v5, v8, v8
	s_and_b64 vcc, exec, s[0:1]
	v_min_f32_e32 v4, v5, v4
	v_cvt_f16_f32_e32 v8, v4
	v_lshl_add_u64 v[4:5], v[36:37], 1, v[14:15]
	flat_store_short v[4:5], v8
	v_mov_b32_e32 v4, 0
	v_mov_b32_e32 v5, 0
	s_cbranch_vccnz .LBB220_133
; %bb.132:
	v_lshl_add_u64 v[8:9], v[40:41], 1, v[12:13]
	flat_load_ushort v5, v[8:9]
	s_waitcnt vmcnt(0) lgkmcnt(0)
	v_mul_f16_e32 v5, s15, v5
	v_cvt_f32_f16_e32 v5, v5
.LBB220_133:
	v_pk_add_f16 v6, v6, v26
	v_max_f16_e32 v8, v55, v55
	v_pk_add_f16 v7, v7, v27
	v_min_f16_e32 v8, v8, v6
	v_lshrrev_b32_e32 v9, 16, v55
	v_lshrrev_b32_e32 v6, 16, v6
	;; [unrolled: 1-line block ×3, first 2 shown]
	v_min3_f16 v6, v9, v6, v10
	v_min3_f16 v6, v8, v7, v6
	v_cvt_f32_f16_e32 v6, v6
	v_max_f32_e32 v5, v5, v5
	s_and_b64 vcc, exec, s[0:1]
	v_min_f32_e32 v5, v5, v6
	v_cvt_f16_f32_e32 v5, v5
	v_lshl_add_u64 v[6:7], v[40:41], 1, v[14:15]
	flat_store_short v[6:7], v5
	s_cbranch_vccnz .LBB220_135
; %bb.134:
	v_lshl_add_u64 v[4:5], v[38:39], 1, v[12:13]
	flat_load_ushort v4, v[4:5]
	s_waitcnt vmcnt(0) lgkmcnt(0)
	v_mul_f16_e32 v4, s15, v4
	v_cvt_f32_f16_e32 v4, v4
.LBB220_135:
	v_pk_add_f16 v0, v0, v26
	v_max_f16_e32 v5, v54, v54
	v_pk_add_f16 v1, v1, v27
	v_min_f16_e32 v5, v5, v0
	v_lshrrev_b32_e32 v6, 16, v54
	v_lshrrev_b32_e32 v0, 16, v0
	;; [unrolled: 1-line block ×3, first 2 shown]
	v_min3_f16 v0, v6, v0, v7
	v_min3_f16 v0, v5, v1, v0
	v_cvt_f32_f16_e32 v0, v0
	v_max_f32_e32 v4, v4, v4
	v_pk_add_f16 v1, v2, v26
	v_max_f16_e32 v2, v52, v52
	v_min_f32_e32 v0, v4, v0
	v_cvt_f16_f32_e32 v4, v0
	v_pk_add_f16 v3, v3, v27
	v_min_f16_e32 v2, v2, v1
	v_lshrrev_b32_e32 v5, 16, v52
	v_lshrrev_b32_e32 v1, 16, v1
	;; [unrolled: 1-line block ×3, first 2 shown]
	v_min3_f16 v5, v5, v1, v0
	v_lshl_add_u64 v[0:1], v[38:39], 1, v[14:15]
	flat_store_short v[0:1], v4
	v_min3_f16 v0, v2, v3, v5
	s_mov_b64 s[0:1], -1
	s_mov_b64 vcc, s[4:5]
	s_cbranch_vccz .LBB220_137
; %bb.136:
	v_cvt_f32_f16_e32 v1, v0
	v_lshl_add_u64 v[2:3], v[42:43], 1, v[14:15]
	s_mov_b64 s[0:1], 0
	v_min_f32_e32 v1, 0, v1
	v_cvt_f16_f32_e32 v1, v1
	flat_store_short v[2:3], v1
.LBB220_137:
	s_andn2_b64 vcc, exec, s[0:1]
	v_mov_b32_e32 v1, 0
	s_cbranch_vccnz .LBB220_139
; %bb.138:
	v_lshlrev_b64 v[2:3], 1, v[42:43]
	v_lshl_add_u64 v[4:5], v[12:13], 0, v[2:3]
	flat_load_ushort v4, v[4:5]
	v_max_f16_e32 v5, v0, v0
	v_lshl_add_u64 v[0:1], v[14:15], 0, v[2:3]
	s_waitcnt vmcnt(0) lgkmcnt(0)
	v_mul_f16_e32 v2, s15, v4
	v_min_f16_e32 v2, v2, v5
	flat_store_short v[0:1], v2
	v_lshl_add_u64 v[0:1], v[44:45], 1, v[12:13]
	flat_load_ushort v0, v[0:1]
	s_waitcnt vmcnt(0) lgkmcnt(0)
	v_mul_f16_e32 v0, s15, v0
	v_cvt_f32_f16_e32 v1, v0
.LBB220_139:
	v_pk_add_f16 v0, v24, v26
	v_max_f16_e32 v2, v53, v53
	v_pk_add_f16 v3, v25, v27
	v_min_f16_e32 v2, v2, v0
	v_lshrrev_b32_e32 v4, 16, v53
	v_lshrrev_b32_e32 v0, 16, v0
	;; [unrolled: 1-line block ×3, first 2 shown]
	v_min3_f16 v0, v4, v0, v5
	v_min3_f16 v0, v2, v3, v0
	v_cvt_f32_f16_e32 v0, v0
	v_max_f32_e32 v1, v1, v1
	v_min_f32_e32 v0, v1, v0
	v_cvt_f16_f32_e32 v2, v0
	v_lshl_add_u64 v[0:1], v[44:45], 1, v[14:15]
	flat_store_short v[0:1], v2
	s_endpgm
	.section	.rodata,"a",@progbits
	.p2align	6, 0x0
	.amdhsa_kernel _ZN12_GLOBAL__N_120geam_min_plus_kernelIDF16_Dv2_DF16_S1_Li8ELi32ELi64ELi256ELi4ELi64ELi4ELi64ELi4ELc78ELc84ELb1ELb0ELb1EDF16_KPKDF16_KPDF16_EEviiiT16_PT17_ilS9_ilS7_S9_ilPT18_ili26rocblas_geam_ex_operation_
		.amdhsa_group_segment_fixed_size 5120
		.amdhsa_private_segment_fixed_size 0
		.amdhsa_kernarg_size 128
		.amdhsa_user_sgpr_count 2
		.amdhsa_user_sgpr_dispatch_ptr 0
		.amdhsa_user_sgpr_queue_ptr 0
		.amdhsa_user_sgpr_kernarg_segment_ptr 1
		.amdhsa_user_sgpr_dispatch_id 0
		.amdhsa_user_sgpr_kernarg_preload_length 0
		.amdhsa_user_sgpr_kernarg_preload_offset 0
		.amdhsa_user_sgpr_private_segment_size 0
		.amdhsa_uses_dynamic_stack 0
		.amdhsa_enable_private_segment 0
		.amdhsa_system_sgpr_workgroup_id_x 1
		.amdhsa_system_sgpr_workgroup_id_y 0
		.amdhsa_system_sgpr_workgroup_id_z 1
		.amdhsa_system_sgpr_workgroup_info 0
		.amdhsa_system_vgpr_workitem_id 1
		.amdhsa_next_free_vgpr 225
		.amdhsa_next_free_sgpr 26
		.amdhsa_accum_offset 228
		.amdhsa_reserve_vcc 1
		.amdhsa_float_round_mode_32 0
		.amdhsa_float_round_mode_16_64 0
		.amdhsa_float_denorm_mode_32 3
		.amdhsa_float_denorm_mode_16_64 3
		.amdhsa_dx10_clamp 1
		.amdhsa_ieee_mode 1
		.amdhsa_fp16_overflow 0
		.amdhsa_tg_split 0
		.amdhsa_exception_fp_ieee_invalid_op 0
		.amdhsa_exception_fp_denorm_src 0
		.amdhsa_exception_fp_ieee_div_zero 0
		.amdhsa_exception_fp_ieee_overflow 0
		.amdhsa_exception_fp_ieee_underflow 0
		.amdhsa_exception_fp_ieee_inexact 0
		.amdhsa_exception_int_div_zero 0
	.end_amdhsa_kernel
	.section	.text._ZN12_GLOBAL__N_120geam_min_plus_kernelIDF16_Dv2_DF16_S1_Li8ELi32ELi64ELi256ELi4ELi64ELi4ELi64ELi4ELc78ELc84ELb1ELb0ELb1EDF16_KPKDF16_KPDF16_EEviiiT16_PT17_ilS9_ilS7_S9_ilPT18_ili26rocblas_geam_ex_operation_,"axG",@progbits,_ZN12_GLOBAL__N_120geam_min_plus_kernelIDF16_Dv2_DF16_S1_Li8ELi32ELi64ELi256ELi4ELi64ELi4ELi64ELi4ELc78ELc84ELb1ELb0ELb1EDF16_KPKDF16_KPDF16_EEviiiT16_PT17_ilS9_ilS7_S9_ilPT18_ili26rocblas_geam_ex_operation_,comdat
.Lfunc_end220:
	.size	_ZN12_GLOBAL__N_120geam_min_plus_kernelIDF16_Dv2_DF16_S1_Li8ELi32ELi64ELi256ELi4ELi64ELi4ELi64ELi4ELc78ELc84ELb1ELb0ELb1EDF16_KPKDF16_KPDF16_EEviiiT16_PT17_ilS9_ilS7_S9_ilPT18_ili26rocblas_geam_ex_operation_, .Lfunc_end220-_ZN12_GLOBAL__N_120geam_min_plus_kernelIDF16_Dv2_DF16_S1_Li8ELi32ELi64ELi256ELi4ELi64ELi4ELi64ELi4ELc78ELc84ELb1ELb0ELb1EDF16_KPKDF16_KPDF16_EEviiiT16_PT17_ilS9_ilS7_S9_ilPT18_ili26rocblas_geam_ex_operation_
                                        ; -- End function
	.set _ZN12_GLOBAL__N_120geam_min_plus_kernelIDF16_Dv2_DF16_S1_Li8ELi32ELi64ELi256ELi4ELi64ELi4ELi64ELi4ELc78ELc84ELb1ELb0ELb1EDF16_KPKDF16_KPDF16_EEviiiT16_PT17_ilS9_ilS7_S9_ilPT18_ili26rocblas_geam_ex_operation_.num_vgpr, 225
	.set _ZN12_GLOBAL__N_120geam_min_plus_kernelIDF16_Dv2_DF16_S1_Li8ELi32ELi64ELi256ELi4ELi64ELi4ELi64ELi4ELc78ELc84ELb1ELb0ELb1EDF16_KPKDF16_KPDF16_EEviiiT16_PT17_ilS9_ilS7_S9_ilPT18_ili26rocblas_geam_ex_operation_.num_agpr, 0
	.set _ZN12_GLOBAL__N_120geam_min_plus_kernelIDF16_Dv2_DF16_S1_Li8ELi32ELi64ELi256ELi4ELi64ELi4ELi64ELi4ELc78ELc84ELb1ELb0ELb1EDF16_KPKDF16_KPDF16_EEviiiT16_PT17_ilS9_ilS7_S9_ilPT18_ili26rocblas_geam_ex_operation_.numbered_sgpr, 26
	.set _ZN12_GLOBAL__N_120geam_min_plus_kernelIDF16_Dv2_DF16_S1_Li8ELi32ELi64ELi256ELi4ELi64ELi4ELi64ELi4ELc78ELc84ELb1ELb0ELb1EDF16_KPKDF16_KPDF16_EEviiiT16_PT17_ilS9_ilS7_S9_ilPT18_ili26rocblas_geam_ex_operation_.num_named_barrier, 0
	.set _ZN12_GLOBAL__N_120geam_min_plus_kernelIDF16_Dv2_DF16_S1_Li8ELi32ELi64ELi256ELi4ELi64ELi4ELi64ELi4ELc78ELc84ELb1ELb0ELb1EDF16_KPKDF16_KPDF16_EEviiiT16_PT17_ilS9_ilS7_S9_ilPT18_ili26rocblas_geam_ex_operation_.private_seg_size, 0
	.set _ZN12_GLOBAL__N_120geam_min_plus_kernelIDF16_Dv2_DF16_S1_Li8ELi32ELi64ELi256ELi4ELi64ELi4ELi64ELi4ELc78ELc84ELb1ELb0ELb1EDF16_KPKDF16_KPDF16_EEviiiT16_PT17_ilS9_ilS7_S9_ilPT18_ili26rocblas_geam_ex_operation_.uses_vcc, 1
	.set _ZN12_GLOBAL__N_120geam_min_plus_kernelIDF16_Dv2_DF16_S1_Li8ELi32ELi64ELi256ELi4ELi64ELi4ELi64ELi4ELc78ELc84ELb1ELb0ELb1EDF16_KPKDF16_KPDF16_EEviiiT16_PT17_ilS9_ilS7_S9_ilPT18_ili26rocblas_geam_ex_operation_.uses_flat_scratch, 0
	.set _ZN12_GLOBAL__N_120geam_min_plus_kernelIDF16_Dv2_DF16_S1_Li8ELi32ELi64ELi256ELi4ELi64ELi4ELi64ELi4ELc78ELc84ELb1ELb0ELb1EDF16_KPKDF16_KPDF16_EEviiiT16_PT17_ilS9_ilS7_S9_ilPT18_ili26rocblas_geam_ex_operation_.has_dyn_sized_stack, 0
	.set _ZN12_GLOBAL__N_120geam_min_plus_kernelIDF16_Dv2_DF16_S1_Li8ELi32ELi64ELi256ELi4ELi64ELi4ELi64ELi4ELc78ELc84ELb1ELb0ELb1EDF16_KPKDF16_KPDF16_EEviiiT16_PT17_ilS9_ilS7_S9_ilPT18_ili26rocblas_geam_ex_operation_.has_recursion, 0
	.set _ZN12_GLOBAL__N_120geam_min_plus_kernelIDF16_Dv2_DF16_S1_Li8ELi32ELi64ELi256ELi4ELi64ELi4ELi64ELi4ELc78ELc84ELb1ELb0ELb1EDF16_KPKDF16_KPDF16_EEviiiT16_PT17_ilS9_ilS7_S9_ilPT18_ili26rocblas_geam_ex_operation_.has_indirect_call, 0
	.section	.AMDGPU.csdata,"",@progbits
; Kernel info:
; codeLenInByte = 16856
; TotalNumSgprs: 32
; NumVgprs: 225
; NumAgprs: 0
; TotalNumVgprs: 225
; ScratchSize: 0
; MemoryBound: 0
; FloatMode: 240
; IeeeMode: 1
; LDSByteSize: 5120 bytes/workgroup (compile time only)
; SGPRBlocks: 3
; VGPRBlocks: 28
; NumSGPRsForWavesPerEU: 32
; NumVGPRsForWavesPerEU: 225
; AccumOffset: 228
; Occupancy: 2
; WaveLimiterHint : 1
; COMPUTE_PGM_RSRC2:SCRATCH_EN: 0
; COMPUTE_PGM_RSRC2:USER_SGPR: 2
; COMPUTE_PGM_RSRC2:TRAP_HANDLER: 0
; COMPUTE_PGM_RSRC2:TGID_X_EN: 1
; COMPUTE_PGM_RSRC2:TGID_Y_EN: 0
; COMPUTE_PGM_RSRC2:TGID_Z_EN: 1
; COMPUTE_PGM_RSRC2:TIDIG_COMP_CNT: 1
; COMPUTE_PGM_RSRC3_GFX90A:ACCUM_OFFSET: 56
; COMPUTE_PGM_RSRC3_GFX90A:TG_SPLIT: 0
	.section	.text._ZN12_GLOBAL__N_120geam_min_plus_kernelIDF16_Dv2_DF16_S1_Li8ELi32ELi64ELi256ELi4ELi64ELi4ELi64ELi4ELc78ELc84ELb0ELb0ELb1EDF16_KPKDF16_KPDF16_EEviiiT16_PT17_ilS9_ilS7_S9_ilPT18_ili26rocblas_geam_ex_operation_,"axG",@progbits,_ZN12_GLOBAL__N_120geam_min_plus_kernelIDF16_Dv2_DF16_S1_Li8ELi32ELi64ELi256ELi4ELi64ELi4ELi64ELi4ELc78ELc84ELb0ELb0ELb1EDF16_KPKDF16_KPDF16_EEviiiT16_PT17_ilS9_ilS7_S9_ilPT18_ili26rocblas_geam_ex_operation_,comdat
	.globl	_ZN12_GLOBAL__N_120geam_min_plus_kernelIDF16_Dv2_DF16_S1_Li8ELi32ELi64ELi256ELi4ELi64ELi4ELi64ELi4ELc78ELc84ELb0ELb0ELb1EDF16_KPKDF16_KPDF16_EEviiiT16_PT17_ilS9_ilS7_S9_ilPT18_ili26rocblas_geam_ex_operation_ ; -- Begin function _ZN12_GLOBAL__N_120geam_min_plus_kernelIDF16_Dv2_DF16_S1_Li8ELi32ELi64ELi256ELi4ELi64ELi4ELi64ELi4ELc78ELc84ELb0ELb0ELb1EDF16_KPKDF16_KPDF16_EEviiiT16_PT17_ilS9_ilS7_S9_ilPT18_ili26rocblas_geam_ex_operation_
	.p2align	8
	.type	_ZN12_GLOBAL__N_120geam_min_plus_kernelIDF16_Dv2_DF16_S1_Li8ELi32ELi64ELi256ELi4ELi64ELi4ELi64ELi4ELc78ELc84ELb0ELb0ELb1EDF16_KPKDF16_KPDF16_EEviiiT16_PT17_ilS9_ilS7_S9_ilPT18_ili26rocblas_geam_ex_operation_,@function
_ZN12_GLOBAL__N_120geam_min_plus_kernelIDF16_Dv2_DF16_S1_Li8ELi32ELi64ELi256ELi4ELi64ELi4ELi64ELi4ELc78ELc84ELb0ELb0ELb1EDF16_KPKDF16_KPDF16_EEviiiT16_PT17_ilS9_ilS7_S9_ilPT18_ili26rocblas_geam_ex_operation_: ; @_ZN12_GLOBAL__N_120geam_min_plus_kernelIDF16_Dv2_DF16_S1_Li8ELi32ELi64ELi256ELi4ELi64ELi4ELi64ELi4ELc78ELc84ELb0ELb0ELb1EDF16_KPKDF16_KPDF16_EEviiiT16_PT17_ilS9_ilS7_S9_ilPT18_ili26rocblas_geam_ex_operation_
; %bb.0:
	s_load_dwordx2 s[18:19], s[0:1], 0x8
	s_load_dwordx4 s[8:11], s[0:1], 0x20
	s_mov_b32 s12, s3
	s_mov_b32 s13, 0
	s_waitcnt lgkmcnt(0)
	v_cmp_eq_f16_e64 s[6:7], s19, 0
	s_and_b64 s[4:5], exec, s[6:7]
	s_mov_b64 vcc, s[4:5]
	s_cbranch_vccnz .LBB221_3
; %bb.1:
	s_load_dwordx2 s[14:15], s[0:1], 0x10
	s_lshl_b64 s[16:17], s[12:13], 3
	s_waitcnt lgkmcnt(0)
	s_add_u32 s14, s14, s16
	s_addc_u32 s15, s15, s17
	s_load_dwordx2 s[14:15], s[14:15], 0x0
	s_lshl_b64 s[8:9], s[8:9], 1
	s_waitcnt lgkmcnt(0)
	s_add_u32 s20, s14, s8
	s_addc_u32 s21, s15, s9
	s_andn2_b64 vcc, exec, s[6:7]
	s_cbranch_vccnz .LBB221_4
.LBB221_2:
	s_mov_b32 s7, 0
	s_mov_b32 s6, s12
	s_mov_b64 s[16:17], 0
	s_mov_b64 s[22:23], 0
	s_cbranch_execz .LBB221_5
	s_branch .LBB221_6
.LBB221_3:
	s_mov_b64 s[20:21], 0
	s_andn2_b64 vcc, exec, s[6:7]
	s_cbranch_vccz .LBB221_2
.LBB221_4:
	s_mov_b64 s[6:7], s[12:13]
	s_mov_b64 s[16:17], 0
	;; [unrolled: 1-line block ×3, first 2 shown]
.LBB221_5:
	s_lshl_b64 s[12:13], s[12:13], 3
	s_add_u32 s10, s10, s12
	s_load_dwordx2 s[8:9], s[0:1], 0x38
	s_addc_u32 s11, s11, s13
	s_load_dwordx2 s[10:11], s[10:11], 0x0
	s_waitcnt lgkmcnt(0)
	s_lshl_b64 s[8:9], s[8:9], 1
	s_add_u32 s22, s10, s8
	s_addc_u32 s23, s11, s9
.LBB221_6:
	s_load_dword s28, s[0:1], 0x40
	s_load_dwordx4 s[12:15], s[0:1], 0x58
	v_cmp_neq_f16_e64 s[26:27], s19, 0
	s_waitcnt lgkmcnt(0)
	v_cmp_eq_f16_e64 s[8:9], s28, 0
	s_and_b64 s[8:9], exec, s[8:9]
	s_mov_b64 vcc, s[8:9]
	s_cbranch_vccnz .LBB221_8
; %bb.7:
	s_load_dwordx2 s[10:11], s[0:1], 0x48
	s_lshl_b64 s[16:17], s[6:7], 3
	s_waitcnt lgkmcnt(0)
	s_add_u32 s10, s10, s16
	s_addc_u32 s11, s11, s17
	s_load_dwordx2 s[10:11], s[10:11], 0x0
	s_lshl_b64 s[12:13], s[12:13], 1
	s_waitcnt lgkmcnt(0)
	s_add_u32 s16, s10, s12
	s_addc_u32 s17, s11, s13
.LBB221_8:
	s_load_dword s24, s[0:1], 0x18
	s_load_dword s3, s[0:1], 0x0
	s_lshl_b64 s[6:7], s[6:7], 3
	v_and_b32_e32 v81, 0x3ff, v0
	v_bfe_u32 v82, v0, 10, 10
	s_waitcnt lgkmcnt(0)
	s_ashr_i32 s25, s24, 31
	s_add_u32 s10, s14, s6
	s_addc_u32 s11, s15, s7
	s_add_i32 s3, s3, -1
	s_ashr_i32 s6, s3, 31
	s_lshr_b32 s6, s6, 26
	s_add_i32 s3, s3, s6
	s_ashr_i32 s3, s3, 6
	s_add_i32 s6, s3, 1
	v_cvt_f32_u32_e32 v1, s6
	s_not_b32 s3, s3
	v_lshl_add_u32 v2, v82, 3, v81
	v_and_b32_e32 v29, 63, v2
	v_rcp_iflag_f32_e32 v0, v1
	v_cndmask_b32_e64 v1, 0, 1, s[26:27]
	v_lshrrev_b32_e32 v28, 6, v2
	v_mov_b32_e32 v7, 0
	v_mul_f32_e32 v0, 0x4f7ffffe, v0
	v_cvt_u32_f32_e32 v0, v0
	v_mov_b32_e32 v6, 0
	v_readfirstlane_b32 s7, v0
	s_mul_i32 s3, s3, s7
	s_mul_hi_u32 s3, s7, s3
	s_add_i32 s7, s7, s3
	s_mul_hi_u32 s3, s2, s7
	s_mul_i32 s7, s3, s6
	s_sub_i32 s7, s2, s7
	s_add_i32 s12, s3, 1
	s_sub_i32 s13, s7, s6
	s_cmp_ge_u32 s7, s6
	s_cselect_b32 s3, s12, s3
	s_cselect_b32 s7, s13, s7
	s_add_i32 s12, s3, 1
	s_cmp_ge_u32 s7, s6
	s_cselect_b32 s12, s12, s3
	s_mul_i32 s3, s12, s6
	s_sub_i32 s6, s2, s3
	s_lshl_b32 s29, s6, 6
	v_or_b32_e32 v2, s29, v29
	v_cmp_ne_u32_e64 s[6:7], 1, v1
	s_andn2_b64 vcc, exec, s[26:27]
	v_ashrrev_i32_e32 v3, 31, v2
	s_cbranch_vccnz .LBB221_10
; %bb.9:
	v_mad_i64_i32 v[0:1], s[14:15], s24, v28, 0
	v_lshl_add_u64 v[0:1], v[0:1], 1, s[20:21]
	v_lshl_add_u64 v[0:1], v[2:3], 1, v[0:1]
	flat_load_ushort v0, v[0:1]
	s_waitcnt vmcnt(0) lgkmcnt(0)
	v_mul_f16_e32 v6, s19, v0
.LBB221_10:
	s_load_dword s14, s[0:1], 0x30
	s_lshl_b32 s26, s12, 8
	v_or_b32_e32 v0, s26, v29
	s_and_b64 vcc, exec, s[6:7]
	v_ashrrev_i32_e32 v1, 31, v0
	s_waitcnt lgkmcnt(0)
	v_mad_i64_i32 v[4:5], s[12:13], v28, s14, 0
	v_lshl_add_u64 v[4:5], v[4:5], 1, s[22:23]
	s_cbranch_vccnz .LBB221_12
; %bb.11:
	v_lshl_add_u64 v[8:9], v[0:1], 1, v[4:5]
	flat_load_ushort v7, v[8:9]
	flat_load_ushort v10, v[8:9] offset:128
	s_waitcnt vmcnt(0) lgkmcnt(0)
	v_mul_f16_e32 v8, s19, v7
	v_mul_f16_e32 v7, s19, v10
	v_pack_b32_f16 v9, v8, 0
	s_branch .LBB221_13
.LBB221_12:
	v_mov_b32_e32 v9, 0
.LBB221_13:
	s_mov_b32 s12, 0x5040100
	v_mov_b32_e32 v8, 0
	s_ashr_i32 s15, s14, 31
	v_perm_b32 v32, v7, v9, s12
	s_mov_b64 vcc, s[4:5]
	s_cbranch_vccz .LBB221_15
; %bb.14:
	v_and_b32_e32 v33, 0xffff0000, v8
	v_mov_b32_e32 v31, 0
	v_mov_b32_e32 v30, 0
	s_cbranch_execz .LBB221_16
	s_branch .LBB221_17
.LBB221_15:
	v_mov_b32_e32 v31, 0
	v_mov_b32_e32 v30, 0
.LBB221_16:
	v_lshl_add_u64 v[4:5], v[0:1], 1, v[4:5]
	flat_load_ushort v7, v[4:5] offset:256
	flat_load_ushort v9, v[4:5] offset:384
	s_mov_b32 s12, 0xffff
	s_waitcnt vmcnt(0) lgkmcnt(0)
	v_mul_f16_e32 v4, s19, v7
	v_bfi_b32 v33, s12, v4, v8
	v_mul_f16_e32 v30, s19, v9
.LBB221_17:
	s_and_b64 vcc, exec, s[6:7]
	v_add_u32_e32 v4, 4, v28
	s_cbranch_vccnz .LBB221_19
; %bb.18:
	v_mad_i64_i32 v[8:9], s[12:13], s24, v4, 0
	v_lshl_add_u64 v[8:9], v[8:9], 1, s[20:21]
	v_lshl_add_u64 v[2:3], v[2:3], 1, v[8:9]
	flat_load_ushort v2, v[2:3]
	s_waitcnt vmcnt(0) lgkmcnt(0)
	v_mul_f16_e32 v31, s19, v2
.LBB221_19:
	v_mad_i64_i32 v[2:3], s[12:13], v4, s14, 0
	s_and_b64 vcc, exec, s[6:7]
	v_lshl_add_u64 v[2:3], v[2:3], 1, s[22:23]
	s_cbranch_vccnz .LBB221_21
; %bb.20:
	v_lshl_add_u64 v[4:5], v[0:1], 1, v[2:3]
	flat_load_ushort v7, v[4:5]
	flat_load_ushort v8, v[4:5] offset:128
	s_waitcnt vmcnt(0) lgkmcnt(0)
	v_mul_f16_e32 v4, s19, v7
	v_mul_f16_e32 v5, s19, v8
	v_pack_b32_f16 v7, v4, 0
	s_branch .LBB221_22
.LBB221_21:
	v_mov_b32_e32 v7, 0
	v_mov_b32_e32 v5, 0
.LBB221_22:
	s_mov_b32 s12, 0x5040100
	v_mov_b32_e32 v4, 0
	v_perm_b32 v46, v5, v7, s12
	s_mov_b64 vcc, s[4:5]
	s_cbranch_vccz .LBB221_24
; %bb.23:
	v_and_b32_e32 v47, 0xffff0000, v4
	v_mov_b32_e32 v34, 0
	s_cbranch_execz .LBB221_25
	s_branch .LBB221_26
.LBB221_24:
	v_mov_b32_e32 v34, 0
.LBB221_25:
	v_lshl_add_u64 v[0:1], v[0:1], 1, v[2:3]
	flat_load_ushort v2, v[0:1] offset:256
	flat_load_ushort v3, v[0:1] offset:384
	s_mov_b32 s12, 0xffff
	s_waitcnt vmcnt(0) lgkmcnt(0)
	v_mul_f16_e32 v0, s19, v2
	v_bfi_b32 v47, s12, v0, v4
	v_mul_f16_e32 v34, s19, v3
.LBB221_26:
	v_lshlrev_b32_e32 v0, 3, v29
	v_lshlrev_b32_e32 v94, 3, v81
	v_lshl_add_u32 v105, v28, 1, v0
	v_add_u32_e32 v106, 0x1000, v94
	s_load_dwordx2 s[10:11], s[10:11], 0x0
	ds_write_b16 v105, v6 offset:4096
	ds_write_b16 v105, v32
	ds_write_b16_d16_hi v105, v32 offset:512
	ds_write_b16 v105, v33 offset:1024
	ds_write_b16 v105, v30 offset:1536
	s_waitcnt lgkmcnt(0)
	s_barrier
	v_lshlrev_b32_e32 v92, 3, v82
	ds_read2_b64 v[16:19], v106 offset1:8
	ds_read2_b64 v[12:15], v106 offset0:16 offset1:24
	ds_read2_b64 v[4:7], v106 offset0:32 offset1:40
	ds_read2_b64 v[36:39], v92 offset1:32
	ds_read2_b64 v[0:3], v106 offset0:48 offset1:56
	ds_read2_b64 v[24:27], v92 offset0:64 offset1:96
	;; [unrolled: 1-line block ×4, first 2 shown]
	s_waitcnt lgkmcnt(4)
	v_pk_add_f16 v35, v16, v36
	s_movk_i32 s12, 0x7c00
	v_pk_add_f16 v40, v18, v36
	v_pk_add_f16 v41, v12, v36
	;; [unrolled: 1-line block ×5, first 2 shown]
	s_waitcnt lgkmcnt(3)
	v_pk_add_f16 v45, v0, v36
	v_pk_add_f16 v36, v2, v36
	v_pk_add_f16 v48, v16, v38
	v_pk_add_f16 v49, v18, v38
	v_pk_add_f16 v50, v12, v38
	v_pk_add_f16 v51, v14, v38
	v_pk_add_f16 v52, v4, v38
	v_pk_add_f16 v53, v6, v38
	v_pk_add_f16 v54, v0, v38
	v_pk_add_f16 v38, v2, v38
	s_waitcnt lgkmcnt(2)
	v_pk_add_f16 v55, v16, v24
	v_pk_add_f16 v56, v18, v24
	v_pk_add_f16 v57, v12, v24
	v_pk_add_f16 v58, v14, v24
	v_pk_add_f16 v59, v4, v24
	v_pk_add_f16 v60, v6, v24
	v_pk_add_f16 v61, v0, v24
	v_pk_add_f16 v24, v2, v24
	v_pk_add_f16 v62, v16, v26
	v_pk_add_f16 v63, v18, v26
	v_pk_add_f16 v64, v12, v26
	v_pk_add_f16 v65, v14, v26
	v_pk_add_f16 v66, v4, v26
	v_pk_add_f16 v67, v6, v26
	v_pk_add_f16 v68, v0, v26
	v_pk_add_f16 v26, v2, v26
	s_waitcnt lgkmcnt(1)
	v_pk_add_f16 v69, v16, v20
	v_pk_add_f16 v70, v18, v20
	v_pk_add_f16 v71, v12, v20
	v_pk_add_f16 v72, v14, v20
	v_pk_add_f16 v73, v4, v20
	v_pk_add_f16 v74, v6, v20
	;; [unrolled: 17-line block ×3, first 2 shown]
	v_pk_add_f16 v136, v0, v8
	v_pk_add_f16 v8, v2, v8
	;; [unrolled: 1-line block ×11, first 2 shown]
	v_pk_min_f16 v10, v35, s12 op_sel_hi:[1,0]
	v_pk_min_f16 v8, v8, s12 op_sel_hi:[1,0]
	v_pk_min_f16 v123, v10, v2
	v_pk_add_f16 v2, v19, v37
	v_pk_min_f16 v10, v40, s12 op_sel_hi:[1,0]
	v_pk_min_f16 v4, v4, s12 op_sel_hi:[1,0]
	v_pk_min_f16 v122, v10, v2
	v_pk_add_f16 v2, v13, v37
	;; [unrolled: 4-line block ×3, first 2 shown]
	v_pk_min_f16 v10, v42, s12 op_sel_hi:[1,0]
	s_cmp_lt_i32 s18, 9
	v_pk_min_f16 v120, v10, v2
	v_pk_add_f16 v2, v5, v37
	v_pk_min_f16 v10, v43, s12 op_sel_hi:[1,0]
	ds_write_b16 v105, v31 offset:4608
	ds_write_b16 v105, v46 offset:2048
	ds_write_b16_d16_hi v105, v46 offset:2560
	ds_write_b16 v105, v47 offset:3072
	ds_write_b16 v105, v34 offset:3584
	v_pk_min_f16 v119, v10, v2
	v_pk_add_f16 v2, v7, v37
	v_pk_min_f16 v10, v44, s12 op_sel_hi:[1,0]
	s_waitcnt lgkmcnt(0)
	v_pk_min_f16 v118, v10, v2
	v_pk_add_f16 v2, v1, v37
	v_pk_min_f16 v10, v45, s12 op_sel_hi:[1,0]
	s_barrier
	v_pk_min_f16 v117, v10, v2
	v_pk_add_f16 v2, v3, v37
	v_pk_min_f16 v10, v36, s12 op_sel_hi:[1,0]
	s_nop 0
	v_pk_min_f16 v116, v10, v2
	v_pk_add_f16 v2, v17, v39
	v_pk_min_f16 v10, v48, s12 op_sel_hi:[1,0]
	s_nop 0
	;; [unrolled: 4-line block ×47, first 2 shown]
	v_pk_min_f16 v64, v10, v2
	v_pk_add_f16 v2, v1, v9
	v_pk_min_f16 v10, v136, s12 op_sel_hi:[1,0]
	v_pk_add_f16 v1, v1, v11
	v_pk_min_f16 v63, v10, v2
	v_pk_add_f16 v2, v3, v9
	s_nop 0
	v_pk_min_f16 v62, v8, v2
	v_pk_add_f16 v2, v17, v11
	v_pk_min_f16 v8, v16, s12 op_sel_hi:[1,0]
	s_nop 0
	v_pk_min_f16 v61, v8, v2
	v_pk_add_f16 v2, v19, v11
	v_pk_min_f16 v8, v18, s12 op_sel_hi:[1,0]
	;; [unrolled: 4-line block ×4, first 2 shown]
	s_nop 0
	v_pk_min_f16 v57, v8, v2
	v_pk_add_f16 v2, v5, v11
	s_nop 0
	v_pk_min_f16 v56, v4, v2
	v_pk_add_f16 v2, v7, v11
	v_pk_min_f16 v4, v6, s12 op_sel_hi:[1,0]
	s_nop 0
	v_pk_min_f16 v54, v4, v2
	v_pk_min_f16 v2, v137, s12 op_sel_hi:[1,0]
	s_nop 0
	v_pk_min_f16 v55, v2, v1
	v_pk_add_f16 v1, v3, v11
	s_nop 0
	v_pk_min_f16 v59, v0, v1
	s_cbranch_scc1 .LBB221_49
; %bb.27:
	v_mov_b32_e32 v0, 0x1200
	v_lshl_add_u32 v126, v81, 3, v0
	v_mov_b32_e32 v0, 0x800
	v_add_u32_e32 v2, 12, v28
	s_mov_b32 s27, 0x5040100
	v_lshl_add_u32 v127, v82, 3, v0
	v_mad_i64_i32 v[0:1], s[12:13], v2, s24, 0
	v_perm_b32 v47, v34, v47, s27
	v_lshlrev_b64 v[34:35], 1, v[0:1]
	v_lshl_or_b32 v0, s2, 6, v29
	s_lshl_b32 s2, s3, 6
	v_subrev_u32_e32 v0, s2, v0
	v_ashrrev_i32_e32 v1, 31, v0
	v_lshl_add_u64 v[36:37], v[0:1], 1, s[20:21]
	v_mad_i64_i32 v[0:1], s[12:13], v2, s14, 0
	v_lshlrev_b64 v[38:39], 1, v[0:1]
	v_add_u32_e32 v0, s26, v29
	v_ashrrev_i32_e32 v1, 31, v0
	v_add_u32_e32 v2, 8, v28
	v_lshl_add_u64 v[40:41], v[0:1], 1, s[22:23]
	v_mad_i64_i32 v[0:1], s[20:21], v2, s24, 0
	s_lshl_b64 s[12:13], s[14:15], 4
	v_lshlrev_b64 v[42:43], 1, v[0:1]
	v_mad_i64_i32 v[0:1], s[14:15], v2, s14, 0
	v_add_u32_e32 v124, 0x1200, v105
	v_or_b32_e32 v125, 0x800, v105
	s_add_i32 s18, s18, -8
	v_perm_b32 v33, v30, v33, s27
	s_lshl_b64 s[2:3], s[24:25], 4
	v_lshlrev_b64 v[44:45], 1, v[0:1]
	s_mov_b32 s20, 0
	s_mov_b32 s21, 0xffff
	s_and_b64 vcc, exec, s[6:7]
	s_cbranch_vccz .LBB221_30
	s_branch .LBB221_29
.LBB221_28:
	v_mov_b32_e32 v46, v48
	s_and_b64 vcc, exec, s[6:7]
	s_cbranch_vccz .LBB221_30
.LBB221_29:
	v_mov_b32_e32 v48, 0
	s_mov_b64 s[14:15], -1
	s_mov_b64 vcc, s[4:5]
                                        ; implicit-def: $vgpr0_vgpr1
	s_cbranch_vccnz .LBB221_31
	s_branch .LBB221_32
.LBB221_30:
	v_lshl_add_u64 v[0:1], v[36:37], 0, v[42:43]
	flat_load_ushort v0, v[0:1]
	s_waitcnt vmcnt(0) lgkmcnt(0)
	v_mul_f16_e32 v48, s19, v0
	s_mov_b64 s[14:15], -1
	s_mov_b64 vcc, s[4:5]
                                        ; implicit-def: $vgpr0_vgpr1
	s_cbranch_vccz .LBB221_32
.LBB221_31:
	v_and_b32_e32 v0, 0xffff0000, v32
	v_mov_b32_e32 v1, v33
	s_mov_b64 s[14:15], 0
.LBB221_32:
	v_mov_b32_e32 v4, 0
	s_andn2_b64 vcc, exec, s[14:15]
	v_lshl_add_u64 v[2:3], v[40:41], 0, v[44:45]
	s_cbranch_vccnz .LBB221_40
; %bb.33:
	flat_load_ushort v0, v[2:3]
	flat_load_ushort v1, v[2:3] offset:128
	s_waitcnt vmcnt(0) lgkmcnt(0)
	v_mul_f16_e32 v0, s19, v0
	v_bfi_b32 v32, s21, v0, v32
	v_mul_f16_e32 v4, s19, v1
	v_mov_b64_e32 v[0:1], v[32:33]
	v_perm_b32 v32, v4, v0, s27
	s_mov_b64 s[14:15], -1
	s_mov_b64 vcc, s[4:5]
	s_cbranch_vccnz .LBB221_41
.LBB221_34:
	v_mov_b32_e32 v128, 0
	s_andn2_b64 vcc, exec, s[14:15]
	v_mov_b32_e32 v129, 0
	s_cbranch_vccnz .LBB221_36
.LBB221_35:
	flat_load_ushort v0, v[2:3] offset:256
	flat_load_ushort v4, v[2:3] offset:384
	s_waitcnt vmcnt(0) lgkmcnt(0)
	v_mul_f16_e32 v0, s19, v0
	v_bfi_b32 v33, s21, v0, v1
	v_mul_f16_e32 v129, s19, v4
.LBB221_36:
	ds_read2_b64 v[12:15], v126 offset1:8
	ds_read2_b64 v[8:11], v126 offset0:16 offset1:24
	ds_read2_b64 v[4:7], v126 offset0:32 offset1:40
	;; [unrolled: 1-line block ×3, first 2 shown]
	ds_read2_b64 v[28:31], v127 offset1:32
	ds_read2_b64 v[24:27], v127 offset0:64 offset1:96
	ds_read2_b64 v[20:23], v127 offset0:128 offset1:160
	;; [unrolled: 1-line block ×3, first 2 shown]
	v_or_b32_e32 v49, 0x1000, v105
	s_and_b64 vcc, exec, s[6:7]
	ds_write_b16 v49, v48
	ds_write_b16 v105, v32
	ds_write_b16_d16_hi v105, v32 offset:512
	ds_write_b16 v105, v33 offset:1024
	ds_write_b16 v105, v129 offset:1536
	s_waitcnt lgkmcnt(0)
	s_barrier
	s_cbranch_vccnz .LBB221_38
; %bb.37:
	v_lshl_add_u64 v[48:49], v[36:37], 0, v[34:35]
	flat_load_ushort v48, v[48:49]
	s_waitcnt vmcnt(0) lgkmcnt(0)
	v_mul_f16_e32 v128, s19, v48
.LBB221_38:
	s_mov_b64 s[14:15], -1
	s_mov_b64 vcc, s[4:5]
                                        ; implicit-def: $vgpr50_vgpr51
	s_cbranch_vccz .LBB221_42
; %bb.39:
	v_and_b32_e32 v50, 0xffff0000, v46
	v_mov_b32_e32 v51, v47
	v_mov_b32_e32 v48, 0
	v_lshl_add_u64 v[52:53], v[40:41], 0, v[38:39]
	s_cbranch_execnz .LBB221_44
	s_branch .LBB221_43
.LBB221_40:
	v_perm_b32 v32, v4, v0, s27
	s_mov_b64 s[14:15], -1
	s_mov_b64 vcc, s[4:5]
	s_cbranch_vccz .LBB221_34
.LBB221_41:
	v_and_b32_e32 v33, 0xffff0000, v1
	v_mov_b32_e32 v128, 0
	v_mov_b32_e32 v129, 0
	s_cbranch_execz .LBB221_35
	s_branch .LBB221_36
.LBB221_42:
	v_mov_b32_e32 v48, 0
	s_andn2_b64 vcc, exec, s[14:15]
	v_lshl_add_u64 v[52:53], v[40:41], 0, v[38:39]
	s_cbranch_vccnz .LBB221_44
.LBB221_43:
	flat_load_ushort v48, v[52:53]
	flat_load_ushort v49, v[52:53] offset:128
	s_waitcnt vmcnt(0) lgkmcnt(0)
	v_mul_f16_e32 v48, s19, v48
	v_bfi_b32 v46, s21, v48, v46
	v_mul_f16_e32 v48, s19, v49
	v_mov_b64_e32 v[50:51], v[46:47]
.LBB221_44:
	v_perm_b32 v48, v48, v50, s27
	s_mov_b64 s[14:15], -1
	s_mov_b64 vcc, s[4:5]
                                        ; implicit-def: $vgpr49
	s_cbranch_vccz .LBB221_46
; %bb.45:
	v_and_b32_e32 v49, 0xffff0000, v51
	v_mov_b32_e32 v50, 0
	s_cbranch_execz .LBB221_47
	s_branch .LBB221_48
.LBB221_46:
	s_andn2_b64 vcc, exec, s[14:15]
	v_mov_b32_e32 v50, 0
	s_cbranch_vccnz .LBB221_48
.LBB221_47:
	flat_load_ushort v46, v[52:53] offset:256
	flat_load_ushort v47, v[52:53] offset:384
	s_waitcnt vmcnt(0) lgkmcnt(0)
	v_mul_f16_e32 v46, s19, v46
	v_bfi_b32 v49, s21, v46, v51
	v_mul_f16_e32 v50, s19, v47
.LBB221_48:
	v_pk_add_f16 v46, v12, v28
	v_pk_max_f16 v47, v123, v123
	v_pk_max_f16 v51, v122, v122
	v_pk_min_f16 v46, v47, v46
	v_pk_add_f16 v47, v14, v28
	v_pk_max_f16 v52, v121, v121
	v_pk_min_f16 v47, v51, v47
	v_pk_add_f16 v51, v8, v28
	v_pk_max_f16 v53, v120, v120
	v_pk_min_f16 v51, v52, v51
	v_pk_add_f16 v52, v10, v28
	v_pk_max_f16 v119, v119, v119
	v_pk_min_f16 v52, v53, v52
	v_pk_add_f16 v53, v4, v28
	v_pk_max_f16 v118, v118, v118
	v_pk_min_f16 v53, v119, v53
	v_pk_add_f16 v119, v6, v28
	v_pk_max_f16 v116, v116, v116
	v_pk_min_f16 v118, v118, v119
	v_pk_add_f16 v119, v0, v28
	v_pk_add_f16 v28, v2, v28
	v_pk_max_f16 v115, v115, v115
	v_pk_min_f16 v28, v116, v28
	v_pk_add_f16 v116, v12, v30
	v_pk_max_f16 v114, v114, v114
	v_pk_min_f16 v115, v115, v116
	v_pk_add_f16 v116, v14, v30
	v_pk_max_f16 v113, v113, v113
	v_pk_min_f16 v114, v114, v116
	v_pk_add_f16 v116, v8, v30
	v_pk_max_f16 v112, v112, v112
	v_pk_min_f16 v113, v113, v116
	v_pk_add_f16 v116, v10, v30
	v_pk_max_f16 v111, v111, v111
	v_pk_min_f16 v112, v112, v116
	v_pk_add_f16 v116, v4, v30
	v_pk_max_f16 v110, v110, v110
	v_pk_min_f16 v111, v111, v116
	v_pk_add_f16 v116, v6, v30
	v_pk_max_f16 v108, v108, v108
	v_pk_min_f16 v110, v110, v116
	v_pk_add_f16 v116, v0, v30
	v_pk_add_f16 v30, v2, v30
	v_pk_max_f16 v107, v107, v107
	v_pk_min_f16 v30, v108, v30
	v_pk_add_f16 v108, v12, v24
	;; [unrolled: 22-line block ×6, first 2 shown]
	v_pk_max_f16 v68, v68, v68
	v_pk_min_f16 v69, v69, v70
	v_pk_add_f16 v70, v14, v16
	v_pk_max_f16 v67, v67, v67
	v_pk_min_f16 v68, v68, v70
	v_pk_add_f16 v70, v8, v16
	;; [unrolled: 3-line block ×5, first 2 shown]
	v_pk_add_f16 v12, v12, v18
	v_pk_min_f16 v64, v64, v70
	v_pk_add_f16 v70, v0, v16
	v_pk_add_f16 v16, v2, v16
	;; [unrolled: 1-line block ×9, first 2 shown]
	v_pk_max_f16 v18, v59, v59
	v_pk_max_f16 v54, v54, v54
	v_pk_min_f16 v2, v18, v2
	v_pk_add_f16 v18, v13, v29
	v_pk_max_f16 v117, v117, v117
	v_pk_min_f16 v46, v46, v18
	v_pk_add_f16 v18, v15, v29
	v_pk_min_f16 v6, v54, v6
	v_pk_min_f16 v47, v47, v18
	v_pk_add_f16 v18, v9, v29
	v_pk_max_f16 v54, v55, v55
	v_pk_min_f16 v51, v51, v18
	v_pk_add_f16 v18, v11, v29
	v_pk_min_f16 v117, v117, v119
	v_pk_min_f16 v52, v52, v18
	v_pk_add_f16 v18, v5, v29
	v_pk_min_f16 v0, v54, v0
	v_pk_min_f16 v53, v53, v18
	v_pk_add_f16 v18, v7, v29
	v_pk_max_f16 v56, v56, v56
	v_pk_min_f16 v54, v118, v18
	v_pk_add_f16 v18, v1, v29
	v_pk_max_f16 v57, v57, v57
	v_pk_min_f16 v55, v117, v18
	v_pk_add_f16 v18, v3, v29
	v_pk_min_f16 v4, v56, v4
	v_pk_min_f16 v56, v28, v18
	v_pk_add_f16 v18, v13, v31
	v_pk_max_f16 v58, v58, v58
	v_pk_min_f16 v10, v57, v10
	v_pk_min_f16 v57, v115, v18
	v_pk_add_f16 v18, v15, v31
	v_pk_min_f16 v8, v58, v8
	v_pk_min_f16 v58, v114, v18
	v_pk_add_f16 v18, v9, v31
	v_pk_max_f16 v60, v60, v60
	v_pk_min_f16 v59, v113, v18
	v_pk_add_f16 v18, v11, v31
	v_pk_max_f16 v61, v61, v61
	v_pk_min_f16 v14, v60, v14
	v_pk_min_f16 v60, v112, v18
	v_pk_add_f16 v18, v5, v31
	v_pk_max_f16 v109, v109, v109
	v_pk_max_f16 v62, v62, v62
	v_pk_min_f16 v12, v61, v12
	v_pk_min_f16 v61, v111, v18
	v_pk_add_f16 v18, v7, v31
	v_pk_min_f16 v109, v109, v116
	v_pk_max_f16 v63, v63, v63
	v_pk_min_f16 v16, v62, v16
	v_pk_min_f16 v62, v110, v18
	v_pk_add_f16 v18, v1, v31
	v_pk_max_f16 v71, v71, v71
	v_pk_min_f16 v63, v63, v70
	v_pk_min_f16 v70, v109, v18
	v_pk_add_f16 v18, v3, v31
	v_pk_max_f16 v79, v79, v79
	v_pk_min_f16 v71, v71, v78
	v_pk_min_f16 v78, v30, v18
	v_pk_add_f16 v18, v13, v25
	v_pk_max_f16 v89, v89, v89
	v_pk_min_f16 v79, v79, v88
	v_pk_min_f16 v88, v107, v18
	v_pk_add_f16 v18, v15, v25
	v_pk_min_f16 v89, v89, v98
	v_pk_min_f16 v98, v104, v18
	v_pk_add_f16 v18, v9, v25
	v_pk_max_f16 v99, v99, v99
	v_pk_min_f16 v103, v103, v18
	v_pk_add_f16 v18, v11, v25
	v_pk_min_f16 v99, v99, v108
	v_pk_min_f16 v102, v102, v18
	v_pk_add_f16 v18, v5, v25
	v_pk_max_f16 v60, v60, v60
	v_pk_min_f16 v101, v101, v18
	v_pk_add_f16 v18, v7, v25
	v_pk_max_f16 v55, v55, v55
	;; [unrolled: 3-line block ×7, first 2 shown]
	v_pk_min_f16 v95, v95, v18
	v_pk_add_f16 v18, v11, v27
	v_perm_b32 v33, v129, v33, s27
	v_pk_min_f16 v93, v93, v18
	v_pk_add_f16 v18, v5, v27
	v_pk_max_f16 v46, v46, v46
	v_pk_min_f16 v91, v91, v18
	v_pk_add_f16 v18, v7, v27
	v_pk_max_f16 v51, v51, v51
	;; [unrolled: 3-line block ×3, first 2 shown]
	v_pk_min_f16 v89, v89, v18
	v_pk_add_f16 v18, v3, v27
	s_add_i32 s20, s20, 8
	v_pk_min_f16 v131, v26, v18
	v_pk_add_f16 v18, v13, v21
	v_lshl_add_u64 v[36:37], v[36:37], 0, s[2:3]
	v_pk_min_f16 v87, v87, v18
	v_pk_add_f16 v18, v15, v21
	s_cmp_ge_i32 s20, s18
	v_pk_min_f16 v86, v86, v18
	v_pk_add_f16 v18, v9, v21
	v_lshl_add_u64 v[40:41], v[40:41], 0, s[12:13]
	v_pk_min_f16 v85, v85, v18
	v_pk_add_f16 v18, v11, v21
	s_nop 0
	v_pk_min_f16 v84, v84, v18
	v_pk_add_f16 v18, v5, v21
	s_nop 0
	;; [unrolled: 3-line block ×13, first 2 shown]
	v_pk_min_f16 v133, v22, v18
	v_pk_add_f16 v18, v13, v17
	v_pk_add_f16 v13, v13, v19
	v_pk_min_f16 v69, v69, v18
	v_pk_add_f16 v18, v15, v17
	v_pk_min_f16 v135, v12, v13
	v_pk_min_f16 v68, v68, v18
	v_pk_add_f16 v18, v9, v17
	v_pk_add_f16 v9, v9, v19
	v_pk_min_f16 v67, v67, v18
	v_pk_add_f16 v18, v11, v17
	v_pk_add_f16 v12, v15, v19
	;; [unrolled: 3-line block ×3, first 2 shown]
	v_pk_min_f16 v65, v65, v18
	v_pk_add_f16 v18, v7, v17
	v_pk_min_f16 v137, v8, v9
	v_pk_min_f16 v64, v64, v18
	v_pk_add_f16 v18, v1, v17
	v_pk_add_f16 v1, v1, v19
	;; [unrolled: 1-line block ×4, first 2 shown]
	v_pk_min_f16 v139, v4, v5
	v_pk_add_f16 v4, v7, v19
	v_pk_min_f16 v141, v0, v1
	v_pk_add_f16 v0, v3, v19
	v_pk_min_f16 v63, v63, v18
	v_pk_min_f16 v134, v16, v17
	;; [unrolled: 1-line block ×6, first 2 shown]
	ds_read2_b64 v[16:19], v106 offset1:8
	ds_read2_b64 v[8:11], v106 offset0:16 offset1:24
	ds_read2_b64 v[4:7], v106 offset0:32 offset1:40
	ds_read2_b64 v[28:31], v92 offset1:32
	ds_read2_b64 v[0:3], v106 offset0:48 offset1:56
	ds_read2_b64 v[24:27], v92 offset0:64 offset1:96
	;; [unrolled: 1-line block ×4, first 2 shown]
	s_waitcnt lgkmcnt(4)
	v_pk_add_f16 v143, v10, v30
	s_waitcnt lgkmcnt(3)
	v_pk_add_f16 v112, v0, v28
	v_pk_add_f16 v165, v11, v31
	v_pk_min_f16 v60, v60, v143
	v_pk_add_f16 v144, v4, v30
	v_pk_min_f16 v55, v55, v112
	v_pk_min_f16 v112, v60, v165
	v_pk_max_f16 v60, v61, v61
	v_pk_add_f16 v111, v6, v28
	v_pk_add_f16 v166, v5, v31
	v_pk_min_f16 v60, v60, v144
	v_pk_add_f16 v145, v6, v30
	v_pk_min_f16 v54, v54, v111
	v_pk_min_f16 v111, v60, v166
	v_pk_max_f16 v60, v62, v62
	;; [unrolled: 7-line block ×3, first 2 shown]
	v_pk_add_f16 v104, v16, v28
	v_pk_add_f16 v107, v18, v28
	;; [unrolled: 1-line block ×6, first 2 shown]
	v_pk_min_f16 v60, v60, v146
	v_pk_add_f16 v113, v16, v30
	v_pk_add_f16 v114, v18, v30
	;; [unrolled: 1-line block ×12, first 2 shown]
	v_pk_min_f16 v47, v47, v107
	v_pk_min_f16 v52, v52, v109
	;; [unrolled: 1-line block ×4, first 2 shown]
	v_pk_max_f16 v60, v78, v78
	v_pk_add_f16 v162, v17, v31
	v_pk_add_f16 v163, v19, v31
	;; [unrolled: 1-line block ×4, first 2 shown]
	v_pk_min_f16 v122, v47, v116
	v_pk_min_f16 v116, v28, v29
	v_pk_max_f16 v29, v57, v57
	v_pk_max_f16 v57, v58, v58
	v_pk_min_f16 v30, v60, v30
	s_waitcnt lgkmcnt(2)
	v_pk_add_f16 v147, v16, v24
	v_pk_min_f16 v46, v46, v104
	v_pk_min_f16 v51, v51, v108
	;; [unrolled: 1-line block ×6, first 2 shown]
	v_pk_max_f16 v30, v88, v88
	v_pk_add_f16 v148, v18, v24
	v_pk_add_f16 v149, v8, v24
	;; [unrolled: 1-line block ×15, first 2 shown]
	s_waitcnt lgkmcnt(1)
	v_pk_add_f16 v170, v16, v20
	v_pk_add_f16 v171, v18, v20
	v_pk_min_f16 v123, v46, v115
	v_pk_add_f16 v46, v8, v20
	v_pk_add_f16 v172, v10, v20
	;; [unrolled: 1-line block ×4, first 2 shown]
	v_pk_min_f16 v121, v51, v117
	v_pk_add_f16 v51, v0, v20
	v_pk_add_f16 v20, v2, v20
	v_pk_min_f16 v120, v52, v118
	v_pk_add_f16 v52, v16, v22
	v_pk_add_f16 v174, v18, v22
	;; [unrolled: 3-line block ×5, first 2 shown]
	s_waitcnt lgkmcnt(0)
	v_pk_add_f16 v28, v16, v12
	v_pk_add_f16 v56, v18, v12
	v_pk_min_f16 v115, v29, v162
	v_pk_add_f16 v29, v8, v12
	v_pk_add_f16 v58, v10, v12
	v_pk_min_f16 v114, v57, v163
	;; [unrolled: 3-line block ×3, first 2 shown]
	v_pk_add_f16 v59, v0, v12
	v_pk_add_f16 v12, v2, v12
	;; [unrolled: 1-line block ×11, first 2 shown]
	v_pk_min_f16 v30, v30, v147
	ds_write_b16 v124, v128
	ds_write_b16 v125, v48
	ds_write_b16_d16_hi v125, v48 offset:512
	ds_write_b16 v125, v49 offset:1024
	ds_write_b16 v125, v50 offset:1536
	v_pk_min_f16 v107, v30, v14
	v_pk_max_f16 v30, v98, v98
	v_pk_add_f16 v14, v19, v25
	v_pk_min_f16 v30, v30, v148
	s_waitcnt lgkmcnt(0)
	v_pk_min_f16 v104, v30, v14
	v_pk_max_f16 v30, v103, v103
	v_pk_add_f16 v14, v9, v25
	v_pk_min_f16 v30, v30, v149
	s_barrier
	v_pk_min_f16 v103, v30, v14
	v_pk_max_f16 v30, v102, v102
	v_pk_add_f16 v14, v11, v25
	v_pk_min_f16 v30, v30, v150
	s_nop 0
	v_pk_min_f16 v102, v30, v14
	v_pk_max_f16 v30, v101, v101
	v_pk_add_f16 v14, v5, v25
	v_pk_min_f16 v30, v30, v151
	s_nop 0
	;; [unrolled: 5-line block ×4, first 2 shown]
	v_pk_min_f16 v99, v30, v14
	v_pk_add_f16 v14, v3, v25
	v_pk_max_f16 v25, v130, v130
	s_nop 0
	v_pk_min_f16 v24, v25, v24
	s_nop 0
	v_pk_min_f16 v98, v24, v14
	v_pk_max_f16 v24, v97, v97
	v_pk_add_f16 v14, v17, v27
	v_pk_min_f16 v24, v24, v154
	s_nop 0
	v_pk_min_f16 v97, v24, v14
	v_pk_max_f16 v24, v96, v96
	v_pk_add_f16 v14, v19, v27
	;; [unrolled: 5-line block ×13, first 2 shown]
	v_pk_min_f16 v24, v24, v47
	v_perm_b32 v47, v50, v49, s27
	v_pk_min_f16 v83, v24, v14
	v_pk_max_f16 v24, v80, v80
	v_pk_add_f16 v14, v7, v21
	v_pk_min_f16 v24, v24, v173
	s_nop 0
	v_pk_min_f16 v80, v24, v14
	v_pk_max_f16 v24, v79, v79
	v_pk_add_f16 v14, v1, v21
	v_pk_min_f16 v24, v24, v51
	s_nop 0
	v_pk_min_f16 v79, v24, v14
	v_pk_add_f16 v14, v3, v21
	v_pk_max_f16 v21, v132, v132
	s_nop 0
	v_pk_min_f16 v20, v21, v20
	s_nop 0
	v_pk_min_f16 v78, v20, v14
	v_pk_max_f16 v20, v77, v77
	v_pk_add_f16 v14, v17, v23
	v_pk_min_f16 v20, v20, v52
	s_nop 0
	v_pk_min_f16 v77, v20, v14
	v_pk_max_f16 v20, v76, v76
	v_pk_add_f16 v14, v19, v23
	;; [unrolled: 5-line block ×11, first 2 shown]
	v_pk_min_f16 v20, v20, v29
	v_pk_add_f16 v9, v9, v15
	v_pk_min_f16 v67, v20, v14
	v_pk_max_f16 v20, v66, v66
	v_pk_add_f16 v14, v11, v13
	v_pk_min_f16 v20, v20, v58
	s_nop 0
	v_pk_min_f16 v66, v20, v14
	v_pk_max_f16 v20, v65, v65
	v_pk_add_f16 v14, v5, v13
	v_pk_min_f16 v20, v20, v57
	v_pk_add_f16 v5, v5, v15
	v_pk_min_f16 v65, v20, v14
	v_pk_max_f16 v20, v64, v64
	v_pk_add_f16 v14, v7, v13
	v_pk_min_f16 v20, v20, v129
	s_nop 0
	v_pk_min_f16 v64, v20, v14
	v_pk_max_f16 v20, v63, v63
	v_pk_add_f16 v14, v1, v13
	;; [unrolled: 10-line block ×3, first 2 shown]
	v_pk_min_f16 v13, v13, v16
	s_nop 0
	v_pk_min_f16 v61, v13, v12
	v_pk_max_f16 v13, v136, v136
	v_pk_add_f16 v12, v19, v15
	v_pk_min_f16 v13, v13, v18
	s_nop 0
	v_pk_min_f16 v60, v13, v12
	v_pk_max_f16 v12, v137, v137
	s_nop 0
	v_pk_min_f16 v8, v12, v8
	s_nop 0
	v_pk_min_f16 v58, v8, v9
	v_pk_max_f16 v9, v138, v138
	v_pk_add_f16 v8, v11, v15
	v_pk_min_f16 v9, v9, v10
	s_nop 0
	v_pk_min_f16 v57, v9, v8
	v_pk_max_f16 v8, v139, v139
	s_nop 0
	;; [unrolled: 10-line block ×3, first 2 shown]
	v_pk_min_f16 v0, v4, v0
	s_nop 0
	v_pk_min_f16 v55, v0, v1
	v_pk_max_f16 v1, v142, v142
	v_pk_add_f16 v0, v3, v15
	v_pk_min_f16 v1, v1, v2
	s_nop 0
	v_pk_min_f16 v59, v1, v0
	s_cbranch_scc0 .LBB221_28
.LBB221_49:
	s_load_dword s6, s[0:1], 0x50
	ds_read_b64 v[30:31], v94 offset:4608
	ds_read_b64 v[46:47], v92 offset:2048
	v_add_u32_e32 v52, s26, v82
	v_cmp_neq_f16_e64 s[4:5], s28, 0
	v_add_u32_e32 v28, s29, v81
	s_waitcnt lgkmcnt(0)
	v_mad_i64_i32 v[0:1], s[2:3], v52, s6, 0
	v_ashrrev_i32_e32 v29, 31, v28
	v_lshl_add_u64 v[48:49], v[0:1], 1, s[16:17]
	v_mov_b32_e32 v34, 0
	s_and_b64 vcc, exec, s[4:5]
	v_mov_b32_e32 v35, 0
	s_cbranch_vccz .LBB221_51
; %bb.50:
	v_lshl_add_u64 v[0:1], v[28:29], 1, v[48:49]
	flat_load_ushort v0, v[0:1]
	s_waitcnt vmcnt(0) lgkmcnt(0)
	v_mul_f16_e32 v0, s28, v0
	v_cvt_f32_f16_e32 v35, v0
.LBB221_51:
	v_pk_add_f16 v32, v30, v46
	v_max_f16_e32 v33, v123, v123
	v_pk_add_f16 v37, v31, v47
	v_min_f16_e32 v36, v33, v32
	v_lshrrev_b32_e32 v33, 16, v123
	v_lshrrev_b32_e32 v32, 16, v32
	v_lshrrev_b32_e32 v38, 16, v37
	v_add_u32_e32 v0, 0x1000, v94
	v_min3_f16 v38, v33, v32, v38
	ds_read2_b64 v[8:11], v0 offset0:72 offset1:80
	ds_read2_b64 v[4:7], v0 offset0:88 offset1:96
	ds_read2_b64 v[0:3], v0 offset0:104 offset1:112
	ds_read_b64 v[24:25], v94 offset:5056
	s_load_dword s7, s[0:1], 0x68
	s_load_dwordx2 s[2:3], s[0:1], 0x70
	v_min3_f16 v36, v36, v37, v38
	v_cvt_f32_f16_e32 v38, v36
	v_add_u32_e32 v12, 0x800, v92
	ds_read2_b64 v[20:23], v12 offset0:32 offset1:64
	ds_read2_b64 v[16:19], v12 offset0:96 offset1:128
	;; [unrolled: 1-line block ×3, first 2 shown]
	ds_read_b64 v[26:27], v92 offset:3840
	v_max_f32_e32 v35, v35, v35
	s_waitcnt lgkmcnt(0)
	s_lshl_b64 s[0:1], s[2:3], 1
	v_min_f32_e32 v35, v35, v38
	s_add_u32 s2, s10, s0
	v_cvt_f16_f32_e32 v35, v35
	s_addc_u32 s3, s11, s1
	v_mad_i64_i32 v[36:37], s[0:1], v52, s7, 0
	v_add_u32_e32 v32, 8, v28
	v_lshl_add_u64 v[50:51], v[36:37], 1, s[2:3]
	v_cndmask_b32_e64 v38, 0, 1, s[4:5]
	v_ashrrev_i32_e32 v33, 31, v32
	v_lshl_add_u64 v[36:37], v[28:29], 1, v[50:51]
	v_cmp_ne_u32_e64 s[0:1], 1, v38
	s_andn2_b64 vcc, exec, s[4:5]
	flat_store_short v[36:37], v35
	s_cbranch_vccnz .LBB221_53
; %bb.52:
	v_lshl_add_u64 v[34:35], v[32:33], 1, v[48:49]
	flat_load_ushort v34, v[34:35]
	s_waitcnt vmcnt(0) lgkmcnt(0)
	v_mul_f16_e32 v34, s28, v34
	v_cvt_f32_f16_e32 v34, v34
.LBB221_53:
	v_pk_add_f16 v35, v8, v46
	v_max_f16_e32 v36, v122, v122
	v_pk_add_f16 v38, v9, v47
	v_min_f16_e32 v36, v36, v35
	v_lshrrev_b32_e32 v37, 16, v122
	v_lshrrev_b32_e32 v35, 16, v35
	;; [unrolled: 1-line block ×3, first 2 shown]
	v_min3_f16 v35, v37, v35, v39
	v_min3_f16 v35, v36, v38, v35
	v_cvt_f32_f16_e32 v35, v35
	v_max_f32_e32 v34, v34, v34
	v_lshl_add_u64 v[36:37], v[32:33], 1, v[50:51]
	s_and_b64 vcc, exec, s[0:1]
	v_min_f32_e32 v34, v34, v35
	v_cvt_f16_f32_e32 v38, v34
	v_add_u32_e32 v34, 16, v28
	v_ashrrev_i32_e32 v35, 31, v34
	flat_store_short v[36:37], v38
	v_mov_b32_e32 v38, 0
	v_mov_b32_e32 v37, 0
	s_cbranch_vccnz .LBB221_55
; %bb.54:
	v_lshl_add_u64 v[36:37], v[34:35], 1, v[48:49]
	flat_load_ushort v36, v[36:37]
	s_waitcnt vmcnt(0) lgkmcnt(0)
	v_mul_f16_e32 v36, s28, v36
	v_cvt_f32_f16_e32 v37, v36
.LBB221_55:
	v_pk_add_f16 v36, v10, v46
	v_max_f16_e32 v39, v121, v121
	v_pk_add_f16 v41, v11, v47
	v_min_f16_e32 v39, v39, v36
	v_lshrrev_b32_e32 v40, 16, v121
	v_lshrrev_b32_e32 v36, 16, v36
	;; [unrolled: 1-line block ×3, first 2 shown]
	v_min3_f16 v36, v40, v36, v42
	v_min3_f16 v36, v39, v41, v36
	v_cvt_f32_f16_e32 v39, v36
	v_max_f32_e32 v37, v37, v37
	v_add_u32_e32 v36, 24, v28
	v_lshl_add_u64 v[40:41], v[34:35], 1, v[50:51]
	v_min_f32_e32 v37, v37, v39
	v_cvt_f16_f32_e32 v39, v37
	v_ashrrev_i32_e32 v37, 31, v36
	s_and_b64 vcc, exec, s[0:1]
	flat_store_short v[40:41], v39
	s_cbranch_vccnz .LBB221_57
; %bb.56:
	v_lshl_add_u64 v[38:39], v[36:37], 1, v[48:49]
	flat_load_ushort v38, v[38:39]
	s_waitcnt vmcnt(0) lgkmcnt(0)
	v_mul_f16_e32 v38, s28, v38
	v_cvt_f32_f16_e32 v38, v38
.LBB221_57:
	v_pk_add_f16 v39, v4, v46
	v_max_f16_e32 v40, v120, v120
	v_pk_add_f16 v42, v5, v47
	v_min_f16_e32 v40, v40, v39
	v_lshrrev_b32_e32 v41, 16, v120
	v_lshrrev_b32_e32 v39, 16, v39
	;; [unrolled: 1-line block ×3, first 2 shown]
	v_min3_f16 v39, v41, v39, v43
	v_min3_f16 v39, v40, v42, v39
	v_cvt_f32_f16_e32 v39, v39
	v_max_f32_e32 v38, v38, v38
	v_add_u32_e32 v40, 32, v28
	v_ashrrev_i32_e32 v41, 31, v40
	v_min_f32_e32 v38, v38, v39
	v_cvt_f16_f32_e32 v42, v38
	v_lshl_add_u64 v[38:39], v[36:37], 1, v[50:51]
	s_and_b64 vcc, exec, s[0:1]
	flat_store_short v[38:39], v42
	v_mov_b32_e32 v42, 0
	v_mov_b32_e32 v39, 0
	s_cbranch_vccnz .LBB221_59
; %bb.58:
	v_lshl_add_u64 v[38:39], v[40:41], 1, v[48:49]
	flat_load_ushort v38, v[38:39]
	s_waitcnt vmcnt(0) lgkmcnt(0)
	v_mul_f16_e32 v38, s28, v38
	v_cvt_f32_f16_e32 v39, v38
.LBB221_59:
	v_pk_add_f16 v38, v6, v46
	v_max_f16_e32 v43, v119, v119
	v_pk_add_f16 v45, v7, v47
	v_min_f16_e32 v43, v43, v38
	v_lshrrev_b32_e32 v44, 16, v119
	v_lshrrev_b32_e32 v38, 16, v38
	;; [unrolled: 1-line block ×3, first 2 shown]
	v_min3_f16 v38, v44, v38, v53
	v_min3_f16 v38, v43, v45, v38
	v_cvt_f32_f16_e32 v43, v38
	v_max_f32_e32 v39, v39, v39
	v_add_u32_e32 v38, 40, v28
	v_lshl_add_u64 v[44:45], v[40:41], 1, v[50:51]
	v_min_f32_e32 v39, v39, v43
	v_cvt_f16_f32_e32 v43, v39
	v_ashrrev_i32_e32 v39, 31, v38
	s_and_b64 vcc, exec, s[0:1]
	flat_store_short v[44:45], v43
	s_cbranch_vccnz .LBB221_61
; %bb.60:
	v_lshl_add_u64 v[42:43], v[38:39], 1, v[48:49]
	flat_load_ushort v42, v[42:43]
	s_waitcnt vmcnt(0) lgkmcnt(0)
	v_mul_f16_e32 v42, s28, v42
	v_cvt_f32_f16_e32 v42, v42
.LBB221_61:
	v_pk_add_f16 v43, v0, v46
	v_max_f16_e32 v44, v118, v118
	v_pk_add_f16 v53, v1, v47
	v_min_f16_e32 v44, v44, v43
	v_lshrrev_b32_e32 v45, 16, v118
	v_lshrrev_b32_e32 v43, 16, v43
	;; [unrolled: 1-line block ×3, first 2 shown]
	v_min3_f16 v43, v45, v43, v81
	v_min3_f16 v43, v44, v53, v43
	v_cvt_f32_f16_e32 v43, v43
	v_max_f32_e32 v42, v42, v42
	v_lshl_add_u64 v[44:45], v[38:39], 1, v[50:51]
	s_and_b64 vcc, exec, s[0:1]
	v_min_f32_e32 v42, v42, v43
	v_cvt_f16_f32_e32 v53, v42
	v_add_u32_e32 v42, 48, v28
	v_ashrrev_i32_e32 v43, 31, v42
	flat_store_short v[44:45], v53
	v_mov_b32_e32 v53, 0
	v_mov_b32_e32 v45, 0
	s_cbranch_vccnz .LBB221_63
; %bb.62:
	v_lshl_add_u64 v[44:45], v[42:43], 1, v[48:49]
	flat_load_ushort v44, v[44:45]
	s_waitcnt vmcnt(0) lgkmcnt(0)
	v_mul_f16_e32 v44, s28, v44
	v_cvt_f32_f16_e32 v45, v44
.LBB221_63:
	v_pk_add_f16 v44, v2, v46
	v_max_f16_e32 v81, v117, v117
	v_pk_add_f16 v92, v3, v47
	v_min_f16_e32 v81, v81, v44
	v_lshrrev_b32_e32 v82, 16, v117
	v_lshrrev_b32_e32 v44, 16, v44
	;; [unrolled: 1-line block ×3, first 2 shown]
	v_min3_f16 v44, v82, v44, v94
	v_min3_f16 v44, v81, v92, v44
	v_cvt_f32_f16_e32 v81, v44
	v_max_f32_e32 v45, v45, v45
	v_add_u32_e32 v44, 56, v28
	v_lshl_add_u64 v[118:119], v[42:43], 1, v[50:51]
	v_min_f32_e32 v45, v45, v81
	v_cvt_f16_f32_e32 v81, v45
	v_ashrrev_i32_e32 v45, 31, v44
	s_and_b64 vcc, exec, s[0:1]
	flat_store_short v[118:119], v81
	s_cbranch_vccnz .LBB221_65
; %bb.64:
	v_lshl_add_u64 v[48:49], v[44:45], 1, v[48:49]
	flat_load_ushort v48, v[48:49]
	s_waitcnt vmcnt(0) lgkmcnt(0)
	v_mul_f16_e32 v48, s28, v48
	v_cvt_f32_f16_e32 v53, v48
.LBB221_65:
	v_pk_add_f16 v46, v24, v46
	v_max_f16_e32 v48, v116, v116
	v_pk_add_f16 v47, v25, v47
	v_min_f16_e32 v48, v48, v46
	v_lshrrev_b32_e32 v49, 16, v116
	v_lshrrev_b32_e32 v46, 16, v46
	;; [unrolled: 1-line block ×3, first 2 shown]
	v_min3_f16 v46, v49, v46, v81
	v_min3_f16 v46, v48, v47, v46
	v_cvt_f32_f16_e32 v46, v46
	v_max_f32_e32 v47, v53, v53
	s_and_b64 vcc, exec, s[0:1]
	v_mov_b32_e32 v49, 0
	v_min_f32_e32 v46, v47, v46
	v_cvt_f16_f32_e32 v48, v46
	v_lshl_add_u64 v[46:47], v[44:45], 1, v[50:51]
	v_mov_b32_e32 v50, 0
	flat_store_short v[46:47], v48
	v_add_u32_e32 v48, 32, v52
	v_mad_i64_i32 v[46:47], s[4:5], v48, s6, 0
	v_lshl_add_u64 v[46:47], v[46:47], 1, s[16:17]
	s_cbranch_vccnz .LBB221_67
; %bb.66:
	v_lshl_add_u64 v[116:117], v[28:29], 1, v[46:47]
	flat_load_ushort v49, v[116:117]
	s_waitcnt vmcnt(0) lgkmcnt(0)
	v_mul_f16_e32 v49, s28, v49
	v_cvt_f32_f16_e32 v49, v49
.LBB221_67:
	v_pk_add_f16 v51, v30, v20
	v_max_f16_e32 v53, v115, v115
	v_pk_add_f16 v82, v31, v21
	v_min_f16_e32 v53, v53, v51
	v_lshrrev_b32_e32 v81, 16, v115
	v_lshrrev_b32_e32 v51, 16, v51
	;; [unrolled: 1-line block ×3, first 2 shown]
	v_min3_f16 v51, v81, v51, v92
	v_min3_f16 v51, v53, v82, v51
	v_cvt_f32_f16_e32 v51, v51
	v_mad_i64_i32 v[116:117], s[4:5], v48, s7, 0
	v_max_f32_e32 v48, v49, v49
	v_min_f32_e32 v48, v48, v51
	v_cvt_f16_f32_e32 v51, v48
	v_lshl_add_u64 v[48:49], v[116:117], 1, s[2:3]
	v_lshl_add_u64 v[116:117], v[28:29], 1, v[48:49]
	s_and_b64 vcc, exec, s[0:1]
	flat_store_short v[116:117], v51
	s_cbranch_vccnz .LBB221_69
; %bb.68:
	v_lshl_add_u64 v[50:51], v[32:33], 1, v[46:47]
	flat_load_ushort v50, v[50:51]
	s_waitcnt vmcnt(0) lgkmcnt(0)
	v_mul_f16_e32 v50, s28, v50
	v_cvt_f32_f16_e32 v50, v50
.LBB221_69:
	v_pk_add_f16 v51, v8, v20
	v_max_f16_e32 v53, v114, v114
	v_pk_add_f16 v82, v9, v21
	v_min_f16_e32 v53, v53, v51
	v_lshrrev_b32_e32 v81, 16, v114
	v_lshrrev_b32_e32 v51, 16, v51
	v_lshrrev_b32_e32 v92, 16, v82
	v_min3_f16 v51, v81, v51, v92
	v_min3_f16 v51, v53, v82, v51
	v_cvt_f32_f16_e32 v51, v51
	v_max_f32_e32 v50, v50, v50
	s_and_b64 vcc, exec, s[0:1]
	v_min_f32_e32 v50, v50, v51
	v_cvt_f16_f32_e32 v53, v50
	v_lshl_add_u64 v[50:51], v[32:33], 1, v[48:49]
	flat_store_short v[50:51], v53
	v_mov_b32_e32 v50, 0
	v_mov_b32_e32 v51, 0
	s_cbranch_vccnz .LBB221_71
; %bb.70:
	v_lshl_add_u64 v[114:115], v[34:35], 1, v[46:47]
	flat_load_ushort v51, v[114:115]
	s_waitcnt vmcnt(0) lgkmcnt(0)
	v_mul_f16_e32 v51, s28, v51
	v_cvt_f32_f16_e32 v51, v51
.LBB221_71:
	v_pk_add_f16 v53, v10, v20
	v_max_f16_e32 v81, v113, v113
	v_pk_add_f16 v92, v11, v21
	v_min_f16_e32 v81, v81, v53
	v_lshrrev_b32_e32 v82, 16, v113
	v_lshrrev_b32_e32 v53, 16, v53
	v_lshrrev_b32_e32 v94, 16, v92
	v_min3_f16 v53, v82, v53, v94
	v_min3_f16 v53, v81, v92, v53
	v_cvt_f32_f16_e32 v53, v53
	v_max_f32_e32 v51, v51, v51
	v_lshl_add_u64 v[114:115], v[34:35], 1, v[48:49]
	s_and_b64 vcc, exec, s[0:1]
	v_min_f32_e32 v51, v51, v53
	v_cvt_f16_f32_e32 v51, v51
	flat_store_short v[114:115], v51
	s_cbranch_vccnz .LBB221_73
; %bb.72:
	v_lshl_add_u64 v[50:51], v[36:37], 1, v[46:47]
	flat_load_ushort v50, v[50:51]
	s_waitcnt vmcnt(0) lgkmcnt(0)
	v_mul_f16_e32 v50, s28, v50
	v_cvt_f32_f16_e32 v50, v50
.LBB221_73:
	v_pk_add_f16 v51, v4, v20
	v_max_f16_e32 v53, v112, v112
	v_pk_add_f16 v82, v5, v21
	v_min_f16_e32 v53, v53, v51
	v_lshrrev_b32_e32 v81, 16, v112
	v_lshrrev_b32_e32 v51, 16, v51
	v_lshrrev_b32_e32 v92, 16, v82
	v_min3_f16 v51, v81, v51, v92
	v_min3_f16 v51, v53, v82, v51
	v_cvt_f32_f16_e32 v51, v51
	v_max_f32_e32 v50, v50, v50
	s_and_b64 vcc, exec, s[0:1]
	v_min_f32_e32 v50, v50, v51
	v_cvt_f16_f32_e32 v53, v50
	v_lshl_add_u64 v[50:51], v[36:37], 1, v[48:49]
	flat_store_short v[50:51], v53
	v_mov_b32_e32 v50, 0
	v_mov_b32_e32 v51, 0
	s_cbranch_vccnz .LBB221_75
; %bb.74:
	v_lshl_add_u64 v[112:113], v[40:41], 1, v[46:47]
	flat_load_ushort v51, v[112:113]
	s_waitcnt vmcnt(0) lgkmcnt(0)
	v_mul_f16_e32 v51, s28, v51
	v_cvt_f32_f16_e32 v51, v51
.LBB221_75:
	v_pk_add_f16 v53, v6, v20
	v_max_f16_e32 v81, v111, v111
	v_pk_add_f16 v92, v7, v21
	v_min_f16_e32 v81, v81, v53
	v_lshrrev_b32_e32 v82, 16, v111
	v_lshrrev_b32_e32 v53, 16, v53
	v_lshrrev_b32_e32 v94, 16, v92
	v_min3_f16 v53, v82, v53, v94
	v_min3_f16 v53, v81, v92, v53
	v_cvt_f32_f16_e32 v53, v53
	v_max_f32_e32 v51, v51, v51
	v_lshl_add_u64 v[112:113], v[40:41], 1, v[48:49]
	s_and_b64 vcc, exec, s[0:1]
	v_min_f32_e32 v51, v51, v53
	v_cvt_f16_f32_e32 v51, v51
	;; [unrolled: 50-line block ×3, first 2 shown]
	flat_store_short v[110:111], v51
	s_cbranch_vccnz .LBB221_81
; %bb.80:
	v_lshl_add_u64 v[46:47], v[44:45], 1, v[46:47]
	flat_load_ushort v46, v[46:47]
	s_waitcnt vmcnt(0) lgkmcnt(0)
	v_mul_f16_e32 v46, s28, v46
	v_cvt_f32_f16_e32 v50, v46
.LBB221_81:
	v_pk_add_f16 v20, v24, v20
	v_max_f16_e32 v46, v108, v108
	v_pk_add_f16 v21, v25, v21
	v_min_f16_e32 v46, v46, v20
	v_lshrrev_b32_e32 v47, 16, v108
	v_lshrrev_b32_e32 v20, 16, v20
	;; [unrolled: 1-line block ×3, first 2 shown]
	v_min3_f16 v20, v47, v20, v51
	v_min3_f16 v20, v46, v21, v20
	v_cvt_f32_f16_e32 v20, v20
	v_max_f32_e32 v21, v50, v50
	s_and_b64 vcc, exec, s[0:1]
	v_mov_b32_e32 v47, 0
	v_min_f32_e32 v20, v21, v20
	v_cvt_f16_f32_e32 v46, v20
	v_lshl_add_u64 v[20:21], v[44:45], 1, v[48:49]
	v_mov_b32_e32 v48, 0
	flat_store_short v[20:21], v46
	v_add_u32_e32 v46, 64, v52
	v_mad_i64_i32 v[20:21], s[4:5], v46, s6, 0
	v_lshl_add_u64 v[20:21], v[20:21], 1, s[16:17]
	s_cbranch_vccnz .LBB221_83
; %bb.82:
	v_lshl_add_u64 v[50:51], v[28:29], 1, v[20:21]
	flat_load_ushort v47, v[50:51]
	s_waitcnt vmcnt(0) lgkmcnt(0)
	v_mul_f16_e32 v47, s28, v47
	v_cvt_f32_f16_e32 v47, v47
.LBB221_83:
	v_pk_add_f16 v49, v30, v22
	v_max_f16_e32 v50, v107, v107
	v_pk_add_f16 v53, v31, v23
	v_min_f16_e32 v50, v50, v49
	v_lshrrev_b32_e32 v51, 16, v107
	v_lshrrev_b32_e32 v49, 16, v49
	;; [unrolled: 1-line block ×3, first 2 shown]
	v_min3_f16 v49, v51, v49, v81
	v_min3_f16 v49, v50, v53, v49
	v_cvt_f32_f16_e32 v49, v49
	v_mad_i64_i32 v[50:51], s[4:5], v46, s7, 0
	v_max_f32_e32 v46, v47, v47
	v_min_f32_e32 v46, v46, v49
	v_cvt_f16_f32_e32 v49, v46
	v_lshl_add_u64 v[46:47], v[50:51], 1, s[2:3]
	v_lshl_add_u64 v[50:51], v[28:29], 1, v[46:47]
	s_and_b64 vcc, exec, s[0:1]
	flat_store_short v[50:51], v49
	s_cbranch_vccnz .LBB221_85
; %bb.84:
	v_lshl_add_u64 v[48:49], v[32:33], 1, v[20:21]
	flat_load_ushort v48, v[48:49]
	s_waitcnt vmcnt(0) lgkmcnt(0)
	v_mul_f16_e32 v48, s28, v48
	v_cvt_f32_f16_e32 v48, v48
.LBB221_85:
	v_pk_add_f16 v49, v8, v22
	v_max_f16_e32 v50, v104, v104
	v_pk_add_f16 v53, v9, v23
	v_min_f16_e32 v50, v50, v49
	v_lshrrev_b32_e32 v51, 16, v104
	v_lshrrev_b32_e32 v49, 16, v49
	v_lshrrev_b32_e32 v81, 16, v53
	v_min3_f16 v49, v51, v49, v81
	v_min3_f16 v49, v50, v53, v49
	v_cvt_f32_f16_e32 v49, v49
	v_max_f32_e32 v48, v48, v48
	s_and_b64 vcc, exec, s[0:1]
	v_min_f32_e32 v48, v48, v49
	v_cvt_f16_f32_e32 v50, v48
	v_lshl_add_u64 v[48:49], v[32:33], 1, v[46:47]
	flat_store_short v[48:49], v50
	v_mov_b32_e32 v48, 0
	v_mov_b32_e32 v49, 0
	s_cbranch_vccnz .LBB221_87
; %bb.86:
	v_lshl_add_u64 v[50:51], v[34:35], 1, v[20:21]
	flat_load_ushort v49, v[50:51]
	s_waitcnt vmcnt(0) lgkmcnt(0)
	v_mul_f16_e32 v49, s28, v49
	v_cvt_f32_f16_e32 v49, v49
.LBB221_87:
	v_pk_add_f16 v50, v10, v22
	v_max_f16_e32 v51, v103, v103
	v_pk_add_f16 v81, v11, v23
	v_min_f16_e32 v51, v51, v50
	v_lshrrev_b32_e32 v53, 16, v103
	v_lshrrev_b32_e32 v50, 16, v50
	v_lshrrev_b32_e32 v82, 16, v81
	v_min3_f16 v50, v53, v50, v82
	v_min3_f16 v50, v51, v81, v50
	v_cvt_f32_f16_e32 v50, v50
	v_max_f32_e32 v49, v49, v49
	s_and_b64 vcc, exec, s[0:1]
	v_min_f32_e32 v49, v49, v50
	v_cvt_f16_f32_e32 v49, v49
	v_lshl_add_u64 v[50:51], v[34:35], 1, v[46:47]
	flat_store_short v[50:51], v49
	s_cbranch_vccnz .LBB221_89
; %bb.88:
	v_lshl_add_u64 v[48:49], v[36:37], 1, v[20:21]
	flat_load_ushort v48, v[48:49]
	s_waitcnt vmcnt(0) lgkmcnt(0)
	v_mul_f16_e32 v48, s28, v48
	v_cvt_f32_f16_e32 v48, v48
.LBB221_89:
	v_pk_add_f16 v49, v4, v22
	v_max_f16_e32 v50, v102, v102
	v_pk_add_f16 v53, v5, v23
	v_min_f16_e32 v50, v50, v49
	v_lshrrev_b32_e32 v51, 16, v102
	v_lshrrev_b32_e32 v49, 16, v49
	v_lshrrev_b32_e32 v81, 16, v53
	v_min3_f16 v49, v51, v49, v81
	v_min3_f16 v49, v50, v53, v49
	v_cvt_f32_f16_e32 v49, v49
	v_max_f32_e32 v48, v48, v48
	s_and_b64 vcc, exec, s[0:1]
	v_min_f32_e32 v48, v48, v49
	v_cvt_f16_f32_e32 v50, v48
	v_lshl_add_u64 v[48:49], v[36:37], 1, v[46:47]
	flat_store_short v[48:49], v50
	v_mov_b32_e32 v48, 0
	v_mov_b32_e32 v49, 0
	s_cbranch_vccnz .LBB221_91
; %bb.90:
	v_lshl_add_u64 v[50:51], v[40:41], 1, v[20:21]
	flat_load_ushort v49, v[50:51]
	s_waitcnt vmcnt(0) lgkmcnt(0)
	v_mul_f16_e32 v49, s28, v49
	v_cvt_f32_f16_e32 v49, v49
.LBB221_91:
	v_pk_add_f16 v50, v6, v22
	v_max_f16_e32 v51, v101, v101
	v_pk_add_f16 v81, v7, v23
	v_min_f16_e32 v51, v51, v50
	v_lshrrev_b32_e32 v53, 16, v101
	v_lshrrev_b32_e32 v50, 16, v50
	v_lshrrev_b32_e32 v82, 16, v81
	v_min3_f16 v50, v53, v50, v82
	v_min3_f16 v50, v51, v81, v50
	v_cvt_f32_f16_e32 v50, v50
	v_max_f32_e32 v49, v49, v49
	s_and_b64 vcc, exec, s[0:1]
	v_min_f32_e32 v49, v49, v50
	v_cvt_f16_f32_e32 v49, v49
	v_lshl_add_u64 v[50:51], v[40:41], 1, v[46:47]
	;; [unrolled: 50-line block ×3, first 2 shown]
	flat_store_short v[50:51], v49
	s_cbranch_vccnz .LBB221_97
; %bb.96:
	v_lshl_add_u64 v[20:21], v[44:45], 1, v[20:21]
	flat_load_ushort v20, v[20:21]
	s_waitcnt vmcnt(0) lgkmcnt(0)
	v_mul_f16_e32 v20, s28, v20
	v_cvt_f32_f16_e32 v48, v20
.LBB221_97:
	v_pk_add_f16 v20, v24, v22
	v_max_f16_e32 v21, v98, v98
	v_pk_add_f16 v23, v25, v23
	v_min_f16_e32 v21, v21, v20
	v_lshrrev_b32_e32 v22, 16, v98
	v_lshrrev_b32_e32 v20, 16, v20
	;; [unrolled: 1-line block ×3, first 2 shown]
	v_min3_f16 v20, v22, v20, v49
	v_min3_f16 v20, v21, v23, v20
	v_cvt_f32_f16_e32 v20, v20
	v_max_f32_e32 v21, v48, v48
	s_and_b64 vcc, exec, s[0:1]
	v_mov_b32_e32 v23, 0
	v_min_f32_e32 v20, v21, v20
	v_cvt_f16_f32_e32 v22, v20
	v_lshl_add_u64 v[20:21], v[44:45], 1, v[46:47]
	v_mov_b32_e32 v46, 0
	flat_store_short v[20:21], v22
	v_add_u32_e32 v22, 0x60, v52
	v_mad_i64_i32 v[20:21], s[4:5], v22, s6, 0
	v_lshl_add_u64 v[20:21], v[20:21], 1, s[16:17]
	s_cbranch_vccnz .LBB221_99
; %bb.98:
	v_lshl_add_u64 v[48:49], v[28:29], 1, v[20:21]
	flat_load_ushort v23, v[48:49]
	s_waitcnt vmcnt(0) lgkmcnt(0)
	v_mul_f16_e32 v23, s28, v23
	v_cvt_f32_f16_e32 v23, v23
.LBB221_99:
	v_pk_add_f16 v47, v30, v16
	v_max_f16_e32 v48, v97, v97
	v_pk_add_f16 v50, v31, v17
	v_min_f16_e32 v48, v48, v47
	v_lshrrev_b32_e32 v49, 16, v97
	v_lshrrev_b32_e32 v47, 16, v47
	;; [unrolled: 1-line block ×3, first 2 shown]
	v_min3_f16 v47, v49, v47, v51
	v_min3_f16 v47, v48, v50, v47
	v_cvt_f32_f16_e32 v47, v47
	v_mad_i64_i32 v[48:49], s[4:5], v22, s7, 0
	v_max_f32_e32 v22, v23, v23
	v_min_f32_e32 v22, v22, v47
	v_cvt_f16_f32_e32 v47, v22
	v_lshl_add_u64 v[22:23], v[48:49], 1, s[2:3]
	v_lshl_add_u64 v[48:49], v[28:29], 1, v[22:23]
	s_and_b64 vcc, exec, s[0:1]
	flat_store_short v[48:49], v47
	s_cbranch_vccnz .LBB221_101
; %bb.100:
	v_lshl_add_u64 v[46:47], v[32:33], 1, v[20:21]
	flat_load_ushort v46, v[46:47]
	s_waitcnt vmcnt(0) lgkmcnt(0)
	v_mul_f16_e32 v46, s28, v46
	v_cvt_f32_f16_e32 v46, v46
.LBB221_101:
	v_pk_add_f16 v47, v8, v16
	v_max_f16_e32 v48, v96, v96
	v_pk_add_f16 v50, v9, v17
	v_min_f16_e32 v48, v48, v47
	v_lshrrev_b32_e32 v49, 16, v96
	v_lshrrev_b32_e32 v47, 16, v47
	v_lshrrev_b32_e32 v51, 16, v50
	v_min3_f16 v47, v49, v47, v51
	v_min3_f16 v47, v48, v50, v47
	v_cvt_f32_f16_e32 v47, v47
	v_max_f32_e32 v46, v46, v46
	s_and_b64 vcc, exec, s[0:1]
	v_min_f32_e32 v46, v46, v47
	v_cvt_f16_f32_e32 v48, v46
	v_lshl_add_u64 v[46:47], v[32:33], 1, v[22:23]
	flat_store_short v[46:47], v48
	v_mov_b32_e32 v46, 0
	v_mov_b32_e32 v47, 0
	s_cbranch_vccnz .LBB221_103
; %bb.102:
	v_lshl_add_u64 v[48:49], v[34:35], 1, v[20:21]
	flat_load_ushort v47, v[48:49]
	s_waitcnt vmcnt(0) lgkmcnt(0)
	v_mul_f16_e32 v47, s28, v47
	v_cvt_f32_f16_e32 v47, v47
.LBB221_103:
	v_pk_add_f16 v48, v10, v16
	v_max_f16_e32 v49, v95, v95
	v_pk_add_f16 v51, v11, v17
	v_min_f16_e32 v49, v49, v48
	v_lshrrev_b32_e32 v50, 16, v95
	v_lshrrev_b32_e32 v48, 16, v48
	v_lshrrev_b32_e32 v53, 16, v51
	v_min3_f16 v48, v50, v48, v53
	v_min3_f16 v48, v49, v51, v48
	v_cvt_f32_f16_e32 v48, v48
	v_max_f32_e32 v47, v47, v47
	s_and_b64 vcc, exec, s[0:1]
	v_min_f32_e32 v47, v47, v48
	v_cvt_f16_f32_e32 v47, v47
	v_lshl_add_u64 v[48:49], v[34:35], 1, v[22:23]
	flat_store_short v[48:49], v47
	s_cbranch_vccnz .LBB221_105
; %bb.104:
	v_lshl_add_u64 v[46:47], v[36:37], 1, v[20:21]
	flat_load_ushort v46, v[46:47]
	s_waitcnt vmcnt(0) lgkmcnt(0)
	v_mul_f16_e32 v46, s28, v46
	v_cvt_f32_f16_e32 v46, v46
.LBB221_105:
	v_pk_add_f16 v47, v4, v16
	v_max_f16_e32 v48, v93, v93
	v_pk_add_f16 v50, v5, v17
	v_min_f16_e32 v48, v48, v47
	v_lshrrev_b32_e32 v49, 16, v93
	v_lshrrev_b32_e32 v47, 16, v47
	v_lshrrev_b32_e32 v51, 16, v50
	v_min3_f16 v47, v49, v47, v51
	v_min3_f16 v47, v48, v50, v47
	v_cvt_f32_f16_e32 v47, v47
	v_max_f32_e32 v46, v46, v46
	s_and_b64 vcc, exec, s[0:1]
	v_min_f32_e32 v46, v46, v47
	v_cvt_f16_f32_e32 v48, v46
	v_lshl_add_u64 v[46:47], v[36:37], 1, v[22:23]
	flat_store_short v[46:47], v48
	v_mov_b32_e32 v46, 0
	v_mov_b32_e32 v47, 0
	s_cbranch_vccnz .LBB221_107
; %bb.106:
	v_lshl_add_u64 v[48:49], v[40:41], 1, v[20:21]
	flat_load_ushort v47, v[48:49]
	s_waitcnt vmcnt(0) lgkmcnt(0)
	v_mul_f16_e32 v47, s28, v47
	v_cvt_f32_f16_e32 v47, v47
.LBB221_107:
	v_pk_add_f16 v48, v6, v16
	v_max_f16_e32 v49, v91, v91
	v_pk_add_f16 v51, v7, v17
	v_min_f16_e32 v49, v49, v48
	v_lshrrev_b32_e32 v50, 16, v91
	v_lshrrev_b32_e32 v48, 16, v48
	v_lshrrev_b32_e32 v53, 16, v51
	v_min3_f16 v48, v50, v48, v53
	v_min3_f16 v48, v49, v51, v48
	v_cvt_f32_f16_e32 v48, v48
	v_max_f32_e32 v47, v47, v47
	s_and_b64 vcc, exec, s[0:1]
	v_min_f32_e32 v47, v47, v48
	v_cvt_f16_f32_e32 v47, v47
	v_lshl_add_u64 v[48:49], v[40:41], 1, v[22:23]
	;; [unrolled: 50-line block ×3, first 2 shown]
	flat_store_short v[48:49], v47
	s_cbranch_vccnz .LBB221_113
; %bb.112:
	v_lshl_add_u64 v[20:21], v[44:45], 1, v[20:21]
	flat_load_ushort v20, v[20:21]
	s_waitcnt vmcnt(0) lgkmcnt(0)
	v_mul_f16_e32 v20, s28, v20
	v_cvt_f32_f16_e32 v46, v20
.LBB221_113:
	v_pk_add_f16 v16, v24, v16
	v_max_f16_e32 v20, v88, v88
	v_pk_add_f16 v17, v25, v17
	v_min_f16_e32 v20, v20, v16
	v_lshrrev_b32_e32 v21, 16, v88
	v_lshrrev_b32_e32 v16, 16, v16
	;; [unrolled: 1-line block ×3, first 2 shown]
	v_min3_f16 v16, v21, v16, v47
	v_min3_f16 v16, v20, v17, v16
	v_cvt_f32_f16_e32 v16, v16
	v_max_f32_e32 v17, v46, v46
	s_and_b64 vcc, exec, s[0:1]
	v_mov_b32_e32 v21, 0
	v_min_f32_e32 v16, v17, v16
	v_cvt_f16_f32_e32 v20, v16
	v_lshl_add_u64 v[16:17], v[44:45], 1, v[22:23]
	v_mov_b32_e32 v22, 0
	flat_store_short v[16:17], v20
	v_add_u32_e32 v20, 0x80, v52
	v_mad_i64_i32 v[16:17], s[4:5], v20, s6, 0
	v_lshl_add_u64 v[16:17], v[16:17], 1, s[16:17]
	s_cbranch_vccnz .LBB221_115
; %bb.114:
	v_lshl_add_u64 v[46:47], v[28:29], 1, v[16:17]
	flat_load_ushort v21, v[46:47]
	s_waitcnt vmcnt(0) lgkmcnt(0)
	v_mul_f16_e32 v21, s28, v21
	v_cvt_f32_f16_e32 v21, v21
.LBB221_115:
	v_pk_add_f16 v23, v30, v18
	v_max_f16_e32 v46, v87, v87
	v_pk_add_f16 v48, v31, v19
	v_min_f16_e32 v46, v46, v23
	v_lshrrev_b32_e32 v47, 16, v87
	v_lshrrev_b32_e32 v23, 16, v23
	;; [unrolled: 1-line block ×3, first 2 shown]
	v_min3_f16 v23, v47, v23, v49
	v_min3_f16 v23, v46, v48, v23
	v_cvt_f32_f16_e32 v23, v23
	v_mad_i64_i32 v[46:47], s[4:5], v20, s7, 0
	v_max_f32_e32 v20, v21, v21
	v_min_f32_e32 v20, v20, v23
	v_cvt_f16_f32_e32 v23, v20
	v_lshl_add_u64 v[20:21], v[46:47], 1, s[2:3]
	v_lshl_add_u64 v[46:47], v[28:29], 1, v[20:21]
	s_and_b64 vcc, exec, s[0:1]
	flat_store_short v[46:47], v23
	s_cbranch_vccnz .LBB221_117
; %bb.116:
	v_lshl_add_u64 v[22:23], v[32:33], 1, v[16:17]
	flat_load_ushort v22, v[22:23]
	s_waitcnt vmcnt(0) lgkmcnt(0)
	v_mul_f16_e32 v22, s28, v22
	v_cvt_f32_f16_e32 v22, v22
.LBB221_117:
	v_pk_add_f16 v23, v8, v18
	v_max_f16_e32 v46, v86, v86
	v_pk_add_f16 v48, v9, v19
	v_min_f16_e32 v46, v46, v23
	v_lshrrev_b32_e32 v47, 16, v86
	v_lshrrev_b32_e32 v23, 16, v23
	v_lshrrev_b32_e32 v49, 16, v48
	v_min3_f16 v23, v47, v23, v49
	v_min3_f16 v23, v46, v48, v23
	v_cvt_f32_f16_e32 v23, v23
	v_max_f32_e32 v22, v22, v22
	s_and_b64 vcc, exec, s[0:1]
	v_min_f32_e32 v22, v22, v23
	v_cvt_f16_f32_e32 v46, v22
	v_lshl_add_u64 v[22:23], v[32:33], 1, v[20:21]
	flat_store_short v[22:23], v46
	v_mov_b32_e32 v22, 0
	v_mov_b32_e32 v23, 0
	s_cbranch_vccnz .LBB221_119
; %bb.118:
	v_lshl_add_u64 v[46:47], v[34:35], 1, v[16:17]
	flat_load_ushort v23, v[46:47]
	s_waitcnt vmcnt(0) lgkmcnt(0)
	v_mul_f16_e32 v23, s28, v23
	v_cvt_f32_f16_e32 v23, v23
.LBB221_119:
	v_pk_add_f16 v46, v10, v18
	v_max_f16_e32 v47, v85, v85
	v_pk_add_f16 v49, v11, v19
	v_min_f16_e32 v47, v47, v46
	v_lshrrev_b32_e32 v48, 16, v85
	v_lshrrev_b32_e32 v46, 16, v46
	v_lshrrev_b32_e32 v50, 16, v49
	v_min3_f16 v46, v48, v46, v50
	v_min3_f16 v46, v47, v49, v46
	v_cvt_f32_f16_e32 v46, v46
	v_max_f32_e32 v23, v23, v23
	s_and_b64 vcc, exec, s[0:1]
	v_min_f32_e32 v23, v23, v46
	v_cvt_f16_f32_e32 v23, v23
	v_lshl_add_u64 v[46:47], v[34:35], 1, v[20:21]
	flat_store_short v[46:47], v23
	s_cbranch_vccnz .LBB221_121
; %bb.120:
	v_lshl_add_u64 v[22:23], v[36:37], 1, v[16:17]
	flat_load_ushort v22, v[22:23]
	s_waitcnt vmcnt(0) lgkmcnt(0)
	v_mul_f16_e32 v22, s28, v22
	v_cvt_f32_f16_e32 v22, v22
.LBB221_121:
	v_pk_add_f16 v23, v4, v18
	v_max_f16_e32 v46, v84, v84
	v_pk_add_f16 v48, v5, v19
	v_min_f16_e32 v46, v46, v23
	v_lshrrev_b32_e32 v47, 16, v84
	v_lshrrev_b32_e32 v23, 16, v23
	v_lshrrev_b32_e32 v49, 16, v48
	v_min3_f16 v23, v47, v23, v49
	v_min3_f16 v23, v46, v48, v23
	v_cvt_f32_f16_e32 v23, v23
	v_max_f32_e32 v22, v22, v22
	s_and_b64 vcc, exec, s[0:1]
	v_min_f32_e32 v22, v22, v23
	v_cvt_f16_f32_e32 v46, v22
	v_lshl_add_u64 v[22:23], v[36:37], 1, v[20:21]
	flat_store_short v[22:23], v46
	v_mov_b32_e32 v22, 0
	v_mov_b32_e32 v23, 0
	s_cbranch_vccnz .LBB221_123
; %bb.122:
	v_lshl_add_u64 v[46:47], v[40:41], 1, v[16:17]
	flat_load_ushort v23, v[46:47]
	s_waitcnt vmcnt(0) lgkmcnt(0)
	v_mul_f16_e32 v23, s28, v23
	v_cvt_f32_f16_e32 v23, v23
.LBB221_123:
	v_pk_add_f16 v46, v6, v18
	v_max_f16_e32 v47, v83, v83
	v_pk_add_f16 v49, v7, v19
	v_min_f16_e32 v47, v47, v46
	v_lshrrev_b32_e32 v48, 16, v83
	v_lshrrev_b32_e32 v46, 16, v46
	v_lshrrev_b32_e32 v50, 16, v49
	v_min3_f16 v46, v48, v46, v50
	v_min3_f16 v46, v47, v49, v46
	v_cvt_f32_f16_e32 v46, v46
	v_max_f32_e32 v23, v23, v23
	s_and_b64 vcc, exec, s[0:1]
	v_min_f32_e32 v23, v23, v46
	v_cvt_f16_f32_e32 v23, v23
	v_lshl_add_u64 v[46:47], v[40:41], 1, v[20:21]
	;; [unrolled: 50-line block ×3, first 2 shown]
	flat_store_short v[46:47], v23
	s_cbranch_vccnz .LBB221_129
; %bb.128:
	v_lshl_add_u64 v[16:17], v[44:45], 1, v[16:17]
	flat_load_ushort v16, v[16:17]
	s_waitcnt vmcnt(0) lgkmcnt(0)
	v_mul_f16_e32 v16, s28, v16
	v_cvt_f32_f16_e32 v22, v16
.LBB221_129:
	v_pk_add_f16 v16, v24, v18
	v_max_f16_e32 v17, v78, v78
	v_pk_add_f16 v19, v25, v19
	v_min_f16_e32 v17, v17, v16
	v_lshrrev_b32_e32 v18, 16, v78
	v_lshrrev_b32_e32 v16, 16, v16
	;; [unrolled: 1-line block ×3, first 2 shown]
	v_min3_f16 v16, v18, v16, v23
	v_min3_f16 v16, v17, v19, v16
	v_cvt_f32_f16_e32 v16, v16
	v_max_f32_e32 v17, v22, v22
	s_and_b64 vcc, exec, s[0:1]
	v_mov_b32_e32 v19, 0
	v_min_f32_e32 v16, v17, v16
	v_cvt_f16_f32_e32 v18, v16
	v_lshl_add_u64 v[16:17], v[44:45], 1, v[20:21]
	v_mov_b32_e32 v20, 0
	flat_store_short v[16:17], v18
	v_add_u32_e32 v18, 0xa0, v52
	v_mad_i64_i32 v[16:17], s[4:5], v18, s6, 0
	v_lshl_add_u64 v[16:17], v[16:17], 1, s[16:17]
	s_cbranch_vccnz .LBB221_131
; %bb.130:
	v_lshl_add_u64 v[22:23], v[28:29], 1, v[16:17]
	flat_load_ushort v19, v[22:23]
	s_waitcnt vmcnt(0) lgkmcnt(0)
	v_mul_f16_e32 v19, s28, v19
	v_cvt_f32_f16_e32 v19, v19
.LBB221_131:
	v_pk_add_f16 v21, v30, v12
	v_max_f16_e32 v22, v77, v77
	v_pk_add_f16 v46, v31, v13
	v_min_f16_e32 v22, v22, v21
	v_lshrrev_b32_e32 v23, 16, v77
	v_lshrrev_b32_e32 v21, 16, v21
	v_lshrrev_b32_e32 v47, 16, v46
	v_min3_f16 v21, v23, v21, v47
	v_min3_f16 v21, v22, v46, v21
	v_cvt_f32_f16_e32 v21, v21
	v_mad_i64_i32 v[22:23], s[4:5], v18, s7, 0
	v_max_f32_e32 v18, v19, v19
	v_min_f32_e32 v18, v18, v21
	v_cvt_f16_f32_e32 v21, v18
	v_lshl_add_u64 v[18:19], v[22:23], 1, s[2:3]
	v_lshl_add_u64 v[22:23], v[28:29], 1, v[18:19]
	s_and_b64 vcc, exec, s[0:1]
	flat_store_short v[22:23], v21
	s_cbranch_vccnz .LBB221_133
; %bb.132:
	v_lshl_add_u64 v[20:21], v[32:33], 1, v[16:17]
	flat_load_ushort v20, v[20:21]
	s_waitcnt vmcnt(0) lgkmcnt(0)
	v_mul_f16_e32 v20, s28, v20
	v_cvt_f32_f16_e32 v20, v20
.LBB221_133:
	v_pk_add_f16 v21, v8, v12
	v_max_f16_e32 v22, v76, v76
	v_pk_add_f16 v46, v9, v13
	v_min_f16_e32 v22, v22, v21
	v_lshrrev_b32_e32 v23, 16, v76
	v_lshrrev_b32_e32 v21, 16, v21
	v_lshrrev_b32_e32 v47, 16, v46
	v_min3_f16 v21, v23, v21, v47
	v_min3_f16 v21, v22, v46, v21
	v_cvt_f32_f16_e32 v21, v21
	v_max_f32_e32 v20, v20, v20
	s_and_b64 vcc, exec, s[0:1]
	v_min_f32_e32 v20, v20, v21
	v_cvt_f16_f32_e32 v22, v20
	v_lshl_add_u64 v[20:21], v[32:33], 1, v[18:19]
	flat_store_short v[20:21], v22
	v_mov_b32_e32 v20, 0
	v_mov_b32_e32 v21, 0
	s_cbranch_vccnz .LBB221_135
; %bb.134:
	v_lshl_add_u64 v[22:23], v[34:35], 1, v[16:17]
	flat_load_ushort v21, v[22:23]
	s_waitcnt vmcnt(0) lgkmcnt(0)
	v_mul_f16_e32 v21, s28, v21
	v_cvt_f32_f16_e32 v21, v21
.LBB221_135:
	v_pk_add_f16 v22, v10, v12
	v_max_f16_e32 v23, v75, v75
	v_pk_add_f16 v47, v11, v13
	v_min_f16_e32 v23, v23, v22
	v_lshrrev_b32_e32 v46, 16, v75
	v_lshrrev_b32_e32 v22, 16, v22
	v_lshrrev_b32_e32 v48, 16, v47
	v_min3_f16 v22, v46, v22, v48
	v_min3_f16 v22, v23, v47, v22
	v_cvt_f32_f16_e32 v22, v22
	v_max_f32_e32 v21, v21, v21
	s_and_b64 vcc, exec, s[0:1]
	v_min_f32_e32 v21, v21, v22
	v_cvt_f16_f32_e32 v21, v21
	v_lshl_add_u64 v[22:23], v[34:35], 1, v[18:19]
	flat_store_short v[22:23], v21
	s_cbranch_vccnz .LBB221_137
; %bb.136:
	v_lshl_add_u64 v[20:21], v[36:37], 1, v[16:17]
	flat_load_ushort v20, v[20:21]
	s_waitcnt vmcnt(0) lgkmcnt(0)
	v_mul_f16_e32 v20, s28, v20
	v_cvt_f32_f16_e32 v20, v20
.LBB221_137:
	v_pk_add_f16 v21, v4, v12
	v_max_f16_e32 v22, v74, v74
	v_pk_add_f16 v46, v5, v13
	v_min_f16_e32 v22, v22, v21
	v_lshrrev_b32_e32 v23, 16, v74
	v_lshrrev_b32_e32 v21, 16, v21
	v_lshrrev_b32_e32 v47, 16, v46
	v_min3_f16 v21, v23, v21, v47
	v_min3_f16 v21, v22, v46, v21
	v_cvt_f32_f16_e32 v21, v21
	v_max_f32_e32 v20, v20, v20
	s_and_b64 vcc, exec, s[0:1]
	v_min_f32_e32 v20, v20, v21
	v_cvt_f16_f32_e32 v22, v20
	v_lshl_add_u64 v[20:21], v[36:37], 1, v[18:19]
	flat_store_short v[20:21], v22
	v_mov_b32_e32 v20, 0
	v_mov_b32_e32 v21, 0
	s_cbranch_vccnz .LBB221_139
; %bb.138:
	v_lshl_add_u64 v[22:23], v[40:41], 1, v[16:17]
	flat_load_ushort v21, v[22:23]
	s_waitcnt vmcnt(0) lgkmcnt(0)
	v_mul_f16_e32 v21, s28, v21
	v_cvt_f32_f16_e32 v21, v21
.LBB221_139:
	v_pk_add_f16 v22, v6, v12
	v_max_f16_e32 v23, v73, v73
	v_pk_add_f16 v47, v7, v13
	v_min_f16_e32 v23, v23, v22
	v_lshrrev_b32_e32 v46, 16, v73
	v_lshrrev_b32_e32 v22, 16, v22
	v_lshrrev_b32_e32 v48, 16, v47
	v_min3_f16 v22, v46, v22, v48
	v_min3_f16 v22, v23, v47, v22
	v_cvt_f32_f16_e32 v22, v22
	v_max_f32_e32 v21, v21, v21
	s_and_b64 vcc, exec, s[0:1]
	v_min_f32_e32 v21, v21, v22
	v_cvt_f16_f32_e32 v21, v21
	v_lshl_add_u64 v[22:23], v[40:41], 1, v[18:19]
	;; [unrolled: 50-line block ×3, first 2 shown]
	flat_store_short v[22:23], v21
	s_cbranch_vccnz .LBB221_145
; %bb.144:
	v_lshl_add_u64 v[16:17], v[44:45], 1, v[16:17]
	flat_load_ushort v16, v[16:17]
	s_waitcnt vmcnt(0) lgkmcnt(0)
	v_mul_f16_e32 v16, s28, v16
	v_cvt_f32_f16_e32 v20, v16
.LBB221_145:
	v_pk_add_f16 v12, v24, v12
	v_max_f16_e32 v16, v70, v70
	v_pk_add_f16 v13, v25, v13
	v_min_f16_e32 v16, v16, v12
	v_lshrrev_b32_e32 v17, 16, v70
	v_lshrrev_b32_e32 v12, 16, v12
	;; [unrolled: 1-line block ×3, first 2 shown]
	v_min3_f16 v12, v17, v12, v21
	v_min3_f16 v12, v16, v13, v12
	v_cvt_f32_f16_e32 v12, v12
	v_max_f32_e32 v13, v20, v20
	s_and_b64 vcc, exec, s[0:1]
	v_mov_b32_e32 v17, 0
	v_min_f32_e32 v12, v13, v12
	v_cvt_f16_f32_e32 v16, v12
	v_lshl_add_u64 v[12:13], v[44:45], 1, v[18:19]
	v_mov_b32_e32 v18, 0
	flat_store_short v[12:13], v16
	v_add_u32_e32 v16, 0xc0, v52
	v_mad_i64_i32 v[12:13], s[4:5], v16, s6, 0
	v_lshl_add_u64 v[12:13], v[12:13], 1, s[16:17]
	s_cbranch_vccnz .LBB221_147
; %bb.146:
	v_lshl_add_u64 v[20:21], v[28:29], 1, v[12:13]
	flat_load_ushort v17, v[20:21]
	s_waitcnt vmcnt(0) lgkmcnt(0)
	v_mul_f16_e32 v17, s28, v17
	v_cvt_f32_f16_e32 v17, v17
.LBB221_147:
	v_pk_add_f16 v19, v30, v14
	v_max_f16_e32 v20, v69, v69
	v_pk_add_f16 v22, v31, v15
	v_min_f16_e32 v20, v20, v19
	v_lshrrev_b32_e32 v21, 16, v69
	v_lshrrev_b32_e32 v19, 16, v19
	;; [unrolled: 1-line block ×3, first 2 shown]
	v_min3_f16 v19, v21, v19, v23
	v_min3_f16 v19, v20, v22, v19
	v_cvt_f32_f16_e32 v19, v19
	v_mad_i64_i32 v[20:21], s[4:5], v16, s7, 0
	v_max_f32_e32 v16, v17, v17
	v_min_f32_e32 v16, v16, v19
	v_cvt_f16_f32_e32 v19, v16
	v_lshl_add_u64 v[16:17], v[20:21], 1, s[2:3]
	v_lshl_add_u64 v[20:21], v[28:29], 1, v[16:17]
	s_and_b64 vcc, exec, s[0:1]
	flat_store_short v[20:21], v19
	s_cbranch_vccnz .LBB221_149
; %bb.148:
	v_lshl_add_u64 v[18:19], v[32:33], 1, v[12:13]
	flat_load_ushort v18, v[18:19]
	s_waitcnt vmcnt(0) lgkmcnt(0)
	v_mul_f16_e32 v18, s28, v18
	v_cvt_f32_f16_e32 v18, v18
.LBB221_149:
	v_pk_add_f16 v19, v8, v14
	v_max_f16_e32 v20, v68, v68
	v_pk_add_f16 v22, v9, v15
	v_min_f16_e32 v20, v20, v19
	v_lshrrev_b32_e32 v21, 16, v68
	v_lshrrev_b32_e32 v19, 16, v19
	v_lshrrev_b32_e32 v23, 16, v22
	v_min3_f16 v19, v21, v19, v23
	v_min3_f16 v19, v20, v22, v19
	v_cvt_f32_f16_e32 v19, v19
	v_max_f32_e32 v18, v18, v18
	s_and_b64 vcc, exec, s[0:1]
	v_min_f32_e32 v18, v18, v19
	v_cvt_f16_f32_e32 v20, v18
	v_lshl_add_u64 v[18:19], v[32:33], 1, v[16:17]
	flat_store_short v[18:19], v20
	v_mov_b32_e32 v18, 0
	v_mov_b32_e32 v19, 0
	s_cbranch_vccnz .LBB221_151
; %bb.150:
	v_lshl_add_u64 v[20:21], v[34:35], 1, v[12:13]
	flat_load_ushort v19, v[20:21]
	s_waitcnt vmcnt(0) lgkmcnt(0)
	v_mul_f16_e32 v19, s28, v19
	v_cvt_f32_f16_e32 v19, v19
.LBB221_151:
	v_pk_add_f16 v20, v10, v14
	v_max_f16_e32 v21, v67, v67
	v_pk_add_f16 v23, v11, v15
	v_min_f16_e32 v21, v21, v20
	v_lshrrev_b32_e32 v22, 16, v67
	v_lshrrev_b32_e32 v20, 16, v20
	v_lshrrev_b32_e32 v46, 16, v23
	v_min3_f16 v20, v22, v20, v46
	v_min3_f16 v20, v21, v23, v20
	v_cvt_f32_f16_e32 v20, v20
	v_max_f32_e32 v19, v19, v19
	s_and_b64 vcc, exec, s[0:1]
	v_min_f32_e32 v19, v19, v20
	v_cvt_f16_f32_e32 v19, v19
	v_lshl_add_u64 v[20:21], v[34:35], 1, v[16:17]
	flat_store_short v[20:21], v19
	s_cbranch_vccnz .LBB221_153
; %bb.152:
	v_lshl_add_u64 v[18:19], v[36:37], 1, v[12:13]
	flat_load_ushort v18, v[18:19]
	s_waitcnt vmcnt(0) lgkmcnt(0)
	v_mul_f16_e32 v18, s28, v18
	v_cvt_f32_f16_e32 v18, v18
.LBB221_153:
	v_pk_add_f16 v19, v4, v14
	v_max_f16_e32 v20, v66, v66
	v_pk_add_f16 v22, v5, v15
	v_min_f16_e32 v20, v20, v19
	v_lshrrev_b32_e32 v21, 16, v66
	v_lshrrev_b32_e32 v19, 16, v19
	v_lshrrev_b32_e32 v23, 16, v22
	v_min3_f16 v19, v21, v19, v23
	v_min3_f16 v19, v20, v22, v19
	v_cvt_f32_f16_e32 v19, v19
	v_max_f32_e32 v18, v18, v18
	s_and_b64 vcc, exec, s[0:1]
	v_min_f32_e32 v18, v18, v19
	v_cvt_f16_f32_e32 v20, v18
	v_lshl_add_u64 v[18:19], v[36:37], 1, v[16:17]
	flat_store_short v[18:19], v20
	v_mov_b32_e32 v18, 0
	v_mov_b32_e32 v19, 0
	s_cbranch_vccnz .LBB221_155
; %bb.154:
	v_lshl_add_u64 v[20:21], v[40:41], 1, v[12:13]
	flat_load_ushort v19, v[20:21]
	s_waitcnt vmcnt(0) lgkmcnt(0)
	v_mul_f16_e32 v19, s28, v19
	v_cvt_f32_f16_e32 v19, v19
.LBB221_155:
	v_pk_add_f16 v20, v6, v14
	v_max_f16_e32 v21, v65, v65
	v_pk_add_f16 v23, v7, v15
	v_min_f16_e32 v21, v21, v20
	v_lshrrev_b32_e32 v22, 16, v65
	v_lshrrev_b32_e32 v20, 16, v20
	v_lshrrev_b32_e32 v46, 16, v23
	v_min3_f16 v20, v22, v20, v46
	v_min3_f16 v20, v21, v23, v20
	v_cvt_f32_f16_e32 v20, v20
	v_max_f32_e32 v19, v19, v19
	s_and_b64 vcc, exec, s[0:1]
	v_min_f32_e32 v19, v19, v20
	v_cvt_f16_f32_e32 v19, v19
	v_lshl_add_u64 v[20:21], v[40:41], 1, v[16:17]
	;; [unrolled: 50-line block ×3, first 2 shown]
	flat_store_short v[20:21], v19
	s_cbranch_vccnz .LBB221_161
; %bb.160:
	v_lshl_add_u64 v[12:13], v[44:45], 1, v[12:13]
	flat_load_ushort v12, v[12:13]
	s_waitcnt vmcnt(0) lgkmcnt(0)
	v_mul_f16_e32 v12, s28, v12
	v_cvt_f32_f16_e32 v18, v12
.LBB221_161:
	v_pk_add_f16 v12, v24, v14
	v_max_f16_e32 v13, v62, v62
	v_pk_add_f16 v15, v25, v15
	v_min_f16_e32 v13, v13, v12
	v_lshrrev_b32_e32 v14, 16, v62
	v_lshrrev_b32_e32 v12, 16, v12
	;; [unrolled: 1-line block ×3, first 2 shown]
	v_min3_f16 v12, v14, v12, v19
	v_min3_f16 v12, v13, v15, v12
	v_cvt_f32_f16_e32 v12, v12
	v_max_f32_e32 v13, v18, v18
	s_and_b64 vcc, exec, s[0:1]
	v_mov_b32_e32 v15, 0
	v_min_f32_e32 v12, v13, v12
	v_cvt_f16_f32_e32 v14, v12
	v_lshl_add_u64 v[12:13], v[44:45], 1, v[16:17]
	v_mov_b32_e32 v16, 0
	flat_store_short v[12:13], v14
	v_add_u32_e32 v14, 0xe0, v52
	v_mad_i64_i32 v[12:13], s[4:5], v14, s6, 0
	v_lshl_add_u64 v[12:13], v[12:13], 1, s[16:17]
	s_cbranch_vccnz .LBB221_163
; %bb.162:
	v_lshl_add_u64 v[18:19], v[28:29], 1, v[12:13]
	flat_load_ushort v15, v[18:19]
	s_waitcnt vmcnt(0) lgkmcnt(0)
	v_mul_f16_e32 v15, s28, v15
	v_cvt_f32_f16_e32 v15, v15
.LBB221_163:
	v_pk_add_f16 v17, v30, v26
	v_max_f16_e32 v18, v61, v61
	v_pk_add_f16 v20, v31, v27
	v_min_f16_e32 v18, v18, v17
	v_lshrrev_b32_e32 v19, 16, v61
	v_lshrrev_b32_e32 v17, 16, v17
	;; [unrolled: 1-line block ×3, first 2 shown]
	v_min3_f16 v17, v19, v17, v21
	v_min3_f16 v17, v18, v20, v17
	v_cvt_f32_f16_e32 v17, v17
	v_mad_i64_i32 v[18:19], s[4:5], v14, s7, 0
	v_max_f32_e32 v14, v15, v15
	v_min_f32_e32 v14, v14, v17
	v_cvt_f16_f32_e32 v17, v14
	v_lshl_add_u64 v[14:15], v[18:19], 1, s[2:3]
	v_lshl_add_u64 v[18:19], v[28:29], 1, v[14:15]
	s_and_b64 vcc, exec, s[0:1]
	flat_store_short v[18:19], v17
	s_cbranch_vccnz .LBB221_165
; %bb.164:
	v_lshl_add_u64 v[16:17], v[32:33], 1, v[12:13]
	flat_load_ushort v16, v[16:17]
	s_waitcnt vmcnt(0) lgkmcnt(0)
	v_mul_f16_e32 v16, s28, v16
	v_cvt_f32_f16_e32 v16, v16
.LBB221_165:
	v_pk_add_f16 v8, v8, v26
	v_max_f16_e32 v17, v60, v60
	v_pk_add_f16 v9, v9, v27
	v_min_f16_e32 v17, v17, v8
	v_lshrrev_b32_e32 v18, 16, v60
	v_lshrrev_b32_e32 v8, 16, v8
	;; [unrolled: 1-line block ×3, first 2 shown]
	v_min3_f16 v8, v18, v8, v19
	v_min3_f16 v8, v17, v9, v8
	v_cvt_f32_f16_e32 v8, v8
	v_max_f32_e32 v9, v16, v16
	s_and_b64 vcc, exec, s[0:1]
	v_min_f32_e32 v8, v9, v8
	v_cvt_f16_f32_e32 v16, v8
	v_lshl_add_u64 v[8:9], v[32:33], 1, v[14:15]
	flat_store_short v[8:9], v16
	v_mov_b32_e32 v8, 0
	v_mov_b32_e32 v9, 0
	s_cbranch_vccnz .LBB221_167
; %bb.166:
	v_lshl_add_u64 v[16:17], v[34:35], 1, v[12:13]
	flat_load_ushort v9, v[16:17]
	s_waitcnt vmcnt(0) lgkmcnt(0)
	v_mul_f16_e32 v9, s28, v9
	v_cvt_f32_f16_e32 v9, v9
.LBB221_167:
	v_pk_add_f16 v10, v10, v26
	v_max_f16_e32 v16, v58, v58
	v_pk_add_f16 v11, v11, v27
	v_min_f16_e32 v16, v16, v10
	v_lshrrev_b32_e32 v17, 16, v58
	v_lshrrev_b32_e32 v10, 16, v10
	;; [unrolled: 1-line block ×3, first 2 shown]
	v_min3_f16 v10, v17, v10, v18
	v_min3_f16 v10, v16, v11, v10
	v_cvt_f32_f16_e32 v10, v10
	v_max_f32_e32 v9, v9, v9
	s_and_b64 vcc, exec, s[0:1]
	v_min_f32_e32 v9, v9, v10
	v_cvt_f16_f32_e32 v9, v9
	v_lshl_add_u64 v[10:11], v[34:35], 1, v[14:15]
	flat_store_short v[10:11], v9
	s_cbranch_vccnz .LBB221_169
; %bb.168:
	v_lshl_add_u64 v[8:9], v[36:37], 1, v[12:13]
	flat_load_ushort v8, v[8:9]
	s_waitcnt vmcnt(0) lgkmcnt(0)
	v_mul_f16_e32 v8, s28, v8
	v_cvt_f32_f16_e32 v8, v8
.LBB221_169:
	v_pk_add_f16 v4, v4, v26
	v_max_f16_e32 v9, v57, v57
	v_pk_add_f16 v5, v5, v27
	v_min_f16_e32 v9, v9, v4
	v_lshrrev_b32_e32 v10, 16, v57
	v_lshrrev_b32_e32 v4, 16, v4
	;; [unrolled: 1-line block ×3, first 2 shown]
	v_min3_f16 v4, v10, v4, v11
	v_min3_f16 v4, v9, v5, v4
	v_cvt_f32_f16_e32 v4, v4
	v_max_f32_e32 v5, v8, v8
	s_and_b64 vcc, exec, s[0:1]
	v_min_f32_e32 v4, v5, v4
	v_cvt_f16_f32_e32 v8, v4
	v_lshl_add_u64 v[4:5], v[36:37], 1, v[14:15]
	flat_store_short v[4:5], v8
	v_mov_b32_e32 v4, 0
	v_mov_b32_e32 v5, 0
	s_cbranch_vccnz .LBB221_171
; %bb.170:
	v_lshl_add_u64 v[8:9], v[40:41], 1, v[12:13]
	flat_load_ushort v5, v[8:9]
	s_waitcnt vmcnt(0) lgkmcnt(0)
	v_mul_f16_e32 v5, s28, v5
	v_cvt_f32_f16_e32 v5, v5
.LBB221_171:
	v_pk_add_f16 v6, v6, v26
	v_max_f16_e32 v8, v56, v56
	v_pk_add_f16 v7, v7, v27
	v_min_f16_e32 v8, v8, v6
	v_lshrrev_b32_e32 v9, 16, v56
	v_lshrrev_b32_e32 v6, 16, v6
	;; [unrolled: 1-line block ×3, first 2 shown]
	v_min3_f16 v6, v9, v6, v10
	v_min3_f16 v6, v8, v7, v6
	v_cvt_f32_f16_e32 v6, v6
	v_max_f32_e32 v5, v5, v5
	s_and_b64 vcc, exec, s[0:1]
	v_min_f32_e32 v5, v5, v6
	v_cvt_f16_f32_e32 v5, v5
	v_lshl_add_u64 v[6:7], v[40:41], 1, v[14:15]
	flat_store_short v[6:7], v5
	s_cbranch_vccnz .LBB221_173
; %bb.172:
	v_lshl_add_u64 v[4:5], v[38:39], 1, v[12:13]
	flat_load_ushort v4, v[4:5]
	s_waitcnt vmcnt(0) lgkmcnt(0)
	v_mul_f16_e32 v4, s28, v4
	v_cvt_f32_f16_e32 v4, v4
.LBB221_173:
	v_pk_add_f16 v0, v0, v26
	v_max_f16_e32 v5, v54, v54
	v_pk_add_f16 v1, v1, v27
	v_min_f16_e32 v5, v5, v0
	v_lshrrev_b32_e32 v6, 16, v54
	v_lshrrev_b32_e32 v0, 16, v0
	;; [unrolled: 1-line block ×3, first 2 shown]
	v_min3_f16 v0, v6, v0, v7
	v_min3_f16 v0, v5, v1, v0
	v_cvt_f32_f16_e32 v0, v0
	v_max_f32_e32 v4, v4, v4
	v_pk_add_f16 v1, v2, v26
	v_max_f16_e32 v2, v55, v55
	v_min_f32_e32 v0, v4, v0
	v_cvt_f16_f32_e32 v4, v0
	v_pk_add_f16 v3, v3, v27
	v_min_f16_e32 v2, v2, v1
	v_lshrrev_b32_e32 v5, 16, v55
	v_lshrrev_b32_e32 v1, 16, v1
	;; [unrolled: 1-line block ×3, first 2 shown]
	v_min3_f16 v5, v5, v1, v0
	v_lshl_add_u64 v[0:1], v[38:39], 1, v[14:15]
	flat_store_short v[0:1], v4
	v_min3_f16 v0, v2, v3, v5
	s_mov_b64 s[0:1], -1
	s_mov_b64 vcc, s[8:9]
	s_cbranch_vccz .LBB221_175
; %bb.174:
	v_cvt_f32_f16_e32 v1, v0
	v_lshl_add_u64 v[2:3], v[42:43], 1, v[14:15]
	s_mov_b64 s[0:1], 0
	v_min_f32_e32 v1, 0, v1
	v_cvt_f16_f32_e32 v1, v1
	flat_store_short v[2:3], v1
.LBB221_175:
	s_andn2_b64 vcc, exec, s[0:1]
	v_mov_b32_e32 v1, 0
	s_cbranch_vccnz .LBB221_177
; %bb.176:
	v_lshlrev_b64 v[2:3], 1, v[42:43]
	v_lshl_add_u64 v[4:5], v[12:13], 0, v[2:3]
	flat_load_ushort v4, v[4:5]
	v_max_f16_e32 v5, v0, v0
	v_lshl_add_u64 v[0:1], v[14:15], 0, v[2:3]
	s_waitcnt vmcnt(0) lgkmcnt(0)
	v_mul_f16_e32 v2, s28, v4
	v_min_f16_e32 v2, v2, v5
	flat_store_short v[0:1], v2
	v_lshl_add_u64 v[0:1], v[44:45], 1, v[12:13]
	flat_load_ushort v0, v[0:1]
	s_waitcnt vmcnt(0) lgkmcnt(0)
	v_mul_f16_e32 v0, s28, v0
	v_cvt_f32_f16_e32 v1, v0
.LBB221_177:
	v_pk_add_f16 v0, v24, v26
	v_max_f16_e32 v2, v59, v59
	v_pk_add_f16 v3, v25, v27
	v_min_f16_e32 v2, v2, v0
	v_lshrrev_b32_e32 v4, 16, v59
	v_lshrrev_b32_e32 v0, 16, v0
	;; [unrolled: 1-line block ×3, first 2 shown]
	v_min3_f16 v0, v4, v0, v5
	v_min3_f16 v0, v2, v3, v0
	v_cvt_f32_f16_e32 v0, v0
	v_max_f32_e32 v1, v1, v1
	v_min_f32_e32 v0, v1, v0
	v_cvt_f16_f32_e32 v2, v0
	v_lshl_add_u64 v[0:1], v[44:45], 1, v[14:15]
	flat_store_short v[0:1], v2
	s_endpgm
	.section	.rodata,"a",@progbits
	.p2align	6, 0x0
	.amdhsa_kernel _ZN12_GLOBAL__N_120geam_min_plus_kernelIDF16_Dv2_DF16_S1_Li8ELi32ELi64ELi256ELi4ELi64ELi4ELi64ELi4ELc78ELc84ELb0ELb0ELb1EDF16_KPKDF16_KPDF16_EEviiiT16_PT17_ilS9_ilS7_S9_ilPT18_ili26rocblas_geam_ex_operation_
		.amdhsa_group_segment_fixed_size 5120
		.amdhsa_private_segment_fixed_size 0
		.amdhsa_kernarg_size 128
		.amdhsa_user_sgpr_count 2
		.amdhsa_user_sgpr_dispatch_ptr 0
		.amdhsa_user_sgpr_queue_ptr 0
		.amdhsa_user_sgpr_kernarg_segment_ptr 1
		.amdhsa_user_sgpr_dispatch_id 0
		.amdhsa_user_sgpr_kernarg_preload_length 0
		.amdhsa_user_sgpr_kernarg_preload_offset 0
		.amdhsa_user_sgpr_private_segment_size 0
		.amdhsa_uses_dynamic_stack 0
		.amdhsa_enable_private_segment 0
		.amdhsa_system_sgpr_workgroup_id_x 1
		.amdhsa_system_sgpr_workgroup_id_y 0
		.amdhsa_system_sgpr_workgroup_id_z 1
		.amdhsa_system_sgpr_workgroup_info 0
		.amdhsa_system_vgpr_workitem_id 1
		.amdhsa_next_free_vgpr 176
		.amdhsa_next_free_sgpr 30
		.amdhsa_accum_offset 176
		.amdhsa_reserve_vcc 1
		.amdhsa_float_round_mode_32 0
		.amdhsa_float_round_mode_16_64 0
		.amdhsa_float_denorm_mode_32 3
		.amdhsa_float_denorm_mode_16_64 3
		.amdhsa_dx10_clamp 1
		.amdhsa_ieee_mode 1
		.amdhsa_fp16_overflow 0
		.amdhsa_tg_split 0
		.amdhsa_exception_fp_ieee_invalid_op 0
		.amdhsa_exception_fp_denorm_src 0
		.amdhsa_exception_fp_ieee_div_zero 0
		.amdhsa_exception_fp_ieee_overflow 0
		.amdhsa_exception_fp_ieee_underflow 0
		.amdhsa_exception_fp_ieee_inexact 0
		.amdhsa_exception_int_div_zero 0
	.end_amdhsa_kernel
	.section	.text._ZN12_GLOBAL__N_120geam_min_plus_kernelIDF16_Dv2_DF16_S1_Li8ELi32ELi64ELi256ELi4ELi64ELi4ELi64ELi4ELc78ELc84ELb0ELb0ELb1EDF16_KPKDF16_KPDF16_EEviiiT16_PT17_ilS9_ilS7_S9_ilPT18_ili26rocblas_geam_ex_operation_,"axG",@progbits,_ZN12_GLOBAL__N_120geam_min_plus_kernelIDF16_Dv2_DF16_S1_Li8ELi32ELi64ELi256ELi4ELi64ELi4ELi64ELi4ELc78ELc84ELb0ELb0ELb1EDF16_KPKDF16_KPDF16_EEviiiT16_PT17_ilS9_ilS7_S9_ilPT18_ili26rocblas_geam_ex_operation_,comdat
.Lfunc_end221:
	.size	_ZN12_GLOBAL__N_120geam_min_plus_kernelIDF16_Dv2_DF16_S1_Li8ELi32ELi64ELi256ELi4ELi64ELi4ELi64ELi4ELc78ELc84ELb0ELb0ELb1EDF16_KPKDF16_KPDF16_EEviiiT16_PT17_ilS9_ilS7_S9_ilPT18_ili26rocblas_geam_ex_operation_, .Lfunc_end221-_ZN12_GLOBAL__N_120geam_min_plus_kernelIDF16_Dv2_DF16_S1_Li8ELi32ELi64ELi256ELi4ELi64ELi4ELi64ELi4ELc78ELc84ELb0ELb0ELb1EDF16_KPKDF16_KPDF16_EEviiiT16_PT17_ilS9_ilS7_S9_ilPT18_ili26rocblas_geam_ex_operation_
                                        ; -- End function
	.set _ZN12_GLOBAL__N_120geam_min_plus_kernelIDF16_Dv2_DF16_S1_Li8ELi32ELi64ELi256ELi4ELi64ELi4ELi64ELi4ELc78ELc84ELb0ELb0ELb1EDF16_KPKDF16_KPDF16_EEviiiT16_PT17_ilS9_ilS7_S9_ilPT18_ili26rocblas_geam_ex_operation_.num_vgpr, 176
	.set _ZN12_GLOBAL__N_120geam_min_plus_kernelIDF16_Dv2_DF16_S1_Li8ELi32ELi64ELi256ELi4ELi64ELi4ELi64ELi4ELc78ELc84ELb0ELb0ELb1EDF16_KPKDF16_KPDF16_EEviiiT16_PT17_ilS9_ilS7_S9_ilPT18_ili26rocblas_geam_ex_operation_.num_agpr, 0
	.set _ZN12_GLOBAL__N_120geam_min_plus_kernelIDF16_Dv2_DF16_S1_Li8ELi32ELi64ELi256ELi4ELi64ELi4ELi64ELi4ELc78ELc84ELb0ELb0ELb1EDF16_KPKDF16_KPDF16_EEviiiT16_PT17_ilS9_ilS7_S9_ilPT18_ili26rocblas_geam_ex_operation_.numbered_sgpr, 30
	.set _ZN12_GLOBAL__N_120geam_min_plus_kernelIDF16_Dv2_DF16_S1_Li8ELi32ELi64ELi256ELi4ELi64ELi4ELi64ELi4ELc78ELc84ELb0ELb0ELb1EDF16_KPKDF16_KPDF16_EEviiiT16_PT17_ilS9_ilS7_S9_ilPT18_ili26rocblas_geam_ex_operation_.num_named_barrier, 0
	.set _ZN12_GLOBAL__N_120geam_min_plus_kernelIDF16_Dv2_DF16_S1_Li8ELi32ELi64ELi256ELi4ELi64ELi4ELi64ELi4ELc78ELc84ELb0ELb0ELb1EDF16_KPKDF16_KPDF16_EEviiiT16_PT17_ilS9_ilS7_S9_ilPT18_ili26rocblas_geam_ex_operation_.private_seg_size, 0
	.set _ZN12_GLOBAL__N_120geam_min_plus_kernelIDF16_Dv2_DF16_S1_Li8ELi32ELi64ELi256ELi4ELi64ELi4ELi64ELi4ELc78ELc84ELb0ELb0ELb1EDF16_KPKDF16_KPDF16_EEviiiT16_PT17_ilS9_ilS7_S9_ilPT18_ili26rocblas_geam_ex_operation_.uses_vcc, 1
	.set _ZN12_GLOBAL__N_120geam_min_plus_kernelIDF16_Dv2_DF16_S1_Li8ELi32ELi64ELi256ELi4ELi64ELi4ELi64ELi4ELc78ELc84ELb0ELb0ELb1EDF16_KPKDF16_KPDF16_EEviiiT16_PT17_ilS9_ilS7_S9_ilPT18_ili26rocblas_geam_ex_operation_.uses_flat_scratch, 0
	.set _ZN12_GLOBAL__N_120geam_min_plus_kernelIDF16_Dv2_DF16_S1_Li8ELi32ELi64ELi256ELi4ELi64ELi4ELi64ELi4ELc78ELc84ELb0ELb0ELb1EDF16_KPKDF16_KPDF16_EEviiiT16_PT17_ilS9_ilS7_S9_ilPT18_ili26rocblas_geam_ex_operation_.has_dyn_sized_stack, 0
	.set _ZN12_GLOBAL__N_120geam_min_plus_kernelIDF16_Dv2_DF16_S1_Li8ELi32ELi64ELi256ELi4ELi64ELi4ELi64ELi4ELc78ELc84ELb0ELb0ELb1EDF16_KPKDF16_KPDF16_EEviiiT16_PT17_ilS9_ilS7_S9_ilPT18_ili26rocblas_geam_ex_operation_.has_recursion, 0
	.set _ZN12_GLOBAL__N_120geam_min_plus_kernelIDF16_Dv2_DF16_S1_Li8ELi32ELi64ELi256ELi4ELi64ELi4ELi64ELi4ELc78ELc84ELb0ELb0ELb1EDF16_KPKDF16_KPDF16_EEviiiT16_PT17_ilS9_ilS7_S9_ilPT18_ili26rocblas_geam_ex_operation_.has_indirect_call, 0
	.section	.AMDGPU.csdata,"",@progbits
; Kernel info:
; codeLenInByte = 18376
; TotalNumSgprs: 36
; NumVgprs: 176
; NumAgprs: 0
; TotalNumVgprs: 176
; ScratchSize: 0
; MemoryBound: 0
; FloatMode: 240
; IeeeMode: 1
; LDSByteSize: 5120 bytes/workgroup (compile time only)
; SGPRBlocks: 4
; VGPRBlocks: 21
; NumSGPRsForWavesPerEU: 36
; NumVGPRsForWavesPerEU: 176
; AccumOffset: 176
; Occupancy: 2
; WaveLimiterHint : 1
; COMPUTE_PGM_RSRC2:SCRATCH_EN: 0
; COMPUTE_PGM_RSRC2:USER_SGPR: 2
; COMPUTE_PGM_RSRC2:TRAP_HANDLER: 0
; COMPUTE_PGM_RSRC2:TGID_X_EN: 1
; COMPUTE_PGM_RSRC2:TGID_Y_EN: 0
; COMPUTE_PGM_RSRC2:TGID_Z_EN: 1
; COMPUTE_PGM_RSRC2:TIDIG_COMP_CNT: 1
; COMPUTE_PGM_RSRC3_GFX90A:ACCUM_OFFSET: 43
; COMPUTE_PGM_RSRC3_GFX90A:TG_SPLIT: 0
	.section	.text._ZN12_GLOBAL__N_120geam_min_plus_kernelIDF16_Dv2_DF16_S1_Li8ELi32ELi64ELi256ELi4ELi64ELi4ELi64ELi4ELc78ELc84ELb0ELb1ELb1EPKDF16_KS3_KPDF16_EEviiiT16_PT17_ilS9_ilS7_S9_ilPT18_ili26rocblas_geam_ex_operation_,"axG",@progbits,_ZN12_GLOBAL__N_120geam_min_plus_kernelIDF16_Dv2_DF16_S1_Li8ELi32ELi64ELi256ELi4ELi64ELi4ELi64ELi4ELc78ELc84ELb0ELb1ELb1EPKDF16_KS3_KPDF16_EEviiiT16_PT17_ilS9_ilS7_S9_ilPT18_ili26rocblas_geam_ex_operation_,comdat
	.globl	_ZN12_GLOBAL__N_120geam_min_plus_kernelIDF16_Dv2_DF16_S1_Li8ELi32ELi64ELi256ELi4ELi64ELi4ELi64ELi4ELc78ELc84ELb0ELb1ELb1EPKDF16_KS3_KPDF16_EEviiiT16_PT17_ilS9_ilS7_S9_ilPT18_ili26rocblas_geam_ex_operation_ ; -- Begin function _ZN12_GLOBAL__N_120geam_min_plus_kernelIDF16_Dv2_DF16_S1_Li8ELi32ELi64ELi256ELi4ELi64ELi4ELi64ELi4ELc78ELc84ELb0ELb1ELb1EPKDF16_KS3_KPDF16_EEviiiT16_PT17_ilS9_ilS7_S9_ilPT18_ili26rocblas_geam_ex_operation_
	.p2align	8
	.type	_ZN12_GLOBAL__N_120geam_min_plus_kernelIDF16_Dv2_DF16_S1_Li8ELi32ELi64ELi256ELi4ELi64ELi4ELi64ELi4ELc78ELc84ELb0ELb1ELb1EPKDF16_KS3_KPDF16_EEviiiT16_PT17_ilS9_ilS7_S9_ilPT18_ili26rocblas_geam_ex_operation_,@function
_ZN12_GLOBAL__N_120geam_min_plus_kernelIDF16_Dv2_DF16_S1_Li8ELi32ELi64ELi256ELi4ELi64ELi4ELi64ELi4ELc78ELc84ELb0ELb1ELb1EPKDF16_KS3_KPDF16_EEviiiT16_PT17_ilS9_ilS7_S9_ilPT18_ili26rocblas_geam_ex_operation_: ; @_ZN12_GLOBAL__N_120geam_min_plus_kernelIDF16_Dv2_DF16_S1_Li8ELi32ELi64ELi256ELi4ELi64ELi4ELi64ELi4ELc78ELc84ELb0ELb1ELb1EPKDF16_KS3_KPDF16_EEviiiT16_PT17_ilS9_ilS7_S9_ilPT18_ili26rocblas_geam_ex_operation_
; %bb.0:
	s_load_dwordx4 s[4:7], s[0:1], 0x10
	s_load_dwordx4 s[12:15], s[0:1], 0x28
	s_load_dwordx4 s[8:11], s[0:1], 0x40
	s_mov_b32 s16, s3
	s_mov_b32 s17, 0
	s_lshl_b64 s[18:19], s[16:17], 1
	s_waitcnt lgkmcnt(0)
	s_add_u32 s4, s4, s18
	s_addc_u32 s5, s5, s19
	v_mov_b32_e32 v1, 0
	global_load_ushort v50, v1, s[4:5]
	s_add_u32 s4, s10, s18
	s_addc_u32 s5, s11, s19
	global_load_ushort v52, v1, s[4:5]
	s_load_dwordx2 s[22:23], s[0:1], 0x50
	s_mov_b64 s[18:19], 0
	s_mov_b64 s[30:31], 0
	s_waitcnt vmcnt(1)
	v_cmp_eq_f16_e32 vcc, 0, v50
	v_cmp_neq_f16_e64 s[4:5], 0, v50
	s_cbranch_vccnz .LBB222_2
; %bb.1:
	s_lshl_b64 s[10:11], s[16:17], 3
	s_add_u32 s6, s6, s10
	s_addc_u32 s7, s7, s11
	s_load_dwordx2 s[6:7], s[6:7], 0x0
	s_lshl_b64 s[10:11], s[12:13], 1
	s_waitcnt lgkmcnt(0)
	s_add_u32 s30, s6, s10
	s_addc_u32 s31, s7, s11
.LBB222_2:
	s_andn2_b64 vcc, exec, s[4:5]
	s_cbranch_vccnz .LBB222_4
; %bb.3:
	s_lshl_b64 s[4:5], s[16:17], 3
	s_add_u32 s4, s14, s4
	s_addc_u32 s5, s15, s5
	s_load_dwordx2 s[4:5], s[4:5], 0x0
	s_lshl_b64 s[6:7], s[8:9], 1
	s_waitcnt lgkmcnt(0)
	s_add_u32 s18, s4, s6
	s_addc_u32 s19, s5, s7
.LBB222_4:
	s_load_dwordx4 s[4:7], s[0:1], 0x60
	s_waitcnt vmcnt(0)
	v_cmp_eq_f16_e32 vcc, 0, v52
	v_cmp_neq_f16_e64 s[20:21], 0, v52
	s_cbranch_vccnz .LBB222_6
; %bb.5:
	s_lshl_b64 s[8:9], s[16:17], 3
	s_waitcnt lgkmcnt(0)
	s_add_u32 s8, s22, s8
	s_addc_u32 s9, s23, s9
	s_load_dwordx2 s[8:9], s[8:9], 0x0
	s_lshl_b64 s[4:5], s[4:5], 1
	s_waitcnt lgkmcnt(0)
	s_add_u32 s22, s8, s4
	s_addc_u32 s23, s9, s5
	s_branch .LBB222_7
.LBB222_6:
	s_waitcnt lgkmcnt(0)
	s_mov_b64 s[22:23], 0
.LBB222_7:
	s_load_dword s34, s[0:1], 0x20
	s_load_dwordx4 s[24:27], s[0:1], 0x0
	s_lshl_b64 s[4:5], s[16:17], 3
	v_and_b32_e32 v48, 0x3ff, v0
	v_bfe_u32 v49, v0, 10, 10
	s_waitcnt lgkmcnt(0)
	s_ashr_i32 s35, s34, 31
	s_add_u32 s28, s6, s4
	s_addc_u32 s29, s7, s5
	s_add_i32 s3, s24, -1
	s_ashr_i32 s4, s3, 31
	s_lshr_b32 s4, s4, 26
	s_add_i32 s3, s3, s4
	s_ashr_i32 s3, s3, 6
	s_add_i32 s4, s3, 1
	v_cvt_f32_u32_e32 v1, s4
	s_not_b32 s3, s3
	v_cmp_eq_f16_e32 vcc, 0, v50
                                        ; implicit-def: $vgpr3
                                        ; implicit-def: $sgpr9
	v_rcp_iflag_f32_e32 v0, v1
	v_lshl_add_u32 v1, v49, 3, v48
	v_and_b32_e32 v2, 63, v1
	v_lshrrev_b32_e32 v51, 6, v1
	v_mul_f32_e32 v0, 0x4f7ffffe, v0
	v_cvt_u32_f32_e32 v0, v0
	v_cmp_le_i32_e64 s[14:15], s26, v51
	v_readfirstlane_b32 s5, v0
	s_mul_i32 s3, s3, s5
	s_mul_hi_u32 s3, s5, s3
	s_add_i32 s5, s5, s3
	s_mul_hi_u32 s3, s2, s5
	s_mul_i32 s5, s3, s4
	s_sub_i32 s5, s2, s5
	s_add_i32 s6, s3, 1
	s_sub_i32 s7, s5, s4
	s_cmp_ge_u32 s5, s4
	s_cselect_b32 s3, s6, s3
	s_cselect_b32 s5, s7, s5
	s_add_i32 s6, s3, 1
	s_cmp_ge_u32 s5, s4
	s_cselect_b32 s8, s6, s3
	s_mul_i32 s3, s8, s4
	s_sub_i32 s2, s2, s3
	s_lshl_b32 s33, s2, 6
	v_or_b32_e32 v28, s33, v2
	v_cmp_le_i32_e64 s[4:5], s24, v28
	s_or_b64 s[6:7], s[4:5], s[14:15]
	s_nor_b64 s[2:3], vcc, s[6:7]
	v_ashrrev_i32_e32 v29, 31, v28
	s_and_saveexec_b64 s[10:11], s[2:3]
	s_xor_b64 s[2:3], exec, s[10:11]
	s_cbranch_execz .LBB222_9
; %bb.8:
	s_add_i32 s9, s26, -1
	v_min_u32_e32 v0, s9, v51
	v_mad_i64_i32 v[0:1], s[10:11], s34, v0, 0
	v_lshl_add_u64 v[0:1], v[0:1], 1, s[30:31]
	v_lshl_add_u64 v[0:1], v[28:29], 1, v[0:1]
	flat_load_ushort v0, v[0:1]
	s_waitcnt vmcnt(0) lgkmcnt(0)
	v_mul_f16_e32 v3, v50, v0
.LBB222_9:
	s_or_saveexec_b64 s[2:3], s[2:3]
	v_mov_b32_e32 v0, s9
	s_xor_b64 exec, exec, s[2:3]
; %bb.10:
	v_mov_b32_e32 v0, 0x7c00
	v_cndmask_b32_e64 v3, 0, v0, s[6:7]
	s_add_i32 s6, s26, -1
	v_mov_b32_e32 v0, s6
; %bb.11:
	s_or_b64 exec, exec, s[2:3]
	s_load_dword s27, s[0:1], 0x38
	s_lshl_b32 s36, s8, 8
	v_min_i32_e32 v0, v51, v0
	v_or_b32_e32 v32, s36, v2
	v_cmp_le_i32_e64 s[6:7], s25, v32
	s_waitcnt lgkmcnt(0)
	v_mad_i64_i32 v[0:1], s[2:3], v0, s27, 0
	v_mov_b32_e32 v5, 0x7c00
	s_or_b64 s[2:3], s[6:7], s[14:15]
	v_lshl_add_u64 v[0:1], v[0:1], 1, s[18:19]
	v_cndmask_b32_e64 v4, 0, v5, s[2:3]
	s_nor_b64 s[8:9], vcc, s[2:3]
	v_ashrrev_i32_e32 v33, 31, v32
	s_and_saveexec_b64 s[2:3], s[8:9]
	s_cbranch_execz .LBB222_13
; %bb.12:
	v_lshl_add_u64 v[6:7], v[32:33], 1, v[0:1]
	flat_load_ushort v4, v[6:7]
	s_waitcnt vmcnt(0) lgkmcnt(0)
	v_mul_f16_e32 v4, v50, v4
.LBB222_13:
	s_or_b64 exec, exec, s[2:3]
	v_or_b32_e32 v6, 64, v32
	s_add_i32 s16, s25, -1
	v_cmp_le_i32_e64 s[8:9], s25, v6
	v_min_i32_e32 v34, s16, v6
	s_or_b64 s[2:3], s[8:9], s[14:15]
	v_cndmask_b32_e64 v5, 0, v5, s[2:3]
	s_nor_b64 s[10:11], s[2:3], vcc
	v_ashrrev_i32_e32 v35, 31, v34
	s_and_saveexec_b64 s[2:3], s[10:11]
	s_cbranch_execz .LBB222_15
; %bb.14:
	v_lshl_add_u64 v[6:7], v[34:35], 1, v[0:1]
	flat_load_ushort v5, v[6:7]
	s_waitcnt vmcnt(0) lgkmcnt(0)
	v_mul_f16_e32 v5, v50, v5
.LBB222_15:
	s_or_b64 exec, exec, s[2:3]
	v_or_b32_e32 v6, 0x80, v32
	v_cmp_le_i32_e64 s[10:11], s25, v6
	v_min_i32_e32 v36, s16, v6
	v_mov_b32_e32 v7, 0x7c00
	s_or_b64 s[2:3], s[10:11], s[14:15]
	v_cndmask_b32_e64 v6, 0, v7, s[2:3]
	s_nor_b64 s[12:13], s[2:3], vcc
	v_ashrrev_i32_e32 v37, 31, v36
	s_and_saveexec_b64 s[2:3], s[12:13]
	s_cbranch_execz .LBB222_17
; %bb.16:
	v_lshl_add_u64 v[8:9], v[36:37], 1, v[0:1]
	flat_load_ushort v6, v[8:9]
	s_waitcnt vmcnt(0) lgkmcnt(0)
	v_mul_f16_e32 v6, v50, v6
.LBB222_17:
	s_or_b64 exec, exec, s[2:3]
	v_or_b32_e32 v8, 0xc0, v32
	v_cmp_le_i32_e64 s[12:13], s25, v8
	v_min_i32_e32 v38, s16, v8
	s_or_b64 s[2:3], s[12:13], s[14:15]
	v_cndmask_b32_e64 v7, 0, v7, s[2:3]
	s_nor_b64 s[14:15], s[2:3], vcc
	v_ashrrev_i32_e32 v39, 31, v38
	s_and_saveexec_b64 s[2:3], s[14:15]
	s_cbranch_execz .LBB222_19
; %bb.18:
	v_lshl_add_u64 v[0:1], v[38:39], 1, v[0:1]
	flat_load_ushort v0, v[0:1]
	s_waitcnt vmcnt(0) lgkmcnt(0)
	v_mul_f16_e32 v7, v50, v0
.LBB222_19:
	s_or_b64 exec, exec, s[2:3]
	v_add_u32_e32 v0, 4, v51
	v_cmp_le_i32_e64 s[14:15], s26, v0
	s_or_b64 s[16:17], s[4:5], s[14:15]
	s_nor_b64 s[2:3], vcc, s[16:17]
                                        ; implicit-def: $vgpr30
                                        ; implicit-def: $sgpr37
	s_and_saveexec_b64 s[38:39], s[2:3]
	s_xor_b64 s[2:3], exec, s[38:39]
	s_cbranch_execz .LBB222_21
; %bb.20:
	s_add_i32 s37, s26, -1
	v_min_u32_e32 v1, s37, v0
	v_mad_u64_u32 v[8:9], s[38:39], s34, v1, 0
	v_mov_b32_e32 v10, v9
	v_mad_u64_u32 v[10:11], s[38:39], s35, v1, v[10:11]
	v_mov_b32_e32 v9, v10
	v_lshl_add_u64 v[8:9], v[8:9], 1, s[30:31]
	v_lshl_add_u64 v[8:9], v[28:29], 1, v[8:9]
	flat_load_ushort v1, v[8:9]
	s_waitcnt vmcnt(0) lgkmcnt(0)
	v_mul_f16_e32 v30, v50, v1
.LBB222_21:
	s_or_saveexec_b64 s[2:3], s[2:3]
	v_mov_b32_e32 v1, s37
	s_xor_b64 exec, exec, s[2:3]
; %bb.22:
	v_mov_b32_e32 v1, 0x7c00
	v_cndmask_b32_e64 v30, 0, v1, s[16:17]
	s_add_i32 s16, s26, -1
	v_mov_b32_e32 v1, s16
; %bb.23:
	s_or_b64 exec, exec, s[2:3]
	v_min_i32_e32 v0, v0, v1
	v_mad_i64_i32 v[0:1], s[2:3], v0, s27, 0
	v_mov_b32_e32 v8, 0x7c00
	s_or_b64 s[2:3], s[6:7], s[14:15]
	v_lshl_add_u64 v[0:1], v[0:1], 1, s[18:19]
	v_cndmask_b32_e64 v31, 0, v8, s[2:3]
	s_nor_b64 s[16:17], vcc, s[2:3]
	s_and_saveexec_b64 s[2:3], s[16:17]
	s_cbranch_execz .LBB222_25
; %bb.24:
	v_lshl_add_u64 v[10:11], v[32:33], 1, v[0:1]
	flat_load_ushort v9, v[10:11]
	s_waitcnt vmcnt(0) lgkmcnt(0)
	v_mul_f16_e32 v31, v50, v9
.LBB222_25:
	s_or_b64 exec, exec, s[2:3]
	s_or_b64 s[2:3], s[8:9], s[14:15]
	v_cndmask_b32_e64 v40, 0, v8, s[2:3]
	s_nor_b64 s[16:17], s[2:3], vcc
	s_and_saveexec_b64 s[2:3], s[16:17]
	s_cbranch_execz .LBB222_27
; %bb.26:
	v_lshl_add_u64 v[8:9], v[34:35], 1, v[0:1]
	flat_load_ushort v8, v[8:9]
	s_waitcnt vmcnt(0) lgkmcnt(0)
	v_mul_f16_e32 v40, v50, v8
.LBB222_27:
	s_or_b64 exec, exec, s[2:3]
	v_mov_b32_e32 v8, 0x7c00
	s_or_b64 s[2:3], s[10:11], s[14:15]
	v_cndmask_b32_e64 v41, 0, v8, s[2:3]
	s_nor_b64 s[16:17], s[2:3], vcc
	s_and_saveexec_b64 s[2:3], s[16:17]
	s_cbranch_execz .LBB222_29
; %bb.28:
	v_lshl_add_u64 v[10:11], v[36:37], 1, v[0:1]
	flat_load_ushort v9, v[10:11]
	s_waitcnt vmcnt(0) lgkmcnt(0)
	v_mul_f16_e32 v41, v50, v9
.LBB222_29:
	s_or_b64 exec, exec, s[2:3]
	s_or_b64 s[2:3], s[12:13], s[14:15]
	v_cndmask_b32_e64 v42, 0, v8, s[2:3]
	s_nor_b64 s[16:17], s[2:3], vcc
	s_movk_i32 s14, 0x7c00
	s_and_saveexec_b64 s[2:3], s[16:17]
	s_cbranch_execz .LBB222_31
; %bb.30:
	v_lshl_add_u64 v[0:1], v[38:39], 1, v[0:1]
	flat_load_ushort v0, v[0:1]
	s_waitcnt vmcnt(0) lgkmcnt(0)
	v_mul_f16_e32 v42, v50, v0
.LBB222_31:
	s_or_b64 exec, exec, s[2:3]
	v_lshlrev_b32_e32 v0, 3, v2
	v_lshlrev_b32_e32 v104, 3, v48
	v_lshl_add_u32 v111, v51, 1, v0
	v_add_u32_e32 v112, 0x1000, v104
	s_load_dwordx2 s[28:29], s[28:29], 0x0
	ds_write_b16 v111, v3 offset:4096
	ds_write_b16 v111, v4
	ds_write_b16 v111, v5 offset:512
	ds_write_b16 v111, v6 offset:1024
	;; [unrolled: 1-line block ×3, first 2 shown]
	s_waitcnt lgkmcnt(0)
	s_barrier
	v_lshlrev_b32_e32 v93, 3, v49
	ds_read2_b64 v[16:19], v112 offset1:8
	ds_read2_b64 v[12:15], v112 offset0:16 offset1:24
	ds_read2_b64 v[4:7], v112 offset0:32 offset1:40
	ds_read2_b64 v[44:47], v93 offset1:32
	ds_read2_b64 v[0:3], v112 offset0:48 offset1:56
	ds_read2_b64 v[24:27], v93 offset0:64 offset1:96
	;; [unrolled: 1-line block ×4, first 2 shown]
	s_waitcnt lgkmcnt(4)
	v_pk_add_f16 v43, v16, v44
	v_pk_add_f16 v53, v18, v44
	;; [unrolled: 1-line block ×6, first 2 shown]
	s_waitcnt lgkmcnt(3)
	v_pk_add_f16 v58, v0, v44
	v_pk_add_f16 v44, v2, v44
	v_pk_add_f16 v59, v16, v46
	v_pk_add_f16 v60, v18, v46
	v_pk_add_f16 v61, v12, v46
	v_pk_add_f16 v62, v14, v46
	v_pk_add_f16 v63, v4, v46
	v_pk_add_f16 v64, v6, v46
	v_pk_add_f16 v65, v0, v46
	v_pk_add_f16 v46, v2, v46
	s_waitcnt lgkmcnt(2)
	v_pk_add_f16 v66, v16, v24
	v_pk_add_f16 v67, v18, v24
	v_pk_add_f16 v68, v12, v24
	v_pk_add_f16 v69, v14, v24
	v_pk_add_f16 v70, v4, v24
	v_pk_add_f16 v71, v6, v24
	v_pk_add_f16 v72, v0, v24
	v_pk_add_f16 v24, v2, v24
	v_pk_add_f16 v73, v16, v26
	v_pk_add_f16 v74, v18, v26
	v_pk_add_f16 v75, v12, v26
	v_pk_add_f16 v76, v14, v26
	v_pk_add_f16 v77, v4, v26
	v_pk_add_f16 v78, v6, v26
	v_pk_add_f16 v79, v0, v26
	v_pk_add_f16 v26, v2, v26
	s_waitcnt lgkmcnt(1)
	v_pk_add_f16 v80, v16, v20
	v_pk_add_f16 v81, v18, v20
	v_pk_add_f16 v82, v12, v20
	v_pk_add_f16 v121, v14, v20
	v_pk_add_f16 v122, v4, v20
	v_pk_add_f16 v123, v6, v20
	;; [unrolled: 17-line block ×3, first 2 shown]
	v_pk_add_f16 v138, v0, v8
	v_pk_add_f16 v8, v2, v8
	;; [unrolled: 1-line block ×11, first 2 shown]
	v_pk_min_f16 v10, v43, s14 op_sel_hi:[1,0]
	v_pk_min_f16 v8, v8, s14 op_sel_hi:[1,0]
	v_pk_min_f16 v120, v10, v2
	v_pk_add_f16 v2, v19, v45
	v_pk_min_f16 v10, v53, s14 op_sel_hi:[1,0]
	v_pk_min_f16 v4, v4, s14 op_sel_hi:[1,0]
	v_pk_min_f16 v119, v10, v2
	v_pk_add_f16 v2, v13, v45
	;; [unrolled: 4-line block ×3, first 2 shown]
	v_pk_min_f16 v10, v55, s14 op_sel_hi:[1,0]
	s_cmp_lt_i32 s26, 9
	v_pk_min_f16 v117, v10, v2
	v_pk_add_f16 v2, v5, v45
	v_pk_min_f16 v10, v56, s14 op_sel_hi:[1,0]
	ds_write_b16 v111, v30 offset:4608
	ds_write_b16 v111, v31 offset:2048
	;; [unrolled: 1-line block ×5, first 2 shown]
	v_pk_min_f16 v116, v10, v2
	v_pk_add_f16 v2, v7, v45
	v_pk_min_f16 v10, v57, s14 op_sel_hi:[1,0]
	s_waitcnt lgkmcnt(0)
	v_pk_min_f16 v115, v10, v2
	v_pk_add_f16 v2, v1, v45
	v_pk_min_f16 v10, v58, s14 op_sel_hi:[1,0]
	s_barrier
	v_pk_min_f16 v114, v10, v2
	v_pk_add_f16 v2, v3, v45
	v_pk_min_f16 v10, v44, s14 op_sel_hi:[1,0]
	s_nop 0
	v_pk_min_f16 v113, v10, v2
	v_pk_add_f16 v2, v17, v47
	v_pk_min_f16 v10, v59, s14 op_sel_hi:[1,0]
	s_nop 0
	;; [unrolled: 4-line block ×47, first 2 shown]
	v_pk_min_f16 v63, v10, v2
	v_pk_add_f16 v2, v1, v9
	v_pk_min_f16 v10, v138, s14 op_sel_hi:[1,0]
	v_pk_add_f16 v1, v1, v11
	v_pk_min_f16 v62, v10, v2
	v_pk_add_f16 v2, v3, v9
	s_nop 0
	v_pk_min_f16 v61, v8, v2
	v_pk_add_f16 v2, v17, v11
	v_pk_min_f16 v8, v16, s14 op_sel_hi:[1,0]
	s_nop 0
	v_pk_min_f16 v60, v8, v2
	v_pk_add_f16 v2, v19, v11
	v_pk_min_f16 v8, v18, s14 op_sel_hi:[1,0]
	;; [unrolled: 4-line block ×4, first 2 shown]
	s_nop 0
	v_pk_min_f16 v57, v8, v2
	v_pk_add_f16 v2, v5, v11
	s_nop 0
	v_pk_min_f16 v55, v4, v2
	v_pk_add_f16 v2, v7, v11
	v_pk_min_f16 v4, v6, s14 op_sel_hi:[1,0]
	s_nop 0
	v_pk_min_f16 v54, v4, v2
	v_pk_min_f16 v2, v139, s14 op_sel_hi:[1,0]
	s_nop 0
	v_pk_min_f16 v53, v2, v1
	v_pk_add_f16 v1, v3, v11
	s_nop 0
	v_pk_min_f16 v56, v0, v1
	s_cbranch_scc1 .LBB222_58
; %bb.32:
	v_mov_b32_e32 v0, 0x1200
	v_lshl_add_u32 v124, v48, 3, v0
	v_add_u32_e32 v0, v93, v48
	v_lshrrev_b32_e32 v2, 6, v0
	v_add_u32_e32 v0, 12, v2
	v_mad_i64_i32 v[0:1], s[2:3], v0, s34, 0
	v_lshlrev_b64 v[42:43], 1, v[0:1]
	v_add_u32_e32 v0, 8, v2
	v_mad_i64_i32 v[0:1], s[2:3], v0, s34, 0
	v_or_b32_e32 v121, 0x1000, v111
	v_add_u32_e32 v122, 0x1200, v111
	v_or_b32_e32 v123, 0x800, v111
	s_add_i32 s37, s26, -8
	v_lshl_add_u64 v[40:41], v[28:29], 1, s[30:31]
	v_add_u32_e32 v125, 0x800, v93
	s_add_i32 s38, s26, -1
	s_lshl_b64 s[30:31], s[34:35], 4
	v_lshlrev_b64 v[44:45], 1, v[0:1]
	s_mov_b32 s34, 0
	v_mov_b32_e32 v126, 0x7c00
	s_branch .LBB222_34
.LBB222_33:                             ;   in Loop: Header=BB222_34 Depth=1
	s_or_b64 exec, exec, s[2:3]
	v_pk_add_f16 v46, v12, v28
	v_pk_max_f16 v47, v120, v120
	v_pk_max_f16 v119, v119, v119
	v_pk_min_f16 v46, v47, v46
	v_pk_add_f16 v47, v14, v28
	v_pk_max_f16 v118, v118, v118
	v_pk_min_f16 v47, v119, v47
	v_pk_add_f16 v119, v8, v28
	v_pk_max_f16 v117, v117, v117
	v_pk_min_f16 v118, v118, v119
	v_pk_add_f16 v119, v10, v28
	v_pk_max_f16 v116, v116, v116
	v_pk_min_f16 v117, v117, v119
	v_pk_add_f16 v119, v4, v28
	v_pk_max_f16 v115, v115, v115
	v_pk_min_f16 v116, v116, v119
	v_pk_add_f16 v119, v6, v28
	v_pk_max_f16 v113, v113, v113
	v_pk_min_f16 v115, v115, v119
	v_pk_add_f16 v119, v0, v28
	v_pk_add_f16 v28, v2, v28
	v_pk_max_f16 v110, v110, v110
	v_pk_min_f16 v28, v113, v28
	v_pk_add_f16 v113, v12, v30
	v_pk_max_f16 v109, v109, v109
	v_pk_min_f16 v110, v110, v113
	v_pk_add_f16 v113, v14, v30
	v_pk_max_f16 v108, v108, v108
	v_pk_min_f16 v109, v109, v113
	v_pk_add_f16 v113, v8, v30
	v_pk_max_f16 v107, v107, v107
	v_pk_min_f16 v108, v108, v113
	v_pk_add_f16 v113, v10, v30
	v_pk_max_f16 v106, v106, v106
	v_pk_min_f16 v107, v107, v113
	v_pk_add_f16 v113, v4, v30
	v_pk_max_f16 v105, v105, v105
	v_pk_min_f16 v106, v106, v113
	v_pk_add_f16 v113, v6, v30
	v_pk_max_f16 v102, v102, v102
	v_pk_min_f16 v105, v105, v113
	v_pk_add_f16 v113, v0, v30
	v_pk_add_f16 v30, v2, v30
	v_pk_max_f16 v101, v101, v101
	v_pk_min_f16 v30, v102, v30
	v_pk_add_f16 v102, v12, v24
	;; [unrolled: 22-line block ×6, first 2 shown]
	v_pk_max_f16 v67, v67, v67
	v_pk_min_f16 v68, v68, v69
	v_pk_add_f16 v69, v14, v16
	v_pk_max_f16 v66, v66, v66
	v_pk_min_f16 v67, v67, v69
	v_pk_add_f16 v69, v8, v16
	;; [unrolled: 3-line block ×5, first 2 shown]
	v_pk_add_f16 v12, v12, v18
	v_pk_min_f16 v63, v63, v69
	v_pk_add_f16 v69, v0, v16
	v_pk_add_f16 v16, v2, v16
	;; [unrolled: 1-line block ×9, first 2 shown]
	v_pk_max_f16 v18, v56, v56
	v_pk_max_f16 v53, v53, v53
	v_pk_min_f16 v2, v18, v2
	v_pk_add_f16 v18, v13, v29
	v_pk_max_f16 v54, v54, v54
	v_pk_min_f16 v46, v46, v18
	v_pk_add_f16 v18, v15, v29
	v_pk_min_f16 v0, v53, v0
	v_pk_min_f16 v47, v47, v18
	v_pk_add_f16 v18, v9, v29
	v_pk_max_f16 v55, v55, v55
	v_pk_min_f16 v53, v118, v18
	v_pk_add_f16 v18, v11, v29
	v_pk_min_f16 v6, v54, v6
	v_pk_min_f16 v54, v117, v18
	v_pk_add_f16 v18, v5, v29
	v_pk_max_f16 v114, v114, v114
	v_pk_min_f16 v4, v55, v4
	v_pk_min_f16 v55, v116, v18
	v_pk_add_f16 v18, v7, v29
	v_pk_min_f16 v114, v114, v119
	v_pk_max_f16 v57, v57, v57
	v_pk_min_f16 v56, v115, v18
	v_pk_add_f16 v18, v1, v29
	v_pk_max_f16 v58, v58, v58
	v_pk_min_f16 v10, v57, v10
	v_pk_min_f16 v57, v114, v18
	v_pk_add_f16 v18, v3, v29
	v_pk_max_f16 v59, v59, v59
	v_pk_min_f16 v8, v58, v8
	;; [unrolled: 4-line block ×6, first 2 shown]
	v_pk_min_f16 v69, v107, v18
	v_pk_add_f16 v18, v5, v31
	v_pk_max_f16 v103, v103, v103
	v_pk_max_f16 v78, v78, v78
	v_pk_min_f16 v70, v70, v77
	v_pk_min_f16 v77, v106, v18
	v_pk_add_f16 v18, v7, v31
	v_pk_min_f16 v103, v103, v113
	v_pk_max_f16 v86, v86, v86
	v_pk_min_f16 v78, v78, v85
	v_pk_min_f16 v85, v105, v18
	v_pk_add_f16 v18, v1, v31
	v_pk_max_f16 v95, v95, v95
	v_pk_min_f16 v86, v86, v94
	v_pk_min_f16 v94, v103, v18
	v_pk_add_f16 v18, v3, v31
	v_pk_min_f16 v95, v95, v102
	v_pk_min_f16 v102, v30, v18
	v_pk_add_f16 v18, v13, v25
	v_pk_max_f16 v46, v46, v46
	v_pk_min_f16 v101, v101, v18
	v_pk_add_f16 v18, v15, v25
	v_pk_max_f16 v47, v47, v47
	;; [unrolled: 3-line block ×6, first 2 shown]
	v_pk_min_f16 v96, v96, v18
	v_pk_add_f16 v18, v1, v25
	s_add_i32 s34, s34, 8
	v_pk_min_f16 v95, v95, v18
	v_pk_add_f16 v18, v3, v25
	s_cmp_ge_i32 s34, s37
	v_pk_min_f16 v132, v24, v18
	v_pk_add_f16 v18, v13, v27
	v_lshl_add_u64 v[40:41], v[40:41], 0, s[30:31]
	v_pk_min_f16 v92, v92, v18
	v_pk_add_f16 v18, v15, v27
	s_nop 0
	v_pk_min_f16 v91, v91, v18
	v_pk_add_f16 v18, v9, v27
	s_nop 0
	;; [unrolled: 3-line block ×23, first 2 shown]
	v_pk_min_f16 v135, v22, v18
	v_pk_add_f16 v18, v13, v17
	v_pk_add_f16 v13, v13, v19
	v_pk_min_f16 v68, v68, v18
	v_pk_add_f16 v18, v15, v17
	v_pk_min_f16 v137, v12, v13
	v_pk_min_f16 v67, v67, v18
	v_pk_add_f16 v18, v9, v17
	v_pk_add_f16 v9, v9, v19
	v_pk_min_f16 v66, v66, v18
	v_pk_add_f16 v18, v11, v17
	v_pk_add_f16 v12, v15, v19
	v_pk_min_f16 v65, v65, v18
	v_pk_add_f16 v18, v5, v17
	v_pk_add_f16 v5, v5, v19
	v_pk_min_f16 v64, v64, v18
	v_pk_add_f16 v18, v7, v17
	v_pk_min_f16 v139, v8, v9
	v_pk_min_f16 v63, v63, v18
	v_pk_add_f16 v18, v1, v17
	v_pk_add_f16 v1, v1, v19
	;; [unrolled: 1-line block ×4, first 2 shown]
	v_pk_min_f16 v141, v4, v5
	v_pk_add_f16 v4, v7, v19
	v_pk_min_f16 v143, v0, v1
	v_pk_add_f16 v0, v3, v19
	v_pk_min_f16 v62, v62, v18
	v_pk_min_f16 v136, v16, v17
	;; [unrolled: 1-line block ×6, first 2 shown]
	ds_read2_b64 v[16:19], v112 offset1:8
	ds_read2_b64 v[8:11], v112 offset0:16 offset1:24
	ds_read2_b64 v[4:7], v112 offset0:32 offset1:40
	ds_read2_b64 v[24:27], v93 offset1:32
	ds_read2_b64 v[0:3], v112 offset0:48 offset1:56
	ds_read2_b64 v[28:31], v93 offset0:64 offset1:96
	;; [unrolled: 1-line block ×4, first 2 shown]
	s_waitcnt lgkmcnt(4)
	v_pk_add_f16 v103, v16, v24
	v_pk_add_f16 v105, v18, v24
	v_pk_min_f16 v46, v46, v103
	v_pk_add_f16 v103, v17, v25
	v_pk_add_f16 v106, v8, v24
	v_pk_min_f16 v120, v46, v103
	v_pk_min_f16 v47, v47, v105
	v_pk_add_f16 v103, v19, v25
	v_pk_add_f16 v107, v10, v24
	v_pk_min_f16 v119, v47, v103
	v_pk_min_f16 v53, v53, v106
	v_pk_add_f16 v103, v9, v25
	v_pk_add_f16 v108, v4, v24
	v_pk_min_f16 v118, v53, v103
	v_pk_min_f16 v54, v54, v107
	v_pk_add_f16 v103, v11, v25
	v_pk_add_f16 v109, v6, v24
	v_pk_min_f16 v117, v54, v103
	v_pk_min_f16 v55, v55, v108
	v_pk_add_f16 v103, v5, v25
	v_pk_min_f16 v56, v56, v109
	v_pk_min_f16 v116, v55, v103
	v_pk_add_f16 v103, v7, v25
	s_waitcnt lgkmcnt(3)
	v_pk_add_f16 v110, v0, v24
	v_pk_min_f16 v115, v56, v103
	v_pk_max_f16 v56, v57, v57
	v_pk_add_f16 v57, v1, v25
	v_pk_min_f16 v56, v56, v110
	v_pk_add_f16 v24, v2, v24
	v_pk_min_f16 v114, v56, v57
	v_pk_max_f16 v56, v58, v58
	v_pk_add_f16 v25, v3, v25
	v_pk_min_f16 v24, v56, v24
	;; [unrolled: 5-line block ×7, first 2 shown]
	v_pk_add_f16 v150, v6, v26
	v_pk_min_f16 v106, v24, v25
	v_pk_max_f16 v24, v85, v85
	v_pk_add_f16 v151, v0, v26
	v_pk_add_f16 v26, v2, v26
	s_waitcnt lgkmcnt(2)
	v_pk_add_f16 v152, v16, v28
	v_pk_add_f16 v153, v18, v28
	v_pk_add_f16 v154, v8, v28
	v_pk_add_f16 v155, v10, v28
	v_pk_add_f16 v156, v4, v28
	v_pk_add_f16 v157, v6, v28
	v_pk_add_f16 v158, v0, v28
	v_pk_add_f16 v28, v2, v28
	v_pk_add_f16 v159, v16, v30
	v_pk_add_f16 v160, v18, v30
	v_pk_add_f16 v161, v8, v30
	v_pk_add_f16 v162, v10, v30
	v_pk_add_f16 v163, v4, v30
	v_pk_add_f16 v164, v6, v30
	v_pk_add_f16 v165, v0, v30
	v_pk_add_f16 v30, v2, v30
	s_waitcnt lgkmcnt(1)
	v_pk_add_f16 v166, v16, v20
	v_pk_add_f16 v167, v18, v20
	v_pk_add_f16 v168, v8, v20
	v_pk_add_f16 v169, v10, v20
	v_pk_add_f16 v170, v4, v20
	v_pk_add_f16 v171, v6, v20
	v_pk_add_f16 v172, v0, v20
	v_pk_add_f16 v20, v2, v20
	v_pk_add_f16 v173, v16, v22
	v_pk_add_f16 v174, v18, v22
	v_pk_add_f16 v175, v8, v22
	v_pk_add_f16 v176, v10, v22
	v_pk_add_f16 v177, v4, v22
	v_pk_add_f16 v178, v6, v22
	;; [unrolled: 17-line block ×3, first 2 shown]
	v_pk_add_f16 v0, v0, v14
	v_pk_min_f16 v24, v24, v150
	v_pk_add_f16 v25, v7, v27
	v_pk_add_f16 v2, v2, v14
	v_pk_max_f16 v14, v94, v94
	v_pk_min_f16 v105, v24, v25
	v_pk_min_f16 v14, v14, v151
	v_pk_add_f16 v24, v1, v27
	ds_write_b16 v122, v127
	ds_write_b16 v123, v128
	ds_write_b16 v123, v129 offset:512
	ds_write_b16 v123, v130 offset:1024
	;; [unrolled: 1-line block ×3, first 2 shown]
	v_pk_min_f16 v103, v14, v24
	v_pk_max_f16 v24, v102, v102
	v_pk_add_f16 v14, v3, v27
	v_pk_min_f16 v24, v24, v26
	s_waitcnt lgkmcnt(0)
	v_pk_min_f16 v102, v24, v14
	v_pk_max_f16 v24, v101, v101
	v_pk_add_f16 v14, v17, v29
	v_pk_min_f16 v24, v24, v152
	s_barrier
	v_pk_min_f16 v101, v24, v14
	v_pk_max_f16 v24, v100, v100
	v_pk_add_f16 v14, v19, v29
	v_pk_min_f16 v24, v24, v153
	s_nop 0
	v_pk_min_f16 v100, v24, v14
	v_pk_max_f16 v24, v99, v99
	v_pk_add_f16 v14, v9, v29
	v_pk_min_f16 v24, v24, v154
	s_nop 0
	;; [unrolled: 5-line block ×22, first 2 shown]
	v_pk_min_f16 v78, v24, v14
	v_pk_add_f16 v14, v3, v21
	v_pk_max_f16 v21, v134, v134
	s_nop 0
	v_pk_min_f16 v20, v21, v20
	s_nop 0
	v_pk_min_f16 v77, v20, v14
	v_pk_max_f16 v20, v76, v76
	v_pk_add_f16 v14, v17, v23
	v_pk_min_f16 v20, v20, v173
	s_nop 0
	v_pk_min_f16 v76, v20, v14
	v_pk_max_f16 v20, v75, v75
	v_pk_add_f16 v14, v19, v23
	v_pk_min_f16 v20, v20, v174
	s_nop 0
	v_pk_min_f16 v75, v20, v14
	v_pk_max_f16 v20, v74, v74
	v_pk_add_f16 v14, v9, v23
	v_pk_min_f16 v20, v20, v175
	s_nop 0
	v_pk_min_f16 v74, v20, v14
	v_pk_max_f16 v20, v73, v73
	v_pk_add_f16 v14, v11, v23
	v_pk_min_f16 v20, v20, v176
	s_nop 0
	v_pk_min_f16 v73, v20, v14
	v_pk_max_f16 v20, v72, v72
	v_pk_add_f16 v14, v5, v23
	v_pk_min_f16 v20, v20, v177
	s_nop 0
	v_pk_min_f16 v72, v20, v14
	v_pk_max_f16 v20, v71, v71
	v_pk_add_f16 v14, v7, v23
	v_pk_min_f16 v20, v20, v178
	s_nop 0
	v_pk_min_f16 v71, v20, v14
	v_pk_max_f16 v20, v70, v70
	v_pk_add_f16 v14, v1, v23
	v_pk_min_f16 v20, v20, v179
	s_nop 0
	v_pk_min_f16 v70, v20, v14
	v_pk_max_f16 v20, v135, v135
	v_pk_add_f16 v14, v3, v23
	v_pk_min_f16 v20, v20, v22
	s_nop 0
	v_pk_min_f16 v69, v20, v14
	v_pk_max_f16 v20, v68, v68
	v_pk_add_f16 v14, v17, v13
	v_pk_min_f16 v20, v20, v180
	s_nop 0
	v_pk_min_f16 v68, v20, v14
	v_pk_max_f16 v20, v67, v67
	v_pk_add_f16 v14, v19, v13
	v_pk_min_f16 v20, v20, v181
	s_nop 0
	v_pk_min_f16 v67, v20, v14
	v_pk_max_f16 v20, v66, v66
	v_pk_add_f16 v14, v9, v13
	v_pk_min_f16 v20, v20, v46
	v_pk_add_f16 v9, v9, v15
	v_pk_min_f16 v66, v20, v14
	v_pk_max_f16 v20, v65, v65
	v_pk_add_f16 v14, v11, v13
	v_pk_min_f16 v20, v20, v47
	s_nop 0
	v_pk_min_f16 v65, v20, v14
	v_pk_max_f16 v20, v64, v64
	v_pk_add_f16 v14, v5, v13
	v_pk_min_f16 v20, v20, v53
	v_pk_add_f16 v5, v5, v15
	v_pk_min_f16 v64, v20, v14
	v_pk_max_f16 v20, v63, v63
	v_pk_add_f16 v14, v7, v13
	v_pk_min_f16 v20, v20, v54
	s_nop 0
	v_pk_min_f16 v63, v20, v14
	v_pk_max_f16 v20, v62, v62
	v_pk_add_f16 v14, v1, v13
	;; [unrolled: 10-line block ×3, first 2 shown]
	v_pk_min_f16 v13, v13, v16
	s_nop 0
	v_pk_min_f16 v60, v13, v12
	v_pk_max_f16 v13, v138, v138
	v_pk_add_f16 v12, v19, v15
	v_pk_min_f16 v13, v13, v18
	s_nop 0
	v_pk_min_f16 v59, v13, v12
	v_pk_max_f16 v12, v139, v139
	s_nop 0
	v_pk_min_f16 v8, v12, v8
	s_nop 0
	v_pk_min_f16 v58, v8, v9
	v_pk_max_f16 v9, v140, v140
	v_pk_add_f16 v8, v11, v15
	v_pk_min_f16 v9, v9, v10
	s_nop 0
	v_pk_min_f16 v57, v9, v8
	v_pk_max_f16 v8, v141, v141
	s_nop 0
	;; [unrolled: 10-line block ×3, first 2 shown]
	v_pk_min_f16 v0, v4, v0
	s_nop 0
	v_pk_min_f16 v53, v0, v1
	v_pk_max_f16 v1, v144, v144
	v_pk_add_f16 v0, v3, v15
	v_pk_min_f16 v1, v1, v2
	s_nop 0
	v_pk_min_f16 v56, v1, v0
	s_cbranch_scc1 .LBB222_58
.LBB222_34:                             ; =>This Inner Loop Header: Depth=1
	v_add_u32_e32 v46, s34, v51
	v_add_u32_e32 v0, 8, v46
	v_cmp_le_i32_e64 s[14:15], s26, v0
	s_or_b64 s[16:17], s[4:5], s[14:15]
	s_nor_b64 s[2:3], vcc, s[16:17]
                                        ; implicit-def: $vgpr47
	s_and_saveexec_b64 s[40:41], s[2:3]
	s_xor_b64 s[2:3], exec, s[40:41]
	s_cbranch_execz .LBB222_36
; %bb.35:                               ;   in Loop: Header=BB222_34 Depth=1
	v_lshl_add_u64 v[2:3], v[40:41], 0, v[44:45]
	flat_load_ushort v1, v[2:3]
	s_waitcnt vmcnt(0) lgkmcnt(0)
	v_mul_f16_e32 v47, v50, v1
.LBB222_36:                             ;   in Loop: Header=BB222_34 Depth=1
	s_andn2_saveexec_b64 s[2:3], s[2:3]
; %bb.37:                               ;   in Loop: Header=BB222_34 Depth=1
	v_cndmask_b32_e64 v47, 0, v126, s[16:17]
; %bb.38:                               ;   in Loop: Header=BB222_34 Depth=1
	s_or_b64 exec, exec, s[2:3]
	v_min_i32_e32 v0, s38, v0
	v_mad_i64_i32 v[0:1], s[2:3], v0, s27, 0
	s_or_b64 s[2:3], s[6:7], s[14:15]
	v_lshl_add_u64 v[0:1], v[0:1], 1, s[18:19]
	v_cndmask_b32_e64 v127, 0, v126, s[2:3]
	s_nor_b64 s[16:17], vcc, s[2:3]
	s_and_saveexec_b64 s[2:3], s[16:17]
	s_cbranch_execz .LBB222_40
; %bb.39:                               ;   in Loop: Header=BB222_34 Depth=1
	v_lshl_add_u64 v[2:3], v[32:33], 1, v[0:1]
	flat_load_ushort v2, v[2:3]
	s_waitcnt vmcnt(0) lgkmcnt(0)
	v_mul_f16_e32 v127, v50, v2
.LBB222_40:                             ;   in Loop: Header=BB222_34 Depth=1
	s_or_b64 exec, exec, s[2:3]
	s_or_b64 s[2:3], s[8:9], s[14:15]
	v_cndmask_b32_e64 v128, 0, v126, s[2:3]
	s_nor_b64 s[16:17], s[2:3], vcc
	s_and_saveexec_b64 s[2:3], s[16:17]
	s_cbranch_execz .LBB222_42
; %bb.41:                               ;   in Loop: Header=BB222_34 Depth=1
	v_lshl_add_u64 v[2:3], v[34:35], 1, v[0:1]
	flat_load_ushort v2, v[2:3]
	s_waitcnt vmcnt(0) lgkmcnt(0)
	v_mul_f16_e32 v128, v50, v2
.LBB222_42:                             ;   in Loop: Header=BB222_34 Depth=1
	s_or_b64 exec, exec, s[2:3]
	s_or_b64 s[2:3], s[10:11], s[14:15]
	v_cndmask_b32_e64 v129, 0, v126, s[2:3]
	s_nor_b64 s[16:17], s[2:3], vcc
	;; [unrolled: 12-line block ×3, first 2 shown]
	s_and_saveexec_b64 s[2:3], s[14:15]
	s_cbranch_execz .LBB222_46
; %bb.45:                               ;   in Loop: Header=BB222_34 Depth=1
	v_lshl_add_u64 v[0:1], v[38:39], 1, v[0:1]
	flat_load_ushort v0, v[0:1]
	s_waitcnt vmcnt(0) lgkmcnt(0)
	v_mul_f16_e32 v130, v50, v0
.LBB222_46:                             ;   in Loop: Header=BB222_34 Depth=1
	s_or_b64 exec, exec, s[2:3]
	ds_read2_b64 v[12:15], v124 offset1:8
	ds_read2_b64 v[8:11], v124 offset0:16 offset1:24
	ds_read2_b64 v[4:7], v124 offset0:32 offset1:40
	;; [unrolled: 1-line block ×3, first 2 shown]
	ds_read2_b64 v[28:31], v125 offset1:32
	ds_read2_b64 v[24:27], v125 offset0:64 offset1:96
	ds_read2_b64 v[20:23], v125 offset0:128 offset1:160
	;; [unrolled: 1-line block ×3, first 2 shown]
	v_add_u32_e32 v46, 12, v46
	v_cmp_le_i32_e64 s[14:15], s26, v46
	s_or_b64 s[16:17], s[4:5], s[14:15]
	s_nor_b64 s[2:3], vcc, s[16:17]
	ds_write_b16 v121, v47
	ds_write_b16 v111, v127
	ds_write_b16 v111, v128 offset:512
	ds_write_b16 v111, v129 offset:1024
	;; [unrolled: 1-line block ×3, first 2 shown]
	s_waitcnt lgkmcnt(0)
	s_barrier
                                        ; implicit-def: $vgpr127
	s_and_saveexec_b64 s[40:41], s[2:3]
	s_xor_b64 s[2:3], exec, s[40:41]
	s_cbranch_execz .LBB222_48
; %bb.47:                               ;   in Loop: Header=BB222_34 Depth=1
	v_lshl_add_u64 v[128:129], v[40:41], 0, v[42:43]
	flat_load_ushort v47, v[128:129]
	s_waitcnt vmcnt(0) lgkmcnt(0)
	v_mul_f16_e32 v127, v50, v47
.LBB222_48:                             ;   in Loop: Header=BB222_34 Depth=1
	s_andn2_saveexec_b64 s[2:3], s[2:3]
; %bb.49:                               ;   in Loop: Header=BB222_34 Depth=1
	v_cndmask_b32_e64 v127, 0, v126, s[16:17]
; %bb.50:                               ;   in Loop: Header=BB222_34 Depth=1
	s_or_b64 exec, exec, s[2:3]
	v_min_i32_e32 v46, s38, v46
	v_mad_i64_i32 v[46:47], s[2:3], v46, s27, 0
	s_or_b64 s[2:3], s[6:7], s[14:15]
	v_lshl_add_u64 v[46:47], v[46:47], 1, s[18:19]
	v_cndmask_b32_e64 v128, 0, v126, s[2:3]
	s_nor_b64 s[16:17], vcc, s[2:3]
	s_and_saveexec_b64 s[2:3], s[16:17]
	s_cbranch_execz .LBB222_52
; %bb.51:                               ;   in Loop: Header=BB222_34 Depth=1
	v_lshl_add_u64 v[128:129], v[32:33], 1, v[46:47]
	flat_load_ushort v128, v[128:129]
	s_waitcnt vmcnt(0) lgkmcnt(0)
	v_mul_f16_e32 v128, v50, v128
.LBB222_52:                             ;   in Loop: Header=BB222_34 Depth=1
	s_or_b64 exec, exec, s[2:3]
	s_or_b64 s[2:3], s[8:9], s[14:15]
	v_cndmask_b32_e64 v129, 0, v126, s[2:3]
	s_nor_b64 s[16:17], s[2:3], vcc
	s_and_saveexec_b64 s[2:3], s[16:17]
	s_cbranch_execz .LBB222_54
; %bb.53:                               ;   in Loop: Header=BB222_34 Depth=1
	v_lshl_add_u64 v[130:131], v[34:35], 1, v[46:47]
	flat_load_ushort v129, v[130:131]
	s_waitcnt vmcnt(0) lgkmcnt(0)
	v_mul_f16_e32 v129, v50, v129
.LBB222_54:                             ;   in Loop: Header=BB222_34 Depth=1
	s_or_b64 exec, exec, s[2:3]
	s_or_b64 s[2:3], s[10:11], s[14:15]
	v_cndmask_b32_e64 v130, 0, v126, s[2:3]
	s_nor_b64 s[16:17], s[2:3], vcc
	;; [unrolled: 12-line block ×3, first 2 shown]
	s_and_saveexec_b64 s[2:3], s[14:15]
	s_cbranch_execz .LBB222_33
; %bb.57:                               ;   in Loop: Header=BB222_34 Depth=1
	v_lshl_add_u64 v[46:47], v[38:39], 1, v[46:47]
	flat_load_ushort v46, v[46:47]
	s_waitcnt vmcnt(0) lgkmcnt(0)
	v_mul_f16_e32 v131, v50, v46
	s_branch .LBB222_33
.LBB222_58:
	s_load_dwordx2 s[2:3], s[0:1], 0x78
	s_load_dword s31, s[0:1], 0x58
	s_load_dword s30, s[0:1], 0x70
	v_add_u32_e32 v0, 0x1000, v104
	v_add_u32_e32 v4, 0x800, v93
	ds_read2_b64 v[16:19], v0 offset0:64 offset1:72
	ds_read2_b64 v[12:15], v0 offset0:80 offset1:88
	;; [unrolled: 1-line block ×4, first 2 shown]
	ds_read2_b64 v[28:31], v4 offset1:32
	ds_read2_b64 v[24:27], v4 offset0:64 offset1:96
	ds_read2_b64 v[20:23], v4 offset0:128 offset1:160
	;; [unrolled: 1-line block ×3, first 2 shown]
	s_waitcnt lgkmcnt(0)
	s_lshl_b64 s[0:1], s[2:3], 1
	s_add_u32 s26, s28, s0
	v_add_u32_e32 v93, s36, v49
	s_addc_u32 s27, s29, s1
	v_mad_i64_i32 v[34:35], s[0:1], v93, s31, 0
	v_add_u32_e32 v32, s33, v48
	v_lshl_add_u64 v[50:51], v[34:35], 1, s[22:23]
	v_mad_i64_i32 v[34:35], s[0:1], v93, s30, 0
	v_cmp_gt_i32_e64 s[4:5], s24, v32
	v_cmp_gt_i32_e64 s[18:19], s25, v93
	v_lshl_add_u64 v[48:49], v[34:35], 1, s[26:27]
	v_cndmask_b32_e64 v34, 0, 1, s[20:21]
	v_ashrrev_i32_e32 v33, 31, v32
	s_and_b64 s[6:7], s[4:5], s[18:19]
	v_cmp_ne_u32_e64 s[0:1], 1, v34
	s_and_saveexec_b64 s[2:3], s[6:7]
	s_cbranch_execz .LBB222_63
; %bb.59:
	s_and_b64 vcc, exec, s[0:1]
	s_cbranch_vccnz .LBB222_61
; %bb.60:
	v_lshl_add_u64 v[34:35], v[32:33], 1, v[50:51]
	flat_load_ushort v34, v[34:35]
	s_waitcnt vmcnt(0) lgkmcnt(0)
	v_mul_f16_e32 v34, v52, v34
	v_cvt_f32_f16_e32 v34, v34
	s_branch .LBB222_62
.LBB222_61:
	v_mov_b32_e32 v34, 0
.LBB222_62:
	v_pk_add_f16 v35, v16, v28
	v_max_f16_e32 v36, v120, v120
	v_pk_add_f16 v38, v17, v29
	v_min_f16_e32 v36, v36, v35
	v_lshrrev_b32_e32 v37, 16, v120
	v_lshrrev_b32_e32 v35, 16, v35
	v_lshrrev_b32_e32 v39, 16, v38
	v_min3_f16 v35, v37, v35, v39
	v_min3_f16 v35, v36, v38, v35
	v_cvt_f32_f16_e32 v35, v35
	v_max_f32_e32 v34, v34, v34
	v_min_f32_e32 v34, v34, v35
	v_cvt_f16_f32_e32 v36, v34
	v_lshl_add_u64 v[34:35], v[32:33], 1, v[48:49]
	flat_store_short v[34:35], v36
.LBB222_63:
	s_or_b64 exec, exec, s[2:3]
	v_add_u32_e32 v34, 8, v32
	v_cmp_gt_i32_e64 s[2:3], s24, v34
	v_ashrrev_i32_e32 v35, 31, v34
	s_and_b64 s[8:9], s[2:3], s[18:19]
	s_and_saveexec_b64 s[6:7], s[8:9]
	s_cbranch_execz .LBB222_68
; %bb.64:
	s_and_b64 vcc, exec, s[0:1]
	s_cbranch_vccnz .LBB222_66
; %bb.65:
	v_lshl_add_u64 v[36:37], v[34:35], 1, v[50:51]
	flat_load_ushort v36, v[36:37]
	s_waitcnt vmcnt(0) lgkmcnt(0)
	v_mul_f16_e32 v36, v52, v36
	v_cvt_f32_f16_e32 v36, v36
	s_branch .LBB222_67
.LBB222_66:
	v_mov_b32_e32 v36, 0
.LBB222_67:
	v_pk_add_f16 v37, v18, v28
	v_max_f16_e32 v38, v119, v119
	v_pk_add_f16 v40, v19, v29
	v_min_f16_e32 v38, v38, v37
	v_lshrrev_b32_e32 v39, 16, v119
	v_lshrrev_b32_e32 v37, 16, v37
	v_lshrrev_b32_e32 v41, 16, v40
	v_min3_f16 v37, v39, v37, v41
	v_min3_f16 v37, v38, v40, v37
	v_cvt_f32_f16_e32 v37, v37
	v_max_f32_e32 v36, v36, v36
	v_min_f32_e32 v36, v36, v37
	v_cvt_f16_f32_e32 v38, v36
	v_lshl_add_u64 v[36:37], v[34:35], 1, v[48:49]
	flat_store_short v[36:37], v38
.LBB222_68:
	s_or_b64 exec, exec, s[6:7]
	v_add_u32_e32 v36, 16, v32
	v_cmp_gt_i32_e64 s[6:7], s24, v36
	v_ashrrev_i32_e32 v37, 31, v36
	s_and_b64 s[10:11], s[6:7], s[18:19]
	;; [unrolled: 36-line block ×7, first 2 shown]
	s_and_saveexec_b64 s[18:19], s[20:21]
	s_cbranch_execz .LBB222_98
; %bb.94:
	s_and_b64 vcc, exec, s[0:1]
	s_cbranch_vccnz .LBB222_96
; %bb.95:
	v_lshl_add_u64 v[50:51], v[46:47], 1, v[50:51]
	flat_load_ushort v50, v[50:51]
	s_waitcnt vmcnt(0) lgkmcnt(0)
	v_mul_f16_e32 v50, v52, v50
	v_cvt_f32_f16_e32 v50, v50
	s_branch .LBB222_97
.LBB222_96:
	v_mov_b32_e32 v50, 0
.LBB222_97:
	v_pk_add_f16 v28, v2, v28
	v_max_f16_e32 v51, v113, v113
	v_pk_add_f16 v29, v3, v29
	v_min_f16_e32 v51, v51, v28
	v_lshrrev_b32_e32 v104, 16, v113
	v_lshrrev_b32_e32 v28, 16, v28
	;; [unrolled: 1-line block ×3, first 2 shown]
	v_min3_f16 v28, v104, v28, v111
	v_min3_f16 v28, v51, v29, v28
	v_cvt_f32_f16_e32 v28, v28
	v_max_f32_e32 v29, v50, v50
	v_min_f32_e32 v28, v29, v28
	v_cvt_f16_f32_e32 v50, v28
	v_lshl_add_u64 v[28:29], v[46:47], 1, v[48:49]
	flat_store_short v[28:29], v50
.LBB222_98:
	s_or_b64 exec, exec, s[18:19]
	v_add_u32_e32 v50, 32, v93
	v_mad_i64_i32 v[28:29], s[20:21], v50, s31, 0
	v_cmp_gt_i32_e64 s[18:19], s25, v50
	v_lshl_add_u64 v[48:49], v[28:29], 1, s[22:23]
	v_mad_i64_i32 v[28:29], s[20:21], v50, s30, 0
	v_lshl_add_u64 v[28:29], v[28:29], 1, s[26:27]
	s_and_b64 s[28:29], s[4:5], s[18:19]
	s_and_saveexec_b64 s[20:21], s[28:29]
	s_cbranch_execnz .LBB222_106
; %bb.99:
	s_or_b64 exec, exec, s[20:21]
	s_and_b64 s[28:29], s[2:3], s[18:19]
	s_and_saveexec_b64 s[20:21], s[28:29]
	s_cbranch_execnz .LBB222_110
.LBB222_100:
	s_or_b64 exec, exec, s[20:21]
	s_and_b64 s[28:29], s[6:7], s[18:19]
	s_and_saveexec_b64 s[20:21], s[28:29]
	s_cbranch_execnz .LBB222_114
.LBB222_101:
	s_or_b64 exec, exec, s[20:21]
	s_and_b64 s[28:29], s[8:9], s[18:19]
	s_and_saveexec_b64 s[20:21], s[28:29]
	s_cbranch_execnz .LBB222_118
.LBB222_102:
	s_or_b64 exec, exec, s[20:21]
	s_and_b64 s[28:29], s[10:11], s[18:19]
	s_and_saveexec_b64 s[20:21], s[28:29]
	s_cbranch_execnz .LBB222_122
.LBB222_103:
	s_or_b64 exec, exec, s[20:21]
	s_and_b64 s[28:29], s[12:13], s[18:19]
	s_and_saveexec_b64 s[20:21], s[28:29]
	s_cbranch_execnz .LBB222_126
.LBB222_104:
	s_or_b64 exec, exec, s[20:21]
	s_and_b64 s[28:29], s[14:15], s[18:19]
	s_and_saveexec_b64 s[20:21], s[28:29]
	s_cbranch_execnz .LBB222_130
.LBB222_105:
	s_or_b64 exec, exec, s[20:21]
	s_and_b64 s[20:21], s[16:17], s[18:19]
	s_and_saveexec_b64 s[18:19], s[20:21]
	s_cbranch_execnz .LBB222_134
	s_branch .LBB222_138
.LBB222_106:
	s_and_b64 vcc, exec, s[0:1]
	s_cbranch_vccnz .LBB222_108
; %bb.107:
	v_lshl_add_u64 v[50:51], v[32:33], 1, v[48:49]
	flat_load_ushort v50, v[50:51]
	s_waitcnt vmcnt(0) lgkmcnt(0)
	v_mul_f16_e32 v50, v52, v50
	v_cvt_f32_f16_e32 v50, v50
	s_branch .LBB222_109
.LBB222_108:
	v_mov_b32_e32 v50, 0
.LBB222_109:
	v_pk_add_f16 v51, v16, v30
	v_max_f16_e32 v104, v110, v110
	v_pk_add_f16 v111, v17, v31
	v_min_f16_e32 v104, v104, v51
	v_lshrrev_b32_e32 v110, 16, v110
	v_lshrrev_b32_e32 v51, 16, v51
	;; [unrolled: 1-line block ×3, first 2 shown]
	v_min3_f16 v51, v110, v51, v112
	v_min3_f16 v51, v104, v111, v51
	v_cvt_f32_f16_e32 v51, v51
	v_max_f32_e32 v50, v50, v50
	v_min_f32_e32 v50, v50, v51
	v_cvt_f16_f32_e32 v104, v50
	v_lshl_add_u64 v[50:51], v[32:33], 1, v[28:29]
	flat_store_short v[50:51], v104
	s_or_b64 exec, exec, s[20:21]
	s_and_b64 s[28:29], s[2:3], s[18:19]
	s_and_saveexec_b64 s[20:21], s[28:29]
	s_cbranch_execz .LBB222_100
.LBB222_110:
	s_and_b64 vcc, exec, s[0:1]
	s_cbranch_vccnz .LBB222_112
; %bb.111:
	v_lshl_add_u64 v[50:51], v[34:35], 1, v[48:49]
	flat_load_ushort v50, v[50:51]
	s_waitcnt vmcnt(0) lgkmcnt(0)
	v_mul_f16_e32 v50, v52, v50
	v_cvt_f32_f16_e32 v50, v50
	s_branch .LBB222_113
.LBB222_112:
	v_mov_b32_e32 v50, 0
.LBB222_113:
	v_pk_add_f16 v51, v18, v30
	v_max_f16_e32 v104, v109, v109
	v_pk_add_f16 v110, v19, v31
	v_min_f16_e32 v104, v104, v51
	v_lshrrev_b32_e32 v109, 16, v109
	v_lshrrev_b32_e32 v51, 16, v51
	;; [unrolled: 1-line block ×3, first 2 shown]
	v_min3_f16 v51, v109, v51, v111
	v_min3_f16 v51, v104, v110, v51
	v_cvt_f32_f16_e32 v51, v51
	v_max_f32_e32 v50, v50, v50
	v_min_f32_e32 v50, v50, v51
	v_cvt_f16_f32_e32 v104, v50
	v_lshl_add_u64 v[50:51], v[34:35], 1, v[28:29]
	flat_store_short v[50:51], v104
	s_or_b64 exec, exec, s[20:21]
	s_and_b64 s[28:29], s[6:7], s[18:19]
	s_and_saveexec_b64 s[20:21], s[28:29]
	s_cbranch_execz .LBB222_101
.LBB222_114:
	s_and_b64 vcc, exec, s[0:1]
	s_cbranch_vccnz .LBB222_116
; %bb.115:
	v_lshl_add_u64 v[50:51], v[36:37], 1, v[48:49]
	flat_load_ushort v50, v[50:51]
	s_waitcnt vmcnt(0) lgkmcnt(0)
	v_mul_f16_e32 v50, v52, v50
	v_cvt_f32_f16_e32 v50, v50
	s_branch .LBB222_117
.LBB222_116:
	v_mov_b32_e32 v50, 0
.LBB222_117:
	v_pk_add_f16 v51, v12, v30
	v_max_f16_e32 v104, v108, v108
	v_pk_add_f16 v109, v13, v31
	v_min_f16_e32 v104, v104, v51
	v_lshrrev_b32_e32 v108, 16, v108
	v_lshrrev_b32_e32 v51, 16, v51
	;; [unrolled: 1-line block ×3, first 2 shown]
	v_min3_f16 v51, v108, v51, v110
	v_min3_f16 v51, v104, v109, v51
	v_cvt_f32_f16_e32 v51, v51
	v_max_f32_e32 v50, v50, v50
	v_min_f32_e32 v50, v50, v51
	v_cvt_f16_f32_e32 v104, v50
	v_lshl_add_u64 v[50:51], v[36:37], 1, v[28:29]
	flat_store_short v[50:51], v104
	s_or_b64 exec, exec, s[20:21]
	s_and_b64 s[28:29], s[8:9], s[18:19]
	s_and_saveexec_b64 s[20:21], s[28:29]
	s_cbranch_execz .LBB222_102
.LBB222_118:
	s_and_b64 vcc, exec, s[0:1]
	s_cbranch_vccnz .LBB222_120
; %bb.119:
	v_lshl_add_u64 v[50:51], v[38:39], 1, v[48:49]
	flat_load_ushort v50, v[50:51]
	s_waitcnt vmcnt(0) lgkmcnt(0)
	v_mul_f16_e32 v50, v52, v50
	v_cvt_f32_f16_e32 v50, v50
	s_branch .LBB222_121
.LBB222_120:
	v_mov_b32_e32 v50, 0
.LBB222_121:
	v_pk_add_f16 v51, v14, v30
	v_max_f16_e32 v104, v107, v107
	v_pk_add_f16 v108, v15, v31
	v_min_f16_e32 v104, v104, v51
	v_lshrrev_b32_e32 v107, 16, v107
	v_lshrrev_b32_e32 v51, 16, v51
	;; [unrolled: 1-line block ×3, first 2 shown]
	v_min3_f16 v51, v107, v51, v109
	v_min3_f16 v51, v104, v108, v51
	v_cvt_f32_f16_e32 v51, v51
	v_max_f32_e32 v50, v50, v50
	v_min_f32_e32 v50, v50, v51
	v_cvt_f16_f32_e32 v104, v50
	v_lshl_add_u64 v[50:51], v[38:39], 1, v[28:29]
	flat_store_short v[50:51], v104
	s_or_b64 exec, exec, s[20:21]
	s_and_b64 s[28:29], s[10:11], s[18:19]
	s_and_saveexec_b64 s[20:21], s[28:29]
	s_cbranch_execz .LBB222_103
.LBB222_122:
	s_and_b64 vcc, exec, s[0:1]
	s_cbranch_vccnz .LBB222_124
; %bb.123:
	v_lshl_add_u64 v[50:51], v[40:41], 1, v[48:49]
	flat_load_ushort v50, v[50:51]
	s_waitcnt vmcnt(0) lgkmcnt(0)
	v_mul_f16_e32 v50, v52, v50
	v_cvt_f32_f16_e32 v50, v50
	s_branch .LBB222_125
.LBB222_124:
	v_mov_b32_e32 v50, 0
.LBB222_125:
	v_pk_add_f16 v51, v8, v30
	v_max_f16_e32 v104, v106, v106
	v_pk_add_f16 v107, v9, v31
	v_min_f16_e32 v104, v104, v51
	v_lshrrev_b32_e32 v106, 16, v106
	v_lshrrev_b32_e32 v51, 16, v51
	v_lshrrev_b32_e32 v108, 16, v107
	v_min3_f16 v51, v106, v51, v108
	v_min3_f16 v51, v104, v107, v51
	v_cvt_f32_f16_e32 v51, v51
	v_max_f32_e32 v50, v50, v50
	v_min_f32_e32 v50, v50, v51
	v_cvt_f16_f32_e32 v104, v50
	v_lshl_add_u64 v[50:51], v[40:41], 1, v[28:29]
	flat_store_short v[50:51], v104
	s_or_b64 exec, exec, s[20:21]
	s_and_b64 s[28:29], s[12:13], s[18:19]
	s_and_saveexec_b64 s[20:21], s[28:29]
	s_cbranch_execz .LBB222_104
.LBB222_126:
	s_and_b64 vcc, exec, s[0:1]
	s_cbranch_vccnz .LBB222_128
; %bb.127:
	v_lshl_add_u64 v[50:51], v[42:43], 1, v[48:49]
	flat_load_ushort v50, v[50:51]
	s_waitcnt vmcnt(0) lgkmcnt(0)
	v_mul_f16_e32 v50, v52, v50
	v_cvt_f32_f16_e32 v50, v50
	s_branch .LBB222_129
.LBB222_128:
	v_mov_b32_e32 v50, 0
.LBB222_129:
	v_pk_add_f16 v51, v10, v30
	v_max_f16_e32 v104, v105, v105
	v_pk_add_f16 v106, v11, v31
	v_min_f16_e32 v104, v104, v51
	v_lshrrev_b32_e32 v105, 16, v105
	v_lshrrev_b32_e32 v51, 16, v51
	v_lshrrev_b32_e32 v107, 16, v106
	v_min3_f16 v51, v105, v51, v107
	v_min3_f16 v51, v104, v106, v51
	v_cvt_f32_f16_e32 v51, v51
	v_max_f32_e32 v50, v50, v50
	v_min_f32_e32 v50, v50, v51
	v_cvt_f16_f32_e32 v104, v50
	v_lshl_add_u64 v[50:51], v[42:43], 1, v[28:29]
	flat_store_short v[50:51], v104
	s_or_b64 exec, exec, s[20:21]
	s_and_b64 s[28:29], s[14:15], s[18:19]
	s_and_saveexec_b64 s[20:21], s[28:29]
	s_cbranch_execz .LBB222_105
.LBB222_130:
	s_and_b64 vcc, exec, s[0:1]
	s_cbranch_vccnz .LBB222_132
; %bb.131:
	v_lshl_add_u64 v[50:51], v[44:45], 1, v[48:49]
	flat_load_ushort v50, v[50:51]
	s_waitcnt vmcnt(0) lgkmcnt(0)
	v_mul_f16_e32 v50, v52, v50
	v_cvt_f32_f16_e32 v50, v50
	s_branch .LBB222_133
.LBB222_132:
	v_mov_b32_e32 v50, 0
.LBB222_133:
	v_pk_add_f16 v51, v0, v30
	v_max_f16_e32 v104, v103, v103
	v_pk_add_f16 v105, v1, v31
	v_min_f16_e32 v104, v104, v51
	v_lshrrev_b32_e32 v103, 16, v103
	v_lshrrev_b32_e32 v51, 16, v51
	;; [unrolled: 1-line block ×3, first 2 shown]
	v_min3_f16 v51, v103, v51, v106
	v_min3_f16 v51, v104, v105, v51
	v_cvt_f32_f16_e32 v51, v51
	v_max_f32_e32 v50, v50, v50
	v_min_f32_e32 v50, v50, v51
	v_cvt_f16_f32_e32 v103, v50
	v_lshl_add_u64 v[50:51], v[44:45], 1, v[28:29]
	flat_store_short v[50:51], v103
	s_or_b64 exec, exec, s[20:21]
	s_and_b64 s[20:21], s[16:17], s[18:19]
	s_and_saveexec_b64 s[18:19], s[20:21]
	s_cbranch_execz .LBB222_138
.LBB222_134:
	s_and_b64 vcc, exec, s[0:1]
	s_cbranch_vccnz .LBB222_136
; %bb.135:
	v_lshl_add_u64 v[48:49], v[46:47], 1, v[48:49]
	flat_load_ushort v48, v[48:49]
	s_waitcnt vmcnt(0) lgkmcnt(0)
	v_mul_f16_e32 v48, v52, v48
	v_cvt_f32_f16_e32 v48, v48
	s_branch .LBB222_137
.LBB222_136:
	v_mov_b32_e32 v48, 0
.LBB222_137:
	v_pk_add_f16 v30, v2, v30
	v_max_f16_e32 v49, v102, v102
	v_pk_add_f16 v31, v3, v31
	v_min_f16_e32 v49, v49, v30
	v_lshrrev_b32_e32 v50, 16, v102
	v_lshrrev_b32_e32 v30, 16, v30
	;; [unrolled: 1-line block ×3, first 2 shown]
	v_min3_f16 v30, v50, v30, v51
	v_min3_f16 v30, v49, v31, v30
	v_cvt_f32_f16_e32 v30, v30
	v_max_f32_e32 v31, v48, v48
	v_lshl_add_u64 v[28:29], v[46:47], 1, v[28:29]
	v_min_f32_e32 v30, v31, v30
	v_cvt_f16_f32_e32 v30, v30
	flat_store_short v[28:29], v30
.LBB222_138:
	s_or_b64 exec, exec, s[18:19]
	v_add_u32_e32 v48, 64, v93
	v_mad_i64_i32 v[28:29], s[20:21], v48, s31, 0
	v_cmp_gt_i32_e64 s[18:19], s25, v48
	v_lshl_add_u64 v[30:31], v[28:29], 1, s[22:23]
	v_mad_i64_i32 v[28:29], s[20:21], v48, s30, 0
	v_lshl_add_u64 v[28:29], v[28:29], 1, s[26:27]
	s_and_b64 s[28:29], s[4:5], s[18:19]
	s_and_saveexec_b64 s[20:21], s[28:29]
	s_cbranch_execnz .LBB222_146
; %bb.139:
	s_or_b64 exec, exec, s[20:21]
	s_and_b64 s[28:29], s[2:3], s[18:19]
	s_and_saveexec_b64 s[20:21], s[28:29]
	s_cbranch_execnz .LBB222_150
.LBB222_140:
	s_or_b64 exec, exec, s[20:21]
	s_and_b64 s[28:29], s[6:7], s[18:19]
	s_and_saveexec_b64 s[20:21], s[28:29]
	s_cbranch_execnz .LBB222_154
.LBB222_141:
	s_or_b64 exec, exec, s[20:21]
	s_and_b64 s[28:29], s[8:9], s[18:19]
	s_and_saveexec_b64 s[20:21], s[28:29]
	s_cbranch_execnz .LBB222_158
.LBB222_142:
	s_or_b64 exec, exec, s[20:21]
	s_and_b64 s[28:29], s[10:11], s[18:19]
	s_and_saveexec_b64 s[20:21], s[28:29]
	s_cbranch_execnz .LBB222_162
.LBB222_143:
	s_or_b64 exec, exec, s[20:21]
	s_and_b64 s[28:29], s[12:13], s[18:19]
	s_and_saveexec_b64 s[20:21], s[28:29]
	s_cbranch_execnz .LBB222_166
.LBB222_144:
	s_or_b64 exec, exec, s[20:21]
	s_and_b64 s[28:29], s[14:15], s[18:19]
	s_and_saveexec_b64 s[20:21], s[28:29]
	s_cbranch_execnz .LBB222_170
.LBB222_145:
	s_or_b64 exec, exec, s[20:21]
	s_and_b64 s[20:21], s[16:17], s[18:19]
	s_and_saveexec_b64 s[18:19], s[20:21]
	s_cbranch_execnz .LBB222_174
	s_branch .LBB222_178
.LBB222_146:
	s_and_b64 vcc, exec, s[0:1]
	s_cbranch_vccnz .LBB222_148
; %bb.147:
	v_lshl_add_u64 v[48:49], v[32:33], 1, v[30:31]
	flat_load_ushort v48, v[48:49]
	s_waitcnt vmcnt(0) lgkmcnt(0)
	v_mul_f16_e32 v48, v52, v48
	v_cvt_f32_f16_e32 v48, v48
	s_branch .LBB222_149
.LBB222_148:
	v_mov_b32_e32 v48, 0
.LBB222_149:
	v_pk_add_f16 v49, v16, v24
	v_max_f16_e32 v50, v101, v101
	v_lshrrev_b32_e32 v51, 16, v101
	v_pk_add_f16 v101, v17, v25
	v_min_f16_e32 v50, v50, v49
	v_lshrrev_b32_e32 v49, 16, v49
	v_lshrrev_b32_e32 v102, 16, v101
	v_min3_f16 v49, v51, v49, v102
	v_min3_f16 v49, v50, v101, v49
	v_cvt_f32_f16_e32 v49, v49
	v_max_f32_e32 v48, v48, v48
	v_min_f32_e32 v48, v48, v49
	v_cvt_f16_f32_e32 v50, v48
	v_lshl_add_u64 v[48:49], v[32:33], 1, v[28:29]
	flat_store_short v[48:49], v50
	s_or_b64 exec, exec, s[20:21]
	s_and_b64 s[28:29], s[2:3], s[18:19]
	s_and_saveexec_b64 s[20:21], s[28:29]
	s_cbranch_execz .LBB222_140
.LBB222_150:
	s_and_b64 vcc, exec, s[0:1]
	s_cbranch_vccnz .LBB222_152
; %bb.151:
	v_lshl_add_u64 v[48:49], v[34:35], 1, v[30:31]
	flat_load_ushort v48, v[48:49]
	s_waitcnt vmcnt(0) lgkmcnt(0)
	v_mul_f16_e32 v48, v52, v48
	v_cvt_f32_f16_e32 v48, v48
	s_branch .LBB222_153
.LBB222_152:
	v_mov_b32_e32 v48, 0
.LBB222_153:
	v_pk_add_f16 v49, v18, v24
	v_max_f16_e32 v50, v100, v100
	v_lshrrev_b32_e32 v51, 16, v100
	v_pk_add_f16 v100, v19, v25
	v_min_f16_e32 v50, v50, v49
	v_lshrrev_b32_e32 v49, 16, v49
	v_lshrrev_b32_e32 v101, 16, v100
	v_min3_f16 v49, v51, v49, v101
	v_min3_f16 v49, v50, v100, v49
	v_cvt_f32_f16_e32 v49, v49
	v_max_f32_e32 v48, v48, v48
	v_min_f32_e32 v48, v48, v49
	v_cvt_f16_f32_e32 v50, v48
	v_lshl_add_u64 v[48:49], v[34:35], 1, v[28:29]
	flat_store_short v[48:49], v50
	s_or_b64 exec, exec, s[20:21]
	s_and_b64 s[28:29], s[6:7], s[18:19]
	s_and_saveexec_b64 s[20:21], s[28:29]
	s_cbranch_execz .LBB222_141
.LBB222_154:
	s_and_b64 vcc, exec, s[0:1]
	s_cbranch_vccnz .LBB222_156
; %bb.155:
	v_lshl_add_u64 v[48:49], v[36:37], 1, v[30:31]
	flat_load_ushort v48, v[48:49]
	s_waitcnt vmcnt(0) lgkmcnt(0)
	v_mul_f16_e32 v48, v52, v48
	v_cvt_f32_f16_e32 v48, v48
	s_branch .LBB222_157
.LBB222_156:
	v_mov_b32_e32 v48, 0
.LBB222_157:
	v_pk_add_f16 v49, v12, v24
	v_max_f16_e32 v50, v99, v99
	v_lshrrev_b32_e32 v51, 16, v99
	v_pk_add_f16 v99, v13, v25
	v_min_f16_e32 v50, v50, v49
	v_lshrrev_b32_e32 v49, 16, v49
	v_lshrrev_b32_e32 v100, 16, v99
	v_min3_f16 v49, v51, v49, v100
	v_min3_f16 v49, v50, v99, v49
	v_cvt_f32_f16_e32 v49, v49
	v_max_f32_e32 v48, v48, v48
	v_min_f32_e32 v48, v48, v49
	v_cvt_f16_f32_e32 v50, v48
	v_lshl_add_u64 v[48:49], v[36:37], 1, v[28:29]
	flat_store_short v[48:49], v50
	s_or_b64 exec, exec, s[20:21]
	s_and_b64 s[28:29], s[8:9], s[18:19]
	s_and_saveexec_b64 s[20:21], s[28:29]
	s_cbranch_execz .LBB222_142
.LBB222_158:
	s_and_b64 vcc, exec, s[0:1]
	s_cbranch_vccnz .LBB222_160
; %bb.159:
	v_lshl_add_u64 v[48:49], v[38:39], 1, v[30:31]
	flat_load_ushort v48, v[48:49]
	s_waitcnt vmcnt(0) lgkmcnt(0)
	v_mul_f16_e32 v48, v52, v48
	v_cvt_f32_f16_e32 v48, v48
	s_branch .LBB222_161
.LBB222_160:
	v_mov_b32_e32 v48, 0
.LBB222_161:
	v_pk_add_f16 v49, v14, v24
	v_max_f16_e32 v50, v98, v98
	v_lshrrev_b32_e32 v51, 16, v98
	v_pk_add_f16 v98, v15, v25
	v_min_f16_e32 v50, v50, v49
	v_lshrrev_b32_e32 v49, 16, v49
	v_lshrrev_b32_e32 v99, 16, v98
	v_min3_f16 v49, v51, v49, v99
	v_min3_f16 v49, v50, v98, v49
	v_cvt_f32_f16_e32 v49, v49
	v_max_f32_e32 v48, v48, v48
	v_min_f32_e32 v48, v48, v49
	v_cvt_f16_f32_e32 v50, v48
	v_lshl_add_u64 v[48:49], v[38:39], 1, v[28:29]
	flat_store_short v[48:49], v50
	s_or_b64 exec, exec, s[20:21]
	s_and_b64 s[28:29], s[10:11], s[18:19]
	s_and_saveexec_b64 s[20:21], s[28:29]
	s_cbranch_execz .LBB222_143
.LBB222_162:
	s_and_b64 vcc, exec, s[0:1]
	s_cbranch_vccnz .LBB222_164
; %bb.163:
	v_lshl_add_u64 v[48:49], v[40:41], 1, v[30:31]
	flat_load_ushort v48, v[48:49]
	s_waitcnt vmcnt(0) lgkmcnt(0)
	v_mul_f16_e32 v48, v52, v48
	v_cvt_f32_f16_e32 v48, v48
	s_branch .LBB222_165
.LBB222_164:
	v_mov_b32_e32 v48, 0
.LBB222_165:
	v_pk_add_f16 v49, v8, v24
	v_max_f16_e32 v50, v97, v97
	v_lshrrev_b32_e32 v51, 16, v97
	v_pk_add_f16 v97, v9, v25
	v_min_f16_e32 v50, v50, v49
	v_lshrrev_b32_e32 v49, 16, v49
	v_lshrrev_b32_e32 v98, 16, v97
	v_min3_f16 v49, v51, v49, v98
	v_min3_f16 v49, v50, v97, v49
	v_cvt_f32_f16_e32 v49, v49
	v_max_f32_e32 v48, v48, v48
	v_min_f32_e32 v48, v48, v49
	v_cvt_f16_f32_e32 v50, v48
	v_lshl_add_u64 v[48:49], v[40:41], 1, v[28:29]
	flat_store_short v[48:49], v50
	s_or_b64 exec, exec, s[20:21]
	s_and_b64 s[28:29], s[12:13], s[18:19]
	s_and_saveexec_b64 s[20:21], s[28:29]
	s_cbranch_execz .LBB222_144
.LBB222_166:
	s_and_b64 vcc, exec, s[0:1]
	s_cbranch_vccnz .LBB222_168
; %bb.167:
	v_lshl_add_u64 v[48:49], v[42:43], 1, v[30:31]
	flat_load_ushort v48, v[48:49]
	s_waitcnt vmcnt(0) lgkmcnt(0)
	v_mul_f16_e32 v48, v52, v48
	v_cvt_f32_f16_e32 v48, v48
	s_branch .LBB222_169
.LBB222_168:
	v_mov_b32_e32 v48, 0
.LBB222_169:
	v_pk_add_f16 v49, v10, v24
	v_max_f16_e32 v50, v96, v96
	v_lshrrev_b32_e32 v51, 16, v96
	v_pk_add_f16 v96, v11, v25
	v_min_f16_e32 v50, v50, v49
	v_lshrrev_b32_e32 v49, 16, v49
	v_lshrrev_b32_e32 v97, 16, v96
	v_min3_f16 v49, v51, v49, v97
	v_min3_f16 v49, v50, v96, v49
	v_cvt_f32_f16_e32 v49, v49
	v_max_f32_e32 v48, v48, v48
	v_min_f32_e32 v48, v48, v49
	v_cvt_f16_f32_e32 v50, v48
	v_lshl_add_u64 v[48:49], v[42:43], 1, v[28:29]
	flat_store_short v[48:49], v50
	s_or_b64 exec, exec, s[20:21]
	s_and_b64 s[28:29], s[14:15], s[18:19]
	s_and_saveexec_b64 s[20:21], s[28:29]
	s_cbranch_execz .LBB222_145
.LBB222_170:
	s_and_b64 vcc, exec, s[0:1]
	s_cbranch_vccnz .LBB222_172
; %bb.171:
	v_lshl_add_u64 v[48:49], v[44:45], 1, v[30:31]
	flat_load_ushort v48, v[48:49]
	s_waitcnt vmcnt(0) lgkmcnt(0)
	v_mul_f16_e32 v48, v52, v48
	v_cvt_f32_f16_e32 v48, v48
	s_branch .LBB222_173
.LBB222_172:
	v_mov_b32_e32 v48, 0
.LBB222_173:
	v_pk_add_f16 v49, v0, v24
	v_max_f16_e32 v50, v95, v95
	v_lshrrev_b32_e32 v51, 16, v95
	v_pk_add_f16 v95, v1, v25
	v_min_f16_e32 v50, v50, v49
	v_lshrrev_b32_e32 v49, 16, v49
	v_lshrrev_b32_e32 v96, 16, v95
	v_min3_f16 v49, v51, v49, v96
	v_min3_f16 v49, v50, v95, v49
	v_cvt_f32_f16_e32 v49, v49
	v_max_f32_e32 v48, v48, v48
	v_min_f32_e32 v48, v48, v49
	v_cvt_f16_f32_e32 v50, v48
	v_lshl_add_u64 v[48:49], v[44:45], 1, v[28:29]
	flat_store_short v[48:49], v50
	s_or_b64 exec, exec, s[20:21]
	s_and_b64 s[20:21], s[16:17], s[18:19]
	s_and_saveexec_b64 s[18:19], s[20:21]
	s_cbranch_execz .LBB222_178
.LBB222_174:
	s_and_b64 vcc, exec, s[0:1]
	s_cbranch_vccnz .LBB222_176
; %bb.175:
	v_lshl_add_u64 v[30:31], v[46:47], 1, v[30:31]
	flat_load_ushort v30, v[30:31]
	s_waitcnt vmcnt(0) lgkmcnt(0)
	v_mul_f16_e32 v30, v52, v30
	v_cvt_f32_f16_e32 v30, v30
	s_branch .LBB222_177
.LBB222_176:
	v_mov_b32_e32 v30, 0
.LBB222_177:
	v_pk_add_f16 v24, v2, v24
	v_max_f16_e32 v31, v94, v94
	v_pk_add_f16 v25, v3, v25
	v_min_f16_e32 v31, v31, v24
	v_lshrrev_b32_e32 v48, 16, v94
	v_lshrrev_b32_e32 v24, 16, v24
	;; [unrolled: 1-line block ×3, first 2 shown]
	v_min3_f16 v24, v48, v24, v49
	v_min3_f16 v24, v31, v25, v24
	v_cvt_f32_f16_e32 v24, v24
	v_max_f32_e32 v25, v30, v30
	v_min_f32_e32 v24, v25, v24
	v_cvt_f16_f32_e32 v30, v24
	v_lshl_add_u64 v[24:25], v[46:47], 1, v[28:29]
	flat_store_short v[24:25], v30
.LBB222_178:
	s_or_b64 exec, exec, s[18:19]
	v_add_u32_e32 v30, 0x60, v93
	v_mad_i64_i32 v[24:25], s[20:21], v30, s31, 0
	v_cmp_gt_i32_e64 s[18:19], s25, v30
	v_lshl_add_u64 v[28:29], v[24:25], 1, s[22:23]
	v_mad_i64_i32 v[24:25], s[20:21], v30, s30, 0
	v_lshl_add_u64 v[24:25], v[24:25], 1, s[26:27]
	s_and_b64 s[28:29], s[4:5], s[18:19]
	s_and_saveexec_b64 s[20:21], s[28:29]
	s_cbranch_execnz .LBB222_186
; %bb.179:
	s_or_b64 exec, exec, s[20:21]
	s_and_b64 s[28:29], s[2:3], s[18:19]
	s_and_saveexec_b64 s[20:21], s[28:29]
	s_cbranch_execnz .LBB222_190
.LBB222_180:
	s_or_b64 exec, exec, s[20:21]
	s_and_b64 s[28:29], s[6:7], s[18:19]
	s_and_saveexec_b64 s[20:21], s[28:29]
	s_cbranch_execnz .LBB222_194
.LBB222_181:
	s_or_b64 exec, exec, s[20:21]
	s_and_b64 s[28:29], s[8:9], s[18:19]
	s_and_saveexec_b64 s[20:21], s[28:29]
	s_cbranch_execnz .LBB222_198
.LBB222_182:
	s_or_b64 exec, exec, s[20:21]
	s_and_b64 s[28:29], s[10:11], s[18:19]
	s_and_saveexec_b64 s[20:21], s[28:29]
	s_cbranch_execnz .LBB222_202
.LBB222_183:
	s_or_b64 exec, exec, s[20:21]
	s_and_b64 s[28:29], s[12:13], s[18:19]
	s_and_saveexec_b64 s[20:21], s[28:29]
	s_cbranch_execnz .LBB222_206
.LBB222_184:
	s_or_b64 exec, exec, s[20:21]
	s_and_b64 s[28:29], s[14:15], s[18:19]
	s_and_saveexec_b64 s[20:21], s[28:29]
	s_cbranch_execnz .LBB222_210
.LBB222_185:
	s_or_b64 exec, exec, s[20:21]
	s_and_b64 s[20:21], s[16:17], s[18:19]
	s_and_saveexec_b64 s[18:19], s[20:21]
	s_cbranch_execnz .LBB222_214
	s_branch .LBB222_218
.LBB222_186:
	s_and_b64 vcc, exec, s[0:1]
	s_cbranch_vccnz .LBB222_188
; %bb.187:
	v_lshl_add_u64 v[30:31], v[32:33], 1, v[28:29]
	flat_load_ushort v30, v[30:31]
	s_waitcnt vmcnt(0) lgkmcnt(0)
	v_mul_f16_e32 v30, v52, v30
	v_cvt_f32_f16_e32 v30, v30
	s_branch .LBB222_189
.LBB222_188:
	v_mov_b32_e32 v30, 0
.LBB222_189:
	v_pk_add_f16 v31, v16, v26
	v_max_f16_e32 v48, v92, v92
	v_pk_add_f16 v50, v17, v27
	v_min_f16_e32 v48, v48, v31
	v_lshrrev_b32_e32 v49, 16, v92
	v_lshrrev_b32_e32 v31, 16, v31
	v_lshrrev_b32_e32 v51, 16, v50
	v_min3_f16 v31, v49, v31, v51
	v_min3_f16 v31, v48, v50, v31
	v_cvt_f32_f16_e32 v31, v31
	v_max_f32_e32 v30, v30, v30
	v_min_f32_e32 v30, v30, v31
	v_cvt_f16_f32_e32 v48, v30
	v_lshl_add_u64 v[30:31], v[32:33], 1, v[24:25]
	flat_store_short v[30:31], v48
	s_or_b64 exec, exec, s[20:21]
	s_and_b64 s[28:29], s[2:3], s[18:19]
	s_and_saveexec_b64 s[20:21], s[28:29]
	s_cbranch_execz .LBB222_180
.LBB222_190:
	s_and_b64 vcc, exec, s[0:1]
	s_cbranch_vccnz .LBB222_192
; %bb.191:
	v_lshl_add_u64 v[30:31], v[34:35], 1, v[28:29]
	flat_load_ushort v30, v[30:31]
	s_waitcnt vmcnt(0) lgkmcnt(0)
	v_mul_f16_e32 v30, v52, v30
	v_cvt_f32_f16_e32 v30, v30
	s_branch .LBB222_193
.LBB222_192:
	v_mov_b32_e32 v30, 0
.LBB222_193:
	v_pk_add_f16 v31, v18, v26
	v_max_f16_e32 v48, v91, v91
	v_pk_add_f16 v50, v19, v27
	v_min_f16_e32 v48, v48, v31
	v_lshrrev_b32_e32 v49, 16, v91
	v_lshrrev_b32_e32 v31, 16, v31
	v_lshrrev_b32_e32 v51, 16, v50
	v_min3_f16 v31, v49, v31, v51
	v_min3_f16 v31, v48, v50, v31
	v_cvt_f32_f16_e32 v31, v31
	v_max_f32_e32 v30, v30, v30
	v_min_f32_e32 v30, v30, v31
	v_cvt_f16_f32_e32 v48, v30
	v_lshl_add_u64 v[30:31], v[34:35], 1, v[24:25]
	flat_store_short v[30:31], v48
	s_or_b64 exec, exec, s[20:21]
	s_and_b64 s[28:29], s[6:7], s[18:19]
	s_and_saveexec_b64 s[20:21], s[28:29]
	s_cbranch_execz .LBB222_181
.LBB222_194:
	s_and_b64 vcc, exec, s[0:1]
	s_cbranch_vccnz .LBB222_196
; %bb.195:
	v_lshl_add_u64 v[30:31], v[36:37], 1, v[28:29]
	flat_load_ushort v30, v[30:31]
	s_waitcnt vmcnt(0) lgkmcnt(0)
	v_mul_f16_e32 v30, v52, v30
	v_cvt_f32_f16_e32 v30, v30
	s_branch .LBB222_197
.LBB222_196:
	v_mov_b32_e32 v30, 0
.LBB222_197:
	v_pk_add_f16 v31, v12, v26
	v_max_f16_e32 v48, v90, v90
	v_pk_add_f16 v50, v13, v27
	v_min_f16_e32 v48, v48, v31
	v_lshrrev_b32_e32 v49, 16, v90
	v_lshrrev_b32_e32 v31, 16, v31
	;; [unrolled: 1-line block ×3, first 2 shown]
	v_min3_f16 v31, v49, v31, v51
	v_min3_f16 v31, v48, v50, v31
	v_cvt_f32_f16_e32 v31, v31
	v_max_f32_e32 v30, v30, v30
	v_min_f32_e32 v30, v30, v31
	v_cvt_f16_f32_e32 v48, v30
	v_lshl_add_u64 v[30:31], v[36:37], 1, v[24:25]
	flat_store_short v[30:31], v48
	s_or_b64 exec, exec, s[20:21]
	s_and_b64 s[28:29], s[8:9], s[18:19]
	s_and_saveexec_b64 s[20:21], s[28:29]
	s_cbranch_execz .LBB222_182
.LBB222_198:
	s_and_b64 vcc, exec, s[0:1]
	s_cbranch_vccnz .LBB222_200
; %bb.199:
	v_lshl_add_u64 v[30:31], v[38:39], 1, v[28:29]
	flat_load_ushort v30, v[30:31]
	s_waitcnt vmcnt(0) lgkmcnt(0)
	v_mul_f16_e32 v30, v52, v30
	v_cvt_f32_f16_e32 v30, v30
	s_branch .LBB222_201
.LBB222_200:
	v_mov_b32_e32 v30, 0
.LBB222_201:
	v_pk_add_f16 v31, v14, v26
	v_max_f16_e32 v48, v89, v89
	v_pk_add_f16 v50, v15, v27
	v_min_f16_e32 v48, v48, v31
	v_lshrrev_b32_e32 v49, 16, v89
	v_lshrrev_b32_e32 v31, 16, v31
	;; [unrolled: 1-line block ×3, first 2 shown]
	v_min3_f16 v31, v49, v31, v51
	v_min3_f16 v31, v48, v50, v31
	v_cvt_f32_f16_e32 v31, v31
	v_max_f32_e32 v30, v30, v30
	v_min_f32_e32 v30, v30, v31
	v_cvt_f16_f32_e32 v48, v30
	v_lshl_add_u64 v[30:31], v[38:39], 1, v[24:25]
	flat_store_short v[30:31], v48
	s_or_b64 exec, exec, s[20:21]
	s_and_b64 s[28:29], s[10:11], s[18:19]
	s_and_saveexec_b64 s[20:21], s[28:29]
	s_cbranch_execz .LBB222_183
.LBB222_202:
	s_and_b64 vcc, exec, s[0:1]
	s_cbranch_vccnz .LBB222_204
; %bb.203:
	v_lshl_add_u64 v[30:31], v[40:41], 1, v[28:29]
	flat_load_ushort v30, v[30:31]
	s_waitcnt vmcnt(0) lgkmcnt(0)
	v_mul_f16_e32 v30, v52, v30
	v_cvt_f32_f16_e32 v30, v30
	s_branch .LBB222_205
.LBB222_204:
	v_mov_b32_e32 v30, 0
.LBB222_205:
	v_pk_add_f16 v31, v8, v26
	v_max_f16_e32 v48, v88, v88
	v_pk_add_f16 v50, v9, v27
	v_min_f16_e32 v48, v48, v31
	v_lshrrev_b32_e32 v49, 16, v88
	v_lshrrev_b32_e32 v31, 16, v31
	v_lshrrev_b32_e32 v51, 16, v50
	v_min3_f16 v31, v49, v31, v51
	v_min3_f16 v31, v48, v50, v31
	v_cvt_f32_f16_e32 v31, v31
	v_max_f32_e32 v30, v30, v30
	v_min_f32_e32 v30, v30, v31
	v_cvt_f16_f32_e32 v48, v30
	v_lshl_add_u64 v[30:31], v[40:41], 1, v[24:25]
	flat_store_short v[30:31], v48
	s_or_b64 exec, exec, s[20:21]
	s_and_b64 s[28:29], s[12:13], s[18:19]
	s_and_saveexec_b64 s[20:21], s[28:29]
	s_cbranch_execz .LBB222_184
.LBB222_206:
	s_and_b64 vcc, exec, s[0:1]
	s_cbranch_vccnz .LBB222_208
; %bb.207:
	v_lshl_add_u64 v[30:31], v[42:43], 1, v[28:29]
	flat_load_ushort v30, v[30:31]
	s_waitcnt vmcnt(0) lgkmcnt(0)
	v_mul_f16_e32 v30, v52, v30
	v_cvt_f32_f16_e32 v30, v30
	s_branch .LBB222_209
.LBB222_208:
	v_mov_b32_e32 v30, 0
.LBB222_209:
	v_pk_add_f16 v31, v10, v26
	v_max_f16_e32 v48, v87, v87
	v_pk_add_f16 v50, v11, v27
	v_min_f16_e32 v48, v48, v31
	v_lshrrev_b32_e32 v49, 16, v87
	v_lshrrev_b32_e32 v31, 16, v31
	;; [unrolled: 1-line block ×3, first 2 shown]
	v_min3_f16 v31, v49, v31, v51
	v_min3_f16 v31, v48, v50, v31
	v_cvt_f32_f16_e32 v31, v31
	v_max_f32_e32 v30, v30, v30
	v_min_f32_e32 v30, v30, v31
	v_cvt_f16_f32_e32 v48, v30
	v_lshl_add_u64 v[30:31], v[42:43], 1, v[24:25]
	flat_store_short v[30:31], v48
	s_or_b64 exec, exec, s[20:21]
	s_and_b64 s[28:29], s[14:15], s[18:19]
	s_and_saveexec_b64 s[20:21], s[28:29]
	s_cbranch_execz .LBB222_185
.LBB222_210:
	s_and_b64 vcc, exec, s[0:1]
	s_cbranch_vccnz .LBB222_212
; %bb.211:
	v_lshl_add_u64 v[30:31], v[44:45], 1, v[28:29]
	flat_load_ushort v30, v[30:31]
	s_waitcnt vmcnt(0) lgkmcnt(0)
	v_mul_f16_e32 v30, v52, v30
	v_cvt_f32_f16_e32 v30, v30
	s_branch .LBB222_213
.LBB222_212:
	v_mov_b32_e32 v30, 0
.LBB222_213:
	v_pk_add_f16 v31, v0, v26
	v_max_f16_e32 v48, v86, v86
	v_pk_add_f16 v50, v1, v27
	v_min_f16_e32 v48, v48, v31
	v_lshrrev_b32_e32 v49, 16, v86
	v_lshrrev_b32_e32 v31, 16, v31
	;; [unrolled: 1-line block ×3, first 2 shown]
	v_min3_f16 v31, v49, v31, v51
	v_min3_f16 v31, v48, v50, v31
	v_cvt_f32_f16_e32 v31, v31
	v_max_f32_e32 v30, v30, v30
	v_min_f32_e32 v30, v30, v31
	v_cvt_f16_f32_e32 v48, v30
	v_lshl_add_u64 v[30:31], v[44:45], 1, v[24:25]
	flat_store_short v[30:31], v48
	s_or_b64 exec, exec, s[20:21]
	s_and_b64 s[20:21], s[16:17], s[18:19]
	s_and_saveexec_b64 s[18:19], s[20:21]
	s_cbranch_execz .LBB222_218
.LBB222_214:
	s_and_b64 vcc, exec, s[0:1]
	s_cbranch_vccnz .LBB222_216
; %bb.215:
	v_lshl_add_u64 v[28:29], v[46:47], 1, v[28:29]
	flat_load_ushort v28, v[28:29]
	s_waitcnt vmcnt(0) lgkmcnt(0)
	v_mul_f16_e32 v28, v52, v28
	v_cvt_f32_f16_e32 v28, v28
	s_branch .LBB222_217
.LBB222_216:
	v_mov_b32_e32 v28, 0
.LBB222_217:
	v_pk_add_f16 v26, v2, v26
	v_max_f16_e32 v29, v85, v85
	v_pk_add_f16 v27, v3, v27
	v_min_f16_e32 v29, v29, v26
	v_lshrrev_b32_e32 v30, 16, v85
	v_lshrrev_b32_e32 v26, 16, v26
	;; [unrolled: 1-line block ×3, first 2 shown]
	v_min3_f16 v26, v30, v26, v31
	v_min3_f16 v26, v29, v27, v26
	v_cvt_f32_f16_e32 v26, v26
	v_max_f32_e32 v27, v28, v28
	v_lshl_add_u64 v[24:25], v[46:47], 1, v[24:25]
	v_min_f32_e32 v26, v27, v26
	v_cvt_f16_f32_e32 v26, v26
	flat_store_short v[24:25], v26
.LBB222_218:
	s_or_b64 exec, exec, s[18:19]
	v_add_u32_e32 v28, 0x80, v93
	v_mad_i64_i32 v[24:25], s[20:21], v28, s31, 0
	v_cmp_gt_i32_e64 s[18:19], s25, v28
	v_lshl_add_u64 v[26:27], v[24:25], 1, s[22:23]
	v_mad_i64_i32 v[24:25], s[20:21], v28, s30, 0
	v_lshl_add_u64 v[24:25], v[24:25], 1, s[26:27]
	s_and_b64 s[28:29], s[4:5], s[18:19]
	s_and_saveexec_b64 s[20:21], s[28:29]
	s_cbranch_execnz .LBB222_226
; %bb.219:
	s_or_b64 exec, exec, s[20:21]
	s_and_b64 s[28:29], s[2:3], s[18:19]
	s_and_saveexec_b64 s[20:21], s[28:29]
	s_cbranch_execnz .LBB222_230
.LBB222_220:
	s_or_b64 exec, exec, s[20:21]
	s_and_b64 s[28:29], s[6:7], s[18:19]
	s_and_saveexec_b64 s[20:21], s[28:29]
	s_cbranch_execnz .LBB222_234
.LBB222_221:
	s_or_b64 exec, exec, s[20:21]
	s_and_b64 s[28:29], s[8:9], s[18:19]
	s_and_saveexec_b64 s[20:21], s[28:29]
	s_cbranch_execnz .LBB222_238
.LBB222_222:
	s_or_b64 exec, exec, s[20:21]
	s_and_b64 s[28:29], s[10:11], s[18:19]
	s_and_saveexec_b64 s[20:21], s[28:29]
	s_cbranch_execnz .LBB222_242
.LBB222_223:
	s_or_b64 exec, exec, s[20:21]
	s_and_b64 s[28:29], s[12:13], s[18:19]
	s_and_saveexec_b64 s[20:21], s[28:29]
	s_cbranch_execnz .LBB222_246
.LBB222_224:
	s_or_b64 exec, exec, s[20:21]
	s_and_b64 s[28:29], s[14:15], s[18:19]
	s_and_saveexec_b64 s[20:21], s[28:29]
	s_cbranch_execnz .LBB222_250
.LBB222_225:
	s_or_b64 exec, exec, s[20:21]
	s_and_b64 s[20:21], s[16:17], s[18:19]
	s_and_saveexec_b64 s[18:19], s[20:21]
	s_cbranch_execnz .LBB222_254
	s_branch .LBB222_258
.LBB222_226:
	s_and_b64 vcc, exec, s[0:1]
	s_cbranch_vccnz .LBB222_228
; %bb.227:
	v_lshl_add_u64 v[28:29], v[32:33], 1, v[26:27]
	flat_load_ushort v28, v[28:29]
	s_waitcnt vmcnt(0) lgkmcnt(0)
	v_mul_f16_e32 v28, v52, v28
	v_cvt_f32_f16_e32 v28, v28
	s_branch .LBB222_229
.LBB222_228:
	v_mov_b32_e32 v28, 0
.LBB222_229:
	v_pk_add_f16 v29, v16, v20
	v_max_f16_e32 v30, v84, v84
	v_pk_add_f16 v48, v17, v21
	v_min_f16_e32 v30, v30, v29
	v_lshrrev_b32_e32 v31, 16, v84
	v_lshrrev_b32_e32 v29, 16, v29
	;; [unrolled: 1-line block ×3, first 2 shown]
	v_min3_f16 v29, v31, v29, v49
	v_min3_f16 v29, v30, v48, v29
	v_cvt_f32_f16_e32 v29, v29
	v_max_f32_e32 v28, v28, v28
	v_min_f32_e32 v28, v28, v29
	v_cvt_f16_f32_e32 v30, v28
	v_lshl_add_u64 v[28:29], v[32:33], 1, v[24:25]
	flat_store_short v[28:29], v30
	s_or_b64 exec, exec, s[20:21]
	s_and_b64 s[28:29], s[2:3], s[18:19]
	s_and_saveexec_b64 s[20:21], s[28:29]
	s_cbranch_execz .LBB222_220
.LBB222_230:
	s_and_b64 vcc, exec, s[0:1]
	s_cbranch_vccnz .LBB222_232
; %bb.231:
	v_lshl_add_u64 v[28:29], v[34:35], 1, v[26:27]
	flat_load_ushort v28, v[28:29]
	s_waitcnt vmcnt(0) lgkmcnt(0)
	v_mul_f16_e32 v28, v52, v28
	v_cvt_f32_f16_e32 v28, v28
	s_branch .LBB222_233
.LBB222_232:
	v_mov_b32_e32 v28, 0
.LBB222_233:
	v_pk_add_f16 v29, v18, v20
	v_max_f16_e32 v30, v83, v83
	v_pk_add_f16 v48, v19, v21
	v_min_f16_e32 v30, v30, v29
	v_lshrrev_b32_e32 v31, 16, v83
	v_lshrrev_b32_e32 v29, 16, v29
	;; [unrolled: 1-line block ×3, first 2 shown]
	v_min3_f16 v29, v31, v29, v49
	v_min3_f16 v29, v30, v48, v29
	v_cvt_f32_f16_e32 v29, v29
	v_max_f32_e32 v28, v28, v28
	v_min_f32_e32 v28, v28, v29
	v_cvt_f16_f32_e32 v30, v28
	v_lshl_add_u64 v[28:29], v[34:35], 1, v[24:25]
	flat_store_short v[28:29], v30
	s_or_b64 exec, exec, s[20:21]
	s_and_b64 s[28:29], s[6:7], s[18:19]
	s_and_saveexec_b64 s[20:21], s[28:29]
	s_cbranch_execz .LBB222_221
.LBB222_234:
	s_and_b64 vcc, exec, s[0:1]
	s_cbranch_vccnz .LBB222_236
; %bb.235:
	v_lshl_add_u64 v[28:29], v[36:37], 1, v[26:27]
	flat_load_ushort v28, v[28:29]
	s_waitcnt vmcnt(0) lgkmcnt(0)
	v_mul_f16_e32 v28, v52, v28
	v_cvt_f32_f16_e32 v28, v28
	s_branch .LBB222_237
.LBB222_236:
	v_mov_b32_e32 v28, 0
.LBB222_237:
	v_pk_add_f16 v29, v12, v20
	v_max_f16_e32 v30, v82, v82
	v_pk_add_f16 v48, v13, v21
	v_min_f16_e32 v30, v30, v29
	v_lshrrev_b32_e32 v31, 16, v82
	v_lshrrev_b32_e32 v29, 16, v29
	;; [unrolled: 1-line block ×3, first 2 shown]
	v_min3_f16 v29, v31, v29, v49
	v_min3_f16 v29, v30, v48, v29
	v_cvt_f32_f16_e32 v29, v29
	v_max_f32_e32 v28, v28, v28
	v_min_f32_e32 v28, v28, v29
	v_cvt_f16_f32_e32 v30, v28
	v_lshl_add_u64 v[28:29], v[36:37], 1, v[24:25]
	flat_store_short v[28:29], v30
	s_or_b64 exec, exec, s[20:21]
	s_and_b64 s[28:29], s[8:9], s[18:19]
	s_and_saveexec_b64 s[20:21], s[28:29]
	s_cbranch_execz .LBB222_222
.LBB222_238:
	s_and_b64 vcc, exec, s[0:1]
	s_cbranch_vccnz .LBB222_240
; %bb.239:
	v_lshl_add_u64 v[28:29], v[38:39], 1, v[26:27]
	flat_load_ushort v28, v[28:29]
	s_waitcnt vmcnt(0) lgkmcnt(0)
	v_mul_f16_e32 v28, v52, v28
	v_cvt_f32_f16_e32 v28, v28
	s_branch .LBB222_241
.LBB222_240:
	v_mov_b32_e32 v28, 0
.LBB222_241:
	v_pk_add_f16 v29, v14, v20
	v_max_f16_e32 v30, v81, v81
	v_pk_add_f16 v48, v15, v21
	v_min_f16_e32 v30, v30, v29
	v_lshrrev_b32_e32 v31, 16, v81
	v_lshrrev_b32_e32 v29, 16, v29
	;; [unrolled: 1-line block ×3, first 2 shown]
	v_min3_f16 v29, v31, v29, v49
	v_min3_f16 v29, v30, v48, v29
	v_cvt_f32_f16_e32 v29, v29
	v_max_f32_e32 v28, v28, v28
	v_min_f32_e32 v28, v28, v29
	v_cvt_f16_f32_e32 v30, v28
	v_lshl_add_u64 v[28:29], v[38:39], 1, v[24:25]
	flat_store_short v[28:29], v30
	s_or_b64 exec, exec, s[20:21]
	s_and_b64 s[28:29], s[10:11], s[18:19]
	s_and_saveexec_b64 s[20:21], s[28:29]
	s_cbranch_execz .LBB222_223
.LBB222_242:
	s_and_b64 vcc, exec, s[0:1]
	s_cbranch_vccnz .LBB222_244
; %bb.243:
	v_lshl_add_u64 v[28:29], v[40:41], 1, v[26:27]
	flat_load_ushort v28, v[28:29]
	s_waitcnt vmcnt(0) lgkmcnt(0)
	v_mul_f16_e32 v28, v52, v28
	v_cvt_f32_f16_e32 v28, v28
	s_branch .LBB222_245
.LBB222_244:
	v_mov_b32_e32 v28, 0
.LBB222_245:
	v_pk_add_f16 v29, v8, v20
	v_max_f16_e32 v30, v80, v80
	v_pk_add_f16 v48, v9, v21
	v_min_f16_e32 v30, v30, v29
	v_lshrrev_b32_e32 v31, 16, v80
	v_lshrrev_b32_e32 v29, 16, v29
	v_lshrrev_b32_e32 v49, 16, v48
	v_min3_f16 v29, v31, v29, v49
	v_min3_f16 v29, v30, v48, v29
	v_cvt_f32_f16_e32 v29, v29
	v_max_f32_e32 v28, v28, v28
	v_min_f32_e32 v28, v28, v29
	v_cvt_f16_f32_e32 v30, v28
	v_lshl_add_u64 v[28:29], v[40:41], 1, v[24:25]
	flat_store_short v[28:29], v30
	s_or_b64 exec, exec, s[20:21]
	s_and_b64 s[28:29], s[12:13], s[18:19]
	s_and_saveexec_b64 s[20:21], s[28:29]
	s_cbranch_execz .LBB222_224
.LBB222_246:
	s_and_b64 vcc, exec, s[0:1]
	s_cbranch_vccnz .LBB222_248
; %bb.247:
	v_lshl_add_u64 v[28:29], v[42:43], 1, v[26:27]
	flat_load_ushort v28, v[28:29]
	s_waitcnt vmcnt(0) lgkmcnt(0)
	v_mul_f16_e32 v28, v52, v28
	v_cvt_f32_f16_e32 v28, v28
	s_branch .LBB222_249
.LBB222_248:
	v_mov_b32_e32 v28, 0
.LBB222_249:
	v_pk_add_f16 v29, v10, v20
	v_max_f16_e32 v30, v79, v79
	v_pk_add_f16 v48, v11, v21
	v_min_f16_e32 v30, v30, v29
	v_lshrrev_b32_e32 v31, 16, v79
	v_lshrrev_b32_e32 v29, 16, v29
	v_lshrrev_b32_e32 v49, 16, v48
	v_min3_f16 v29, v31, v29, v49
	v_min3_f16 v29, v30, v48, v29
	v_cvt_f32_f16_e32 v29, v29
	v_max_f32_e32 v28, v28, v28
	v_min_f32_e32 v28, v28, v29
	v_cvt_f16_f32_e32 v30, v28
	v_lshl_add_u64 v[28:29], v[42:43], 1, v[24:25]
	flat_store_short v[28:29], v30
	s_or_b64 exec, exec, s[20:21]
	s_and_b64 s[28:29], s[14:15], s[18:19]
	s_and_saveexec_b64 s[20:21], s[28:29]
	s_cbranch_execz .LBB222_225
.LBB222_250:
	s_and_b64 vcc, exec, s[0:1]
	s_cbranch_vccnz .LBB222_252
; %bb.251:
	v_lshl_add_u64 v[28:29], v[44:45], 1, v[26:27]
	flat_load_ushort v28, v[28:29]
	s_waitcnt vmcnt(0) lgkmcnt(0)
	v_mul_f16_e32 v28, v52, v28
	v_cvt_f32_f16_e32 v28, v28
	s_branch .LBB222_253
.LBB222_252:
	v_mov_b32_e32 v28, 0
.LBB222_253:
	v_pk_add_f16 v29, v0, v20
	v_max_f16_e32 v30, v78, v78
	v_pk_add_f16 v48, v1, v21
	v_min_f16_e32 v30, v30, v29
	v_lshrrev_b32_e32 v31, 16, v78
	v_lshrrev_b32_e32 v29, 16, v29
	;; [unrolled: 1-line block ×3, first 2 shown]
	v_min3_f16 v29, v31, v29, v49
	v_min3_f16 v29, v30, v48, v29
	v_cvt_f32_f16_e32 v29, v29
	v_max_f32_e32 v28, v28, v28
	v_min_f32_e32 v28, v28, v29
	v_cvt_f16_f32_e32 v30, v28
	v_lshl_add_u64 v[28:29], v[44:45], 1, v[24:25]
	flat_store_short v[28:29], v30
	s_or_b64 exec, exec, s[20:21]
	s_and_b64 s[20:21], s[16:17], s[18:19]
	s_and_saveexec_b64 s[18:19], s[20:21]
	s_cbranch_execz .LBB222_258
.LBB222_254:
	s_and_b64 vcc, exec, s[0:1]
	s_cbranch_vccnz .LBB222_256
; %bb.255:
	v_lshl_add_u64 v[26:27], v[46:47], 1, v[26:27]
	flat_load_ushort v26, v[26:27]
	s_waitcnt vmcnt(0) lgkmcnt(0)
	v_mul_f16_e32 v26, v52, v26
	v_cvt_f32_f16_e32 v26, v26
	s_branch .LBB222_257
.LBB222_256:
	v_mov_b32_e32 v26, 0
.LBB222_257:
	v_pk_add_f16 v20, v2, v20
	v_max_f16_e32 v27, v77, v77
	v_pk_add_f16 v21, v3, v21
	v_min_f16_e32 v27, v27, v20
	v_lshrrev_b32_e32 v28, 16, v77
	v_lshrrev_b32_e32 v20, 16, v20
	;; [unrolled: 1-line block ×3, first 2 shown]
	v_min3_f16 v20, v28, v20, v29
	v_min3_f16 v20, v27, v21, v20
	v_cvt_f32_f16_e32 v20, v20
	v_max_f32_e32 v21, v26, v26
	v_min_f32_e32 v20, v21, v20
	v_cvt_f16_f32_e32 v26, v20
	v_lshl_add_u64 v[20:21], v[46:47], 1, v[24:25]
	flat_store_short v[20:21], v26
.LBB222_258:
	s_or_b64 exec, exec, s[18:19]
	v_add_u32_e32 v26, 0xa0, v93
	v_mad_i64_i32 v[20:21], s[20:21], v26, s31, 0
	v_cmp_gt_i32_e64 s[18:19], s25, v26
	v_lshl_add_u64 v[24:25], v[20:21], 1, s[22:23]
	v_mad_i64_i32 v[20:21], s[20:21], v26, s30, 0
	v_lshl_add_u64 v[20:21], v[20:21], 1, s[26:27]
	s_and_b64 s[28:29], s[4:5], s[18:19]
	s_and_saveexec_b64 s[20:21], s[28:29]
	s_cbranch_execnz .LBB222_266
; %bb.259:
	s_or_b64 exec, exec, s[20:21]
	s_and_b64 s[28:29], s[2:3], s[18:19]
	s_and_saveexec_b64 s[20:21], s[28:29]
	s_cbranch_execnz .LBB222_270
.LBB222_260:
	s_or_b64 exec, exec, s[20:21]
	s_and_b64 s[28:29], s[6:7], s[18:19]
	s_and_saveexec_b64 s[20:21], s[28:29]
	s_cbranch_execnz .LBB222_274
.LBB222_261:
	s_or_b64 exec, exec, s[20:21]
	s_and_b64 s[28:29], s[8:9], s[18:19]
	s_and_saveexec_b64 s[20:21], s[28:29]
	s_cbranch_execnz .LBB222_278
.LBB222_262:
	s_or_b64 exec, exec, s[20:21]
	s_and_b64 s[28:29], s[10:11], s[18:19]
	s_and_saveexec_b64 s[20:21], s[28:29]
	s_cbranch_execnz .LBB222_282
.LBB222_263:
	s_or_b64 exec, exec, s[20:21]
	s_and_b64 s[28:29], s[12:13], s[18:19]
	s_and_saveexec_b64 s[20:21], s[28:29]
	s_cbranch_execnz .LBB222_286
.LBB222_264:
	s_or_b64 exec, exec, s[20:21]
	s_and_b64 s[28:29], s[14:15], s[18:19]
	s_and_saveexec_b64 s[20:21], s[28:29]
	s_cbranch_execnz .LBB222_290
.LBB222_265:
	s_or_b64 exec, exec, s[20:21]
	s_and_b64 s[20:21], s[16:17], s[18:19]
	s_and_saveexec_b64 s[18:19], s[20:21]
	s_cbranch_execnz .LBB222_294
	s_branch .LBB222_298
.LBB222_266:
	s_and_b64 vcc, exec, s[0:1]
	s_cbranch_vccnz .LBB222_268
; %bb.267:
	v_lshl_add_u64 v[26:27], v[32:33], 1, v[24:25]
	flat_load_ushort v26, v[26:27]
	s_waitcnt vmcnt(0) lgkmcnt(0)
	v_mul_f16_e32 v26, v52, v26
	v_cvt_f32_f16_e32 v26, v26
	s_branch .LBB222_269
.LBB222_268:
	v_mov_b32_e32 v26, 0
.LBB222_269:
	v_pk_add_f16 v27, v16, v22
	v_max_f16_e32 v28, v76, v76
	v_pk_add_f16 v30, v17, v23
	v_min_f16_e32 v28, v28, v27
	v_lshrrev_b32_e32 v29, 16, v76
	v_lshrrev_b32_e32 v27, 16, v27
	;; [unrolled: 1-line block ×3, first 2 shown]
	v_min3_f16 v27, v29, v27, v31
	v_min3_f16 v27, v28, v30, v27
	v_cvt_f32_f16_e32 v27, v27
	v_max_f32_e32 v26, v26, v26
	v_min_f32_e32 v26, v26, v27
	v_cvt_f16_f32_e32 v28, v26
	v_lshl_add_u64 v[26:27], v[32:33], 1, v[20:21]
	flat_store_short v[26:27], v28
	s_or_b64 exec, exec, s[20:21]
	s_and_b64 s[28:29], s[2:3], s[18:19]
	s_and_saveexec_b64 s[20:21], s[28:29]
	s_cbranch_execz .LBB222_260
.LBB222_270:
	s_and_b64 vcc, exec, s[0:1]
	s_cbranch_vccnz .LBB222_272
; %bb.271:
	v_lshl_add_u64 v[26:27], v[34:35], 1, v[24:25]
	flat_load_ushort v26, v[26:27]
	s_waitcnt vmcnt(0) lgkmcnt(0)
	v_mul_f16_e32 v26, v52, v26
	v_cvt_f32_f16_e32 v26, v26
	s_branch .LBB222_273
.LBB222_272:
	v_mov_b32_e32 v26, 0
.LBB222_273:
	v_pk_add_f16 v27, v18, v22
	v_max_f16_e32 v28, v75, v75
	v_pk_add_f16 v30, v19, v23
	v_min_f16_e32 v28, v28, v27
	v_lshrrev_b32_e32 v29, 16, v75
	v_lshrrev_b32_e32 v27, 16, v27
	v_lshrrev_b32_e32 v31, 16, v30
	v_min3_f16 v27, v29, v27, v31
	v_min3_f16 v27, v28, v30, v27
	v_cvt_f32_f16_e32 v27, v27
	v_max_f32_e32 v26, v26, v26
	v_min_f32_e32 v26, v26, v27
	v_cvt_f16_f32_e32 v28, v26
	v_lshl_add_u64 v[26:27], v[34:35], 1, v[20:21]
	flat_store_short v[26:27], v28
	s_or_b64 exec, exec, s[20:21]
	s_and_b64 s[28:29], s[6:7], s[18:19]
	s_and_saveexec_b64 s[20:21], s[28:29]
	s_cbranch_execz .LBB222_261
.LBB222_274:
	s_and_b64 vcc, exec, s[0:1]
	s_cbranch_vccnz .LBB222_276
; %bb.275:
	v_lshl_add_u64 v[26:27], v[36:37], 1, v[24:25]
	flat_load_ushort v26, v[26:27]
	s_waitcnt vmcnt(0) lgkmcnt(0)
	v_mul_f16_e32 v26, v52, v26
	v_cvt_f32_f16_e32 v26, v26
	s_branch .LBB222_277
.LBB222_276:
	v_mov_b32_e32 v26, 0
.LBB222_277:
	v_pk_add_f16 v27, v12, v22
	v_max_f16_e32 v28, v74, v74
	v_pk_add_f16 v30, v13, v23
	v_min_f16_e32 v28, v28, v27
	v_lshrrev_b32_e32 v29, 16, v74
	v_lshrrev_b32_e32 v27, 16, v27
	;; [unrolled: 1-line block ×3, first 2 shown]
	v_min3_f16 v27, v29, v27, v31
	v_min3_f16 v27, v28, v30, v27
	v_cvt_f32_f16_e32 v27, v27
	v_max_f32_e32 v26, v26, v26
	v_min_f32_e32 v26, v26, v27
	v_cvt_f16_f32_e32 v28, v26
	v_lshl_add_u64 v[26:27], v[36:37], 1, v[20:21]
	flat_store_short v[26:27], v28
	s_or_b64 exec, exec, s[20:21]
	s_and_b64 s[28:29], s[8:9], s[18:19]
	s_and_saveexec_b64 s[20:21], s[28:29]
	s_cbranch_execz .LBB222_262
.LBB222_278:
	s_and_b64 vcc, exec, s[0:1]
	s_cbranch_vccnz .LBB222_280
; %bb.279:
	v_lshl_add_u64 v[26:27], v[38:39], 1, v[24:25]
	flat_load_ushort v26, v[26:27]
	s_waitcnt vmcnt(0) lgkmcnt(0)
	v_mul_f16_e32 v26, v52, v26
	v_cvt_f32_f16_e32 v26, v26
	s_branch .LBB222_281
.LBB222_280:
	v_mov_b32_e32 v26, 0
.LBB222_281:
	v_pk_add_f16 v27, v14, v22
	v_max_f16_e32 v28, v73, v73
	v_pk_add_f16 v30, v15, v23
	v_min_f16_e32 v28, v28, v27
	v_lshrrev_b32_e32 v29, 16, v73
	v_lshrrev_b32_e32 v27, 16, v27
	v_lshrrev_b32_e32 v31, 16, v30
	v_min3_f16 v27, v29, v27, v31
	v_min3_f16 v27, v28, v30, v27
	v_cvt_f32_f16_e32 v27, v27
	v_max_f32_e32 v26, v26, v26
	v_min_f32_e32 v26, v26, v27
	v_cvt_f16_f32_e32 v28, v26
	v_lshl_add_u64 v[26:27], v[38:39], 1, v[20:21]
	flat_store_short v[26:27], v28
	s_or_b64 exec, exec, s[20:21]
	s_and_b64 s[28:29], s[10:11], s[18:19]
	s_and_saveexec_b64 s[20:21], s[28:29]
	s_cbranch_execz .LBB222_263
.LBB222_282:
	s_and_b64 vcc, exec, s[0:1]
	s_cbranch_vccnz .LBB222_284
; %bb.283:
	v_lshl_add_u64 v[26:27], v[40:41], 1, v[24:25]
	flat_load_ushort v26, v[26:27]
	s_waitcnt vmcnt(0) lgkmcnt(0)
	v_mul_f16_e32 v26, v52, v26
	v_cvt_f32_f16_e32 v26, v26
	s_branch .LBB222_285
.LBB222_284:
	v_mov_b32_e32 v26, 0
.LBB222_285:
	v_pk_add_f16 v27, v8, v22
	v_max_f16_e32 v28, v72, v72
	v_pk_add_f16 v30, v9, v23
	v_min_f16_e32 v28, v28, v27
	v_lshrrev_b32_e32 v29, 16, v72
	v_lshrrev_b32_e32 v27, 16, v27
	;; [unrolled: 1-line block ×3, first 2 shown]
	v_min3_f16 v27, v29, v27, v31
	v_min3_f16 v27, v28, v30, v27
	v_cvt_f32_f16_e32 v27, v27
	v_max_f32_e32 v26, v26, v26
	v_min_f32_e32 v26, v26, v27
	v_cvt_f16_f32_e32 v28, v26
	v_lshl_add_u64 v[26:27], v[40:41], 1, v[20:21]
	flat_store_short v[26:27], v28
	s_or_b64 exec, exec, s[20:21]
	s_and_b64 s[28:29], s[12:13], s[18:19]
	s_and_saveexec_b64 s[20:21], s[28:29]
	s_cbranch_execz .LBB222_264
.LBB222_286:
	s_and_b64 vcc, exec, s[0:1]
	s_cbranch_vccnz .LBB222_288
; %bb.287:
	v_lshl_add_u64 v[26:27], v[42:43], 1, v[24:25]
	flat_load_ushort v26, v[26:27]
	s_waitcnt vmcnt(0) lgkmcnt(0)
	v_mul_f16_e32 v26, v52, v26
	v_cvt_f32_f16_e32 v26, v26
	s_branch .LBB222_289
.LBB222_288:
	v_mov_b32_e32 v26, 0
.LBB222_289:
	v_pk_add_f16 v27, v10, v22
	v_max_f16_e32 v28, v71, v71
	v_pk_add_f16 v30, v11, v23
	v_min_f16_e32 v28, v28, v27
	v_lshrrev_b32_e32 v29, 16, v71
	v_lshrrev_b32_e32 v27, 16, v27
	;; [unrolled: 1-line block ×3, first 2 shown]
	v_min3_f16 v27, v29, v27, v31
	v_min3_f16 v27, v28, v30, v27
	v_cvt_f32_f16_e32 v27, v27
	v_max_f32_e32 v26, v26, v26
	v_min_f32_e32 v26, v26, v27
	v_cvt_f16_f32_e32 v28, v26
	v_lshl_add_u64 v[26:27], v[42:43], 1, v[20:21]
	flat_store_short v[26:27], v28
	s_or_b64 exec, exec, s[20:21]
	s_and_b64 s[28:29], s[14:15], s[18:19]
	s_and_saveexec_b64 s[20:21], s[28:29]
	s_cbranch_execz .LBB222_265
.LBB222_290:
	s_and_b64 vcc, exec, s[0:1]
	s_cbranch_vccnz .LBB222_292
; %bb.291:
	v_lshl_add_u64 v[26:27], v[44:45], 1, v[24:25]
	flat_load_ushort v26, v[26:27]
	s_waitcnt vmcnt(0) lgkmcnt(0)
	v_mul_f16_e32 v26, v52, v26
	v_cvt_f32_f16_e32 v26, v26
	s_branch .LBB222_293
.LBB222_292:
	v_mov_b32_e32 v26, 0
.LBB222_293:
	v_pk_add_f16 v27, v0, v22
	v_max_f16_e32 v28, v70, v70
	v_pk_add_f16 v30, v1, v23
	v_min_f16_e32 v28, v28, v27
	v_lshrrev_b32_e32 v29, 16, v70
	v_lshrrev_b32_e32 v27, 16, v27
	;; [unrolled: 1-line block ×3, first 2 shown]
	v_min3_f16 v27, v29, v27, v31
	v_min3_f16 v27, v28, v30, v27
	v_cvt_f32_f16_e32 v27, v27
	v_max_f32_e32 v26, v26, v26
	v_min_f32_e32 v26, v26, v27
	v_cvt_f16_f32_e32 v28, v26
	v_lshl_add_u64 v[26:27], v[44:45], 1, v[20:21]
	flat_store_short v[26:27], v28
	s_or_b64 exec, exec, s[20:21]
	s_and_b64 s[20:21], s[16:17], s[18:19]
	s_and_saveexec_b64 s[18:19], s[20:21]
	s_cbranch_execz .LBB222_298
.LBB222_294:
	s_and_b64 vcc, exec, s[0:1]
	s_cbranch_vccnz .LBB222_296
; %bb.295:
	v_lshl_add_u64 v[24:25], v[46:47], 1, v[24:25]
	flat_load_ushort v24, v[24:25]
	s_waitcnt vmcnt(0) lgkmcnt(0)
	v_mul_f16_e32 v24, v52, v24
	v_cvt_f32_f16_e32 v24, v24
	s_branch .LBB222_297
.LBB222_296:
	v_mov_b32_e32 v24, 0
.LBB222_297:
	v_pk_add_f16 v22, v2, v22
	v_max_f16_e32 v25, v69, v69
	v_pk_add_f16 v23, v3, v23
	v_min_f16_e32 v25, v25, v22
	v_lshrrev_b32_e32 v26, 16, v69
	v_lshrrev_b32_e32 v22, 16, v22
	;; [unrolled: 1-line block ×3, first 2 shown]
	v_min3_f16 v22, v26, v22, v27
	v_min3_f16 v22, v25, v23, v22
	v_cvt_f32_f16_e32 v22, v22
	v_max_f32_e32 v23, v24, v24
	v_lshl_add_u64 v[20:21], v[46:47], 1, v[20:21]
	v_min_f32_e32 v22, v23, v22
	v_cvt_f16_f32_e32 v22, v22
	flat_store_short v[20:21], v22
.LBB222_298:
	s_or_b64 exec, exec, s[18:19]
	v_add_u32_e32 v24, 0xc0, v93
	v_mad_i64_i32 v[20:21], s[20:21], v24, s31, 0
	v_cmp_gt_i32_e64 s[18:19], s25, v24
	v_lshl_add_u64 v[22:23], v[20:21], 1, s[22:23]
	v_mad_i64_i32 v[20:21], s[20:21], v24, s30, 0
	v_lshl_add_u64 v[20:21], v[20:21], 1, s[26:27]
	s_and_b64 s[28:29], s[4:5], s[18:19]
	s_and_saveexec_b64 s[20:21], s[28:29]
	s_cbranch_execnz .LBB222_306
; %bb.299:
	s_or_b64 exec, exec, s[20:21]
	s_and_b64 s[28:29], s[2:3], s[18:19]
	s_and_saveexec_b64 s[20:21], s[28:29]
	s_cbranch_execnz .LBB222_310
.LBB222_300:
	s_or_b64 exec, exec, s[20:21]
	s_and_b64 s[28:29], s[6:7], s[18:19]
	s_and_saveexec_b64 s[20:21], s[28:29]
	s_cbranch_execnz .LBB222_314
.LBB222_301:
	s_or_b64 exec, exec, s[20:21]
	s_and_b64 s[28:29], s[8:9], s[18:19]
	s_and_saveexec_b64 s[20:21], s[28:29]
	s_cbranch_execnz .LBB222_318
.LBB222_302:
	s_or_b64 exec, exec, s[20:21]
	s_and_b64 s[28:29], s[10:11], s[18:19]
	s_and_saveexec_b64 s[20:21], s[28:29]
	s_cbranch_execnz .LBB222_322
.LBB222_303:
	s_or_b64 exec, exec, s[20:21]
	s_and_b64 s[28:29], s[12:13], s[18:19]
	s_and_saveexec_b64 s[20:21], s[28:29]
	s_cbranch_execnz .LBB222_326
.LBB222_304:
	s_or_b64 exec, exec, s[20:21]
	s_and_b64 s[28:29], s[14:15], s[18:19]
	s_and_saveexec_b64 s[20:21], s[28:29]
	s_cbranch_execnz .LBB222_330
.LBB222_305:
	s_or_b64 exec, exec, s[20:21]
	s_and_b64 s[20:21], s[16:17], s[18:19]
	s_and_saveexec_b64 s[18:19], s[20:21]
	s_cbranch_execnz .LBB222_334
	s_branch .LBB222_338
.LBB222_306:
	s_and_b64 vcc, exec, s[0:1]
	s_cbranch_vccnz .LBB222_308
; %bb.307:
	v_lshl_add_u64 v[24:25], v[32:33], 1, v[22:23]
	flat_load_ushort v24, v[24:25]
	s_waitcnt vmcnt(0) lgkmcnt(0)
	v_mul_f16_e32 v24, v52, v24
	v_cvt_f32_f16_e32 v24, v24
	s_branch .LBB222_309
.LBB222_308:
	v_mov_b32_e32 v24, 0
.LBB222_309:
	v_pk_add_f16 v25, v16, v4
	v_max_f16_e32 v26, v68, v68
	v_pk_add_f16 v28, v17, v5
	v_min_f16_e32 v26, v26, v25
	v_lshrrev_b32_e32 v27, 16, v68
	v_lshrrev_b32_e32 v25, 16, v25
	;; [unrolled: 1-line block ×3, first 2 shown]
	v_min3_f16 v25, v27, v25, v29
	v_min3_f16 v25, v26, v28, v25
	v_cvt_f32_f16_e32 v25, v25
	v_max_f32_e32 v24, v24, v24
	v_min_f32_e32 v24, v24, v25
	v_cvt_f16_f32_e32 v26, v24
	v_lshl_add_u64 v[24:25], v[32:33], 1, v[20:21]
	flat_store_short v[24:25], v26
	s_or_b64 exec, exec, s[20:21]
	s_and_b64 s[28:29], s[2:3], s[18:19]
	s_and_saveexec_b64 s[20:21], s[28:29]
	s_cbranch_execz .LBB222_300
.LBB222_310:
	s_and_b64 vcc, exec, s[0:1]
	s_cbranch_vccnz .LBB222_312
; %bb.311:
	v_lshl_add_u64 v[24:25], v[34:35], 1, v[22:23]
	flat_load_ushort v24, v[24:25]
	s_waitcnt vmcnt(0) lgkmcnt(0)
	v_mul_f16_e32 v24, v52, v24
	v_cvt_f32_f16_e32 v24, v24
	s_branch .LBB222_313
.LBB222_312:
	v_mov_b32_e32 v24, 0
.LBB222_313:
	v_pk_add_f16 v25, v18, v4
	v_max_f16_e32 v26, v67, v67
	v_pk_add_f16 v28, v19, v5
	v_min_f16_e32 v26, v26, v25
	v_lshrrev_b32_e32 v27, 16, v67
	v_lshrrev_b32_e32 v25, 16, v25
	;; [unrolled: 1-line block ×3, first 2 shown]
	v_min3_f16 v25, v27, v25, v29
	v_min3_f16 v25, v26, v28, v25
	v_cvt_f32_f16_e32 v25, v25
	v_max_f32_e32 v24, v24, v24
	v_min_f32_e32 v24, v24, v25
	v_cvt_f16_f32_e32 v26, v24
	v_lshl_add_u64 v[24:25], v[34:35], 1, v[20:21]
	flat_store_short v[24:25], v26
	s_or_b64 exec, exec, s[20:21]
	s_and_b64 s[28:29], s[6:7], s[18:19]
	s_and_saveexec_b64 s[20:21], s[28:29]
	s_cbranch_execz .LBB222_301
.LBB222_314:
	s_and_b64 vcc, exec, s[0:1]
	s_cbranch_vccnz .LBB222_316
; %bb.315:
	v_lshl_add_u64 v[24:25], v[36:37], 1, v[22:23]
	flat_load_ushort v24, v[24:25]
	s_waitcnt vmcnt(0) lgkmcnt(0)
	v_mul_f16_e32 v24, v52, v24
	v_cvt_f32_f16_e32 v24, v24
	s_branch .LBB222_317
.LBB222_316:
	v_mov_b32_e32 v24, 0
.LBB222_317:
	v_pk_add_f16 v25, v12, v4
	v_max_f16_e32 v26, v66, v66
	v_pk_add_f16 v28, v13, v5
	v_min_f16_e32 v26, v26, v25
	v_lshrrev_b32_e32 v27, 16, v66
	v_lshrrev_b32_e32 v25, 16, v25
	;; [unrolled: 1-line block ×3, first 2 shown]
	v_min3_f16 v25, v27, v25, v29
	v_min3_f16 v25, v26, v28, v25
	v_cvt_f32_f16_e32 v25, v25
	v_max_f32_e32 v24, v24, v24
	v_min_f32_e32 v24, v24, v25
	v_cvt_f16_f32_e32 v26, v24
	v_lshl_add_u64 v[24:25], v[36:37], 1, v[20:21]
	flat_store_short v[24:25], v26
	s_or_b64 exec, exec, s[20:21]
	s_and_b64 s[28:29], s[8:9], s[18:19]
	s_and_saveexec_b64 s[20:21], s[28:29]
	s_cbranch_execz .LBB222_302
.LBB222_318:
	s_and_b64 vcc, exec, s[0:1]
	s_cbranch_vccnz .LBB222_320
; %bb.319:
	v_lshl_add_u64 v[24:25], v[38:39], 1, v[22:23]
	flat_load_ushort v24, v[24:25]
	s_waitcnt vmcnt(0) lgkmcnt(0)
	v_mul_f16_e32 v24, v52, v24
	v_cvt_f32_f16_e32 v24, v24
	s_branch .LBB222_321
.LBB222_320:
	v_mov_b32_e32 v24, 0
.LBB222_321:
	v_pk_add_f16 v25, v14, v4
	v_max_f16_e32 v26, v65, v65
	v_pk_add_f16 v28, v15, v5
	v_min_f16_e32 v26, v26, v25
	v_lshrrev_b32_e32 v27, 16, v65
	v_lshrrev_b32_e32 v25, 16, v25
	;; [unrolled: 1-line block ×3, first 2 shown]
	v_min3_f16 v25, v27, v25, v29
	v_min3_f16 v25, v26, v28, v25
	v_cvt_f32_f16_e32 v25, v25
	v_max_f32_e32 v24, v24, v24
	v_min_f32_e32 v24, v24, v25
	v_cvt_f16_f32_e32 v26, v24
	v_lshl_add_u64 v[24:25], v[38:39], 1, v[20:21]
	flat_store_short v[24:25], v26
	s_or_b64 exec, exec, s[20:21]
	s_and_b64 s[28:29], s[10:11], s[18:19]
	s_and_saveexec_b64 s[20:21], s[28:29]
	s_cbranch_execz .LBB222_303
.LBB222_322:
	s_and_b64 vcc, exec, s[0:1]
	s_cbranch_vccnz .LBB222_324
; %bb.323:
	v_lshl_add_u64 v[24:25], v[40:41], 1, v[22:23]
	flat_load_ushort v24, v[24:25]
	s_waitcnt vmcnt(0) lgkmcnt(0)
	v_mul_f16_e32 v24, v52, v24
	v_cvt_f32_f16_e32 v24, v24
	s_branch .LBB222_325
.LBB222_324:
	v_mov_b32_e32 v24, 0
.LBB222_325:
	v_pk_add_f16 v25, v8, v4
	v_max_f16_e32 v26, v64, v64
	v_pk_add_f16 v28, v9, v5
	v_min_f16_e32 v26, v26, v25
	v_lshrrev_b32_e32 v27, 16, v64
	v_lshrrev_b32_e32 v25, 16, v25
	;; [unrolled: 1-line block ×3, first 2 shown]
	v_min3_f16 v25, v27, v25, v29
	v_min3_f16 v25, v26, v28, v25
	v_cvt_f32_f16_e32 v25, v25
	v_max_f32_e32 v24, v24, v24
	v_min_f32_e32 v24, v24, v25
	v_cvt_f16_f32_e32 v26, v24
	v_lshl_add_u64 v[24:25], v[40:41], 1, v[20:21]
	flat_store_short v[24:25], v26
	s_or_b64 exec, exec, s[20:21]
	s_and_b64 s[28:29], s[12:13], s[18:19]
	s_and_saveexec_b64 s[20:21], s[28:29]
	s_cbranch_execz .LBB222_304
.LBB222_326:
	s_and_b64 vcc, exec, s[0:1]
	s_cbranch_vccnz .LBB222_328
; %bb.327:
	v_lshl_add_u64 v[24:25], v[42:43], 1, v[22:23]
	flat_load_ushort v24, v[24:25]
	s_waitcnt vmcnt(0) lgkmcnt(0)
	v_mul_f16_e32 v24, v52, v24
	v_cvt_f32_f16_e32 v24, v24
	s_branch .LBB222_329
.LBB222_328:
	v_mov_b32_e32 v24, 0
.LBB222_329:
	v_pk_add_f16 v25, v10, v4
	v_max_f16_e32 v26, v63, v63
	v_pk_add_f16 v28, v11, v5
	v_min_f16_e32 v26, v26, v25
	v_lshrrev_b32_e32 v27, 16, v63
	v_lshrrev_b32_e32 v25, 16, v25
	;; [unrolled: 1-line block ×3, first 2 shown]
	v_min3_f16 v25, v27, v25, v29
	v_min3_f16 v25, v26, v28, v25
	v_cvt_f32_f16_e32 v25, v25
	v_max_f32_e32 v24, v24, v24
	v_min_f32_e32 v24, v24, v25
	v_cvt_f16_f32_e32 v26, v24
	v_lshl_add_u64 v[24:25], v[42:43], 1, v[20:21]
	flat_store_short v[24:25], v26
	s_or_b64 exec, exec, s[20:21]
	s_and_b64 s[28:29], s[14:15], s[18:19]
	s_and_saveexec_b64 s[20:21], s[28:29]
	s_cbranch_execz .LBB222_305
.LBB222_330:
	s_and_b64 vcc, exec, s[0:1]
	s_cbranch_vccnz .LBB222_332
; %bb.331:
	v_lshl_add_u64 v[24:25], v[44:45], 1, v[22:23]
	flat_load_ushort v24, v[24:25]
	s_waitcnt vmcnt(0) lgkmcnt(0)
	v_mul_f16_e32 v24, v52, v24
	v_cvt_f32_f16_e32 v24, v24
	s_branch .LBB222_333
.LBB222_332:
	v_mov_b32_e32 v24, 0
.LBB222_333:
	v_pk_add_f16 v25, v0, v4
	v_max_f16_e32 v26, v62, v62
	v_pk_add_f16 v28, v1, v5
	v_min_f16_e32 v26, v26, v25
	v_lshrrev_b32_e32 v27, 16, v62
	v_lshrrev_b32_e32 v25, 16, v25
	;; [unrolled: 1-line block ×3, first 2 shown]
	v_min3_f16 v25, v27, v25, v29
	v_min3_f16 v25, v26, v28, v25
	v_cvt_f32_f16_e32 v25, v25
	v_max_f32_e32 v24, v24, v24
	v_min_f32_e32 v24, v24, v25
	v_cvt_f16_f32_e32 v26, v24
	v_lshl_add_u64 v[24:25], v[44:45], 1, v[20:21]
	flat_store_short v[24:25], v26
	s_or_b64 exec, exec, s[20:21]
	s_and_b64 s[20:21], s[16:17], s[18:19]
	s_and_saveexec_b64 s[18:19], s[20:21]
	s_cbranch_execz .LBB222_338
.LBB222_334:
	s_and_b64 vcc, exec, s[0:1]
	s_cbranch_vccnz .LBB222_336
; %bb.335:
	v_lshl_add_u64 v[22:23], v[46:47], 1, v[22:23]
	flat_load_ushort v22, v[22:23]
	s_waitcnt vmcnt(0) lgkmcnt(0)
	v_mul_f16_e32 v22, v52, v22
	v_cvt_f32_f16_e32 v22, v22
	s_branch .LBB222_337
.LBB222_336:
	v_mov_b32_e32 v22, 0
.LBB222_337:
	v_pk_add_f16 v4, v2, v4
	v_max_f16_e32 v23, v61, v61
	v_pk_add_f16 v5, v3, v5
	v_min_f16_e32 v23, v23, v4
	v_lshrrev_b32_e32 v24, 16, v61
	v_lshrrev_b32_e32 v4, 16, v4
	;; [unrolled: 1-line block ×3, first 2 shown]
	v_min3_f16 v4, v24, v4, v25
	v_min3_f16 v4, v23, v5, v4
	v_cvt_f32_f16_e32 v4, v4
	v_max_f32_e32 v5, v22, v22
	v_min_f32_e32 v4, v5, v4
	v_cvt_f16_f32_e32 v22, v4
	v_lshl_add_u64 v[4:5], v[46:47], 1, v[20:21]
	flat_store_short v[4:5], v22
.LBB222_338:
	s_or_b64 exec, exec, s[18:19]
	v_add_u32_e32 v22, 0xe0, v93
	v_mad_i64_i32 v[4:5], s[20:21], v22, s31, 0
	v_cmp_gt_i32_e64 s[18:19], s25, v22
	v_lshl_add_u64 v[20:21], v[4:5], 1, s[22:23]
	v_mad_i64_i32 v[4:5], s[20:21], v22, s30, 0
	v_lshl_add_u64 v[4:5], v[4:5], 1, s[26:27]
	s_and_b64 s[20:21], s[4:5], s[18:19]
	s_and_saveexec_b64 s[4:5], s[20:21]
	s_cbranch_execnz .LBB222_347
; %bb.339:
	s_or_b64 exec, exec, s[4:5]
	s_and_b64 s[4:5], s[2:3], s[18:19]
	s_and_saveexec_b64 s[2:3], s[4:5]
	s_cbranch_execnz .LBB222_351
.LBB222_340:
	s_or_b64 exec, exec, s[2:3]
	s_and_b64 s[4:5], s[6:7], s[18:19]
	s_and_saveexec_b64 s[2:3], s[4:5]
	s_cbranch_execnz .LBB222_355
.LBB222_341:
	s_or_b64 exec, exec, s[2:3]
	s_and_b64 s[4:5], s[8:9], s[18:19]
	s_and_saveexec_b64 s[2:3], s[4:5]
	s_cbranch_execnz .LBB222_359
.LBB222_342:
	s_or_b64 exec, exec, s[2:3]
	s_and_b64 s[4:5], s[10:11], s[18:19]
	s_and_saveexec_b64 s[2:3], s[4:5]
	s_cbranch_execnz .LBB222_363
.LBB222_343:
	s_or_b64 exec, exec, s[2:3]
	s_and_b64 s[4:5], s[12:13], s[18:19]
	s_and_saveexec_b64 s[2:3], s[4:5]
	s_cbranch_execnz .LBB222_367
.LBB222_344:
	s_or_b64 exec, exec, s[2:3]
	s_and_b64 s[4:5], s[14:15], s[18:19]
	s_and_saveexec_b64 s[2:3], s[4:5]
	s_cbranch_execnz .LBB222_371
.LBB222_345:
	s_or_b64 exec, exec, s[2:3]
	s_and_b64 s[2:3], s[16:17], s[18:19]
	s_and_saveexec_b64 s[4:5], s[2:3]
	s_cbranch_execnz .LBB222_375
.LBB222_346:
	s_endpgm
.LBB222_347:
	s_and_b64 vcc, exec, s[0:1]
	s_cbranch_vccnz .LBB222_349
; %bb.348:
	v_lshl_add_u64 v[22:23], v[32:33], 1, v[20:21]
	flat_load_ushort v22, v[22:23]
	s_waitcnt vmcnt(0) lgkmcnt(0)
	v_mul_f16_e32 v22, v52, v22
	v_cvt_f32_f16_e32 v22, v22
	s_branch .LBB222_350
.LBB222_349:
	v_mov_b32_e32 v22, 0
.LBB222_350:
	v_pk_add_f16 v16, v16, v6
	v_max_f16_e32 v23, v60, v60
	v_pk_add_f16 v17, v17, v7
	v_min_f16_e32 v23, v23, v16
	v_lshrrev_b32_e32 v24, 16, v60
	v_lshrrev_b32_e32 v16, 16, v16
	;; [unrolled: 1-line block ×3, first 2 shown]
	v_min3_f16 v16, v24, v16, v25
	v_min3_f16 v16, v23, v17, v16
	v_cvt_f32_f16_e32 v16, v16
	v_max_f32_e32 v17, v22, v22
	v_min_f32_e32 v16, v17, v16
	v_cvt_f16_f32_e32 v22, v16
	v_lshl_add_u64 v[16:17], v[32:33], 1, v[4:5]
	flat_store_short v[16:17], v22
	s_or_b64 exec, exec, s[4:5]
	s_and_b64 s[4:5], s[2:3], s[18:19]
	s_and_saveexec_b64 s[2:3], s[4:5]
	s_cbranch_execz .LBB222_340
.LBB222_351:
	s_and_b64 vcc, exec, s[0:1]
	s_cbranch_vccnz .LBB222_353
; %bb.352:
	v_lshl_add_u64 v[16:17], v[34:35], 1, v[20:21]
	flat_load_ushort v16, v[16:17]
	s_waitcnt vmcnt(0) lgkmcnt(0)
	v_mul_f16_e32 v16, v52, v16
	v_cvt_f32_f16_e32 v16, v16
	s_branch .LBB222_354
.LBB222_353:
	v_mov_b32_e32 v16, 0
.LBB222_354:
	v_pk_add_f16 v17, v18, v6
	v_max_f16_e32 v18, v59, v59
	v_pk_add_f16 v19, v19, v7
	v_min_f16_e32 v18, v18, v17
	v_lshrrev_b32_e32 v22, 16, v59
	v_lshrrev_b32_e32 v17, 16, v17
	;; [unrolled: 1-line block ×3, first 2 shown]
	v_min3_f16 v17, v22, v17, v23
	v_min3_f16 v17, v18, v19, v17
	v_cvt_f32_f16_e32 v17, v17
	v_max_f32_e32 v16, v16, v16
	v_min_f32_e32 v16, v16, v17
	v_cvt_f16_f32_e32 v18, v16
	v_lshl_add_u64 v[16:17], v[34:35], 1, v[4:5]
	flat_store_short v[16:17], v18
	s_or_b64 exec, exec, s[2:3]
	s_and_b64 s[4:5], s[6:7], s[18:19]
	s_and_saveexec_b64 s[2:3], s[4:5]
	s_cbranch_execz .LBB222_341
.LBB222_355:
	s_and_b64 vcc, exec, s[0:1]
	s_cbranch_vccnz .LBB222_357
; %bb.356:
	v_lshl_add_u64 v[16:17], v[36:37], 1, v[20:21]
	flat_load_ushort v16, v[16:17]
	s_waitcnt vmcnt(0) lgkmcnt(0)
	v_mul_f16_e32 v16, v52, v16
	v_cvt_f32_f16_e32 v16, v16
	s_branch .LBB222_358
.LBB222_357:
	v_mov_b32_e32 v16, 0
.LBB222_358:
	v_pk_add_f16 v12, v12, v6
	v_max_f16_e32 v17, v58, v58
	v_pk_add_f16 v13, v13, v7
	v_min_f16_e32 v17, v17, v12
	v_lshrrev_b32_e32 v18, 16, v58
	v_lshrrev_b32_e32 v12, 16, v12
	;; [unrolled: 1-line block ×3, first 2 shown]
	v_min3_f16 v12, v18, v12, v19
	v_min3_f16 v12, v17, v13, v12
	v_cvt_f32_f16_e32 v12, v12
	v_max_f32_e32 v13, v16, v16
	v_min_f32_e32 v12, v13, v12
	v_cvt_f16_f32_e32 v16, v12
	v_lshl_add_u64 v[12:13], v[36:37], 1, v[4:5]
	flat_store_short v[12:13], v16
	s_or_b64 exec, exec, s[2:3]
	s_and_b64 s[4:5], s[8:9], s[18:19]
	s_and_saveexec_b64 s[2:3], s[4:5]
	s_cbranch_execz .LBB222_342
.LBB222_359:
	s_and_b64 vcc, exec, s[0:1]
	s_cbranch_vccnz .LBB222_361
; %bb.360:
	v_lshl_add_u64 v[12:13], v[38:39], 1, v[20:21]
	flat_load_ushort v12, v[12:13]
	s_waitcnt vmcnt(0) lgkmcnt(0)
	v_mul_f16_e32 v12, v52, v12
	v_cvt_f32_f16_e32 v12, v12
	s_branch .LBB222_362
.LBB222_361:
	v_mov_b32_e32 v12, 0
.LBB222_362:
	v_pk_add_f16 v13, v14, v6
	v_max_f16_e32 v14, v57, v57
	v_pk_add_f16 v15, v15, v7
	v_min_f16_e32 v14, v14, v13
	v_lshrrev_b32_e32 v16, 16, v57
	v_lshrrev_b32_e32 v13, 16, v13
	;; [unrolled: 1-line block ×3, first 2 shown]
	v_min3_f16 v13, v16, v13, v17
	v_min3_f16 v13, v14, v15, v13
	v_cvt_f32_f16_e32 v13, v13
	v_max_f32_e32 v12, v12, v12
	v_min_f32_e32 v12, v12, v13
	v_cvt_f16_f32_e32 v14, v12
	v_lshl_add_u64 v[12:13], v[38:39], 1, v[4:5]
	flat_store_short v[12:13], v14
	s_or_b64 exec, exec, s[2:3]
	s_and_b64 s[4:5], s[10:11], s[18:19]
	s_and_saveexec_b64 s[2:3], s[4:5]
	s_cbranch_execz .LBB222_343
.LBB222_363:
	s_and_b64 vcc, exec, s[0:1]
	s_cbranch_vccnz .LBB222_365
; %bb.364:
	v_lshl_add_u64 v[12:13], v[40:41], 1, v[20:21]
	flat_load_ushort v12, v[12:13]
	s_waitcnt vmcnt(0) lgkmcnt(0)
	v_mul_f16_e32 v12, v52, v12
	v_cvt_f32_f16_e32 v12, v12
	s_branch .LBB222_366
.LBB222_365:
	v_mov_b32_e32 v12, 0
.LBB222_366:
	v_pk_add_f16 v8, v8, v6
	v_max_f16_e32 v13, v55, v55
	v_pk_add_f16 v9, v9, v7
	v_min_f16_e32 v13, v13, v8
	v_lshrrev_b32_e32 v14, 16, v55
	v_lshrrev_b32_e32 v8, 16, v8
	;; [unrolled: 1-line block ×3, first 2 shown]
	v_min3_f16 v8, v14, v8, v15
	v_min3_f16 v8, v13, v9, v8
	v_cvt_f32_f16_e32 v8, v8
	v_max_f32_e32 v9, v12, v12
	v_min_f32_e32 v8, v9, v8
	v_cvt_f16_f32_e32 v12, v8
	v_lshl_add_u64 v[8:9], v[40:41], 1, v[4:5]
	flat_store_short v[8:9], v12
	s_or_b64 exec, exec, s[2:3]
	s_and_b64 s[4:5], s[12:13], s[18:19]
	s_and_saveexec_b64 s[2:3], s[4:5]
	s_cbranch_execz .LBB222_344
.LBB222_367:
	s_and_b64 vcc, exec, s[0:1]
	s_cbranch_vccnz .LBB222_369
; %bb.368:
	v_lshl_add_u64 v[8:9], v[42:43], 1, v[20:21]
	flat_load_ushort v8, v[8:9]
	s_waitcnt vmcnt(0) lgkmcnt(0)
	v_mul_f16_e32 v8, v52, v8
	v_cvt_f32_f16_e32 v8, v8
	s_branch .LBB222_370
.LBB222_369:
	v_mov_b32_e32 v8, 0
.LBB222_370:
	v_pk_add_f16 v9, v10, v6
	v_max_f16_e32 v10, v54, v54
	v_pk_add_f16 v11, v11, v7
	v_min_f16_e32 v10, v10, v9
	v_lshrrev_b32_e32 v12, 16, v54
	v_lshrrev_b32_e32 v9, 16, v9
	;; [unrolled: 1-line block ×3, first 2 shown]
	v_min3_f16 v9, v12, v9, v13
	v_min3_f16 v9, v10, v11, v9
	v_cvt_f32_f16_e32 v9, v9
	v_max_f32_e32 v8, v8, v8
	v_min_f32_e32 v8, v8, v9
	v_cvt_f16_f32_e32 v10, v8
	v_lshl_add_u64 v[8:9], v[42:43], 1, v[4:5]
	flat_store_short v[8:9], v10
	s_or_b64 exec, exec, s[2:3]
	s_and_b64 s[4:5], s[14:15], s[18:19]
	s_and_saveexec_b64 s[2:3], s[4:5]
	s_cbranch_execz .LBB222_345
.LBB222_371:
	s_and_b64 vcc, exec, s[0:1]
	s_cbranch_vccnz .LBB222_373
; %bb.372:
	v_lshl_add_u64 v[8:9], v[44:45], 1, v[20:21]
	flat_load_ushort v8, v[8:9]
	s_waitcnt vmcnt(0) lgkmcnt(0)
	v_mul_f16_e32 v8, v52, v8
	v_cvt_f32_f16_e32 v8, v8
	s_branch .LBB222_374
.LBB222_373:
	v_mov_b32_e32 v8, 0
.LBB222_374:
	v_pk_add_f16 v0, v0, v6
	v_max_f16_e32 v9, v53, v53
	v_pk_add_f16 v1, v1, v7
	v_min_f16_e32 v9, v9, v0
	v_lshrrev_b32_e32 v10, 16, v53
	v_lshrrev_b32_e32 v0, 16, v0
	;; [unrolled: 1-line block ×3, first 2 shown]
	v_min3_f16 v0, v10, v0, v11
	v_min3_f16 v0, v9, v1, v0
	v_cvt_f32_f16_e32 v0, v0
	v_max_f32_e32 v1, v8, v8
	v_min_f32_e32 v0, v1, v0
	v_cvt_f16_f32_e32 v8, v0
	v_lshl_add_u64 v[0:1], v[44:45], 1, v[4:5]
	flat_store_short v[0:1], v8
	s_or_b64 exec, exec, s[2:3]
	s_and_b64 s[2:3], s[16:17], s[18:19]
	s_and_saveexec_b64 s[4:5], s[2:3]
	s_cbranch_execz .LBB222_346
.LBB222_375:
	s_and_b64 vcc, exec, s[0:1]
	s_cbranch_vccnz .LBB222_377
; %bb.376:
	v_lshl_add_u64 v[0:1], v[46:47], 1, v[20:21]
	flat_load_ushort v0, v[0:1]
	s_waitcnt vmcnt(0) lgkmcnt(0)
	v_mul_f16_e32 v0, v52, v0
	v_cvt_f32_f16_e32 v0, v0
	s_branch .LBB222_378
.LBB222_377:
	v_mov_b32_e32 v0, 0
.LBB222_378:
	v_pk_add_f16 v1, v2, v6
	v_max_f16_e32 v2, v56, v56
	v_pk_add_f16 v3, v3, v7
	v_min_f16_e32 v2, v2, v1
	v_lshrrev_b32_e32 v6, 16, v56
	v_lshrrev_b32_e32 v1, 16, v1
	;; [unrolled: 1-line block ×3, first 2 shown]
	v_min3_f16 v1, v6, v1, v7
	v_min3_f16 v1, v2, v3, v1
	v_cvt_f32_f16_e32 v1, v1
	v_max_f32_e32 v0, v0, v0
	v_min_f32_e32 v0, v0, v1
	v_cvt_f16_f32_e32 v2, v0
	v_lshl_add_u64 v[0:1], v[46:47], 1, v[4:5]
	flat_store_short v[0:1], v2
	s_endpgm
	.section	.rodata,"a",@progbits
	.p2align	6, 0x0
	.amdhsa_kernel _ZN12_GLOBAL__N_120geam_min_plus_kernelIDF16_Dv2_DF16_S1_Li8ELi32ELi64ELi256ELi4ELi64ELi4ELi64ELi4ELc78ELc84ELb0ELb1ELb1EPKDF16_KS3_KPDF16_EEviiiT16_PT17_ilS9_ilS7_S9_ilPT18_ili26rocblas_geam_ex_operation_
		.amdhsa_group_segment_fixed_size 5120
		.amdhsa_private_segment_fixed_size 0
		.amdhsa_kernarg_size 136
		.amdhsa_user_sgpr_count 2
		.amdhsa_user_sgpr_dispatch_ptr 0
		.amdhsa_user_sgpr_queue_ptr 0
		.amdhsa_user_sgpr_kernarg_segment_ptr 1
		.amdhsa_user_sgpr_dispatch_id 0
		.amdhsa_user_sgpr_kernarg_preload_length 0
		.amdhsa_user_sgpr_kernarg_preload_offset 0
		.amdhsa_user_sgpr_private_segment_size 0
		.amdhsa_uses_dynamic_stack 0
		.amdhsa_enable_private_segment 0
		.amdhsa_system_sgpr_workgroup_id_x 1
		.amdhsa_system_sgpr_workgroup_id_y 0
		.amdhsa_system_sgpr_workgroup_id_z 1
		.amdhsa_system_sgpr_workgroup_info 0
		.amdhsa_system_vgpr_workitem_id 1
		.amdhsa_next_free_vgpr 182
		.amdhsa_next_free_sgpr 42
		.amdhsa_accum_offset 184
		.amdhsa_reserve_vcc 1
		.amdhsa_float_round_mode_32 0
		.amdhsa_float_round_mode_16_64 0
		.amdhsa_float_denorm_mode_32 3
		.amdhsa_float_denorm_mode_16_64 3
		.amdhsa_dx10_clamp 1
		.amdhsa_ieee_mode 1
		.amdhsa_fp16_overflow 0
		.amdhsa_tg_split 0
		.amdhsa_exception_fp_ieee_invalid_op 0
		.amdhsa_exception_fp_denorm_src 0
		.amdhsa_exception_fp_ieee_div_zero 0
		.amdhsa_exception_fp_ieee_overflow 0
		.amdhsa_exception_fp_ieee_underflow 0
		.amdhsa_exception_fp_ieee_inexact 0
		.amdhsa_exception_int_div_zero 0
	.end_amdhsa_kernel
	.section	.text._ZN12_GLOBAL__N_120geam_min_plus_kernelIDF16_Dv2_DF16_S1_Li8ELi32ELi64ELi256ELi4ELi64ELi4ELi64ELi4ELc78ELc84ELb0ELb1ELb1EPKDF16_KS3_KPDF16_EEviiiT16_PT17_ilS9_ilS7_S9_ilPT18_ili26rocblas_geam_ex_operation_,"axG",@progbits,_ZN12_GLOBAL__N_120geam_min_plus_kernelIDF16_Dv2_DF16_S1_Li8ELi32ELi64ELi256ELi4ELi64ELi4ELi64ELi4ELc78ELc84ELb0ELb1ELb1EPKDF16_KS3_KPDF16_EEviiiT16_PT17_ilS9_ilS7_S9_ilPT18_ili26rocblas_geam_ex_operation_,comdat
.Lfunc_end222:
	.size	_ZN12_GLOBAL__N_120geam_min_plus_kernelIDF16_Dv2_DF16_S1_Li8ELi32ELi64ELi256ELi4ELi64ELi4ELi64ELi4ELc78ELc84ELb0ELb1ELb1EPKDF16_KS3_KPDF16_EEviiiT16_PT17_ilS9_ilS7_S9_ilPT18_ili26rocblas_geam_ex_operation_, .Lfunc_end222-_ZN12_GLOBAL__N_120geam_min_plus_kernelIDF16_Dv2_DF16_S1_Li8ELi32ELi64ELi256ELi4ELi64ELi4ELi64ELi4ELc78ELc84ELb0ELb1ELb1EPKDF16_KS3_KPDF16_EEviiiT16_PT17_ilS9_ilS7_S9_ilPT18_ili26rocblas_geam_ex_operation_
                                        ; -- End function
	.set _ZN12_GLOBAL__N_120geam_min_plus_kernelIDF16_Dv2_DF16_S1_Li8ELi32ELi64ELi256ELi4ELi64ELi4ELi64ELi4ELc78ELc84ELb0ELb1ELb1EPKDF16_KS3_KPDF16_EEviiiT16_PT17_ilS9_ilS7_S9_ilPT18_ili26rocblas_geam_ex_operation_.num_vgpr, 182
	.set _ZN12_GLOBAL__N_120geam_min_plus_kernelIDF16_Dv2_DF16_S1_Li8ELi32ELi64ELi256ELi4ELi64ELi4ELi64ELi4ELc78ELc84ELb0ELb1ELb1EPKDF16_KS3_KPDF16_EEviiiT16_PT17_ilS9_ilS7_S9_ilPT18_ili26rocblas_geam_ex_operation_.num_agpr, 0
	.set _ZN12_GLOBAL__N_120geam_min_plus_kernelIDF16_Dv2_DF16_S1_Li8ELi32ELi64ELi256ELi4ELi64ELi4ELi64ELi4ELc78ELc84ELb0ELb1ELb1EPKDF16_KS3_KPDF16_EEviiiT16_PT17_ilS9_ilS7_S9_ilPT18_ili26rocblas_geam_ex_operation_.numbered_sgpr, 42
	.set _ZN12_GLOBAL__N_120geam_min_plus_kernelIDF16_Dv2_DF16_S1_Li8ELi32ELi64ELi256ELi4ELi64ELi4ELi64ELi4ELc78ELc84ELb0ELb1ELb1EPKDF16_KS3_KPDF16_EEviiiT16_PT17_ilS9_ilS7_S9_ilPT18_ili26rocblas_geam_ex_operation_.num_named_barrier, 0
	.set _ZN12_GLOBAL__N_120geam_min_plus_kernelIDF16_Dv2_DF16_S1_Li8ELi32ELi64ELi256ELi4ELi64ELi4ELi64ELi4ELc78ELc84ELb0ELb1ELb1EPKDF16_KS3_KPDF16_EEviiiT16_PT17_ilS9_ilS7_S9_ilPT18_ili26rocblas_geam_ex_operation_.private_seg_size, 0
	.set _ZN12_GLOBAL__N_120geam_min_plus_kernelIDF16_Dv2_DF16_S1_Li8ELi32ELi64ELi256ELi4ELi64ELi4ELi64ELi4ELc78ELc84ELb0ELb1ELb1EPKDF16_KS3_KPDF16_EEviiiT16_PT17_ilS9_ilS7_S9_ilPT18_ili26rocblas_geam_ex_operation_.uses_vcc, 1
	.set _ZN12_GLOBAL__N_120geam_min_plus_kernelIDF16_Dv2_DF16_S1_Li8ELi32ELi64ELi256ELi4ELi64ELi4ELi64ELi4ELc78ELc84ELb0ELb1ELb1EPKDF16_KS3_KPDF16_EEviiiT16_PT17_ilS9_ilS7_S9_ilPT18_ili26rocblas_geam_ex_operation_.uses_flat_scratch, 0
	.set _ZN12_GLOBAL__N_120geam_min_plus_kernelIDF16_Dv2_DF16_S1_Li8ELi32ELi64ELi256ELi4ELi64ELi4ELi64ELi4ELc78ELc84ELb0ELb1ELb1EPKDF16_KS3_KPDF16_EEviiiT16_PT17_ilS9_ilS7_S9_ilPT18_ili26rocblas_geam_ex_operation_.has_dyn_sized_stack, 0
	.set _ZN12_GLOBAL__N_120geam_min_plus_kernelIDF16_Dv2_DF16_S1_Li8ELi32ELi64ELi256ELi4ELi64ELi4ELi64ELi4ELc78ELc84ELb0ELb1ELb1EPKDF16_KS3_KPDF16_EEviiiT16_PT17_ilS9_ilS7_S9_ilPT18_ili26rocblas_geam_ex_operation_.has_recursion, 0
	.set _ZN12_GLOBAL__N_120geam_min_plus_kernelIDF16_Dv2_DF16_S1_Li8ELi32ELi64ELi256ELi4ELi64ELi4ELi64ELi4ELc78ELc84ELb0ELb1ELb1EPKDF16_KS3_KPDF16_EEviiiT16_PT17_ilS9_ilS7_S9_ilPT18_ili26rocblas_geam_ex_operation_.has_indirect_call, 0
	.section	.AMDGPU.csdata,"",@progbits
; Kernel info:
; codeLenInByte = 20896
; TotalNumSgprs: 48
; NumVgprs: 182
; NumAgprs: 0
; TotalNumVgprs: 182
; ScratchSize: 0
; MemoryBound: 0
; FloatMode: 240
; IeeeMode: 1
; LDSByteSize: 5120 bytes/workgroup (compile time only)
; SGPRBlocks: 5
; VGPRBlocks: 22
; NumSGPRsForWavesPerEU: 48
; NumVGPRsForWavesPerEU: 182
; AccumOffset: 184
; Occupancy: 2
; WaveLimiterHint : 1
; COMPUTE_PGM_RSRC2:SCRATCH_EN: 0
; COMPUTE_PGM_RSRC2:USER_SGPR: 2
; COMPUTE_PGM_RSRC2:TRAP_HANDLER: 0
; COMPUTE_PGM_RSRC2:TGID_X_EN: 1
; COMPUTE_PGM_RSRC2:TGID_Y_EN: 0
; COMPUTE_PGM_RSRC2:TGID_Z_EN: 1
; COMPUTE_PGM_RSRC2:TIDIG_COMP_CNT: 1
; COMPUTE_PGM_RSRC3_GFX90A:ACCUM_OFFSET: 45
; COMPUTE_PGM_RSRC3_GFX90A:TG_SPLIT: 0
	.section	.text._ZN12_GLOBAL__N_120geam_min_plus_kernelIDF16_Dv2_DF16_S1_Li8ELi32ELi64ELi256ELi4ELi64ELi4ELi64ELi4ELc78ELc84ELb1ELb1ELb1EDF16_KPKDF16_KPDF16_EEviiiT16_PT17_ilS9_ilS7_S9_ilPT18_ili26rocblas_geam_ex_operation_,"axG",@progbits,_ZN12_GLOBAL__N_120geam_min_plus_kernelIDF16_Dv2_DF16_S1_Li8ELi32ELi64ELi256ELi4ELi64ELi4ELi64ELi4ELc78ELc84ELb1ELb1ELb1EDF16_KPKDF16_KPDF16_EEviiiT16_PT17_ilS9_ilS7_S9_ilPT18_ili26rocblas_geam_ex_operation_,comdat
	.globl	_ZN12_GLOBAL__N_120geam_min_plus_kernelIDF16_Dv2_DF16_S1_Li8ELi32ELi64ELi256ELi4ELi64ELi4ELi64ELi4ELc78ELc84ELb1ELb1ELb1EDF16_KPKDF16_KPDF16_EEviiiT16_PT17_ilS9_ilS7_S9_ilPT18_ili26rocblas_geam_ex_operation_ ; -- Begin function _ZN12_GLOBAL__N_120geam_min_plus_kernelIDF16_Dv2_DF16_S1_Li8ELi32ELi64ELi256ELi4ELi64ELi4ELi64ELi4ELc78ELc84ELb1ELb1ELb1EDF16_KPKDF16_KPDF16_EEviiiT16_PT17_ilS9_ilS7_S9_ilPT18_ili26rocblas_geam_ex_operation_
	.p2align	8
	.type	_ZN12_GLOBAL__N_120geam_min_plus_kernelIDF16_Dv2_DF16_S1_Li8ELi32ELi64ELi256ELi4ELi64ELi4ELi64ELi4ELc78ELc84ELb1ELb1ELb1EDF16_KPKDF16_KPDF16_EEviiiT16_PT17_ilS9_ilS7_S9_ilPT18_ili26rocblas_geam_ex_operation_,@function
_ZN12_GLOBAL__N_120geam_min_plus_kernelIDF16_Dv2_DF16_S1_Li8ELi32ELi64ELi256ELi4ELi64ELi4ELi64ELi4ELc78ELc84ELb1ELb1ELb1EDF16_KPKDF16_KPDF16_EEviiiT16_PT17_ilS9_ilS7_S9_ilPT18_ili26rocblas_geam_ex_operation_: ; @_ZN12_GLOBAL__N_120geam_min_plus_kernelIDF16_Dv2_DF16_S1_Li8ELi32ELi64ELi256ELi4ELi64ELi4ELi64ELi4ELc78ELc84ELb1ELb1ELb1EDF16_KPKDF16_KPDF16_EEviiiT16_PT17_ilS9_ilS7_S9_ilPT18_ili26rocblas_geam_ex_operation_
; %bb.0:
	s_load_dwordx4 s[20:23], s[0:1], 0x0
	s_load_dwordx4 s[4:7], s[0:1], 0x20
	s_mov_b32 s8, s3
	s_mov_b32 s9, 0
	s_waitcnt lgkmcnt(0)
	v_cmp_eq_f16_e64 s[10:11], s23, 0
	s_and_b64 vcc, exec, s[10:11]
	s_cbranch_vccnz .LBB223_3
; %bb.1:
	s_load_dwordx2 s[12:13], s[0:1], 0x10
	s_lshl_b64 s[14:15], s[8:9], 3
	s_waitcnt lgkmcnt(0)
	s_add_u32 s12, s12, s14
	s_addc_u32 s13, s13, s15
	s_load_dwordx2 s[12:13], s[12:13], 0x0
	s_lshl_b64 s[4:5], s[4:5], 1
	s_waitcnt lgkmcnt(0)
	s_add_u32 s16, s12, s4
	s_addc_u32 s17, s13, s5
	s_andn2_b64 vcc, exec, s[10:11]
	s_cbranch_vccnz .LBB223_4
.LBB223_2:
	s_mov_b32 s11, 0
	s_mov_b32 s10, s8
	s_mov_b64 s[24:25], 0
	s_mov_b64 s[18:19], 0
	s_cbranch_execz .LBB223_5
	s_branch .LBB223_6
.LBB223_3:
	s_mov_b64 s[16:17], 0
	s_andn2_b64 vcc, exec, s[10:11]
	s_cbranch_vccz .LBB223_2
.LBB223_4:
	s_mov_b64 s[10:11], s[8:9]
	s_mov_b64 s[24:25], 0
	;; [unrolled: 1-line block ×3, first 2 shown]
.LBB223_5:
	s_lshl_b64 s[8:9], s[8:9], 3
	s_add_u32 s6, s6, s8
	s_load_dwordx2 s[4:5], s[0:1], 0x38
	s_addc_u32 s7, s7, s9
	s_load_dwordx2 s[6:7], s[6:7], 0x0
	s_waitcnt lgkmcnt(0)
	s_lshl_b64 s[4:5], s[4:5], 1
	s_add_u32 s18, s6, s4
	s_addc_u32 s19, s7, s5
.LBB223_6:
	s_load_dword s33, s[0:1], 0x40
	s_load_dwordx4 s[4:7], s[0:1], 0x58
	s_waitcnt lgkmcnt(0)
	v_cmp_eq_f16_e64 s[8:9], s33, 0
	v_cmp_neq_f16_e64 s[12:13], s33, 0
	s_and_b64 vcc, exec, s[8:9]
	s_cbranch_vccnz .LBB223_8
; %bb.7:
	s_load_dwordx2 s[8:9], s[0:1], 0x48
	s_lshl_b64 s[14:15], s[10:11], 3
	s_waitcnt lgkmcnt(0)
	s_add_u32 s8, s8, s14
	s_addc_u32 s9, s9, s15
	s_load_dwordx2 s[8:9], s[8:9], 0x0
	s_lshl_b64 s[4:5], s[4:5], 1
	s_waitcnt lgkmcnt(0)
	s_add_u32 s24, s8, s4
	s_addc_u32 s25, s9, s5
.LBB223_8:
	s_load_dword s26, s[0:1], 0x18
	s_lshl_b64 s[4:5], s[10:11], 3
	v_and_b32_e32 v33, 0x3ff, v0
	v_bfe_u32 v48, v0, 10, 10
	v_mov_b32_e32 v2, 0x7c00
	s_waitcnt lgkmcnt(0)
	s_ashr_i32 s27, s26, 31
	s_add_u32 s14, s6, s4
	s_addc_u32 s15, s7, s5
	s_add_i32 s3, s20, -1
	s_ashr_i32 s4, s3, 31
	s_lshr_b32 s4, s4, 26
	s_add_i32 s3, s3, s4
	s_ashr_i32 s3, s3, 6
	s_add_i32 s5, s3, 1
	v_cvt_f32_u32_e32 v1, s5
	s_not_b32 s3, s3
	v_mov_b32_e32 v4, 0x7c00
	v_rcp_iflag_f32_e32 v0, v1
	v_lshl_add_u32 v1, v48, 3, v33
	v_and_b32_e32 v3, 63, v1
	v_lshrrev_b32_e32 v32, 6, v1
	v_mul_f32_e32 v0, 0x4f7ffffe, v0
	v_cvt_u32_f32_e32 v0, v0
	v_cmp_le_i32_e64 s[10:11], s22, v32
	v_readfirstlane_b32 s4, v0
	s_mul_i32 s3, s3, s4
	s_mul_hi_u32 s3, s4, s3
	s_add_i32 s4, s4, s3
	s_mul_hi_u32 s3, s2, s4
	s_mul_i32 s4, s3, s5
	s_sub_i32 s4, s2, s4
	s_add_i32 s6, s3, 1
	s_sub_i32 s7, s4, s5
	s_cmp_ge_u32 s4, s5
	s_cselect_b32 s3, s6, s3
	s_cselect_b32 s4, s7, s4
	s_add_i32 s6, s3, 1
	s_cmp_ge_u32 s4, s5
	s_cselect_b32 s4, s6, s3
	s_mul_i32 s3, s4, s5
	s_sub_i32 s2, s2, s3
	s_lshl_b32 s34, s2, 6
	v_or_b32_e32 v28, s34, v3
	v_cmp_le_i32_e32 vcc, s20, v28
	v_ashrrev_i32_e32 v29, 31, v28
	s_nor_b64 s[6:7], vcc, s[10:11]
	s_and_saveexec_b64 s[2:3], s[6:7]
	s_cbranch_execz .LBB223_10
; %bb.9:
	v_mad_i64_i32 v[0:1], s[6:7], s26, v32, 0
	v_lshl_add_u64 v[0:1], v[0:1], 1, s[16:17]
	v_lshl_add_u64 v[0:1], v[28:29], 1, v[0:1]
	flat_load_ushort v4, v[0:1]
.LBB223_10:
	s_or_b64 exec, exec, s[2:3]
	s_load_dword s28, s[0:1], 0x30
	s_lshl_b32 s35, s4, 8
	v_or_b32_e32 v30, s35, v3
	v_cmp_le_i32_e64 s[2:3], s21, v30
	s_nor_b64 s[6:7], s[2:3], s[10:11]
	s_waitcnt lgkmcnt(0)
	v_mad_i64_i32 v[0:1], s[4:5], v32, s28, 0
	v_lshl_add_u64 v[0:1], v[0:1], 1, s[18:19]
	v_ashrrev_i32_e32 v31, 31, v30
	s_and_saveexec_b64 s[4:5], s[6:7]
	s_cbranch_execz .LBB223_12
; %bb.11:
	v_lshl_add_u64 v[6:7], v[30:31], 1, v[0:1]
	flat_load_ushort v2, v[6:7]
.LBB223_12:
	s_or_b64 exec, exec, s[4:5]
	v_or_b32_e32 v5, 64, v30
	v_cmp_le_i32_e64 s[4:5], s21, v5
	s_nor_b64 s[8:9], s[4:5], s[10:11]
	v_mov_b32_e32 v5, 0x7c00
	v_mov_b32_e32 v6, 0x7c00
	s_and_saveexec_b64 s[6:7], s[8:9]
	s_cbranch_execz .LBB223_14
; %bb.13:
	v_lshl_add_u64 v[6:7], v[30:31], 1, v[0:1]
	flat_load_ushort v6, v[6:7] offset:128
.LBB223_14:
	s_or_b64 exec, exec, s[6:7]
	v_or_b32_e32 v7, 0x80, v30
	v_cmp_le_i32_e64 s[6:7], s21, v7
	s_ashr_i32 s29, s28, 31
	s_nor_b64 s[30:31], s[6:7], s[10:11]
	s_and_saveexec_b64 s[8:9], s[30:31]
	s_cbranch_execz .LBB223_16
; %bb.15:
	v_lshl_add_u64 v[8:9], v[30:31], 1, v[0:1]
	flat_load_ushort v5, v[8:9] offset:256
.LBB223_16:
	s_or_b64 exec, exec, s[8:9]
	v_or_b32_e32 v7, 0xc0, v30
	v_cmp_le_i32_e64 s[8:9], s21, v7
	s_nor_b64 s[30:31], s[8:9], s[10:11]
	v_mov_b32_e32 v34, 0x7c00
	v_mov_b32_e32 v7, 0x7c00
	s_and_saveexec_b64 s[10:11], s[30:31]
	s_cbranch_execz .LBB223_18
; %bb.17:
	v_lshl_add_u64 v[0:1], v[30:31], 1, v[0:1]
	flat_load_ushort v7, v[0:1] offset:384
.LBB223_18:
	s_or_b64 exec, exec, s[10:11]
	v_add_u32_e32 v0, 4, v32
	v_cmp_le_i32_e64 s[10:11], s22, v0
	s_nor_b64 s[36:37], vcc, s[10:11]
	s_and_saveexec_b64 s[30:31], s[36:37]
	s_cbranch_execz .LBB223_20
; %bb.19:
	v_mad_u64_u32 v[8:9], s[36:37], s26, v0, 0
	v_mov_b32_e32 v10, v9
	v_mad_u64_u32 v[10:11], s[36:37], s27, v0, v[10:11]
	v_mov_b32_e32 v9, v10
	v_lshl_add_u64 v[8:9], v[8:9], 1, s[16:17]
	v_lshl_add_u64 v[8:9], v[28:29], 1, v[8:9]
	flat_load_ushort v34, v[8:9]
.LBB223_20:
	s_or_b64 exec, exec, s[30:31]
	v_mad_u64_u32 v[8:9], s[30:31], v0, s28, 0
	v_mov_b32_e32 v10, v9
	v_mad_u64_u32 v[0:1], s[30:31], v0, s29, v[10:11]
	v_mov_b32_e32 v9, v0
	v_lshl_add_u64 v[0:1], v[8:9], 1, s[18:19]
	s_nor_b64 s[36:37], s[2:3], s[10:11]
	v_mov_b32_e32 v35, 0x7c00
	v_mov_b32_e32 v36, 0x7c00
	s_and_saveexec_b64 s[30:31], s[36:37]
	s_cbranch_execz .LBB223_22
; %bb.21:
	v_lshl_add_u64 v[8:9], v[30:31], 1, v[0:1]
	flat_load_ushort v36, v[8:9]
.LBB223_22:
	s_or_b64 exec, exec, s[30:31]
	s_nor_b64 s[36:37], s[4:5], s[10:11]
	s_and_saveexec_b64 s[30:31], s[36:37]
	s_cbranch_execz .LBB223_24
; %bb.23:
	v_lshl_add_u64 v[8:9], v[30:31], 1, v[0:1]
	flat_load_ushort v35, v[8:9] offset:128
.LBB223_24:
	s_or_b64 exec, exec, s[30:31]
	s_nor_b64 s[36:37], s[6:7], s[10:11]
	v_mov_b32_e32 v37, 0x7c00
	v_mov_b32_e32 v38, 0x7c00
	s_and_saveexec_b64 s[30:31], s[36:37]
	s_cbranch_execz .LBB223_26
; %bb.25:
	v_lshl_add_u64 v[8:9], v[30:31], 1, v[0:1]
	flat_load_ushort v38, v[8:9] offset:256
.LBB223_26:
	s_or_b64 exec, exec, s[30:31]
	s_nor_b64 s[30:31], s[8:9], s[10:11]
	s_and_saveexec_b64 s[10:11], s[30:31]
	s_cbranch_execz .LBB223_28
; %bb.27:
	v_lshl_add_u64 v[0:1], v[30:31], 1, v[0:1]
	flat_load_ushort v37, v[0:1] offset:384
.LBB223_28:
	s_or_b64 exec, exec, s[10:11]
	v_lshlrev_b32_e32 v0, 3, v3
	v_lshlrev_b32_e32 v50, 3, v33
	v_lshl_add_u32 v51, v32, 1, v0
	v_add_u32_e32 v91, 0x1000, v50
	s_load_dwordx2 s[14:15], s[14:15], 0x0
	s_waitcnt vmcnt(0)
	ds_write_b16 v51, v4 offset:4096
	s_waitcnt lgkmcnt(0)
	ds_write_b16 v51, v2
	ds_write_b16 v51, v6 offset:512
	ds_write_b16 v51, v5 offset:1024
	;; [unrolled: 1-line block ×3, first 2 shown]
	s_waitcnt lgkmcnt(0)
	s_barrier
	v_lshlrev_b32_e32 v49, 3, v48
	ds_read2_b64 v[16:19], v91 offset1:8
	ds_read2_b64 v[12:15], v91 offset0:16 offset1:24
	ds_read2_b64 v[4:7], v91 offset0:32 offset1:40
	ds_read2_b64 v[40:43], v49 offset1:32
	ds_read2_b64 v[0:3], v91 offset0:48 offset1:56
	ds_read2_b64 v[24:27], v49 offset0:64 offset1:96
	;; [unrolled: 1-line block ×4, first 2 shown]
	s_waitcnt lgkmcnt(4)
	v_pk_add_f16 v39, v16, v40
	s_movk_i32 s10, 0x7c00
	v_pk_add_f16 v44, v18, v40
	v_pk_add_f16 v45, v12, v40
	;; [unrolled: 1-line block ×5, first 2 shown]
	s_waitcnt lgkmcnt(3)
	v_pk_add_f16 v53, v0, v40
	v_pk_add_f16 v40, v2, v40
	v_pk_add_f16 v54, v16, v42
	v_pk_add_f16 v55, v18, v42
	v_pk_add_f16 v56, v12, v42
	v_pk_add_f16 v57, v14, v42
	v_pk_add_f16 v58, v4, v42
	v_pk_add_f16 v59, v6, v42
	v_pk_add_f16 v60, v0, v42
	v_pk_add_f16 v42, v2, v42
	s_waitcnt lgkmcnt(2)
	v_pk_add_f16 v61, v16, v24
	v_pk_add_f16 v62, v18, v24
	v_pk_add_f16 v63, v12, v24
	v_pk_add_f16 v64, v14, v24
	v_pk_add_f16 v65, v4, v24
	v_pk_add_f16 v66, v6, v24
	v_pk_add_f16 v67, v0, v24
	v_pk_add_f16 v24, v2, v24
	v_pk_add_f16 v68, v16, v26
	v_pk_add_f16 v69, v18, v26
	v_pk_add_f16 v70, v12, v26
	v_pk_add_f16 v71, v14, v26
	v_pk_add_f16 v72, v4, v26
	v_pk_add_f16 v73, v6, v26
	v_pk_add_f16 v74, v0, v26
	v_pk_add_f16 v26, v2, v26
	s_waitcnt lgkmcnt(1)
	v_pk_add_f16 v75, v16, v20
	v_pk_add_f16 v76, v18, v20
	v_pk_add_f16 v77, v12, v20
	v_pk_add_f16 v78, v14, v20
	v_pk_add_f16 v79, v4, v20
	v_pk_add_f16 v117, v6, v20
	;; [unrolled: 17-line block ×3, first 2 shown]
	v_pk_add_f16 v132, v0, v8
	v_pk_add_f16 v8, v2, v8
	;; [unrolled: 1-line block ×11, first 2 shown]
	v_pk_min_f16 v10, v39, s10 op_sel_hi:[1,0]
	v_pk_min_f16 v8, v8, s10 op_sel_hi:[1,0]
	v_pk_min_f16 v116, v10, v2
	v_pk_add_f16 v2, v19, v41
	v_pk_min_f16 v10, v44, s10 op_sel_hi:[1,0]
	v_pk_min_f16 v4, v4, s10 op_sel_hi:[1,0]
	v_pk_min_f16 v115, v10, v2
	v_pk_add_f16 v2, v13, v41
	;; [unrolled: 4-line block ×3, first 2 shown]
	v_pk_min_f16 v10, v46, s10 op_sel_hi:[1,0]
	s_cmp_lt_i32 s22, 9
	v_pk_min_f16 v113, v10, v2
	v_pk_add_f16 v2, v5, v41
	v_pk_min_f16 v10, v47, s10 op_sel_hi:[1,0]
	ds_write_b16 v51, v34 offset:4608
	ds_write_b16 v51, v36 offset:2048
	ds_write_b16 v51, v35 offset:2560
	ds_write_b16 v51, v38 offset:3072
	ds_write_b16 v51, v37 offset:3584
	v_pk_min_f16 v112, v10, v2
	v_pk_add_f16 v2, v7, v41
	v_pk_min_f16 v10, v52, s10 op_sel_hi:[1,0]
	s_waitcnt lgkmcnt(0)
	v_pk_min_f16 v111, v10, v2
	v_pk_add_f16 v2, v1, v41
	v_pk_min_f16 v10, v53, s10 op_sel_hi:[1,0]
	s_barrier
	v_pk_min_f16 v110, v10, v2
	v_pk_add_f16 v2, v3, v41
	v_pk_min_f16 v10, v40, s10 op_sel_hi:[1,0]
	s_nop 0
	v_pk_min_f16 v109, v10, v2
	v_pk_add_f16 v2, v17, v43
	v_pk_min_f16 v10, v54, s10 op_sel_hi:[1,0]
	s_nop 0
	;; [unrolled: 4-line block ×47, first 2 shown]
	v_pk_min_f16 v62, v10, v2
	v_pk_add_f16 v2, v1, v9
	v_pk_min_f16 v10, v132, s10 op_sel_hi:[1,0]
	v_pk_add_f16 v1, v1, v11
	v_pk_min_f16 v61, v10, v2
	v_pk_add_f16 v2, v3, v9
	s_nop 0
	v_pk_min_f16 v60, v8, v2
	v_pk_add_f16 v2, v17, v11
	v_pk_min_f16 v8, v16, s10 op_sel_hi:[1,0]
	s_nop 0
	v_pk_min_f16 v59, v8, v2
	v_pk_add_f16 v2, v19, v11
	v_pk_min_f16 v8, v18, s10 op_sel_hi:[1,0]
	;; [unrolled: 4-line block ×4, first 2 shown]
	s_nop 0
	v_pk_min_f16 v56, v8, v2
	v_pk_add_f16 v2, v5, v11
	s_nop 0
	v_pk_min_f16 v54, v4, v2
	v_pk_add_f16 v2, v7, v11
	v_pk_min_f16 v4, v6, s10 op_sel_hi:[1,0]
	s_nop 0
	v_pk_min_f16 v53, v4, v2
	v_pk_min_f16 v2, v133, s10 op_sel_hi:[1,0]
	s_nop 0
	v_pk_min_f16 v52, v2, v1
	v_pk_add_f16 v1, v3, v11
	s_nop 0
	v_pk_min_f16 v55, v0, v1
	s_cbranch_scc1 .LBB223_51
; %bb.29:
	v_mov_b32_e32 v0, 0x1200
	v_lshl_add_u32 v120, v33, 3, v0
	v_add_u32_e32 v0, v49, v33
	v_lshrrev_b32_e32 v2, 6, v0
	v_add_u32_e32 v3, 8, v2
	v_mad_i64_i32 v[0:1], s[10:11], v3, s26, 0
	v_lshlrev_b64 v[36:37], 1, v[0:1]
	v_mad_i64_i32 v[0:1], s[10:11], v3, s28, 0
	v_add_u32_e32 v2, 12, v2
	v_lshlrev_b64 v[38:39], 1, v[0:1]
	v_mad_i64_i32 v[0:1], s[10:11], v2, s28, 0
	v_lshlrev_b64 v[42:43], 1, v[0:1]
	v_mad_i64_i32 v[0:1], s[10:11], v2, s26, 0
	v_or_b32_e32 v117, 0x1000, v51
	v_add_u32_e32 v118, 0x1200, v51
	v_or_b32_e32 v119, 0x800, v51
	s_add_i32 s23, s22, -8
	v_lshl_add_u64 v[34:35], v[28:29], 1, s[16:17]
	v_add_u32_e32 v121, 0x800, v49
	s_lshl_b64 s[16:17], s[26:27], 4
	v_lshl_add_u64 v[40:41], v[30:31], 1, s[18:19]
	s_lshl_b64 s[18:19], s[28:29], 4
	v_lshlrev_b64 v[44:45], 1, v[0:1]
	s_mov_b32 s28, 0
	s_branch .LBB223_31
.LBB223_30:                             ;   in Loop: Header=BB223_31 Depth=1
	s_or_b64 exec, exec, s[10:11]
	v_pk_add_f16 v46, v16, v28
	v_pk_max_f16 v47, v116, v116
	v_pk_max_f16 v115, v115, v115
	v_pk_min_f16 v46, v47, v46
	v_pk_add_f16 v47, v18, v28
	v_pk_max_f16 v114, v114, v114
	v_pk_min_f16 v47, v115, v47
	v_pk_add_f16 v115, v12, v28
	v_pk_max_f16 v113, v113, v113
	v_pk_min_f16 v114, v114, v115
	v_pk_add_f16 v115, v14, v28
	v_pk_max_f16 v112, v112, v112
	v_pk_min_f16 v113, v113, v115
	v_pk_add_f16 v115, v4, v28
	v_pk_max_f16 v111, v111, v111
	v_pk_min_f16 v112, v112, v115
	v_pk_add_f16 v115, v6, v28
	v_pk_max_f16 v109, v109, v109
	v_pk_min_f16 v111, v111, v115
	v_pk_add_f16 v115, v0, v28
	v_pk_add_f16 v28, v2, v28
	v_pk_max_f16 v108, v108, v108
	v_pk_min_f16 v28, v109, v28
	v_pk_add_f16 v109, v16, v30
	v_pk_max_f16 v107, v107, v107
	v_pk_min_f16 v108, v108, v109
	v_pk_add_f16 v109, v18, v30
	v_pk_max_f16 v106, v106, v106
	v_pk_min_f16 v107, v107, v109
	v_pk_add_f16 v109, v12, v30
	v_pk_max_f16 v104, v104, v104
	v_pk_min_f16 v106, v106, v109
	v_pk_add_f16 v109, v14, v30
	v_pk_max_f16 v102, v102, v102
	v_pk_min_f16 v104, v104, v109
	v_pk_add_f16 v109, v4, v30
	v_pk_max_f16 v100, v100, v100
	v_pk_min_f16 v102, v102, v109
	v_pk_add_f16 v109, v6, v30
	v_pk_max_f16 v96, v96, v96
	v_pk_min_f16 v100, v100, v109
	v_pk_add_f16 v109, v0, v30
	v_pk_add_f16 v30, v2, v30
	v_pk_max_f16 v94, v94, v94
	v_pk_min_f16 v30, v96, v30
	v_pk_add_f16 v96, v16, v24
	;; [unrolled: 22-line block ×4, first 2 shown]
	v_pk_max_f16 v82, v82, v82
	v_pk_min_f16 v83, v83, v84
	v_pk_add_f16 v84, v18, v20
	v_pk_max_f16 v81, v81, v81
	v_pk_min_f16 v82, v82, v84
	v_pk_add_f16 v84, v12, v20
	;; [unrolled: 3-line block ×3, first 2 shown]
	v_pk_max_f16 v80, v80, v80
	v_pk_max_f16 v101, v101, v101
	v_pk_min_f16 v85, v85, v99
	v_pk_min_f16 v99, v80, v81
	v_pk_add_f16 v80, v4, v20
	v_pk_max_f16 v79, v79, v79
	v_pk_max_f16 v98, v98, v98
	v_pk_min_f16 v101, v101, v105
	v_pk_min_f16 v105, v79, v80
	v_pk_add_f16 v79, v6, v20
	v_pk_max_f16 v78, v78, v78
	v_pk_min_f16 v98, v98, v109
	v_pk_min_f16 v109, v78, v79
	v_pk_add_f16 v78, v0, v20
	v_pk_add_f16 v20, v2, v20
	v_pk_max_f16 v76, v76, v76
	v_pk_max_f16 v75, v75, v75
	v_pk_min_f16 v20, v76, v20
	v_pk_add_f16 v76, v16, v22
	v_pk_max_f16 v74, v74, v74
	v_pk_min_f16 v116, v75, v76
	v_pk_add_f16 v75, v18, v22
	;; [unrolled: 3-line block ×7, first 2 shown]
	v_pk_add_f16 v22, v2, v22
	v_pk_min_f16 v132, v68, v70
	v_pk_max_f16 v68, v69, v69
	v_pk_max_f16 v67, v67, v67
	v_pk_min_f16 v22, v68, v22
	v_pk_add_f16 v68, v16, v8
	v_pk_max_f16 v66, v66, v66
	v_pk_min_f16 v133, v67, v68
	v_pk_add_f16 v67, v18, v8
	;; [unrolled: 3-line block ×6, first 2 shown]
	v_pk_add_f16 v16, v16, v10
	v_pk_min_f16 v138, v62, v63
	v_pk_add_f16 v62, v0, v8
	v_pk_add_f16 v8, v2, v8
	;; [unrolled: 1-line block ×9, first 2 shown]
	v_pk_max_f16 v10, v55, v55
	v_pk_max_f16 v110, v110, v110
	v_pk_min_f16 v2, v10, v2
	v_pk_add_f16 v10, v17, v29
	v_pk_min_f16 v110, v110, v115
	v_pk_min_f16 v140, v46, v10
	v_pk_add_f16 v10, v19, v29
	v_pk_max_f16 v77, v77, v77
	v_pk_min_f16 v141, v47, v10
	v_pk_add_f16 v10, v13, v29
	v_pk_min_f16 v115, v77, v78
	v_pk_min_f16 v114, v114, v10
	v_pk_add_f16 v10, v15, v29
	;; [unrolled: 6-line block ×11, first 2 shown]
	s_add_i32 s28, s28, 8
	v_pk_min_f16 v81, v103, v10
	v_pk_add_f16 v10, v1, v25
	v_pk_max_f16 v81, v81, v81
	v_pk_min_f16 v80, v101, v10
	v_pk_add_f16 v10, v3, v25
	v_pk_max_f16 v80, v80, v80
	;; [unrolled: 3-line block ×11, first 2 shown]
	v_pk_min_f16 v73, v83, v10
	v_pk_add_f16 v10, v19, v21
	v_lshl_add_u64 v[34:35], v[34:35], 0, s[16:17]
	v_pk_min_f16 v71, v82, v10
	v_pk_add_f16 v10, v13, v21
	s_cmp_ge_i32 s28, s23
	v_pk_min_f16 v69, v84, v10
	v_pk_add_f16 v10, v15, v21
	v_lshl_add_u64 v[40:41], v[40:41], 0, s[18:19]
	v_pk_min_f16 v67, v99, v10
	v_pk_add_f16 v10, v5, v21
	v_pk_max_f16 v67, v67, v67
	v_pk_min_f16 v66, v105, v10
	v_pk_add_f16 v10, v7, v21
	v_pk_max_f16 v66, v66, v66
	;; [unrolled: 3-line block ×6, first 2 shown]
	v_pk_min_f16 v61, v127, v10
	v_pk_add_f16 v10, v13, v23
	s_nop 0
	v_pk_min_f16 v60, v128, v10
	v_pk_add_f16 v10, v15, v23
	s_nop 0
	;; [unrolled: 3-line block ×10, first 2 shown]
	v_pk_min_f16 v28, v136, v10
	v_pk_add_f16 v10, v5, v9
	v_pk_add_f16 v5, v5, v11
	v_pk_min_f16 v27, v137, v10
	v_pk_add_f16 v10, v7, v9
	v_pk_min_f16 v127, v4, v5
	v_pk_min_f16 v26, v138, v10
	v_pk_add_f16 v10, v1, v9
	v_pk_add_f16 v9, v3, v9
	;; [unrolled: 1-line block ×3, first 2 shown]
	v_pk_min_f16 v24, v8, v9
	v_pk_add_f16 v8, v17, v11
	v_pk_add_f16 v4, v7, v11
	v_pk_min_f16 v46, v16, v8
	v_pk_add_f16 v8, v19, v11
	v_pk_min_f16 v129, v0, v1
	v_pk_min_f16 v31, v18, v8
	v_pk_add_f16 v8, v13, v11
	v_pk_add_f16 v0, v3, v11
	v_pk_min_f16 v54, v12, v8
	v_pk_add_f16 v8, v15, v11
	v_pk_min_f16 v25, v139, v10
	v_pk_min_f16 v53, v14, v8
	;; [unrolled: 1-line block ×4, first 2 shown]
	ds_read2_b64 v[12:15], v91 offset1:8
	ds_read2_b64 v[4:7], v91 offset0:16 offset1:24
	ds_read2_b64 v[82:85], v49 offset1:32
	ds_read2_b64 v[8:11], v91 offset0:32 offset1:40
	ds_read2_b64 v[0:3], v91 offset0:48 offset1:56
	;; [unrolled: 1-line block ×4, first 2 shown]
	s_waitcnt lgkmcnt(0)
	v_pk_add_f16 v86, v12, v82
	v_pk_add_f16 v88, v14, v82
	v_pk_min_f16 v86, v109, v86
	v_pk_add_f16 v109, v13, v83
	v_pk_add_f16 v90, v4, v82
	v_pk_min_f16 v116, v86, v109
	v_pk_max_f16 v109, v141, v141
	v_pk_add_f16 v93, v6, v82
	v_pk_min_f16 v88, v109, v88
	v_pk_add_f16 v109, v15, v83
	v_pk_add_f16 v95, v8, v82
	v_pk_min_f16 v115, v88, v109
	v_pk_max_f16 v109, v114, v114
	;; [unrolled: 6-line block ×4, first 2 shown]
	v_pk_add_f16 v86, v6, v20
	v_pk_min_f16 v95, v109, v95
	v_pk_add_f16 v109, v9, v83
	v_pk_add_f16 v88, v8, v20
	;; [unrolled: 1-line block ×4, first 2 shown]
	v_pk_min_f16 v112, v95, v109
	v_pk_add_f16 v95, v2, v20
	v_pk_max_f16 v20, v111, v111
	v_pk_add_f16 v97, v0, v82
	v_pk_min_f16 v20, v20, v96
	v_pk_add_f16 v96, v11, v83
	v_pk_add_f16 v82, v2, v82
	v_pk_min_f16 v111, v20, v96
	v_pk_max_f16 v20, v110, v110
	v_pk_add_f16 v96, v1, v83
	v_pk_min_f16 v20, v20, v97
	v_pk_add_f16 v99, v12, v84
	v_pk_min_f16 v110, v20, v96
	v_pk_max_f16 v20, v142, v142
	v_pk_add_f16 v101, v14, v84
	v_pk_min_f16 v20, v20, v82
	v_pk_add_f16 v82, v3, v83
	v_pk_add_f16 v83, v13, v85
	v_pk_min_f16 v109, v20, v82
	v_pk_max_f16 v20, v108, v108
	v_pk_add_f16 v96, v15, v85
	v_pk_min_f16 v20, v20, v99
	v_pk_add_f16 v103, v4, v84
	v_pk_min_f16 v108, v20, v83
	v_pk_max_f16 v20, v107, v107
	v_pk_add_f16 v105, v6, v84
	v_pk_min_f16 v20, v20, v101
	;; [unrolled: 5-line block ×5, first 2 shown]
	v_pk_add_f16 v137, v14, v22
	v_pk_min_f16 v102, v20, v96
	v_pk_max_f16 v20, v100, v100
	v_pk_add_f16 v82, v4, v22
	v_pk_add_f16 v83, v6, v22
	;; [unrolled: 1-line block ×6, first 2 shown]
	v_pk_min_f16 v20, v20, v131
	v_pk_add_f16 v22, v11, v85
	v_pk_add_f16 v132, v0, v84
	v_pk_min_f16 v100, v20, v22
	v_pk_max_f16 v22, v98, v98
	v_pk_add_f16 v20, v1, v85
	v_pk_min_f16 v22, v22, v132
	v_pk_add_f16 v84, v2, v84
	v_pk_min_f16 v98, v22, v20
	v_pk_max_f16 v22, v143, v143
	v_pk_add_f16 v20, v3, v85
	v_pk_min_f16 v22, v22, v84
	;; [unrolled: 5-line block ×4, first 2 shown]
	v_pk_min_f16 v68, v68, v130
	v_pk_min_f16 v92, v22, v20
	v_pk_max_f16 v22, v89, v89
	v_pk_add_f16 v20, v5, v21
	v_pk_min_f16 v22, v22, v135
	v_pk_add_f16 v142, v1, v23
	v_pk_min_f16 v89, v22, v20
	v_pk_max_f16 v22, v87, v87
	v_pk_add_f16 v20, v7, v21
	v_pk_min_f16 v22, v22, v86
	v_pk_min_f16 v70, v70, v140
	v_pk_min_f16 v87, v22, v20
	v_pk_max_f16 v20, v144, v144
	v_pk_add_f16 v144, v12, v16
	v_pk_min_f16 v85, v20, v88
	v_pk_add_f16 v145, v14, v16
	v_pk_min_f16 v105, v85, v84
	v_pk_min_f16 v84, v68, v143
	v_pk_max_f16 v68, v73, v73
	v_pk_min_f16 v85, v70, v142
	v_pk_min_f16 v68, v68, v144
	v_pk_add_f16 v70, v13, v17
	v_pk_min_f16 v75, v75, v83
	v_pk_min_f16 v83, v68, v70
	v_pk_max_f16 v68, v71, v71
	v_pk_add_f16 v86, v11, v21
	v_pk_min_f16 v81, v81, v90
	v_pk_min_f16 v68, v68, v145
	v_pk_add_f16 v70, v15, v17
	v_pk_min_f16 v103, v81, v86
	v_pk_add_f16 v81, v4, v16
	v_pk_min_f16 v76, v76, v82
	v_pk_min_f16 v82, v68, v70
	v_pk_max_f16 v68, v69, v69
	v_pk_add_f16 v146, v6, v16
	v_pk_min_f16 v68, v68, v81
	v_pk_add_f16 v69, v5, v17
	v_pk_add_f16 v88, v1, v21
	v_pk_min_f16 v80, v80, v93
	v_pk_add_f16 v147, v8, v16
	v_pk_min_f16 v81, v68, v69
	v_pk_min_f16 v67, v67, v146
	v_pk_add_f16 v68, v7, v17
	v_pk_add_f16 v97, v3, v21
	v_pk_min_f16 v101, v80, v88
	v_pk_min_f16 v79, v79, v95
	v_pk_add_f16 v148, v10, v16
	v_pk_min_f16 v80, v67, v68
	v_pk_min_f16 v66, v66, v147
	v_pk_add_f16 v67, v9, v17
	v_pk_add_f16 v131, v13, v23
	v_pk_min_f16 v99, v79, v97
	v_pk_add_f16 v149, v0, v16
	v_pk_min_f16 v78, v78, v136
	;; [unrolled: 2-line block ×3, first 2 shown]
	v_pk_min_f16 v65, v65, v148
	v_pk_add_f16 v66, v11, v17
	v_pk_add_f16 v133, v5, v23
	v_pk_min_f16 v97, v78, v131
	v_pk_min_f16 v78, v65, v66
	v_pk_add_f16 v65, v1, v17
	v_pk_min_f16 v16, v63, v16
	v_pk_add_f16 v17, v3, v17
	v_pk_add_f16 v131, v12, v18
	v_pk_min_f16 v93, v76, v133
	v_pk_min_f16 v76, v16, v17
	v_pk_max_f16 v16, v62, v62
	v_pk_add_f16 v134, v7, v23
	v_pk_min_f16 v16, v16, v131
	v_pk_add_f16 v17, v13, v19
	v_pk_add_f16 v136, v14, v18
	v_pk_min_f16 v90, v75, v134
	v_pk_min_f16 v75, v16, v17
	v_pk_max_f16 v16, v61, v61
	v_pk_add_f16 v132, v15, v23
	v_pk_add_f16 v135, v9, v23
	v_pk_min_f16 v77, v77, v137
	v_pk_min_f16 v74, v74, v138
	;; [unrolled: 1-line block ×3, first 2 shown]
	v_pk_add_f16 v17, v15, v19
	v_pk_min_f16 v95, v77, v132
	v_pk_add_f16 v132, v4, v18
	v_pk_min_f16 v88, v74, v135
	v_pk_min_f16 v74, v16, v17
	v_pk_max_f16 v17, v60, v60
	v_pk_add_f16 v16, v5, v19
	v_pk_min_f16 v17, v17, v132
	v_pk_add_f16 v137, v6, v18
	v_pk_min_f16 v73, v17, v16
	v_pk_max_f16 v17, v59, v59
	v_pk_add_f16 v141, v11, v23
	v_pk_min_f16 v72, v72, v139
	v_pk_add_f16 v16, v7, v19
	v_pk_min_f16 v17, v17, v137
	;; [unrolled: 2-line block ×3, first 2 shown]
	v_pk_min_f16 v72, v17, v16
	v_pk_max_f16 v17, v58, v58
	v_pk_add_f16 v16, v9, v19
	v_pk_min_f16 v17, v17, v133
	v_pk_add_f16 v150, v10, v18
	v_pk_min_f16 v71, v17, v16
	v_pk_max_f16 v17, v57, v57
	ds_read2_b64 v[20:23], v49 offset0:192 offset1:224
	v_pk_add_f16 v16, v11, v19
	v_pk_min_f16 v17, v17, v150
	v_pk_add_f16 v134, v0, v18
	v_pk_min_f16 v70, v17, v16
	v_pk_max_f16 v17, v56, v56
	v_pk_add_f16 v16, v1, v19
	v_pk_min_f16 v17, v17, v134
	v_pk_add_f16 v18, v2, v18
	v_pk_min_f16 v68, v17, v16
	v_pk_max_f16 v17, v29, v29
	v_pk_add_f16 v16, v3, v19
	v_pk_min_f16 v17, v17, v18
	s_waitcnt lgkmcnt(0)
	v_pk_add_f16 v135, v12, v20
	v_pk_min_f16 v69, v17, v16
	v_pk_max_f16 v17, v52, v52
	v_pk_add_f16 v16, v13, v21
	v_pk_min_f16 v17, v17, v135
	v_pk_add_f16 v138, v14, v20
	v_pk_min_f16 v67, v17, v16
	v_pk_max_f16 v17, v47, v47
	v_pk_add_f16 v16, v15, v21
	v_pk_min_f16 v17, v17, v138
	v_pk_add_f16 v139, v4, v20
	v_pk_min_f16 v66, v17, v16
	v_pk_max_f16 v17, v30, v30
	v_pk_min_f16 v64, v64, v149
	v_pk_add_f16 v16, v5, v21
	v_pk_min_f16 v17, v17, v139
	v_pk_add_f16 v140, v6, v20
	v_pk_min_f16 v77, v64, v65
	v_pk_min_f16 v65, v17, v16
	v_pk_max_f16 v17, v28, v28
	v_pk_add_f16 v16, v7, v21
	v_pk_min_f16 v17, v17, v140
	v_pk_add_f16 v141, v8, v20
	v_pk_min_f16 v64, v17, v16
	v_pk_max_f16 v17, v27, v27
	v_pk_add_f16 v16, v9, v21
	v_pk_min_f16 v17, v17, v141
	v_pk_add_f16 v130, v10, v20
	;; [unrolled: 5-line block ×12, first 2 shown]
	v_pk_min_f16 v52, v0, v1
	v_pk_max_f16 v1, v128, v128
	v_pk_add_f16 v0, v3, v23
	v_pk_min_f16 v1, v1, v2
	s_waitcnt vmcnt(0)
	ds_write_b16 v118, v122
	ds_write_b16 v119, v124
	ds_write_b16 v119, v123 offset:512
	ds_write_b16 v119, v126 offset:1024
	;; [unrolled: 1-line block ×3, first 2 shown]
	v_pk_min_f16 v55, v1, v0
	s_waitcnt lgkmcnt(0)
	s_barrier
	s_cbranch_scc1 .LBB223_51
.LBB223_31:                             ; =>This Inner Loop Header: Depth=1
	v_add_u32_e32 v46, s28, v32
	v_add_u32_e32 v0, 8, v46
	v_cmp_le_i32_e64 s[10:11], s22, v0
	s_nor_b64 s[30:31], vcc, s[10:11]
	v_mov_b32_e32 v47, 0x7c00
	v_mov_b32_e32 v123, 0x7c00
	s_and_saveexec_b64 s[26:27], s[30:31]
	s_cbranch_execz .LBB223_33
; %bb.32:                               ;   in Loop: Header=BB223_31 Depth=1
	v_lshl_add_u64 v[0:1], v[34:35], 0, v[36:37]
	flat_load_ushort v123, v[0:1]
.LBB223_33:                             ;   in Loop: Header=BB223_31 Depth=1
	s_or_b64 exec, exec, s[26:27]
	s_nor_b64 s[30:31], s[2:3], s[10:11]
	v_lshl_add_u64 v[0:1], v[40:41], 0, v[38:39]
	s_and_saveexec_b64 s[26:27], s[30:31]
	s_cbranch_execz .LBB223_35
; %bb.34:                               ;   in Loop: Header=BB223_31 Depth=1
	flat_load_ushort v47, v[0:1]
.LBB223_35:                             ;   in Loop: Header=BB223_31 Depth=1
	s_or_b64 exec, exec, s[26:27]
	s_nor_b64 s[30:31], s[4:5], s[10:11]
	v_mov_b32_e32 v124, 0x7c00
	v_mov_b32_e32 v125, 0x7c00
	s_and_saveexec_b64 s[26:27], s[30:31]
	s_cbranch_execz .LBB223_37
; %bb.36:                               ;   in Loop: Header=BB223_31 Depth=1
	flat_load_ushort v125, v[0:1] offset:128
.LBB223_37:                             ;   in Loop: Header=BB223_31 Depth=1
	s_or_b64 exec, exec, s[26:27]
	s_nor_b64 s[30:31], s[6:7], s[10:11]
	s_and_saveexec_b64 s[26:27], s[30:31]
	s_cbranch_execz .LBB223_39
; %bb.38:                               ;   in Loop: Header=BB223_31 Depth=1
	flat_load_ushort v124, v[0:1] offset:256
.LBB223_39:                             ;   in Loop: Header=BB223_31 Depth=1
	s_or_b64 exec, exec, s[26:27]
	s_nor_b64 s[26:27], s[8:9], s[10:11]
	v_mov_b32_e32 v122, 0x7c00
	v_mov_b32_e32 v126, 0x7c00
	s_and_saveexec_b64 s[10:11], s[26:27]
	s_cbranch_execz .LBB223_41
; %bb.40:                               ;   in Loop: Header=BB223_31 Depth=1
	flat_load_ushort v126, v[0:1] offset:384
.LBB223_41:                             ;   in Loop: Header=BB223_31 Depth=1
	s_or_b64 exec, exec, s[10:11]
	ds_read2_b64 v[16:19], v120 offset1:8
	ds_read2_b64 v[12:15], v120 offset0:16 offset1:24
	ds_read2_b64 v[4:7], v120 offset0:32 offset1:40
	ds_read2_b64 v[0:3], v120 offset0:48 offset1:56
	ds_read2_b64 v[28:31], v121 offset1:32
	ds_read2_b64 v[24:27], v121 offset0:64 offset1:96
	ds_read2_b64 v[20:23], v121 offset0:128 offset1:160
	;; [unrolled: 1-line block ×3, first 2 shown]
	v_add_u32_e32 v46, 12, v46
	v_cmp_le_i32_e64 s[10:11], s22, v46
	s_nor_b64 s[30:31], vcc, s[10:11]
	s_waitcnt vmcnt(0) lgkmcnt(0)
	ds_write_b16 v117, v123
	ds_write_b16 v51, v47
	ds_write_b16 v51, v125 offset:512
	ds_write_b16 v51, v124 offset:1024
	;; [unrolled: 1-line block ×3, first 2 shown]
	s_waitcnt lgkmcnt(0)
	s_barrier
	s_and_saveexec_b64 s[26:27], s[30:31]
	s_cbranch_execz .LBB223_43
; %bb.42:                               ;   in Loop: Header=BB223_31 Depth=1
	v_lshl_add_u64 v[46:47], v[34:35], 0, v[44:45]
	flat_load_ushort v122, v[46:47]
.LBB223_43:                             ;   in Loop: Header=BB223_31 Depth=1
	s_or_b64 exec, exec, s[26:27]
	s_nor_b64 s[30:31], s[2:3], s[10:11]
	v_mov_b32_e32 v123, 0x7c00
	v_lshl_add_u64 v[46:47], v[40:41], 0, v[42:43]
	v_mov_b32_e32 v124, 0x7c00
	s_and_saveexec_b64 s[26:27], s[30:31]
	s_cbranch_execz .LBB223_45
; %bb.44:                               ;   in Loop: Header=BB223_31 Depth=1
	flat_load_ushort v124, v[46:47]
.LBB223_45:                             ;   in Loop: Header=BB223_31 Depth=1
	s_or_b64 exec, exec, s[26:27]
	s_nor_b64 s[30:31], s[4:5], s[10:11]
	s_and_saveexec_b64 s[26:27], s[30:31]
	s_cbranch_execz .LBB223_47
; %bb.46:                               ;   in Loop: Header=BB223_31 Depth=1
	flat_load_ushort v123, v[46:47] offset:128
.LBB223_47:                             ;   in Loop: Header=BB223_31 Depth=1
	s_or_b64 exec, exec, s[26:27]
	s_nor_b64 s[30:31], s[6:7], s[10:11]
	v_mov_b32_e32 v125, 0x7c00
	v_mov_b32_e32 v126, 0x7c00
	s_and_saveexec_b64 s[26:27], s[30:31]
	s_cbranch_execz .LBB223_49
; %bb.48:                               ;   in Loop: Header=BB223_31 Depth=1
	flat_load_ushort v126, v[46:47] offset:256
.LBB223_49:                             ;   in Loop: Header=BB223_31 Depth=1
	s_or_b64 exec, exec, s[26:27]
	s_nor_b64 s[26:27], s[8:9], s[10:11]
	s_and_saveexec_b64 s[10:11], s[26:27]
	s_cbranch_execz .LBB223_30
; %bb.50:                               ;   in Loop: Header=BB223_31 Depth=1
	flat_load_ushort v125, v[46:47] offset:384
	s_branch .LBB223_30
.LBB223_51:
	s_load_dwordx2 s[2:3], s[0:1], 0x70
	s_load_dword s29, s[0:1], 0x50
	s_load_dword s28, s[0:1], 0x68
	v_add_u32_e32 v0, 0x1000, v50
	v_add_u32_e32 v4, 0x800, v49
	ds_read2_b64 v[16:19], v0 offset0:64 offset1:72
	ds_read2_b64 v[12:15], v0 offset0:80 offset1:88
	;; [unrolled: 1-line block ×4, first 2 shown]
	ds_read2_b64 v[28:31], v4 offset1:32
	ds_read2_b64 v[24:27], v4 offset0:64 offset1:96
	ds_read2_b64 v[20:23], v4 offset0:128 offset1:160
	;; [unrolled: 1-line block ×3, first 2 shown]
	s_waitcnt lgkmcnt(0)
	s_lshl_b64 s[0:1], s[2:3], 1
	s_add_u32 s22, s14, s0
	v_add_u32_e32 v91, s35, v48
	s_addc_u32 s23, s15, s1
	v_mad_i64_i32 v[34:35], s[0:1], v91, s29, 0
	v_add_u32_e32 v32, s34, v33
	v_lshl_add_u64 v[50:51], v[34:35], 1, s[24:25]
	v_mad_i64_i32 v[34:35], s[0:1], v91, s28, 0
	v_cmp_gt_i32_e64 s[2:3], s20, v32
	v_cmp_gt_i32_e64 s[18:19], s21, v91
	v_lshl_add_u64 v[48:49], v[34:35], 1, s[22:23]
	v_cndmask_b32_e64 v34, 0, 1, s[12:13]
	v_ashrrev_i32_e32 v33, 31, v32
	s_and_b64 s[6:7], s[2:3], s[18:19]
	v_cmp_ne_u32_e64 s[0:1], 1, v34
	s_and_saveexec_b64 s[4:5], s[6:7]
	s_cbranch_execz .LBB223_56
; %bb.52:
	s_and_b64 vcc, exec, s[0:1]
	s_cbranch_vccnz .LBB223_54
; %bb.53:
	v_lshl_add_u64 v[34:35], v[32:33], 1, v[50:51]
	flat_load_ushort v34, v[34:35]
	s_waitcnt vmcnt(0) lgkmcnt(0)
	v_mul_f16_e32 v34, s33, v34
	v_cvt_f32_f16_e32 v34, v34
	s_branch .LBB223_55
.LBB223_54:
	v_mov_b32_e32 v34, 0
.LBB223_55:
	v_pk_add_f16 v35, v16, v28
	v_max_f16_e32 v36, v116, v116
	v_pk_add_f16 v38, v17, v29
	v_min_f16_e32 v36, v36, v35
	v_lshrrev_b32_e32 v37, 16, v116
	v_lshrrev_b32_e32 v35, 16, v35
	v_lshrrev_b32_e32 v39, 16, v38
	v_min3_f16 v35, v37, v35, v39
	v_min3_f16 v35, v36, v38, v35
	v_cvt_f32_f16_e32 v35, v35
	v_max_f32_e32 v34, v34, v34
	v_min_f32_e32 v34, v34, v35
	v_cvt_f16_f32_e32 v36, v34
	v_lshl_add_u64 v[34:35], v[32:33], 1, v[48:49]
	flat_store_short v[34:35], v36
.LBB223_56:
	s_or_b64 exec, exec, s[4:5]
	v_add_u32_e32 v34, 8, v32
	v_cmp_gt_i32_e64 s[4:5], s20, v34
	v_ashrrev_i32_e32 v35, 31, v34
	s_and_b64 s[8:9], s[4:5], s[18:19]
	s_and_saveexec_b64 s[6:7], s[8:9]
	s_cbranch_execz .LBB223_61
; %bb.57:
	s_and_b64 vcc, exec, s[0:1]
	s_cbranch_vccnz .LBB223_59
; %bb.58:
	v_lshl_add_u64 v[36:37], v[34:35], 1, v[50:51]
	flat_load_ushort v36, v[36:37]
	s_waitcnt vmcnt(0) lgkmcnt(0)
	v_mul_f16_e32 v36, s33, v36
	v_cvt_f32_f16_e32 v36, v36
	s_branch .LBB223_60
.LBB223_59:
	v_mov_b32_e32 v36, 0
.LBB223_60:
	v_pk_add_f16 v37, v18, v28
	v_max_f16_e32 v38, v115, v115
	v_pk_add_f16 v40, v19, v29
	v_min_f16_e32 v38, v38, v37
	v_lshrrev_b32_e32 v39, 16, v115
	v_lshrrev_b32_e32 v37, 16, v37
	v_lshrrev_b32_e32 v41, 16, v40
	v_min3_f16 v37, v39, v37, v41
	v_min3_f16 v37, v38, v40, v37
	v_cvt_f32_f16_e32 v37, v37
	v_max_f32_e32 v36, v36, v36
	v_min_f32_e32 v36, v36, v37
	v_cvt_f16_f32_e32 v38, v36
	v_lshl_add_u64 v[36:37], v[34:35], 1, v[48:49]
	flat_store_short v[36:37], v38
.LBB223_61:
	s_or_b64 exec, exec, s[6:7]
	v_add_u32_e32 v36, 16, v32
	v_cmp_gt_i32_e64 s[6:7], s20, v36
	v_ashrrev_i32_e32 v37, 31, v36
	s_and_b64 s[10:11], s[6:7], s[18:19]
	;; [unrolled: 36-line block ×5, first 2 shown]
	s_and_saveexec_b64 s[14:15], s[16:17]
	s_cbranch_execz .LBB223_81
; %bb.77:
	s_and_b64 vcc, exec, s[0:1]
	s_cbranch_vccnz .LBB223_79
; %bb.78:
	v_lshl_add_u64 v[44:45], v[42:43], 1, v[50:51]
	flat_load_ushort v44, v[44:45]
	s_waitcnt vmcnt(0) lgkmcnt(0)
	v_mul_f16_e32 v44, s33, v44
	v_cvt_f32_f16_e32 v44, v44
	s_branch .LBB223_80
.LBB223_79:
	v_mov_b32_e32 v44, 0
.LBB223_80:
	v_pk_add_f16 v45, v10, v28
	v_max_f16_e32 v46, v111, v111
	v_lshrrev_b32_e32 v47, 16, v111
	v_pk_add_f16 v111, v11, v29
	v_min_f16_e32 v46, v46, v45
	v_lshrrev_b32_e32 v45, 16, v45
	v_lshrrev_b32_e32 v112, 16, v111
	v_min3_f16 v45, v47, v45, v112
	v_min3_f16 v45, v46, v111, v45
	v_cvt_f32_f16_e32 v45, v45
	v_max_f32_e32 v44, v44, v44
	v_min_f32_e32 v44, v44, v45
	v_cvt_f16_f32_e32 v46, v44
	v_lshl_add_u64 v[44:45], v[42:43], 1, v[48:49]
	flat_store_short v[44:45], v46
.LBB223_81:
	s_or_b64 exec, exec, s[14:15]
	v_add_u32_e32 v44, 48, v32
	v_cmp_gt_i32_e64 s[14:15], s20, v44
	v_ashrrev_i32_e32 v45, 31, v44
	s_and_b64 s[26:27], s[14:15], s[18:19]
	s_and_saveexec_b64 s[16:17], s[26:27]
	s_cbranch_execz .LBB223_86
; %bb.82:
	s_and_b64 vcc, exec, s[0:1]
	s_cbranch_vccnz .LBB223_84
; %bb.83:
	v_lshl_add_u64 v[46:47], v[44:45], 1, v[50:51]
	flat_load_ushort v46, v[46:47]
	s_waitcnt vmcnt(0) lgkmcnt(0)
	v_mul_f16_e32 v46, s33, v46
	v_cvt_f32_f16_e32 v46, v46
	s_branch .LBB223_85
.LBB223_84:
	v_mov_b32_e32 v46, 0
.LBB223_85:
	v_pk_add_f16 v47, v0, v28
	v_max_f16_e32 v111, v110, v110
	v_pk_add_f16 v112, v1, v29
	v_min_f16_e32 v111, v111, v47
	v_lshrrev_b32_e32 v110, 16, v110
	v_lshrrev_b32_e32 v47, 16, v47
	v_lshrrev_b32_e32 v113, 16, v112
	v_min3_f16 v47, v110, v47, v113
	v_min3_f16 v47, v111, v112, v47
	v_cvt_f32_f16_e32 v47, v47
	v_max_f32_e32 v46, v46, v46
	v_min_f32_e32 v46, v46, v47
	v_cvt_f16_f32_e32 v110, v46
	v_lshl_add_u64 v[46:47], v[44:45], 1, v[48:49]
	flat_store_short v[46:47], v110
.LBB223_86:
	s_or_b64 exec, exec, s[16:17]
	v_add_u32_e32 v46, 56, v32
	v_cmp_gt_i32_e64 s[16:17], s20, v46
	v_ashrrev_i32_e32 v47, 31, v46
	s_and_b64 s[26:27], s[16:17], s[18:19]
	s_and_saveexec_b64 s[18:19], s[26:27]
	s_cbranch_execz .LBB223_91
; %bb.87:
	s_and_b64 vcc, exec, s[0:1]
	s_cbranch_vccnz .LBB223_89
; %bb.88:
	v_lshl_add_u64 v[50:51], v[46:47], 1, v[50:51]
	flat_load_ushort v50, v[50:51]
	s_waitcnt vmcnt(0) lgkmcnt(0)
	v_mul_f16_e32 v50, s33, v50
	v_cvt_f32_f16_e32 v50, v50
	s_branch .LBB223_90
.LBB223_89:
	v_mov_b32_e32 v50, 0
.LBB223_90:
	v_pk_add_f16 v28, v2, v28
	v_max_f16_e32 v51, v109, v109
	v_pk_add_f16 v29, v3, v29
	v_min_f16_e32 v51, v51, v28
	v_lshrrev_b32_e32 v109, 16, v109
	v_lshrrev_b32_e32 v28, 16, v28
	;; [unrolled: 1-line block ×3, first 2 shown]
	v_min3_f16 v28, v109, v28, v110
	v_min3_f16 v28, v51, v29, v28
	v_cvt_f32_f16_e32 v28, v28
	v_max_f32_e32 v29, v50, v50
	v_min_f32_e32 v28, v29, v28
	v_cvt_f16_f32_e32 v50, v28
	v_lshl_add_u64 v[28:29], v[46:47], 1, v[48:49]
	flat_store_short v[28:29], v50
.LBB223_91:
	s_or_b64 exec, exec, s[18:19]
	v_add_u32_e32 v50, 32, v91
	v_mad_i64_i32 v[28:29], s[26:27], v50, s29, 0
	v_cmp_gt_i32_e64 s[18:19], s21, v50
	v_lshl_add_u64 v[48:49], v[28:29], 1, s[24:25]
	v_mad_i64_i32 v[28:29], s[26:27], v50, s28, 0
	v_lshl_add_u64 v[28:29], v[28:29], 1, s[22:23]
	s_and_b64 s[30:31], s[2:3], s[18:19]
	s_and_saveexec_b64 s[26:27], s[30:31]
	s_cbranch_execnz .LBB223_99
; %bb.92:
	s_or_b64 exec, exec, s[26:27]
	s_and_b64 s[30:31], s[4:5], s[18:19]
	s_and_saveexec_b64 s[26:27], s[30:31]
	s_cbranch_execnz .LBB223_103
.LBB223_93:
	s_or_b64 exec, exec, s[26:27]
	s_and_b64 s[30:31], s[6:7], s[18:19]
	s_and_saveexec_b64 s[26:27], s[30:31]
	s_cbranch_execnz .LBB223_107
.LBB223_94:
	s_or_b64 exec, exec, s[26:27]
	s_and_b64 s[30:31], s[8:9], s[18:19]
	s_and_saveexec_b64 s[26:27], s[30:31]
	s_cbranch_execnz .LBB223_111
.LBB223_95:
	s_or_b64 exec, exec, s[26:27]
	s_and_b64 s[30:31], s[10:11], s[18:19]
	s_and_saveexec_b64 s[26:27], s[30:31]
	s_cbranch_execnz .LBB223_115
.LBB223_96:
	s_or_b64 exec, exec, s[26:27]
	s_and_b64 s[30:31], s[12:13], s[18:19]
	s_and_saveexec_b64 s[26:27], s[30:31]
	s_cbranch_execnz .LBB223_119
.LBB223_97:
	s_or_b64 exec, exec, s[26:27]
	s_and_b64 s[30:31], s[14:15], s[18:19]
	s_and_saveexec_b64 s[26:27], s[30:31]
	s_cbranch_execnz .LBB223_123
.LBB223_98:
	s_or_b64 exec, exec, s[26:27]
	s_and_b64 s[26:27], s[16:17], s[18:19]
	s_and_saveexec_b64 s[18:19], s[26:27]
	s_cbranch_execnz .LBB223_127
	s_branch .LBB223_131
.LBB223_99:
	s_and_b64 vcc, exec, s[0:1]
	s_cbranch_vccnz .LBB223_101
; %bb.100:
	v_lshl_add_u64 v[50:51], v[32:33], 1, v[48:49]
	flat_load_ushort v50, v[50:51]
	s_waitcnt vmcnt(0) lgkmcnt(0)
	v_mul_f16_e32 v50, s33, v50
	v_cvt_f32_f16_e32 v50, v50
	s_branch .LBB223_102
.LBB223_101:
	v_mov_b32_e32 v50, 0
.LBB223_102:
	v_pk_add_f16 v51, v16, v30
	v_max_f16_e32 v109, v108, v108
	v_pk_add_f16 v110, v17, v31
	v_min_f16_e32 v109, v109, v51
	v_lshrrev_b32_e32 v108, 16, v108
	v_lshrrev_b32_e32 v51, 16, v51
	;; [unrolled: 1-line block ×3, first 2 shown]
	v_min3_f16 v51, v108, v51, v111
	v_min3_f16 v51, v109, v110, v51
	v_cvt_f32_f16_e32 v51, v51
	v_max_f32_e32 v50, v50, v50
	v_min_f32_e32 v50, v50, v51
	v_cvt_f16_f32_e32 v108, v50
	v_lshl_add_u64 v[50:51], v[32:33], 1, v[28:29]
	flat_store_short v[50:51], v108
	s_or_b64 exec, exec, s[26:27]
	s_and_b64 s[30:31], s[4:5], s[18:19]
	s_and_saveexec_b64 s[26:27], s[30:31]
	s_cbranch_execz .LBB223_93
.LBB223_103:
	s_and_b64 vcc, exec, s[0:1]
	s_cbranch_vccnz .LBB223_105
; %bb.104:
	v_lshl_add_u64 v[50:51], v[34:35], 1, v[48:49]
	flat_load_ushort v50, v[50:51]
	s_waitcnt vmcnt(0) lgkmcnt(0)
	v_mul_f16_e32 v50, s33, v50
	v_cvt_f32_f16_e32 v50, v50
	s_branch .LBB223_106
.LBB223_105:
	v_mov_b32_e32 v50, 0
.LBB223_106:
	v_pk_add_f16 v51, v18, v30
	v_max_f16_e32 v108, v107, v107
	v_pk_add_f16 v109, v19, v31
	v_min_f16_e32 v108, v108, v51
	v_lshrrev_b32_e32 v107, 16, v107
	v_lshrrev_b32_e32 v51, 16, v51
	;; [unrolled: 1-line block ×3, first 2 shown]
	v_min3_f16 v51, v107, v51, v110
	v_min3_f16 v51, v108, v109, v51
	v_cvt_f32_f16_e32 v51, v51
	v_max_f32_e32 v50, v50, v50
	v_min_f32_e32 v50, v50, v51
	v_cvt_f16_f32_e32 v107, v50
	v_lshl_add_u64 v[50:51], v[34:35], 1, v[28:29]
	flat_store_short v[50:51], v107
	s_or_b64 exec, exec, s[26:27]
	s_and_b64 s[30:31], s[6:7], s[18:19]
	s_and_saveexec_b64 s[26:27], s[30:31]
	s_cbranch_execz .LBB223_94
.LBB223_107:
	s_and_b64 vcc, exec, s[0:1]
	s_cbranch_vccnz .LBB223_109
; %bb.108:
	v_lshl_add_u64 v[50:51], v[36:37], 1, v[48:49]
	flat_load_ushort v50, v[50:51]
	s_waitcnt vmcnt(0) lgkmcnt(0)
	v_mul_f16_e32 v50, s33, v50
	v_cvt_f32_f16_e32 v50, v50
	s_branch .LBB223_110
.LBB223_109:
	v_mov_b32_e32 v50, 0
.LBB223_110:
	v_pk_add_f16 v51, v12, v30
	v_max_f16_e32 v107, v106, v106
	v_pk_add_f16 v108, v13, v31
	v_min_f16_e32 v107, v107, v51
	v_lshrrev_b32_e32 v106, 16, v106
	v_lshrrev_b32_e32 v51, 16, v51
	;; [unrolled: 1-line block ×3, first 2 shown]
	v_min3_f16 v51, v106, v51, v109
	v_min3_f16 v51, v107, v108, v51
	v_cvt_f32_f16_e32 v51, v51
	v_max_f32_e32 v50, v50, v50
	v_min_f32_e32 v50, v50, v51
	v_cvt_f16_f32_e32 v106, v50
	v_lshl_add_u64 v[50:51], v[36:37], 1, v[28:29]
	flat_store_short v[50:51], v106
	s_or_b64 exec, exec, s[26:27]
	s_and_b64 s[30:31], s[8:9], s[18:19]
	s_and_saveexec_b64 s[26:27], s[30:31]
	s_cbranch_execz .LBB223_95
.LBB223_111:
	s_and_b64 vcc, exec, s[0:1]
	s_cbranch_vccnz .LBB223_113
; %bb.112:
	v_lshl_add_u64 v[50:51], v[38:39], 1, v[48:49]
	flat_load_ushort v50, v[50:51]
	s_waitcnt vmcnt(0) lgkmcnt(0)
	v_mul_f16_e32 v50, s33, v50
	v_cvt_f32_f16_e32 v50, v50
	s_branch .LBB223_114
.LBB223_113:
	v_mov_b32_e32 v50, 0
.LBB223_114:
	v_pk_add_f16 v51, v14, v30
	v_max_f16_e32 v106, v104, v104
	v_pk_add_f16 v107, v15, v31
	v_min_f16_e32 v106, v106, v51
	v_lshrrev_b32_e32 v104, 16, v104
	v_lshrrev_b32_e32 v51, 16, v51
	;; [unrolled: 1-line block ×3, first 2 shown]
	v_min3_f16 v51, v104, v51, v108
	v_min3_f16 v51, v106, v107, v51
	v_cvt_f32_f16_e32 v51, v51
	v_max_f32_e32 v50, v50, v50
	v_min_f32_e32 v50, v50, v51
	v_cvt_f16_f32_e32 v104, v50
	v_lshl_add_u64 v[50:51], v[38:39], 1, v[28:29]
	flat_store_short v[50:51], v104
	s_or_b64 exec, exec, s[26:27]
	s_and_b64 s[30:31], s[10:11], s[18:19]
	s_and_saveexec_b64 s[26:27], s[30:31]
	s_cbranch_execz .LBB223_96
.LBB223_115:
	s_and_b64 vcc, exec, s[0:1]
	s_cbranch_vccnz .LBB223_117
; %bb.116:
	v_lshl_add_u64 v[50:51], v[40:41], 1, v[48:49]
	flat_load_ushort v50, v[50:51]
	s_waitcnt vmcnt(0) lgkmcnt(0)
	v_mul_f16_e32 v50, s33, v50
	v_cvt_f32_f16_e32 v50, v50
	s_branch .LBB223_118
.LBB223_117:
	v_mov_b32_e32 v50, 0
.LBB223_118:
	v_pk_add_f16 v51, v8, v30
	v_max_f16_e32 v104, v102, v102
	v_pk_add_f16 v106, v9, v31
	v_min_f16_e32 v104, v104, v51
	v_lshrrev_b32_e32 v102, 16, v102
	v_lshrrev_b32_e32 v51, 16, v51
	;; [unrolled: 1-line block ×3, first 2 shown]
	v_min3_f16 v51, v102, v51, v107
	v_min3_f16 v51, v104, v106, v51
	v_cvt_f32_f16_e32 v51, v51
	v_max_f32_e32 v50, v50, v50
	v_min_f32_e32 v50, v50, v51
	v_cvt_f16_f32_e32 v102, v50
	v_lshl_add_u64 v[50:51], v[40:41], 1, v[28:29]
	flat_store_short v[50:51], v102
	s_or_b64 exec, exec, s[26:27]
	s_and_b64 s[30:31], s[12:13], s[18:19]
	s_and_saveexec_b64 s[26:27], s[30:31]
	s_cbranch_execz .LBB223_97
.LBB223_119:
	s_and_b64 vcc, exec, s[0:1]
	s_cbranch_vccnz .LBB223_121
; %bb.120:
	v_lshl_add_u64 v[50:51], v[42:43], 1, v[48:49]
	flat_load_ushort v50, v[50:51]
	s_waitcnt vmcnt(0) lgkmcnt(0)
	v_mul_f16_e32 v50, s33, v50
	v_cvt_f32_f16_e32 v50, v50
	s_branch .LBB223_122
.LBB223_121:
	v_mov_b32_e32 v50, 0
.LBB223_122:
	v_pk_add_f16 v51, v10, v30
	v_max_f16_e32 v102, v100, v100
	v_pk_add_f16 v104, v11, v31
	v_min_f16_e32 v102, v102, v51
	v_lshrrev_b32_e32 v100, 16, v100
	v_lshrrev_b32_e32 v51, 16, v51
	;; [unrolled: 1-line block ×3, first 2 shown]
	v_min3_f16 v51, v100, v51, v106
	v_min3_f16 v51, v102, v104, v51
	v_cvt_f32_f16_e32 v51, v51
	v_max_f32_e32 v50, v50, v50
	v_min_f32_e32 v50, v50, v51
	v_cvt_f16_f32_e32 v100, v50
	v_lshl_add_u64 v[50:51], v[42:43], 1, v[28:29]
	flat_store_short v[50:51], v100
	s_or_b64 exec, exec, s[26:27]
	s_and_b64 s[30:31], s[14:15], s[18:19]
	s_and_saveexec_b64 s[26:27], s[30:31]
	s_cbranch_execz .LBB223_98
.LBB223_123:
	s_and_b64 vcc, exec, s[0:1]
	s_cbranch_vccnz .LBB223_125
; %bb.124:
	v_lshl_add_u64 v[50:51], v[44:45], 1, v[48:49]
	flat_load_ushort v50, v[50:51]
	s_waitcnt vmcnt(0) lgkmcnt(0)
	v_mul_f16_e32 v50, s33, v50
	v_cvt_f32_f16_e32 v50, v50
	s_branch .LBB223_126
.LBB223_125:
	v_mov_b32_e32 v50, 0
.LBB223_126:
	v_pk_add_f16 v51, v0, v30
	v_max_f16_e32 v100, v98, v98
	v_pk_add_f16 v102, v1, v31
	v_min_f16_e32 v100, v100, v51
	v_lshrrev_b32_e32 v98, 16, v98
	v_lshrrev_b32_e32 v51, 16, v51
	v_lshrrev_b32_e32 v104, 16, v102
	v_min3_f16 v51, v98, v51, v104
	v_min3_f16 v51, v100, v102, v51
	v_cvt_f32_f16_e32 v51, v51
	v_max_f32_e32 v50, v50, v50
	v_min_f32_e32 v50, v50, v51
	v_cvt_f16_f32_e32 v98, v50
	v_lshl_add_u64 v[50:51], v[44:45], 1, v[28:29]
	flat_store_short v[50:51], v98
	s_or_b64 exec, exec, s[26:27]
	s_and_b64 s[26:27], s[16:17], s[18:19]
	s_and_saveexec_b64 s[18:19], s[26:27]
	s_cbranch_execz .LBB223_131
.LBB223_127:
	s_and_b64 vcc, exec, s[0:1]
	s_cbranch_vccnz .LBB223_129
; %bb.128:
	v_lshl_add_u64 v[48:49], v[46:47], 1, v[48:49]
	flat_load_ushort v48, v[48:49]
	s_waitcnt vmcnt(0) lgkmcnt(0)
	v_mul_f16_e32 v48, s33, v48
	v_cvt_f32_f16_e32 v48, v48
	s_branch .LBB223_130
.LBB223_129:
	v_mov_b32_e32 v48, 0
.LBB223_130:
	v_pk_add_f16 v30, v2, v30
	v_max_f16_e32 v49, v96, v96
	v_pk_add_f16 v31, v3, v31
	v_min_f16_e32 v49, v49, v30
	v_lshrrev_b32_e32 v50, 16, v96
	v_lshrrev_b32_e32 v30, 16, v30
	;; [unrolled: 1-line block ×3, first 2 shown]
	v_min3_f16 v30, v50, v30, v51
	v_min3_f16 v30, v49, v31, v30
	v_cvt_f32_f16_e32 v30, v30
	v_max_f32_e32 v31, v48, v48
	v_lshl_add_u64 v[28:29], v[46:47], 1, v[28:29]
	v_min_f32_e32 v30, v31, v30
	v_cvt_f16_f32_e32 v30, v30
	flat_store_short v[28:29], v30
.LBB223_131:
	s_or_b64 exec, exec, s[18:19]
	v_add_u32_e32 v48, 64, v91
	v_mad_i64_i32 v[28:29], s[26:27], v48, s29, 0
	v_cmp_gt_i32_e64 s[18:19], s21, v48
	v_lshl_add_u64 v[30:31], v[28:29], 1, s[24:25]
	v_mad_i64_i32 v[28:29], s[26:27], v48, s28, 0
	v_lshl_add_u64 v[28:29], v[28:29], 1, s[22:23]
	s_and_b64 s[30:31], s[2:3], s[18:19]
	s_and_saveexec_b64 s[26:27], s[30:31]
	s_cbranch_execnz .LBB223_139
; %bb.132:
	s_or_b64 exec, exec, s[26:27]
	s_and_b64 s[30:31], s[4:5], s[18:19]
	s_and_saveexec_b64 s[26:27], s[30:31]
	s_cbranch_execnz .LBB223_143
.LBB223_133:
	s_or_b64 exec, exec, s[26:27]
	s_and_b64 s[30:31], s[6:7], s[18:19]
	s_and_saveexec_b64 s[26:27], s[30:31]
	s_cbranch_execnz .LBB223_147
.LBB223_134:
	s_or_b64 exec, exec, s[26:27]
	s_and_b64 s[30:31], s[8:9], s[18:19]
	s_and_saveexec_b64 s[26:27], s[30:31]
	s_cbranch_execnz .LBB223_151
.LBB223_135:
	s_or_b64 exec, exec, s[26:27]
	s_and_b64 s[30:31], s[10:11], s[18:19]
	s_and_saveexec_b64 s[26:27], s[30:31]
	s_cbranch_execnz .LBB223_155
.LBB223_136:
	s_or_b64 exec, exec, s[26:27]
	s_and_b64 s[30:31], s[12:13], s[18:19]
	s_and_saveexec_b64 s[26:27], s[30:31]
	s_cbranch_execnz .LBB223_159
.LBB223_137:
	s_or_b64 exec, exec, s[26:27]
	s_and_b64 s[30:31], s[14:15], s[18:19]
	s_and_saveexec_b64 s[26:27], s[30:31]
	s_cbranch_execnz .LBB223_163
.LBB223_138:
	s_or_b64 exec, exec, s[26:27]
	s_and_b64 s[26:27], s[16:17], s[18:19]
	s_and_saveexec_b64 s[18:19], s[26:27]
	s_cbranch_execnz .LBB223_167
	s_branch .LBB223_171
.LBB223_139:
	s_and_b64 vcc, exec, s[0:1]
	s_cbranch_vccnz .LBB223_141
; %bb.140:
	v_lshl_add_u64 v[48:49], v[32:33], 1, v[30:31]
	flat_load_ushort v48, v[48:49]
	s_waitcnt vmcnt(0) lgkmcnt(0)
	v_mul_f16_e32 v48, s33, v48
	v_cvt_f32_f16_e32 v48, v48
	s_branch .LBB223_142
.LBB223_141:
	v_mov_b32_e32 v48, 0
.LBB223_142:
	v_pk_add_f16 v49, v16, v24
	v_max_f16_e32 v50, v94, v94
	v_lshrrev_b32_e32 v51, 16, v94
	v_pk_add_f16 v94, v17, v25
	v_min_f16_e32 v50, v50, v49
	v_lshrrev_b32_e32 v49, 16, v49
	v_lshrrev_b32_e32 v96, 16, v94
	v_min3_f16 v49, v51, v49, v96
	v_min3_f16 v49, v50, v94, v49
	v_cvt_f32_f16_e32 v49, v49
	v_max_f32_e32 v48, v48, v48
	v_min_f32_e32 v48, v48, v49
	v_cvt_f16_f32_e32 v50, v48
	v_lshl_add_u64 v[48:49], v[32:33], 1, v[28:29]
	flat_store_short v[48:49], v50
	s_or_b64 exec, exec, s[26:27]
	s_and_b64 s[30:31], s[4:5], s[18:19]
	s_and_saveexec_b64 s[26:27], s[30:31]
	s_cbranch_execz .LBB223_133
.LBB223_143:
	s_and_b64 vcc, exec, s[0:1]
	s_cbranch_vccnz .LBB223_145
; %bb.144:
	v_lshl_add_u64 v[48:49], v[34:35], 1, v[30:31]
	flat_load_ushort v48, v[48:49]
	s_waitcnt vmcnt(0) lgkmcnt(0)
	v_mul_f16_e32 v48, s33, v48
	v_cvt_f32_f16_e32 v48, v48
	s_branch .LBB223_146
.LBB223_145:
	v_mov_b32_e32 v48, 0
.LBB223_146:
	v_pk_add_f16 v49, v18, v24
	v_max_f16_e32 v50, v92, v92
	v_lshrrev_b32_e32 v51, 16, v92
	v_pk_add_f16 v92, v19, v25
	v_min_f16_e32 v50, v50, v49
	v_lshrrev_b32_e32 v49, 16, v49
	v_lshrrev_b32_e32 v94, 16, v92
	v_min3_f16 v49, v51, v49, v94
	v_min3_f16 v49, v50, v92, v49
	v_cvt_f32_f16_e32 v49, v49
	v_max_f32_e32 v48, v48, v48
	v_min_f32_e32 v48, v48, v49
	v_cvt_f16_f32_e32 v50, v48
	v_lshl_add_u64 v[48:49], v[34:35], 1, v[28:29]
	flat_store_short v[48:49], v50
	s_or_b64 exec, exec, s[26:27]
	s_and_b64 s[30:31], s[6:7], s[18:19]
	s_and_saveexec_b64 s[26:27], s[30:31]
	s_cbranch_execz .LBB223_134
.LBB223_147:
	s_and_b64 vcc, exec, s[0:1]
	s_cbranch_vccnz .LBB223_149
; %bb.148:
	v_lshl_add_u64 v[48:49], v[36:37], 1, v[30:31]
	flat_load_ushort v48, v[48:49]
	s_waitcnt vmcnt(0) lgkmcnt(0)
	v_mul_f16_e32 v48, s33, v48
	v_cvt_f32_f16_e32 v48, v48
	s_branch .LBB223_150
.LBB223_149:
	v_mov_b32_e32 v48, 0
.LBB223_150:
	v_pk_add_f16 v49, v12, v24
	v_max_f16_e32 v50, v89, v89
	v_lshrrev_b32_e32 v51, 16, v89
	v_pk_add_f16 v89, v13, v25
	v_min_f16_e32 v50, v50, v49
	v_lshrrev_b32_e32 v49, 16, v49
	v_lshrrev_b32_e32 v92, 16, v89
	v_min3_f16 v49, v51, v49, v92
	v_min3_f16 v49, v50, v89, v49
	v_cvt_f32_f16_e32 v49, v49
	v_max_f32_e32 v48, v48, v48
	v_min_f32_e32 v48, v48, v49
	v_cvt_f16_f32_e32 v50, v48
	v_lshl_add_u64 v[48:49], v[36:37], 1, v[28:29]
	flat_store_short v[48:49], v50
	s_or_b64 exec, exec, s[26:27]
	s_and_b64 s[30:31], s[8:9], s[18:19]
	s_and_saveexec_b64 s[26:27], s[30:31]
	s_cbranch_execz .LBB223_135
.LBB223_151:
	s_and_b64 vcc, exec, s[0:1]
	s_cbranch_vccnz .LBB223_153
; %bb.152:
	v_lshl_add_u64 v[48:49], v[38:39], 1, v[30:31]
	flat_load_ushort v48, v[48:49]
	s_waitcnt vmcnt(0) lgkmcnt(0)
	v_mul_f16_e32 v48, s33, v48
	v_cvt_f32_f16_e32 v48, v48
	s_branch .LBB223_154
.LBB223_153:
	v_mov_b32_e32 v48, 0
.LBB223_154:
	v_pk_add_f16 v49, v14, v24
	v_max_f16_e32 v50, v87, v87
	v_lshrrev_b32_e32 v51, 16, v87
	v_pk_add_f16 v87, v15, v25
	v_min_f16_e32 v50, v50, v49
	v_lshrrev_b32_e32 v49, 16, v49
	v_lshrrev_b32_e32 v89, 16, v87
	v_min3_f16 v49, v51, v49, v89
	v_min3_f16 v49, v50, v87, v49
	v_cvt_f32_f16_e32 v49, v49
	v_max_f32_e32 v48, v48, v48
	v_min_f32_e32 v48, v48, v49
	v_cvt_f16_f32_e32 v50, v48
	v_lshl_add_u64 v[48:49], v[38:39], 1, v[28:29]
	flat_store_short v[48:49], v50
	s_or_b64 exec, exec, s[26:27]
	s_and_b64 s[30:31], s[10:11], s[18:19]
	s_and_saveexec_b64 s[26:27], s[30:31]
	s_cbranch_execz .LBB223_136
.LBB223_155:
	s_and_b64 vcc, exec, s[0:1]
	s_cbranch_vccnz .LBB223_157
; %bb.156:
	v_lshl_add_u64 v[48:49], v[40:41], 1, v[30:31]
	flat_load_ushort v48, v[48:49]
	s_waitcnt vmcnt(0) lgkmcnt(0)
	v_mul_f16_e32 v48, s33, v48
	v_cvt_f32_f16_e32 v48, v48
	s_branch .LBB223_158
.LBB223_157:
	v_mov_b32_e32 v48, 0
.LBB223_158:
	v_pk_add_f16 v49, v8, v24
	v_max_f16_e32 v50, v105, v105
	v_pk_add_f16 v87, v9, v25
	v_min_f16_e32 v50, v50, v49
	v_lshrrev_b32_e32 v51, 16, v105
	v_lshrrev_b32_e32 v49, 16, v49
	;; [unrolled: 1-line block ×3, first 2 shown]
	v_min3_f16 v49, v51, v49, v89
	v_min3_f16 v49, v50, v87, v49
	v_cvt_f32_f16_e32 v49, v49
	v_max_f32_e32 v48, v48, v48
	v_min_f32_e32 v48, v48, v49
	v_cvt_f16_f32_e32 v50, v48
	v_lshl_add_u64 v[48:49], v[40:41], 1, v[28:29]
	flat_store_short v[48:49], v50
	s_or_b64 exec, exec, s[26:27]
	s_and_b64 s[30:31], s[12:13], s[18:19]
	s_and_saveexec_b64 s[26:27], s[30:31]
	s_cbranch_execz .LBB223_137
.LBB223_159:
	s_and_b64 vcc, exec, s[0:1]
	s_cbranch_vccnz .LBB223_161
; %bb.160:
	v_lshl_add_u64 v[48:49], v[42:43], 1, v[30:31]
	flat_load_ushort v48, v[48:49]
	s_waitcnt vmcnt(0) lgkmcnt(0)
	v_mul_f16_e32 v48, s33, v48
	v_cvt_f32_f16_e32 v48, v48
	s_branch .LBB223_162
.LBB223_161:
	v_mov_b32_e32 v48, 0
.LBB223_162:
	v_pk_add_f16 v49, v10, v24
	v_max_f16_e32 v50, v103, v103
	v_pk_add_f16 v87, v11, v25
	v_min_f16_e32 v50, v50, v49
	v_lshrrev_b32_e32 v51, 16, v103
	v_lshrrev_b32_e32 v49, 16, v49
	;; [unrolled: 1-line block ×3, first 2 shown]
	v_min3_f16 v49, v51, v49, v89
	v_min3_f16 v49, v50, v87, v49
	v_cvt_f32_f16_e32 v49, v49
	v_max_f32_e32 v48, v48, v48
	v_min_f32_e32 v48, v48, v49
	v_cvt_f16_f32_e32 v50, v48
	v_lshl_add_u64 v[48:49], v[42:43], 1, v[28:29]
	flat_store_short v[48:49], v50
	s_or_b64 exec, exec, s[26:27]
	s_and_b64 s[30:31], s[14:15], s[18:19]
	s_and_saveexec_b64 s[26:27], s[30:31]
	s_cbranch_execz .LBB223_138
.LBB223_163:
	s_and_b64 vcc, exec, s[0:1]
	s_cbranch_vccnz .LBB223_165
; %bb.164:
	v_lshl_add_u64 v[48:49], v[44:45], 1, v[30:31]
	flat_load_ushort v48, v[48:49]
	s_waitcnt vmcnt(0) lgkmcnt(0)
	v_mul_f16_e32 v48, s33, v48
	v_cvt_f32_f16_e32 v48, v48
	s_branch .LBB223_166
.LBB223_165:
	v_mov_b32_e32 v48, 0
.LBB223_166:
	v_pk_add_f16 v49, v0, v24
	v_max_f16_e32 v50, v101, v101
	v_pk_add_f16 v87, v1, v25
	v_min_f16_e32 v50, v50, v49
	v_lshrrev_b32_e32 v51, 16, v101
	v_lshrrev_b32_e32 v49, 16, v49
	;; [unrolled: 1-line block ×3, first 2 shown]
	v_min3_f16 v49, v51, v49, v89
	v_min3_f16 v49, v50, v87, v49
	v_cvt_f32_f16_e32 v49, v49
	v_max_f32_e32 v48, v48, v48
	v_min_f32_e32 v48, v48, v49
	v_cvt_f16_f32_e32 v50, v48
	v_lshl_add_u64 v[48:49], v[44:45], 1, v[28:29]
	flat_store_short v[48:49], v50
	s_or_b64 exec, exec, s[26:27]
	s_and_b64 s[26:27], s[16:17], s[18:19]
	s_and_saveexec_b64 s[18:19], s[26:27]
	s_cbranch_execz .LBB223_171
.LBB223_167:
	s_and_b64 vcc, exec, s[0:1]
	s_cbranch_vccnz .LBB223_169
; %bb.168:
	v_lshl_add_u64 v[30:31], v[46:47], 1, v[30:31]
	flat_load_ushort v30, v[30:31]
	s_waitcnt vmcnt(0) lgkmcnt(0)
	v_mul_f16_e32 v30, s33, v30
	v_cvt_f32_f16_e32 v30, v30
	s_branch .LBB223_170
.LBB223_169:
	v_mov_b32_e32 v30, 0
.LBB223_170:
	v_pk_add_f16 v24, v2, v24
	v_max_f16_e32 v31, v99, v99
	v_pk_add_f16 v25, v3, v25
	v_min_f16_e32 v31, v31, v24
	v_lshrrev_b32_e32 v48, 16, v99
	v_lshrrev_b32_e32 v24, 16, v24
	;; [unrolled: 1-line block ×3, first 2 shown]
	v_min3_f16 v24, v48, v24, v49
	v_min3_f16 v24, v31, v25, v24
	v_cvt_f32_f16_e32 v24, v24
	v_max_f32_e32 v25, v30, v30
	v_min_f32_e32 v24, v25, v24
	v_cvt_f16_f32_e32 v30, v24
	v_lshl_add_u64 v[24:25], v[46:47], 1, v[28:29]
	flat_store_short v[24:25], v30
.LBB223_171:
	s_or_b64 exec, exec, s[18:19]
	v_add_u32_e32 v30, 0x60, v91
	v_mad_i64_i32 v[24:25], s[26:27], v30, s29, 0
	v_cmp_gt_i32_e64 s[18:19], s21, v30
	v_lshl_add_u64 v[28:29], v[24:25], 1, s[24:25]
	v_mad_i64_i32 v[24:25], s[26:27], v30, s28, 0
	v_lshl_add_u64 v[24:25], v[24:25], 1, s[22:23]
	s_and_b64 s[30:31], s[2:3], s[18:19]
	s_and_saveexec_b64 s[26:27], s[30:31]
	s_cbranch_execnz .LBB223_179
; %bb.172:
	s_or_b64 exec, exec, s[26:27]
	s_and_b64 s[30:31], s[4:5], s[18:19]
	s_and_saveexec_b64 s[26:27], s[30:31]
	s_cbranch_execnz .LBB223_183
.LBB223_173:
	s_or_b64 exec, exec, s[26:27]
	s_and_b64 s[30:31], s[6:7], s[18:19]
	s_and_saveexec_b64 s[26:27], s[30:31]
	s_cbranch_execnz .LBB223_187
.LBB223_174:
	s_or_b64 exec, exec, s[26:27]
	s_and_b64 s[30:31], s[8:9], s[18:19]
	s_and_saveexec_b64 s[26:27], s[30:31]
	s_cbranch_execnz .LBB223_191
.LBB223_175:
	s_or_b64 exec, exec, s[26:27]
	s_and_b64 s[30:31], s[10:11], s[18:19]
	s_and_saveexec_b64 s[26:27], s[30:31]
	s_cbranch_execnz .LBB223_195
.LBB223_176:
	s_or_b64 exec, exec, s[26:27]
	s_and_b64 s[30:31], s[12:13], s[18:19]
	s_and_saveexec_b64 s[26:27], s[30:31]
	s_cbranch_execnz .LBB223_199
.LBB223_177:
	s_or_b64 exec, exec, s[26:27]
	s_and_b64 s[30:31], s[14:15], s[18:19]
	s_and_saveexec_b64 s[26:27], s[30:31]
	s_cbranch_execnz .LBB223_203
.LBB223_178:
	s_or_b64 exec, exec, s[26:27]
	s_and_b64 s[26:27], s[16:17], s[18:19]
	s_and_saveexec_b64 s[18:19], s[26:27]
	s_cbranch_execnz .LBB223_207
	s_branch .LBB223_211
.LBB223_179:
	s_and_b64 vcc, exec, s[0:1]
	s_cbranch_vccnz .LBB223_181
; %bb.180:
	v_lshl_add_u64 v[30:31], v[32:33], 1, v[28:29]
	flat_load_ushort v30, v[30:31]
	s_waitcnt vmcnt(0) lgkmcnt(0)
	v_mul_f16_e32 v30, s33, v30
	v_cvt_f32_f16_e32 v30, v30
	s_branch .LBB223_182
.LBB223_181:
	v_mov_b32_e32 v30, 0
.LBB223_182:
	v_pk_add_f16 v31, v16, v26
	v_max_f16_e32 v48, v97, v97
	v_pk_add_f16 v50, v17, v27
	v_min_f16_e32 v48, v48, v31
	v_lshrrev_b32_e32 v49, 16, v97
	v_lshrrev_b32_e32 v31, 16, v31
	;; [unrolled: 1-line block ×3, first 2 shown]
	v_min3_f16 v31, v49, v31, v51
	v_min3_f16 v31, v48, v50, v31
	v_cvt_f32_f16_e32 v31, v31
	v_max_f32_e32 v30, v30, v30
	v_min_f32_e32 v30, v30, v31
	v_cvt_f16_f32_e32 v48, v30
	v_lshl_add_u64 v[30:31], v[32:33], 1, v[24:25]
	flat_store_short v[30:31], v48
	s_or_b64 exec, exec, s[26:27]
	s_and_b64 s[30:31], s[4:5], s[18:19]
	s_and_saveexec_b64 s[26:27], s[30:31]
	s_cbranch_execz .LBB223_173
.LBB223_183:
	s_and_b64 vcc, exec, s[0:1]
	s_cbranch_vccnz .LBB223_185
; %bb.184:
	v_lshl_add_u64 v[30:31], v[34:35], 1, v[28:29]
	flat_load_ushort v30, v[30:31]
	s_waitcnt vmcnt(0) lgkmcnt(0)
	v_mul_f16_e32 v30, s33, v30
	v_cvt_f32_f16_e32 v30, v30
	s_branch .LBB223_186
.LBB223_185:
	v_mov_b32_e32 v30, 0
.LBB223_186:
	v_pk_add_f16 v31, v18, v26
	v_max_f16_e32 v48, v95, v95
	v_pk_add_f16 v50, v19, v27
	v_min_f16_e32 v48, v48, v31
	v_lshrrev_b32_e32 v49, 16, v95
	v_lshrrev_b32_e32 v31, 16, v31
	v_lshrrev_b32_e32 v51, 16, v50
	v_min3_f16 v31, v49, v31, v51
	v_min3_f16 v31, v48, v50, v31
	v_cvt_f32_f16_e32 v31, v31
	v_max_f32_e32 v30, v30, v30
	v_min_f32_e32 v30, v30, v31
	v_cvt_f16_f32_e32 v48, v30
	v_lshl_add_u64 v[30:31], v[34:35], 1, v[24:25]
	flat_store_short v[30:31], v48
	s_or_b64 exec, exec, s[26:27]
	s_and_b64 s[30:31], s[6:7], s[18:19]
	s_and_saveexec_b64 s[26:27], s[30:31]
	s_cbranch_execz .LBB223_174
.LBB223_187:
	s_and_b64 vcc, exec, s[0:1]
	s_cbranch_vccnz .LBB223_189
; %bb.188:
	v_lshl_add_u64 v[30:31], v[36:37], 1, v[28:29]
	flat_load_ushort v30, v[30:31]
	s_waitcnt vmcnt(0) lgkmcnt(0)
	v_mul_f16_e32 v30, s33, v30
	v_cvt_f32_f16_e32 v30, v30
	s_branch .LBB223_190
.LBB223_189:
	v_mov_b32_e32 v30, 0
.LBB223_190:
	v_pk_add_f16 v31, v12, v26
	v_max_f16_e32 v48, v93, v93
	v_pk_add_f16 v50, v13, v27
	v_min_f16_e32 v48, v48, v31
	v_lshrrev_b32_e32 v49, 16, v93
	v_lshrrev_b32_e32 v31, 16, v31
	;; [unrolled: 1-line block ×3, first 2 shown]
	v_min3_f16 v31, v49, v31, v51
	v_min3_f16 v31, v48, v50, v31
	v_cvt_f32_f16_e32 v31, v31
	v_max_f32_e32 v30, v30, v30
	v_min_f32_e32 v30, v30, v31
	v_cvt_f16_f32_e32 v48, v30
	v_lshl_add_u64 v[30:31], v[36:37], 1, v[24:25]
	flat_store_short v[30:31], v48
	s_or_b64 exec, exec, s[26:27]
	s_and_b64 s[30:31], s[8:9], s[18:19]
	s_and_saveexec_b64 s[26:27], s[30:31]
	s_cbranch_execz .LBB223_175
.LBB223_191:
	s_and_b64 vcc, exec, s[0:1]
	s_cbranch_vccnz .LBB223_193
; %bb.192:
	v_lshl_add_u64 v[30:31], v[38:39], 1, v[28:29]
	flat_load_ushort v30, v[30:31]
	s_waitcnt vmcnt(0) lgkmcnt(0)
	v_mul_f16_e32 v30, s33, v30
	v_cvt_f32_f16_e32 v30, v30
	s_branch .LBB223_194
.LBB223_193:
	v_mov_b32_e32 v30, 0
.LBB223_194:
	v_pk_add_f16 v31, v14, v26
	v_max_f16_e32 v48, v90, v90
	v_pk_add_f16 v50, v15, v27
	v_min_f16_e32 v48, v48, v31
	v_lshrrev_b32_e32 v49, 16, v90
	v_lshrrev_b32_e32 v31, 16, v31
	;; [unrolled: 1-line block ×3, first 2 shown]
	v_min3_f16 v31, v49, v31, v51
	v_min3_f16 v31, v48, v50, v31
	v_cvt_f32_f16_e32 v31, v31
	v_max_f32_e32 v30, v30, v30
	v_min_f32_e32 v30, v30, v31
	v_cvt_f16_f32_e32 v48, v30
	v_lshl_add_u64 v[30:31], v[38:39], 1, v[24:25]
	flat_store_short v[30:31], v48
	s_or_b64 exec, exec, s[26:27]
	s_and_b64 s[30:31], s[10:11], s[18:19]
	s_and_saveexec_b64 s[26:27], s[30:31]
	s_cbranch_execz .LBB223_176
.LBB223_195:
	s_and_b64 vcc, exec, s[0:1]
	s_cbranch_vccnz .LBB223_197
; %bb.196:
	v_lshl_add_u64 v[30:31], v[40:41], 1, v[28:29]
	flat_load_ushort v30, v[30:31]
	s_waitcnt vmcnt(0) lgkmcnt(0)
	v_mul_f16_e32 v30, s33, v30
	v_cvt_f32_f16_e32 v30, v30
	s_branch .LBB223_198
.LBB223_197:
	v_mov_b32_e32 v30, 0
.LBB223_198:
	v_pk_add_f16 v31, v8, v26
	v_max_f16_e32 v48, v88, v88
	v_pk_add_f16 v50, v9, v27
	v_min_f16_e32 v48, v48, v31
	v_lshrrev_b32_e32 v49, 16, v88
	v_lshrrev_b32_e32 v31, 16, v31
	;; [unrolled: 1-line block ×3, first 2 shown]
	v_min3_f16 v31, v49, v31, v51
	v_min3_f16 v31, v48, v50, v31
	v_cvt_f32_f16_e32 v31, v31
	v_max_f32_e32 v30, v30, v30
	v_min_f32_e32 v30, v30, v31
	v_cvt_f16_f32_e32 v48, v30
	v_lshl_add_u64 v[30:31], v[40:41], 1, v[24:25]
	flat_store_short v[30:31], v48
	s_or_b64 exec, exec, s[26:27]
	s_and_b64 s[30:31], s[12:13], s[18:19]
	s_and_saveexec_b64 s[26:27], s[30:31]
	s_cbranch_execz .LBB223_177
.LBB223_199:
	s_and_b64 vcc, exec, s[0:1]
	s_cbranch_vccnz .LBB223_201
; %bb.200:
	v_lshl_add_u64 v[30:31], v[42:43], 1, v[28:29]
	flat_load_ushort v30, v[30:31]
	s_waitcnt vmcnt(0) lgkmcnt(0)
	v_mul_f16_e32 v30, s33, v30
	v_cvt_f32_f16_e32 v30, v30
	s_branch .LBB223_202
.LBB223_201:
	v_mov_b32_e32 v30, 0
.LBB223_202:
	v_pk_add_f16 v31, v10, v26
	v_max_f16_e32 v48, v86, v86
	v_pk_add_f16 v50, v11, v27
	v_min_f16_e32 v48, v48, v31
	v_lshrrev_b32_e32 v49, 16, v86
	v_lshrrev_b32_e32 v31, 16, v31
	;; [unrolled: 1-line block ×3, first 2 shown]
	v_min3_f16 v31, v49, v31, v51
	v_min3_f16 v31, v48, v50, v31
	v_cvt_f32_f16_e32 v31, v31
	v_max_f32_e32 v30, v30, v30
	v_min_f32_e32 v30, v30, v31
	v_cvt_f16_f32_e32 v48, v30
	v_lshl_add_u64 v[30:31], v[42:43], 1, v[24:25]
	flat_store_short v[30:31], v48
	s_or_b64 exec, exec, s[26:27]
	s_and_b64 s[30:31], s[14:15], s[18:19]
	s_and_saveexec_b64 s[26:27], s[30:31]
	s_cbranch_execz .LBB223_178
.LBB223_203:
	s_and_b64 vcc, exec, s[0:1]
	s_cbranch_vccnz .LBB223_205
; %bb.204:
	v_lshl_add_u64 v[30:31], v[44:45], 1, v[28:29]
	flat_load_ushort v30, v[30:31]
	s_waitcnt vmcnt(0) lgkmcnt(0)
	v_mul_f16_e32 v30, s33, v30
	v_cvt_f32_f16_e32 v30, v30
	s_branch .LBB223_206
.LBB223_205:
	v_mov_b32_e32 v30, 0
.LBB223_206:
	v_pk_add_f16 v31, v0, v26
	v_max_f16_e32 v48, v85, v85
	v_pk_add_f16 v50, v1, v27
	v_min_f16_e32 v48, v48, v31
	v_lshrrev_b32_e32 v49, 16, v85
	v_lshrrev_b32_e32 v31, 16, v31
	;; [unrolled: 1-line block ×3, first 2 shown]
	v_min3_f16 v31, v49, v31, v51
	v_min3_f16 v31, v48, v50, v31
	v_cvt_f32_f16_e32 v31, v31
	v_max_f32_e32 v30, v30, v30
	v_min_f32_e32 v30, v30, v31
	v_cvt_f16_f32_e32 v48, v30
	v_lshl_add_u64 v[30:31], v[44:45], 1, v[24:25]
	flat_store_short v[30:31], v48
	s_or_b64 exec, exec, s[26:27]
	s_and_b64 s[26:27], s[16:17], s[18:19]
	s_and_saveexec_b64 s[18:19], s[26:27]
	s_cbranch_execz .LBB223_211
.LBB223_207:
	s_and_b64 vcc, exec, s[0:1]
	s_cbranch_vccnz .LBB223_209
; %bb.208:
	v_lshl_add_u64 v[28:29], v[46:47], 1, v[28:29]
	flat_load_ushort v28, v[28:29]
	s_waitcnt vmcnt(0) lgkmcnt(0)
	v_mul_f16_e32 v28, s33, v28
	v_cvt_f32_f16_e32 v28, v28
	s_branch .LBB223_210
.LBB223_209:
	v_mov_b32_e32 v28, 0
.LBB223_210:
	v_pk_add_f16 v26, v2, v26
	v_max_f16_e32 v29, v84, v84
	v_pk_add_f16 v27, v3, v27
	v_min_f16_e32 v29, v29, v26
	v_lshrrev_b32_e32 v30, 16, v84
	v_lshrrev_b32_e32 v26, 16, v26
	;; [unrolled: 1-line block ×3, first 2 shown]
	v_min3_f16 v26, v30, v26, v31
	v_min3_f16 v26, v29, v27, v26
	v_cvt_f32_f16_e32 v26, v26
	v_max_f32_e32 v27, v28, v28
	v_lshl_add_u64 v[24:25], v[46:47], 1, v[24:25]
	v_min_f32_e32 v26, v27, v26
	v_cvt_f16_f32_e32 v26, v26
	flat_store_short v[24:25], v26
.LBB223_211:
	s_or_b64 exec, exec, s[18:19]
	v_add_u32_e32 v28, 0x80, v91
	v_mad_i64_i32 v[24:25], s[26:27], v28, s29, 0
	v_cmp_gt_i32_e64 s[18:19], s21, v28
	v_lshl_add_u64 v[26:27], v[24:25], 1, s[24:25]
	v_mad_i64_i32 v[24:25], s[26:27], v28, s28, 0
	v_lshl_add_u64 v[24:25], v[24:25], 1, s[22:23]
	s_and_b64 s[30:31], s[2:3], s[18:19]
	s_and_saveexec_b64 s[26:27], s[30:31]
	s_cbranch_execnz .LBB223_219
; %bb.212:
	s_or_b64 exec, exec, s[26:27]
	s_and_b64 s[30:31], s[4:5], s[18:19]
	s_and_saveexec_b64 s[26:27], s[30:31]
	s_cbranch_execnz .LBB223_223
.LBB223_213:
	s_or_b64 exec, exec, s[26:27]
	s_and_b64 s[30:31], s[6:7], s[18:19]
	s_and_saveexec_b64 s[26:27], s[30:31]
	s_cbranch_execnz .LBB223_227
.LBB223_214:
	s_or_b64 exec, exec, s[26:27]
	s_and_b64 s[30:31], s[8:9], s[18:19]
	s_and_saveexec_b64 s[26:27], s[30:31]
	s_cbranch_execnz .LBB223_231
.LBB223_215:
	s_or_b64 exec, exec, s[26:27]
	s_and_b64 s[30:31], s[10:11], s[18:19]
	s_and_saveexec_b64 s[26:27], s[30:31]
	s_cbranch_execnz .LBB223_235
.LBB223_216:
	s_or_b64 exec, exec, s[26:27]
	s_and_b64 s[30:31], s[12:13], s[18:19]
	s_and_saveexec_b64 s[26:27], s[30:31]
	s_cbranch_execnz .LBB223_239
.LBB223_217:
	s_or_b64 exec, exec, s[26:27]
	s_and_b64 s[30:31], s[14:15], s[18:19]
	s_and_saveexec_b64 s[26:27], s[30:31]
	s_cbranch_execnz .LBB223_243
.LBB223_218:
	s_or_b64 exec, exec, s[26:27]
	s_and_b64 s[26:27], s[16:17], s[18:19]
	s_and_saveexec_b64 s[18:19], s[26:27]
	s_cbranch_execnz .LBB223_247
	s_branch .LBB223_251
.LBB223_219:
	s_and_b64 vcc, exec, s[0:1]
	s_cbranch_vccnz .LBB223_221
; %bb.220:
	v_lshl_add_u64 v[28:29], v[32:33], 1, v[26:27]
	flat_load_ushort v28, v[28:29]
	s_waitcnt vmcnt(0) lgkmcnt(0)
	v_mul_f16_e32 v28, s33, v28
	v_cvt_f32_f16_e32 v28, v28
	s_branch .LBB223_222
.LBB223_221:
	v_mov_b32_e32 v28, 0
.LBB223_222:
	v_pk_add_f16 v29, v16, v20
	v_max_f16_e32 v30, v83, v83
	v_pk_add_f16 v48, v17, v21
	v_min_f16_e32 v30, v30, v29
	v_lshrrev_b32_e32 v31, 16, v83
	v_lshrrev_b32_e32 v29, 16, v29
	;; [unrolled: 1-line block ×3, first 2 shown]
	v_min3_f16 v29, v31, v29, v49
	v_min3_f16 v29, v30, v48, v29
	v_cvt_f32_f16_e32 v29, v29
	v_max_f32_e32 v28, v28, v28
	v_min_f32_e32 v28, v28, v29
	v_cvt_f16_f32_e32 v30, v28
	v_lshl_add_u64 v[28:29], v[32:33], 1, v[24:25]
	flat_store_short v[28:29], v30
	s_or_b64 exec, exec, s[26:27]
	s_and_b64 s[30:31], s[4:5], s[18:19]
	s_and_saveexec_b64 s[26:27], s[30:31]
	s_cbranch_execz .LBB223_213
.LBB223_223:
	s_and_b64 vcc, exec, s[0:1]
	s_cbranch_vccnz .LBB223_225
; %bb.224:
	v_lshl_add_u64 v[28:29], v[34:35], 1, v[26:27]
	flat_load_ushort v28, v[28:29]
	s_waitcnt vmcnt(0) lgkmcnt(0)
	v_mul_f16_e32 v28, s33, v28
	v_cvt_f32_f16_e32 v28, v28
	s_branch .LBB223_226
.LBB223_225:
	v_mov_b32_e32 v28, 0
.LBB223_226:
	v_pk_add_f16 v29, v18, v20
	v_max_f16_e32 v30, v82, v82
	v_pk_add_f16 v48, v19, v21
	v_min_f16_e32 v30, v30, v29
	v_lshrrev_b32_e32 v31, 16, v82
	v_lshrrev_b32_e32 v29, 16, v29
	;; [unrolled: 1-line block ×3, first 2 shown]
	v_min3_f16 v29, v31, v29, v49
	v_min3_f16 v29, v30, v48, v29
	v_cvt_f32_f16_e32 v29, v29
	v_max_f32_e32 v28, v28, v28
	v_min_f32_e32 v28, v28, v29
	v_cvt_f16_f32_e32 v30, v28
	v_lshl_add_u64 v[28:29], v[34:35], 1, v[24:25]
	flat_store_short v[28:29], v30
	s_or_b64 exec, exec, s[26:27]
	s_and_b64 s[30:31], s[6:7], s[18:19]
	s_and_saveexec_b64 s[26:27], s[30:31]
	s_cbranch_execz .LBB223_214
.LBB223_227:
	s_and_b64 vcc, exec, s[0:1]
	s_cbranch_vccnz .LBB223_229
; %bb.228:
	v_lshl_add_u64 v[28:29], v[36:37], 1, v[26:27]
	flat_load_ushort v28, v[28:29]
	s_waitcnt vmcnt(0) lgkmcnt(0)
	v_mul_f16_e32 v28, s33, v28
	v_cvt_f32_f16_e32 v28, v28
	s_branch .LBB223_230
.LBB223_229:
	v_mov_b32_e32 v28, 0
.LBB223_230:
	v_pk_add_f16 v29, v12, v20
	v_max_f16_e32 v30, v81, v81
	v_pk_add_f16 v48, v13, v21
	v_min_f16_e32 v30, v30, v29
	v_lshrrev_b32_e32 v31, 16, v81
	v_lshrrev_b32_e32 v29, 16, v29
	;; [unrolled: 1-line block ×3, first 2 shown]
	v_min3_f16 v29, v31, v29, v49
	v_min3_f16 v29, v30, v48, v29
	v_cvt_f32_f16_e32 v29, v29
	v_max_f32_e32 v28, v28, v28
	v_min_f32_e32 v28, v28, v29
	v_cvt_f16_f32_e32 v30, v28
	v_lshl_add_u64 v[28:29], v[36:37], 1, v[24:25]
	flat_store_short v[28:29], v30
	s_or_b64 exec, exec, s[26:27]
	s_and_b64 s[30:31], s[8:9], s[18:19]
	s_and_saveexec_b64 s[26:27], s[30:31]
	s_cbranch_execz .LBB223_215
.LBB223_231:
	s_and_b64 vcc, exec, s[0:1]
	s_cbranch_vccnz .LBB223_233
; %bb.232:
	v_lshl_add_u64 v[28:29], v[38:39], 1, v[26:27]
	flat_load_ushort v28, v[28:29]
	s_waitcnt vmcnt(0) lgkmcnt(0)
	v_mul_f16_e32 v28, s33, v28
	v_cvt_f32_f16_e32 v28, v28
	s_branch .LBB223_234
.LBB223_233:
	v_mov_b32_e32 v28, 0
.LBB223_234:
	v_pk_add_f16 v29, v14, v20
	v_max_f16_e32 v30, v80, v80
	v_pk_add_f16 v48, v15, v21
	v_min_f16_e32 v30, v30, v29
	v_lshrrev_b32_e32 v31, 16, v80
	v_lshrrev_b32_e32 v29, 16, v29
	;; [unrolled: 1-line block ×3, first 2 shown]
	v_min3_f16 v29, v31, v29, v49
	v_min3_f16 v29, v30, v48, v29
	v_cvt_f32_f16_e32 v29, v29
	v_max_f32_e32 v28, v28, v28
	v_min_f32_e32 v28, v28, v29
	v_cvt_f16_f32_e32 v30, v28
	v_lshl_add_u64 v[28:29], v[38:39], 1, v[24:25]
	flat_store_short v[28:29], v30
	s_or_b64 exec, exec, s[26:27]
	s_and_b64 s[30:31], s[10:11], s[18:19]
	s_and_saveexec_b64 s[26:27], s[30:31]
	s_cbranch_execz .LBB223_216
.LBB223_235:
	s_and_b64 vcc, exec, s[0:1]
	s_cbranch_vccnz .LBB223_237
; %bb.236:
	v_lshl_add_u64 v[28:29], v[40:41], 1, v[26:27]
	flat_load_ushort v28, v[28:29]
	s_waitcnt vmcnt(0) lgkmcnt(0)
	v_mul_f16_e32 v28, s33, v28
	v_cvt_f32_f16_e32 v28, v28
	s_branch .LBB223_238
.LBB223_237:
	v_mov_b32_e32 v28, 0
.LBB223_238:
	v_pk_add_f16 v29, v8, v20
	v_max_f16_e32 v30, v79, v79
	v_pk_add_f16 v48, v9, v21
	v_min_f16_e32 v30, v30, v29
	v_lshrrev_b32_e32 v31, 16, v79
	v_lshrrev_b32_e32 v29, 16, v29
	;; [unrolled: 1-line block ×3, first 2 shown]
	v_min3_f16 v29, v31, v29, v49
	v_min3_f16 v29, v30, v48, v29
	v_cvt_f32_f16_e32 v29, v29
	v_max_f32_e32 v28, v28, v28
	v_min_f32_e32 v28, v28, v29
	v_cvt_f16_f32_e32 v30, v28
	v_lshl_add_u64 v[28:29], v[40:41], 1, v[24:25]
	flat_store_short v[28:29], v30
	s_or_b64 exec, exec, s[26:27]
	s_and_b64 s[30:31], s[12:13], s[18:19]
	s_and_saveexec_b64 s[26:27], s[30:31]
	s_cbranch_execz .LBB223_217
.LBB223_239:
	s_and_b64 vcc, exec, s[0:1]
	s_cbranch_vccnz .LBB223_241
; %bb.240:
	v_lshl_add_u64 v[28:29], v[42:43], 1, v[26:27]
	flat_load_ushort v28, v[28:29]
	s_waitcnt vmcnt(0) lgkmcnt(0)
	v_mul_f16_e32 v28, s33, v28
	v_cvt_f32_f16_e32 v28, v28
	s_branch .LBB223_242
.LBB223_241:
	v_mov_b32_e32 v28, 0
.LBB223_242:
	v_pk_add_f16 v29, v10, v20
	v_max_f16_e32 v30, v78, v78
	v_pk_add_f16 v48, v11, v21
	v_min_f16_e32 v30, v30, v29
	v_lshrrev_b32_e32 v31, 16, v78
	v_lshrrev_b32_e32 v29, 16, v29
	;; [unrolled: 1-line block ×3, first 2 shown]
	v_min3_f16 v29, v31, v29, v49
	v_min3_f16 v29, v30, v48, v29
	v_cvt_f32_f16_e32 v29, v29
	v_max_f32_e32 v28, v28, v28
	v_min_f32_e32 v28, v28, v29
	v_cvt_f16_f32_e32 v30, v28
	v_lshl_add_u64 v[28:29], v[42:43], 1, v[24:25]
	flat_store_short v[28:29], v30
	s_or_b64 exec, exec, s[26:27]
	s_and_b64 s[30:31], s[14:15], s[18:19]
	s_and_saveexec_b64 s[26:27], s[30:31]
	s_cbranch_execz .LBB223_218
.LBB223_243:
	s_and_b64 vcc, exec, s[0:1]
	s_cbranch_vccnz .LBB223_245
; %bb.244:
	v_lshl_add_u64 v[28:29], v[44:45], 1, v[26:27]
	flat_load_ushort v28, v[28:29]
	s_waitcnt vmcnt(0) lgkmcnt(0)
	v_mul_f16_e32 v28, s33, v28
	v_cvt_f32_f16_e32 v28, v28
	s_branch .LBB223_246
.LBB223_245:
	v_mov_b32_e32 v28, 0
.LBB223_246:
	v_pk_add_f16 v29, v0, v20
	v_max_f16_e32 v30, v77, v77
	v_pk_add_f16 v48, v1, v21
	v_min_f16_e32 v30, v30, v29
	v_lshrrev_b32_e32 v31, 16, v77
	v_lshrrev_b32_e32 v29, 16, v29
	;; [unrolled: 1-line block ×3, first 2 shown]
	v_min3_f16 v29, v31, v29, v49
	v_min3_f16 v29, v30, v48, v29
	v_cvt_f32_f16_e32 v29, v29
	v_max_f32_e32 v28, v28, v28
	v_min_f32_e32 v28, v28, v29
	v_cvt_f16_f32_e32 v30, v28
	v_lshl_add_u64 v[28:29], v[44:45], 1, v[24:25]
	flat_store_short v[28:29], v30
	s_or_b64 exec, exec, s[26:27]
	s_and_b64 s[26:27], s[16:17], s[18:19]
	s_and_saveexec_b64 s[18:19], s[26:27]
	s_cbranch_execz .LBB223_251
.LBB223_247:
	s_and_b64 vcc, exec, s[0:1]
	s_cbranch_vccnz .LBB223_249
; %bb.248:
	v_lshl_add_u64 v[26:27], v[46:47], 1, v[26:27]
	flat_load_ushort v26, v[26:27]
	s_waitcnt vmcnt(0) lgkmcnt(0)
	v_mul_f16_e32 v26, s33, v26
	v_cvt_f32_f16_e32 v26, v26
	s_branch .LBB223_250
.LBB223_249:
	v_mov_b32_e32 v26, 0
.LBB223_250:
	v_pk_add_f16 v20, v2, v20
	v_max_f16_e32 v27, v76, v76
	v_pk_add_f16 v21, v3, v21
	v_min_f16_e32 v27, v27, v20
	v_lshrrev_b32_e32 v28, 16, v76
	v_lshrrev_b32_e32 v20, 16, v20
	v_lshrrev_b32_e32 v29, 16, v21
	v_min3_f16 v20, v28, v20, v29
	v_min3_f16 v20, v27, v21, v20
	v_cvt_f32_f16_e32 v20, v20
	v_max_f32_e32 v21, v26, v26
	v_min_f32_e32 v20, v21, v20
	v_cvt_f16_f32_e32 v26, v20
	v_lshl_add_u64 v[20:21], v[46:47], 1, v[24:25]
	flat_store_short v[20:21], v26
.LBB223_251:
	s_or_b64 exec, exec, s[18:19]
	v_add_u32_e32 v26, 0xa0, v91
	v_mad_i64_i32 v[20:21], s[26:27], v26, s29, 0
	v_cmp_gt_i32_e64 s[18:19], s21, v26
	v_lshl_add_u64 v[24:25], v[20:21], 1, s[24:25]
	v_mad_i64_i32 v[20:21], s[26:27], v26, s28, 0
	v_lshl_add_u64 v[20:21], v[20:21], 1, s[22:23]
	s_and_b64 s[30:31], s[2:3], s[18:19]
	s_and_saveexec_b64 s[26:27], s[30:31]
	s_cbranch_execnz .LBB223_259
; %bb.252:
	s_or_b64 exec, exec, s[26:27]
	s_and_b64 s[30:31], s[4:5], s[18:19]
	s_and_saveexec_b64 s[26:27], s[30:31]
	s_cbranch_execnz .LBB223_263
.LBB223_253:
	s_or_b64 exec, exec, s[26:27]
	s_and_b64 s[30:31], s[6:7], s[18:19]
	s_and_saveexec_b64 s[26:27], s[30:31]
	s_cbranch_execnz .LBB223_267
.LBB223_254:
	s_or_b64 exec, exec, s[26:27]
	s_and_b64 s[30:31], s[8:9], s[18:19]
	s_and_saveexec_b64 s[26:27], s[30:31]
	s_cbranch_execnz .LBB223_271
.LBB223_255:
	s_or_b64 exec, exec, s[26:27]
	s_and_b64 s[30:31], s[10:11], s[18:19]
	s_and_saveexec_b64 s[26:27], s[30:31]
	s_cbranch_execnz .LBB223_275
.LBB223_256:
	s_or_b64 exec, exec, s[26:27]
	s_and_b64 s[30:31], s[12:13], s[18:19]
	s_and_saveexec_b64 s[26:27], s[30:31]
	s_cbranch_execnz .LBB223_279
.LBB223_257:
	s_or_b64 exec, exec, s[26:27]
	s_and_b64 s[30:31], s[14:15], s[18:19]
	s_and_saveexec_b64 s[26:27], s[30:31]
	s_cbranch_execnz .LBB223_283
.LBB223_258:
	s_or_b64 exec, exec, s[26:27]
	s_and_b64 s[26:27], s[16:17], s[18:19]
	s_and_saveexec_b64 s[18:19], s[26:27]
	s_cbranch_execnz .LBB223_287
	s_branch .LBB223_291
.LBB223_259:
	s_and_b64 vcc, exec, s[0:1]
	s_cbranch_vccnz .LBB223_261
; %bb.260:
	v_lshl_add_u64 v[26:27], v[32:33], 1, v[24:25]
	flat_load_ushort v26, v[26:27]
	s_waitcnt vmcnt(0) lgkmcnt(0)
	v_mul_f16_e32 v26, s33, v26
	v_cvt_f32_f16_e32 v26, v26
	s_branch .LBB223_262
.LBB223_261:
	v_mov_b32_e32 v26, 0
.LBB223_262:
	v_pk_add_f16 v27, v16, v22
	v_max_f16_e32 v28, v75, v75
	v_pk_add_f16 v30, v17, v23
	v_min_f16_e32 v28, v28, v27
	v_lshrrev_b32_e32 v29, 16, v75
	v_lshrrev_b32_e32 v27, 16, v27
	;; [unrolled: 1-line block ×3, first 2 shown]
	v_min3_f16 v27, v29, v27, v31
	v_min3_f16 v27, v28, v30, v27
	v_cvt_f32_f16_e32 v27, v27
	v_max_f32_e32 v26, v26, v26
	v_min_f32_e32 v26, v26, v27
	v_cvt_f16_f32_e32 v28, v26
	v_lshl_add_u64 v[26:27], v[32:33], 1, v[20:21]
	flat_store_short v[26:27], v28
	s_or_b64 exec, exec, s[26:27]
	s_and_b64 s[30:31], s[4:5], s[18:19]
	s_and_saveexec_b64 s[26:27], s[30:31]
	s_cbranch_execz .LBB223_253
.LBB223_263:
	s_and_b64 vcc, exec, s[0:1]
	s_cbranch_vccnz .LBB223_265
; %bb.264:
	v_lshl_add_u64 v[26:27], v[34:35], 1, v[24:25]
	flat_load_ushort v26, v[26:27]
	s_waitcnt vmcnt(0) lgkmcnt(0)
	v_mul_f16_e32 v26, s33, v26
	v_cvt_f32_f16_e32 v26, v26
	s_branch .LBB223_266
.LBB223_265:
	v_mov_b32_e32 v26, 0
.LBB223_266:
	v_pk_add_f16 v27, v18, v22
	v_max_f16_e32 v28, v74, v74
	v_pk_add_f16 v30, v19, v23
	v_min_f16_e32 v28, v28, v27
	v_lshrrev_b32_e32 v29, 16, v74
	v_lshrrev_b32_e32 v27, 16, v27
	;; [unrolled: 1-line block ×3, first 2 shown]
	v_min3_f16 v27, v29, v27, v31
	v_min3_f16 v27, v28, v30, v27
	v_cvt_f32_f16_e32 v27, v27
	v_max_f32_e32 v26, v26, v26
	v_min_f32_e32 v26, v26, v27
	v_cvt_f16_f32_e32 v28, v26
	v_lshl_add_u64 v[26:27], v[34:35], 1, v[20:21]
	flat_store_short v[26:27], v28
	s_or_b64 exec, exec, s[26:27]
	s_and_b64 s[30:31], s[6:7], s[18:19]
	s_and_saveexec_b64 s[26:27], s[30:31]
	s_cbranch_execz .LBB223_254
.LBB223_267:
	s_and_b64 vcc, exec, s[0:1]
	s_cbranch_vccnz .LBB223_269
; %bb.268:
	v_lshl_add_u64 v[26:27], v[36:37], 1, v[24:25]
	flat_load_ushort v26, v[26:27]
	s_waitcnt vmcnt(0) lgkmcnt(0)
	v_mul_f16_e32 v26, s33, v26
	v_cvt_f32_f16_e32 v26, v26
	s_branch .LBB223_270
.LBB223_269:
	v_mov_b32_e32 v26, 0
.LBB223_270:
	v_pk_add_f16 v27, v12, v22
	v_max_f16_e32 v28, v73, v73
	v_pk_add_f16 v30, v13, v23
	v_min_f16_e32 v28, v28, v27
	v_lshrrev_b32_e32 v29, 16, v73
	v_lshrrev_b32_e32 v27, 16, v27
	;; [unrolled: 1-line block ×3, first 2 shown]
	v_min3_f16 v27, v29, v27, v31
	v_min3_f16 v27, v28, v30, v27
	v_cvt_f32_f16_e32 v27, v27
	v_max_f32_e32 v26, v26, v26
	v_min_f32_e32 v26, v26, v27
	v_cvt_f16_f32_e32 v28, v26
	v_lshl_add_u64 v[26:27], v[36:37], 1, v[20:21]
	flat_store_short v[26:27], v28
	s_or_b64 exec, exec, s[26:27]
	s_and_b64 s[30:31], s[8:9], s[18:19]
	s_and_saveexec_b64 s[26:27], s[30:31]
	s_cbranch_execz .LBB223_255
.LBB223_271:
	s_and_b64 vcc, exec, s[0:1]
	s_cbranch_vccnz .LBB223_273
; %bb.272:
	v_lshl_add_u64 v[26:27], v[38:39], 1, v[24:25]
	flat_load_ushort v26, v[26:27]
	s_waitcnt vmcnt(0) lgkmcnt(0)
	v_mul_f16_e32 v26, s33, v26
	v_cvt_f32_f16_e32 v26, v26
	s_branch .LBB223_274
.LBB223_273:
	v_mov_b32_e32 v26, 0
.LBB223_274:
	v_pk_add_f16 v27, v14, v22
	v_max_f16_e32 v28, v72, v72
	v_pk_add_f16 v30, v15, v23
	v_min_f16_e32 v28, v28, v27
	v_lshrrev_b32_e32 v29, 16, v72
	v_lshrrev_b32_e32 v27, 16, v27
	v_lshrrev_b32_e32 v31, 16, v30
	v_min3_f16 v27, v29, v27, v31
	v_min3_f16 v27, v28, v30, v27
	v_cvt_f32_f16_e32 v27, v27
	v_max_f32_e32 v26, v26, v26
	v_min_f32_e32 v26, v26, v27
	v_cvt_f16_f32_e32 v28, v26
	v_lshl_add_u64 v[26:27], v[38:39], 1, v[20:21]
	flat_store_short v[26:27], v28
	s_or_b64 exec, exec, s[26:27]
	s_and_b64 s[30:31], s[10:11], s[18:19]
	s_and_saveexec_b64 s[26:27], s[30:31]
	s_cbranch_execz .LBB223_256
.LBB223_275:
	s_and_b64 vcc, exec, s[0:1]
	s_cbranch_vccnz .LBB223_277
; %bb.276:
	v_lshl_add_u64 v[26:27], v[40:41], 1, v[24:25]
	flat_load_ushort v26, v[26:27]
	s_waitcnt vmcnt(0) lgkmcnt(0)
	v_mul_f16_e32 v26, s33, v26
	v_cvt_f32_f16_e32 v26, v26
	s_branch .LBB223_278
.LBB223_277:
	v_mov_b32_e32 v26, 0
.LBB223_278:
	v_pk_add_f16 v27, v8, v22
	v_max_f16_e32 v28, v71, v71
	v_pk_add_f16 v30, v9, v23
	v_min_f16_e32 v28, v28, v27
	v_lshrrev_b32_e32 v29, 16, v71
	v_lshrrev_b32_e32 v27, 16, v27
	;; [unrolled: 1-line block ×3, first 2 shown]
	v_min3_f16 v27, v29, v27, v31
	v_min3_f16 v27, v28, v30, v27
	v_cvt_f32_f16_e32 v27, v27
	v_max_f32_e32 v26, v26, v26
	v_min_f32_e32 v26, v26, v27
	v_cvt_f16_f32_e32 v28, v26
	v_lshl_add_u64 v[26:27], v[40:41], 1, v[20:21]
	flat_store_short v[26:27], v28
	s_or_b64 exec, exec, s[26:27]
	s_and_b64 s[30:31], s[12:13], s[18:19]
	s_and_saveexec_b64 s[26:27], s[30:31]
	s_cbranch_execz .LBB223_257
.LBB223_279:
	s_and_b64 vcc, exec, s[0:1]
	s_cbranch_vccnz .LBB223_281
; %bb.280:
	v_lshl_add_u64 v[26:27], v[42:43], 1, v[24:25]
	flat_load_ushort v26, v[26:27]
	s_waitcnt vmcnt(0) lgkmcnt(0)
	v_mul_f16_e32 v26, s33, v26
	v_cvt_f32_f16_e32 v26, v26
	s_branch .LBB223_282
.LBB223_281:
	v_mov_b32_e32 v26, 0
.LBB223_282:
	v_pk_add_f16 v27, v10, v22
	v_max_f16_e32 v28, v70, v70
	v_pk_add_f16 v30, v11, v23
	v_min_f16_e32 v28, v28, v27
	v_lshrrev_b32_e32 v29, 16, v70
	v_lshrrev_b32_e32 v27, 16, v27
	;; [unrolled: 1-line block ×3, first 2 shown]
	v_min3_f16 v27, v29, v27, v31
	v_min3_f16 v27, v28, v30, v27
	v_cvt_f32_f16_e32 v27, v27
	v_max_f32_e32 v26, v26, v26
	v_min_f32_e32 v26, v26, v27
	v_cvt_f16_f32_e32 v28, v26
	v_lshl_add_u64 v[26:27], v[42:43], 1, v[20:21]
	flat_store_short v[26:27], v28
	s_or_b64 exec, exec, s[26:27]
	s_and_b64 s[30:31], s[14:15], s[18:19]
	s_and_saveexec_b64 s[26:27], s[30:31]
	s_cbranch_execz .LBB223_258
.LBB223_283:
	s_and_b64 vcc, exec, s[0:1]
	s_cbranch_vccnz .LBB223_285
; %bb.284:
	v_lshl_add_u64 v[26:27], v[44:45], 1, v[24:25]
	flat_load_ushort v26, v[26:27]
	s_waitcnt vmcnt(0) lgkmcnt(0)
	v_mul_f16_e32 v26, s33, v26
	v_cvt_f32_f16_e32 v26, v26
	s_branch .LBB223_286
.LBB223_285:
	v_mov_b32_e32 v26, 0
.LBB223_286:
	v_pk_add_f16 v27, v0, v22
	v_max_f16_e32 v28, v68, v68
	v_pk_add_f16 v30, v1, v23
	v_min_f16_e32 v28, v28, v27
	v_lshrrev_b32_e32 v29, 16, v68
	v_lshrrev_b32_e32 v27, 16, v27
	;; [unrolled: 1-line block ×3, first 2 shown]
	v_min3_f16 v27, v29, v27, v31
	v_min3_f16 v27, v28, v30, v27
	v_cvt_f32_f16_e32 v27, v27
	v_max_f32_e32 v26, v26, v26
	v_min_f32_e32 v26, v26, v27
	v_cvt_f16_f32_e32 v28, v26
	v_lshl_add_u64 v[26:27], v[44:45], 1, v[20:21]
	flat_store_short v[26:27], v28
	s_or_b64 exec, exec, s[26:27]
	s_and_b64 s[26:27], s[16:17], s[18:19]
	s_and_saveexec_b64 s[18:19], s[26:27]
	s_cbranch_execz .LBB223_291
.LBB223_287:
	s_and_b64 vcc, exec, s[0:1]
	s_cbranch_vccnz .LBB223_289
; %bb.288:
	v_lshl_add_u64 v[24:25], v[46:47], 1, v[24:25]
	flat_load_ushort v24, v[24:25]
	s_waitcnt vmcnt(0) lgkmcnt(0)
	v_mul_f16_e32 v24, s33, v24
	v_cvt_f32_f16_e32 v24, v24
	s_branch .LBB223_290
.LBB223_289:
	v_mov_b32_e32 v24, 0
.LBB223_290:
	v_pk_add_f16 v22, v2, v22
	v_max_f16_e32 v25, v69, v69
	v_pk_add_f16 v23, v3, v23
	v_min_f16_e32 v25, v25, v22
	v_lshrrev_b32_e32 v26, 16, v69
	v_lshrrev_b32_e32 v22, 16, v22
	;; [unrolled: 1-line block ×3, first 2 shown]
	v_min3_f16 v22, v26, v22, v27
	v_min3_f16 v22, v25, v23, v22
	v_cvt_f32_f16_e32 v22, v22
	v_max_f32_e32 v23, v24, v24
	v_lshl_add_u64 v[20:21], v[46:47], 1, v[20:21]
	v_min_f32_e32 v22, v23, v22
	v_cvt_f16_f32_e32 v22, v22
	flat_store_short v[20:21], v22
.LBB223_291:
	s_or_b64 exec, exec, s[18:19]
	v_add_u32_e32 v24, 0xc0, v91
	v_mad_i64_i32 v[20:21], s[26:27], v24, s29, 0
	v_cmp_gt_i32_e64 s[18:19], s21, v24
	v_lshl_add_u64 v[22:23], v[20:21], 1, s[24:25]
	v_mad_i64_i32 v[20:21], s[26:27], v24, s28, 0
	v_lshl_add_u64 v[20:21], v[20:21], 1, s[22:23]
	s_and_b64 s[30:31], s[2:3], s[18:19]
	s_and_saveexec_b64 s[26:27], s[30:31]
	s_cbranch_execnz .LBB223_299
; %bb.292:
	s_or_b64 exec, exec, s[26:27]
	s_and_b64 s[30:31], s[4:5], s[18:19]
	s_and_saveexec_b64 s[26:27], s[30:31]
	s_cbranch_execnz .LBB223_303
.LBB223_293:
	s_or_b64 exec, exec, s[26:27]
	s_and_b64 s[30:31], s[6:7], s[18:19]
	s_and_saveexec_b64 s[26:27], s[30:31]
	s_cbranch_execnz .LBB223_307
.LBB223_294:
	s_or_b64 exec, exec, s[26:27]
	s_and_b64 s[30:31], s[8:9], s[18:19]
	s_and_saveexec_b64 s[26:27], s[30:31]
	s_cbranch_execnz .LBB223_311
.LBB223_295:
	s_or_b64 exec, exec, s[26:27]
	s_and_b64 s[30:31], s[10:11], s[18:19]
	s_and_saveexec_b64 s[26:27], s[30:31]
	s_cbranch_execnz .LBB223_315
.LBB223_296:
	s_or_b64 exec, exec, s[26:27]
	s_and_b64 s[30:31], s[12:13], s[18:19]
	s_and_saveexec_b64 s[26:27], s[30:31]
	s_cbranch_execnz .LBB223_319
.LBB223_297:
	s_or_b64 exec, exec, s[26:27]
	s_and_b64 s[30:31], s[14:15], s[18:19]
	s_and_saveexec_b64 s[26:27], s[30:31]
	s_cbranch_execnz .LBB223_323
.LBB223_298:
	s_or_b64 exec, exec, s[26:27]
	s_and_b64 s[26:27], s[16:17], s[18:19]
	s_and_saveexec_b64 s[18:19], s[26:27]
	s_cbranch_execnz .LBB223_327
	s_branch .LBB223_331
.LBB223_299:
	s_and_b64 vcc, exec, s[0:1]
	s_cbranch_vccnz .LBB223_301
; %bb.300:
	v_lshl_add_u64 v[24:25], v[32:33], 1, v[22:23]
	flat_load_ushort v24, v[24:25]
	s_waitcnt vmcnt(0) lgkmcnt(0)
	v_mul_f16_e32 v24, s33, v24
	v_cvt_f32_f16_e32 v24, v24
	s_branch .LBB223_302
.LBB223_301:
	v_mov_b32_e32 v24, 0
.LBB223_302:
	v_pk_add_f16 v25, v16, v4
	v_max_f16_e32 v26, v67, v67
	v_pk_add_f16 v28, v17, v5
	v_min_f16_e32 v26, v26, v25
	v_lshrrev_b32_e32 v27, 16, v67
	v_lshrrev_b32_e32 v25, 16, v25
	;; [unrolled: 1-line block ×3, first 2 shown]
	v_min3_f16 v25, v27, v25, v29
	v_min3_f16 v25, v26, v28, v25
	v_cvt_f32_f16_e32 v25, v25
	v_max_f32_e32 v24, v24, v24
	v_min_f32_e32 v24, v24, v25
	v_cvt_f16_f32_e32 v26, v24
	v_lshl_add_u64 v[24:25], v[32:33], 1, v[20:21]
	flat_store_short v[24:25], v26
	s_or_b64 exec, exec, s[26:27]
	s_and_b64 s[30:31], s[4:5], s[18:19]
	s_and_saveexec_b64 s[26:27], s[30:31]
	s_cbranch_execz .LBB223_293
.LBB223_303:
	s_and_b64 vcc, exec, s[0:1]
	s_cbranch_vccnz .LBB223_305
; %bb.304:
	v_lshl_add_u64 v[24:25], v[34:35], 1, v[22:23]
	flat_load_ushort v24, v[24:25]
	s_waitcnt vmcnt(0) lgkmcnt(0)
	v_mul_f16_e32 v24, s33, v24
	v_cvt_f32_f16_e32 v24, v24
	s_branch .LBB223_306
.LBB223_305:
	v_mov_b32_e32 v24, 0
.LBB223_306:
	v_pk_add_f16 v25, v18, v4
	v_max_f16_e32 v26, v66, v66
	v_pk_add_f16 v28, v19, v5
	v_min_f16_e32 v26, v26, v25
	v_lshrrev_b32_e32 v27, 16, v66
	v_lshrrev_b32_e32 v25, 16, v25
	;; [unrolled: 1-line block ×3, first 2 shown]
	v_min3_f16 v25, v27, v25, v29
	v_min3_f16 v25, v26, v28, v25
	v_cvt_f32_f16_e32 v25, v25
	v_max_f32_e32 v24, v24, v24
	v_min_f32_e32 v24, v24, v25
	v_cvt_f16_f32_e32 v26, v24
	v_lshl_add_u64 v[24:25], v[34:35], 1, v[20:21]
	flat_store_short v[24:25], v26
	s_or_b64 exec, exec, s[26:27]
	s_and_b64 s[30:31], s[6:7], s[18:19]
	s_and_saveexec_b64 s[26:27], s[30:31]
	s_cbranch_execz .LBB223_294
.LBB223_307:
	s_and_b64 vcc, exec, s[0:1]
	s_cbranch_vccnz .LBB223_309
; %bb.308:
	v_lshl_add_u64 v[24:25], v[36:37], 1, v[22:23]
	flat_load_ushort v24, v[24:25]
	s_waitcnt vmcnt(0) lgkmcnt(0)
	v_mul_f16_e32 v24, s33, v24
	v_cvt_f32_f16_e32 v24, v24
	s_branch .LBB223_310
.LBB223_309:
	v_mov_b32_e32 v24, 0
.LBB223_310:
	v_pk_add_f16 v25, v12, v4
	v_max_f16_e32 v26, v65, v65
	v_pk_add_f16 v28, v13, v5
	v_min_f16_e32 v26, v26, v25
	v_lshrrev_b32_e32 v27, 16, v65
	v_lshrrev_b32_e32 v25, 16, v25
	;; [unrolled: 1-line block ×3, first 2 shown]
	v_min3_f16 v25, v27, v25, v29
	v_min3_f16 v25, v26, v28, v25
	v_cvt_f32_f16_e32 v25, v25
	v_max_f32_e32 v24, v24, v24
	v_min_f32_e32 v24, v24, v25
	v_cvt_f16_f32_e32 v26, v24
	v_lshl_add_u64 v[24:25], v[36:37], 1, v[20:21]
	flat_store_short v[24:25], v26
	s_or_b64 exec, exec, s[26:27]
	s_and_b64 s[30:31], s[8:9], s[18:19]
	s_and_saveexec_b64 s[26:27], s[30:31]
	s_cbranch_execz .LBB223_295
.LBB223_311:
	s_and_b64 vcc, exec, s[0:1]
	s_cbranch_vccnz .LBB223_313
; %bb.312:
	v_lshl_add_u64 v[24:25], v[38:39], 1, v[22:23]
	flat_load_ushort v24, v[24:25]
	s_waitcnt vmcnt(0) lgkmcnt(0)
	v_mul_f16_e32 v24, s33, v24
	v_cvt_f32_f16_e32 v24, v24
	s_branch .LBB223_314
.LBB223_313:
	v_mov_b32_e32 v24, 0
.LBB223_314:
	v_pk_add_f16 v25, v14, v4
	v_max_f16_e32 v26, v64, v64
	v_pk_add_f16 v28, v15, v5
	v_min_f16_e32 v26, v26, v25
	v_lshrrev_b32_e32 v27, 16, v64
	v_lshrrev_b32_e32 v25, 16, v25
	;; [unrolled: 1-line block ×3, first 2 shown]
	v_min3_f16 v25, v27, v25, v29
	v_min3_f16 v25, v26, v28, v25
	v_cvt_f32_f16_e32 v25, v25
	v_max_f32_e32 v24, v24, v24
	v_min_f32_e32 v24, v24, v25
	v_cvt_f16_f32_e32 v26, v24
	v_lshl_add_u64 v[24:25], v[38:39], 1, v[20:21]
	flat_store_short v[24:25], v26
	s_or_b64 exec, exec, s[26:27]
	s_and_b64 s[30:31], s[10:11], s[18:19]
	s_and_saveexec_b64 s[26:27], s[30:31]
	s_cbranch_execz .LBB223_296
.LBB223_315:
	s_and_b64 vcc, exec, s[0:1]
	s_cbranch_vccnz .LBB223_317
; %bb.316:
	v_lshl_add_u64 v[24:25], v[40:41], 1, v[22:23]
	flat_load_ushort v24, v[24:25]
	s_waitcnt vmcnt(0) lgkmcnt(0)
	v_mul_f16_e32 v24, s33, v24
	v_cvt_f32_f16_e32 v24, v24
	s_branch .LBB223_318
.LBB223_317:
	v_mov_b32_e32 v24, 0
.LBB223_318:
	v_pk_add_f16 v25, v8, v4
	v_max_f16_e32 v26, v63, v63
	v_pk_add_f16 v28, v9, v5
	v_min_f16_e32 v26, v26, v25
	v_lshrrev_b32_e32 v27, 16, v63
	v_lshrrev_b32_e32 v25, 16, v25
	v_lshrrev_b32_e32 v29, 16, v28
	v_min3_f16 v25, v27, v25, v29
	v_min3_f16 v25, v26, v28, v25
	v_cvt_f32_f16_e32 v25, v25
	v_max_f32_e32 v24, v24, v24
	v_min_f32_e32 v24, v24, v25
	v_cvt_f16_f32_e32 v26, v24
	v_lshl_add_u64 v[24:25], v[40:41], 1, v[20:21]
	flat_store_short v[24:25], v26
	s_or_b64 exec, exec, s[26:27]
	s_and_b64 s[30:31], s[12:13], s[18:19]
	s_and_saveexec_b64 s[26:27], s[30:31]
	s_cbranch_execz .LBB223_297
.LBB223_319:
	s_and_b64 vcc, exec, s[0:1]
	s_cbranch_vccnz .LBB223_321
; %bb.320:
	v_lshl_add_u64 v[24:25], v[42:43], 1, v[22:23]
	flat_load_ushort v24, v[24:25]
	s_waitcnt vmcnt(0) lgkmcnt(0)
	v_mul_f16_e32 v24, s33, v24
	v_cvt_f32_f16_e32 v24, v24
	s_branch .LBB223_322
.LBB223_321:
	v_mov_b32_e32 v24, 0
.LBB223_322:
	v_pk_add_f16 v25, v10, v4
	v_max_f16_e32 v26, v62, v62
	v_pk_add_f16 v28, v11, v5
	v_min_f16_e32 v26, v26, v25
	v_lshrrev_b32_e32 v27, 16, v62
	v_lshrrev_b32_e32 v25, 16, v25
	v_lshrrev_b32_e32 v29, 16, v28
	v_min3_f16 v25, v27, v25, v29
	v_min3_f16 v25, v26, v28, v25
	v_cvt_f32_f16_e32 v25, v25
	v_max_f32_e32 v24, v24, v24
	v_min_f32_e32 v24, v24, v25
	v_cvt_f16_f32_e32 v26, v24
	v_lshl_add_u64 v[24:25], v[42:43], 1, v[20:21]
	flat_store_short v[24:25], v26
	s_or_b64 exec, exec, s[26:27]
	s_and_b64 s[30:31], s[14:15], s[18:19]
	s_and_saveexec_b64 s[26:27], s[30:31]
	s_cbranch_execz .LBB223_298
.LBB223_323:
	s_and_b64 vcc, exec, s[0:1]
	s_cbranch_vccnz .LBB223_325
; %bb.324:
	v_lshl_add_u64 v[24:25], v[44:45], 1, v[22:23]
	flat_load_ushort v24, v[24:25]
	s_waitcnt vmcnt(0) lgkmcnt(0)
	v_mul_f16_e32 v24, s33, v24
	v_cvt_f32_f16_e32 v24, v24
	s_branch .LBB223_326
.LBB223_325:
	v_mov_b32_e32 v24, 0
.LBB223_326:
	v_pk_add_f16 v25, v0, v4
	v_max_f16_e32 v26, v61, v61
	v_pk_add_f16 v28, v1, v5
	v_min_f16_e32 v26, v26, v25
	v_lshrrev_b32_e32 v27, 16, v61
	v_lshrrev_b32_e32 v25, 16, v25
	;; [unrolled: 1-line block ×3, first 2 shown]
	v_min3_f16 v25, v27, v25, v29
	v_min3_f16 v25, v26, v28, v25
	v_cvt_f32_f16_e32 v25, v25
	v_max_f32_e32 v24, v24, v24
	v_min_f32_e32 v24, v24, v25
	v_cvt_f16_f32_e32 v26, v24
	v_lshl_add_u64 v[24:25], v[44:45], 1, v[20:21]
	flat_store_short v[24:25], v26
	s_or_b64 exec, exec, s[26:27]
	s_and_b64 s[26:27], s[16:17], s[18:19]
	s_and_saveexec_b64 s[18:19], s[26:27]
	s_cbranch_execz .LBB223_331
.LBB223_327:
	s_and_b64 vcc, exec, s[0:1]
	s_cbranch_vccnz .LBB223_329
; %bb.328:
	v_lshl_add_u64 v[22:23], v[46:47], 1, v[22:23]
	flat_load_ushort v22, v[22:23]
	s_waitcnt vmcnt(0) lgkmcnt(0)
	v_mul_f16_e32 v22, s33, v22
	v_cvt_f32_f16_e32 v22, v22
	s_branch .LBB223_330
.LBB223_329:
	v_mov_b32_e32 v22, 0
.LBB223_330:
	v_pk_add_f16 v4, v2, v4
	v_max_f16_e32 v23, v60, v60
	v_pk_add_f16 v5, v3, v5
	v_min_f16_e32 v23, v23, v4
	v_lshrrev_b32_e32 v24, 16, v60
	v_lshrrev_b32_e32 v4, 16, v4
	;; [unrolled: 1-line block ×3, first 2 shown]
	v_min3_f16 v4, v24, v4, v25
	v_min3_f16 v4, v23, v5, v4
	v_cvt_f32_f16_e32 v4, v4
	v_max_f32_e32 v5, v22, v22
	v_min_f32_e32 v4, v5, v4
	v_cvt_f16_f32_e32 v22, v4
	v_lshl_add_u64 v[4:5], v[46:47], 1, v[20:21]
	flat_store_short v[4:5], v22
.LBB223_331:
	s_or_b64 exec, exec, s[18:19]
	v_add_u32_e32 v22, 0xe0, v91
	v_cmp_gt_i32_e64 s[18:19], s21, v22
	v_mad_i64_i32 v[4:5], s[20:21], v22, s29, 0
	v_lshl_add_u64 v[20:21], v[4:5], 1, s[24:25]
	v_mad_i64_i32 v[4:5], s[20:21], v22, s28, 0
	v_lshl_add_u64 v[4:5], v[4:5], 1, s[22:23]
	s_and_b64 s[20:21], s[2:3], s[18:19]
	s_and_saveexec_b64 s[2:3], s[20:21]
	s_cbranch_execnz .LBB223_340
; %bb.332:
	s_or_b64 exec, exec, s[2:3]
	s_and_b64 s[4:5], s[4:5], s[18:19]
	s_and_saveexec_b64 s[2:3], s[4:5]
	s_cbranch_execnz .LBB223_344
.LBB223_333:
	s_or_b64 exec, exec, s[2:3]
	s_and_b64 s[4:5], s[6:7], s[18:19]
	s_and_saveexec_b64 s[2:3], s[4:5]
	s_cbranch_execnz .LBB223_348
.LBB223_334:
	s_or_b64 exec, exec, s[2:3]
	s_and_b64 s[4:5], s[8:9], s[18:19]
	s_and_saveexec_b64 s[2:3], s[4:5]
	s_cbranch_execnz .LBB223_352
.LBB223_335:
	s_or_b64 exec, exec, s[2:3]
	s_and_b64 s[4:5], s[10:11], s[18:19]
	s_and_saveexec_b64 s[2:3], s[4:5]
	s_cbranch_execnz .LBB223_356
.LBB223_336:
	s_or_b64 exec, exec, s[2:3]
	s_and_b64 s[4:5], s[12:13], s[18:19]
	s_and_saveexec_b64 s[2:3], s[4:5]
	s_cbranch_execnz .LBB223_360
.LBB223_337:
	s_or_b64 exec, exec, s[2:3]
	s_and_b64 s[4:5], s[14:15], s[18:19]
	s_and_saveexec_b64 s[2:3], s[4:5]
	s_cbranch_execnz .LBB223_364
.LBB223_338:
	s_or_b64 exec, exec, s[2:3]
	s_and_b64 s[2:3], s[16:17], s[18:19]
	s_and_saveexec_b64 s[4:5], s[2:3]
	s_cbranch_execnz .LBB223_368
.LBB223_339:
	s_endpgm
.LBB223_340:
	s_and_b64 vcc, exec, s[0:1]
	s_cbranch_vccnz .LBB223_342
; %bb.341:
	v_lshl_add_u64 v[22:23], v[32:33], 1, v[20:21]
	flat_load_ushort v22, v[22:23]
	s_waitcnt vmcnt(0) lgkmcnt(0)
	v_mul_f16_e32 v22, s33, v22
	v_cvt_f32_f16_e32 v22, v22
	s_branch .LBB223_343
.LBB223_342:
	v_mov_b32_e32 v22, 0
.LBB223_343:
	v_pk_add_f16 v16, v16, v6
	v_max_f16_e32 v23, v59, v59
	v_pk_add_f16 v17, v17, v7
	v_min_f16_e32 v23, v23, v16
	v_lshrrev_b32_e32 v24, 16, v59
	v_lshrrev_b32_e32 v16, 16, v16
	;; [unrolled: 1-line block ×3, first 2 shown]
	v_min3_f16 v16, v24, v16, v25
	v_min3_f16 v16, v23, v17, v16
	v_cvt_f32_f16_e32 v16, v16
	v_max_f32_e32 v17, v22, v22
	v_min_f32_e32 v16, v17, v16
	v_cvt_f16_f32_e32 v22, v16
	v_lshl_add_u64 v[16:17], v[32:33], 1, v[4:5]
	flat_store_short v[16:17], v22
	s_or_b64 exec, exec, s[2:3]
	s_and_b64 s[4:5], s[4:5], s[18:19]
	s_and_saveexec_b64 s[2:3], s[4:5]
	s_cbranch_execz .LBB223_333
.LBB223_344:
	s_and_b64 vcc, exec, s[0:1]
	s_cbranch_vccnz .LBB223_346
; %bb.345:
	v_lshl_add_u64 v[16:17], v[34:35], 1, v[20:21]
	flat_load_ushort v16, v[16:17]
	s_waitcnt vmcnt(0) lgkmcnt(0)
	v_mul_f16_e32 v16, s33, v16
	v_cvt_f32_f16_e32 v16, v16
	s_branch .LBB223_347
.LBB223_346:
	v_mov_b32_e32 v16, 0
.LBB223_347:
	v_pk_add_f16 v17, v18, v6
	v_max_f16_e32 v18, v58, v58
	v_pk_add_f16 v19, v19, v7
	v_min_f16_e32 v18, v18, v17
	v_lshrrev_b32_e32 v22, 16, v58
	v_lshrrev_b32_e32 v17, 16, v17
	;; [unrolled: 1-line block ×3, first 2 shown]
	v_min3_f16 v17, v22, v17, v23
	v_min3_f16 v17, v18, v19, v17
	v_cvt_f32_f16_e32 v17, v17
	v_max_f32_e32 v16, v16, v16
	v_min_f32_e32 v16, v16, v17
	v_cvt_f16_f32_e32 v18, v16
	v_lshl_add_u64 v[16:17], v[34:35], 1, v[4:5]
	flat_store_short v[16:17], v18
	s_or_b64 exec, exec, s[2:3]
	s_and_b64 s[4:5], s[6:7], s[18:19]
	s_and_saveexec_b64 s[2:3], s[4:5]
	s_cbranch_execz .LBB223_334
.LBB223_348:
	s_and_b64 vcc, exec, s[0:1]
	s_cbranch_vccnz .LBB223_350
; %bb.349:
	v_lshl_add_u64 v[16:17], v[36:37], 1, v[20:21]
	flat_load_ushort v16, v[16:17]
	s_waitcnt vmcnt(0) lgkmcnt(0)
	v_mul_f16_e32 v16, s33, v16
	v_cvt_f32_f16_e32 v16, v16
	s_branch .LBB223_351
.LBB223_350:
	v_mov_b32_e32 v16, 0
.LBB223_351:
	v_pk_add_f16 v12, v12, v6
	v_max_f16_e32 v17, v57, v57
	v_pk_add_f16 v13, v13, v7
	v_min_f16_e32 v17, v17, v12
	v_lshrrev_b32_e32 v18, 16, v57
	v_lshrrev_b32_e32 v12, 16, v12
	;; [unrolled: 1-line block ×3, first 2 shown]
	v_min3_f16 v12, v18, v12, v19
	v_min3_f16 v12, v17, v13, v12
	v_cvt_f32_f16_e32 v12, v12
	v_max_f32_e32 v13, v16, v16
	v_min_f32_e32 v12, v13, v12
	v_cvt_f16_f32_e32 v16, v12
	v_lshl_add_u64 v[12:13], v[36:37], 1, v[4:5]
	flat_store_short v[12:13], v16
	s_or_b64 exec, exec, s[2:3]
	s_and_b64 s[4:5], s[8:9], s[18:19]
	s_and_saveexec_b64 s[2:3], s[4:5]
	s_cbranch_execz .LBB223_335
.LBB223_352:
	s_and_b64 vcc, exec, s[0:1]
	s_cbranch_vccnz .LBB223_354
; %bb.353:
	v_lshl_add_u64 v[12:13], v[38:39], 1, v[20:21]
	flat_load_ushort v12, v[12:13]
	s_waitcnt vmcnt(0) lgkmcnt(0)
	v_mul_f16_e32 v12, s33, v12
	v_cvt_f32_f16_e32 v12, v12
	s_branch .LBB223_355
.LBB223_354:
	v_mov_b32_e32 v12, 0
.LBB223_355:
	v_pk_add_f16 v13, v14, v6
	v_max_f16_e32 v14, v56, v56
	v_pk_add_f16 v15, v15, v7
	v_min_f16_e32 v14, v14, v13
	v_lshrrev_b32_e32 v16, 16, v56
	v_lshrrev_b32_e32 v13, 16, v13
	;; [unrolled: 1-line block ×3, first 2 shown]
	v_min3_f16 v13, v16, v13, v17
	v_min3_f16 v13, v14, v15, v13
	v_cvt_f32_f16_e32 v13, v13
	v_max_f32_e32 v12, v12, v12
	v_min_f32_e32 v12, v12, v13
	v_cvt_f16_f32_e32 v14, v12
	v_lshl_add_u64 v[12:13], v[38:39], 1, v[4:5]
	flat_store_short v[12:13], v14
	s_or_b64 exec, exec, s[2:3]
	s_and_b64 s[4:5], s[10:11], s[18:19]
	s_and_saveexec_b64 s[2:3], s[4:5]
	s_cbranch_execz .LBB223_336
.LBB223_356:
	s_and_b64 vcc, exec, s[0:1]
	s_cbranch_vccnz .LBB223_358
; %bb.357:
	v_lshl_add_u64 v[12:13], v[40:41], 1, v[20:21]
	flat_load_ushort v12, v[12:13]
	s_waitcnt vmcnt(0) lgkmcnt(0)
	v_mul_f16_e32 v12, s33, v12
	v_cvt_f32_f16_e32 v12, v12
	s_branch .LBB223_359
.LBB223_358:
	v_mov_b32_e32 v12, 0
.LBB223_359:
	v_pk_add_f16 v8, v8, v6
	v_max_f16_e32 v13, v54, v54
	v_pk_add_f16 v9, v9, v7
	v_min_f16_e32 v13, v13, v8
	v_lshrrev_b32_e32 v14, 16, v54
	v_lshrrev_b32_e32 v8, 16, v8
	;; [unrolled: 1-line block ×3, first 2 shown]
	v_min3_f16 v8, v14, v8, v15
	v_min3_f16 v8, v13, v9, v8
	v_cvt_f32_f16_e32 v8, v8
	v_max_f32_e32 v9, v12, v12
	v_min_f32_e32 v8, v9, v8
	v_cvt_f16_f32_e32 v12, v8
	v_lshl_add_u64 v[8:9], v[40:41], 1, v[4:5]
	flat_store_short v[8:9], v12
	s_or_b64 exec, exec, s[2:3]
	s_and_b64 s[4:5], s[12:13], s[18:19]
	s_and_saveexec_b64 s[2:3], s[4:5]
	s_cbranch_execz .LBB223_337
.LBB223_360:
	s_and_b64 vcc, exec, s[0:1]
	s_cbranch_vccnz .LBB223_362
; %bb.361:
	v_lshl_add_u64 v[8:9], v[42:43], 1, v[20:21]
	flat_load_ushort v8, v[8:9]
	s_waitcnt vmcnt(0) lgkmcnt(0)
	v_mul_f16_e32 v8, s33, v8
	v_cvt_f32_f16_e32 v8, v8
	s_branch .LBB223_363
.LBB223_362:
	v_mov_b32_e32 v8, 0
.LBB223_363:
	v_pk_add_f16 v9, v10, v6
	v_max_f16_e32 v10, v53, v53
	v_pk_add_f16 v11, v11, v7
	v_min_f16_e32 v10, v10, v9
	v_lshrrev_b32_e32 v12, 16, v53
	v_lshrrev_b32_e32 v9, 16, v9
	;; [unrolled: 1-line block ×3, first 2 shown]
	v_min3_f16 v9, v12, v9, v13
	v_min3_f16 v9, v10, v11, v9
	v_cvt_f32_f16_e32 v9, v9
	v_max_f32_e32 v8, v8, v8
	v_min_f32_e32 v8, v8, v9
	v_cvt_f16_f32_e32 v10, v8
	v_lshl_add_u64 v[8:9], v[42:43], 1, v[4:5]
	flat_store_short v[8:9], v10
	s_or_b64 exec, exec, s[2:3]
	s_and_b64 s[4:5], s[14:15], s[18:19]
	s_and_saveexec_b64 s[2:3], s[4:5]
	s_cbranch_execz .LBB223_338
.LBB223_364:
	s_and_b64 vcc, exec, s[0:1]
	s_cbranch_vccnz .LBB223_366
; %bb.365:
	v_lshl_add_u64 v[8:9], v[44:45], 1, v[20:21]
	flat_load_ushort v8, v[8:9]
	s_waitcnt vmcnt(0) lgkmcnt(0)
	v_mul_f16_e32 v8, s33, v8
	v_cvt_f32_f16_e32 v8, v8
	s_branch .LBB223_367
.LBB223_366:
	v_mov_b32_e32 v8, 0
.LBB223_367:
	v_pk_add_f16 v0, v0, v6
	v_max_f16_e32 v9, v52, v52
	v_pk_add_f16 v1, v1, v7
	v_min_f16_e32 v9, v9, v0
	v_lshrrev_b32_e32 v10, 16, v52
	v_lshrrev_b32_e32 v0, 16, v0
	;; [unrolled: 1-line block ×3, first 2 shown]
	v_min3_f16 v0, v10, v0, v11
	v_min3_f16 v0, v9, v1, v0
	v_cvt_f32_f16_e32 v0, v0
	v_max_f32_e32 v1, v8, v8
	v_min_f32_e32 v0, v1, v0
	v_cvt_f16_f32_e32 v8, v0
	v_lshl_add_u64 v[0:1], v[44:45], 1, v[4:5]
	flat_store_short v[0:1], v8
	s_or_b64 exec, exec, s[2:3]
	s_and_b64 s[2:3], s[16:17], s[18:19]
	s_and_saveexec_b64 s[4:5], s[2:3]
	s_cbranch_execz .LBB223_339
.LBB223_368:
	s_and_b64 vcc, exec, s[0:1]
	s_cbranch_vccnz .LBB223_370
; %bb.369:
	v_lshl_add_u64 v[0:1], v[46:47], 1, v[20:21]
	flat_load_ushort v0, v[0:1]
	s_waitcnt vmcnt(0) lgkmcnt(0)
	v_mul_f16_e32 v0, s33, v0
	v_cvt_f32_f16_e32 v0, v0
	s_branch .LBB223_371
.LBB223_370:
	v_mov_b32_e32 v0, 0
.LBB223_371:
	v_pk_add_f16 v1, v2, v6
	v_max_f16_e32 v2, v55, v55
	v_pk_add_f16 v3, v3, v7
	v_min_f16_e32 v2, v2, v1
	v_lshrrev_b32_e32 v6, 16, v55
	v_lshrrev_b32_e32 v1, 16, v1
	;; [unrolled: 1-line block ×3, first 2 shown]
	v_min3_f16 v1, v6, v1, v7
	v_min3_f16 v1, v2, v3, v1
	v_cvt_f32_f16_e32 v1, v1
	v_max_f32_e32 v0, v0, v0
	v_min_f32_e32 v0, v0, v1
	v_cvt_f16_f32_e32 v2, v0
	v_lshl_add_u64 v[0:1], v[46:47], 1, v[4:5]
	flat_store_short v[0:1], v2
	s_endpgm
	.section	.rodata,"a",@progbits
	.p2align	6, 0x0
	.amdhsa_kernel _ZN12_GLOBAL__N_120geam_min_plus_kernelIDF16_Dv2_DF16_S1_Li8ELi32ELi64ELi256ELi4ELi64ELi4ELi64ELi4ELc78ELc84ELb1ELb1ELb1EDF16_KPKDF16_KPDF16_EEviiiT16_PT17_ilS9_ilS7_S9_ilPT18_ili26rocblas_geam_ex_operation_
		.amdhsa_group_segment_fixed_size 5120
		.amdhsa_private_segment_fixed_size 0
		.amdhsa_kernarg_size 128
		.amdhsa_user_sgpr_count 2
		.amdhsa_user_sgpr_dispatch_ptr 0
		.amdhsa_user_sgpr_queue_ptr 0
		.amdhsa_user_sgpr_kernarg_segment_ptr 1
		.amdhsa_user_sgpr_dispatch_id 0
		.amdhsa_user_sgpr_kernarg_preload_length 0
		.amdhsa_user_sgpr_kernarg_preload_offset 0
		.amdhsa_user_sgpr_private_segment_size 0
		.amdhsa_uses_dynamic_stack 0
		.amdhsa_enable_private_segment 0
		.amdhsa_system_sgpr_workgroup_id_x 1
		.amdhsa_system_sgpr_workgroup_id_y 0
		.amdhsa_system_sgpr_workgroup_id_z 1
		.amdhsa_system_sgpr_workgroup_info 0
		.amdhsa_system_vgpr_workitem_id 1
		.amdhsa_next_free_vgpr 151
		.amdhsa_next_free_sgpr 38
		.amdhsa_accum_offset 152
		.amdhsa_reserve_vcc 1
		.amdhsa_float_round_mode_32 0
		.amdhsa_float_round_mode_16_64 0
		.amdhsa_float_denorm_mode_32 3
		.amdhsa_float_denorm_mode_16_64 3
		.amdhsa_dx10_clamp 1
		.amdhsa_ieee_mode 1
		.amdhsa_fp16_overflow 0
		.amdhsa_tg_split 0
		.amdhsa_exception_fp_ieee_invalid_op 0
		.amdhsa_exception_fp_denorm_src 0
		.amdhsa_exception_fp_ieee_div_zero 0
		.amdhsa_exception_fp_ieee_overflow 0
		.amdhsa_exception_fp_ieee_underflow 0
		.amdhsa_exception_fp_ieee_inexact 0
		.amdhsa_exception_int_div_zero 0
	.end_amdhsa_kernel
	.section	.text._ZN12_GLOBAL__N_120geam_min_plus_kernelIDF16_Dv2_DF16_S1_Li8ELi32ELi64ELi256ELi4ELi64ELi4ELi64ELi4ELc78ELc84ELb1ELb1ELb1EDF16_KPKDF16_KPDF16_EEviiiT16_PT17_ilS9_ilS7_S9_ilPT18_ili26rocblas_geam_ex_operation_,"axG",@progbits,_ZN12_GLOBAL__N_120geam_min_plus_kernelIDF16_Dv2_DF16_S1_Li8ELi32ELi64ELi256ELi4ELi64ELi4ELi64ELi4ELc78ELc84ELb1ELb1ELb1EDF16_KPKDF16_KPDF16_EEviiiT16_PT17_ilS9_ilS7_S9_ilPT18_ili26rocblas_geam_ex_operation_,comdat
.Lfunc_end223:
	.size	_ZN12_GLOBAL__N_120geam_min_plus_kernelIDF16_Dv2_DF16_S1_Li8ELi32ELi64ELi256ELi4ELi64ELi4ELi64ELi4ELc78ELc84ELb1ELb1ELb1EDF16_KPKDF16_KPDF16_EEviiiT16_PT17_ilS9_ilS7_S9_ilPT18_ili26rocblas_geam_ex_operation_, .Lfunc_end223-_ZN12_GLOBAL__N_120geam_min_plus_kernelIDF16_Dv2_DF16_S1_Li8ELi32ELi64ELi256ELi4ELi64ELi4ELi64ELi4ELc78ELc84ELb1ELb1ELb1EDF16_KPKDF16_KPDF16_EEviiiT16_PT17_ilS9_ilS7_S9_ilPT18_ili26rocblas_geam_ex_operation_
                                        ; -- End function
	.set _ZN12_GLOBAL__N_120geam_min_plus_kernelIDF16_Dv2_DF16_S1_Li8ELi32ELi64ELi256ELi4ELi64ELi4ELi64ELi4ELc78ELc84ELb1ELb1ELb1EDF16_KPKDF16_KPDF16_EEviiiT16_PT17_ilS9_ilS7_S9_ilPT18_ili26rocblas_geam_ex_operation_.num_vgpr, 151
	.set _ZN12_GLOBAL__N_120geam_min_plus_kernelIDF16_Dv2_DF16_S1_Li8ELi32ELi64ELi256ELi4ELi64ELi4ELi64ELi4ELc78ELc84ELb1ELb1ELb1EDF16_KPKDF16_KPDF16_EEviiiT16_PT17_ilS9_ilS7_S9_ilPT18_ili26rocblas_geam_ex_operation_.num_agpr, 0
	.set _ZN12_GLOBAL__N_120geam_min_plus_kernelIDF16_Dv2_DF16_S1_Li8ELi32ELi64ELi256ELi4ELi64ELi4ELi64ELi4ELc78ELc84ELb1ELb1ELb1EDF16_KPKDF16_KPDF16_EEviiiT16_PT17_ilS9_ilS7_S9_ilPT18_ili26rocblas_geam_ex_operation_.numbered_sgpr, 38
	.set _ZN12_GLOBAL__N_120geam_min_plus_kernelIDF16_Dv2_DF16_S1_Li8ELi32ELi64ELi256ELi4ELi64ELi4ELi64ELi4ELc78ELc84ELb1ELb1ELb1EDF16_KPKDF16_KPDF16_EEviiiT16_PT17_ilS9_ilS7_S9_ilPT18_ili26rocblas_geam_ex_operation_.num_named_barrier, 0
	.set _ZN12_GLOBAL__N_120geam_min_plus_kernelIDF16_Dv2_DF16_S1_Li8ELi32ELi64ELi256ELi4ELi64ELi4ELi64ELi4ELc78ELc84ELb1ELb1ELb1EDF16_KPKDF16_KPDF16_EEviiiT16_PT17_ilS9_ilS7_S9_ilPT18_ili26rocblas_geam_ex_operation_.private_seg_size, 0
	.set _ZN12_GLOBAL__N_120geam_min_plus_kernelIDF16_Dv2_DF16_S1_Li8ELi32ELi64ELi256ELi4ELi64ELi4ELi64ELi4ELc78ELc84ELb1ELb1ELb1EDF16_KPKDF16_KPDF16_EEviiiT16_PT17_ilS9_ilS7_S9_ilPT18_ili26rocblas_geam_ex_operation_.uses_vcc, 1
	.set _ZN12_GLOBAL__N_120geam_min_plus_kernelIDF16_Dv2_DF16_S1_Li8ELi32ELi64ELi256ELi4ELi64ELi4ELi64ELi4ELc78ELc84ELb1ELb1ELb1EDF16_KPKDF16_KPDF16_EEviiiT16_PT17_ilS9_ilS7_S9_ilPT18_ili26rocblas_geam_ex_operation_.uses_flat_scratch, 0
	.set _ZN12_GLOBAL__N_120geam_min_plus_kernelIDF16_Dv2_DF16_S1_Li8ELi32ELi64ELi256ELi4ELi64ELi4ELi64ELi4ELc78ELc84ELb1ELb1ELb1EDF16_KPKDF16_KPDF16_EEviiiT16_PT17_ilS9_ilS7_S9_ilPT18_ili26rocblas_geam_ex_operation_.has_dyn_sized_stack, 0
	.set _ZN12_GLOBAL__N_120geam_min_plus_kernelIDF16_Dv2_DF16_S1_Li8ELi32ELi64ELi256ELi4ELi64ELi4ELi64ELi4ELc78ELc84ELb1ELb1ELb1EDF16_KPKDF16_KPDF16_EEviiiT16_PT17_ilS9_ilS7_S9_ilPT18_ili26rocblas_geam_ex_operation_.has_recursion, 0
	.set _ZN12_GLOBAL__N_120geam_min_plus_kernelIDF16_Dv2_DF16_S1_Li8ELi32ELi64ELi256ELi4ELi64ELi4ELi64ELi4ELc78ELc84ELb1ELb1ELb1EDF16_KPKDF16_KPDF16_EEviiiT16_PT17_ilS9_ilS7_S9_ilPT18_ili26rocblas_geam_ex_operation_.has_indirect_call, 0
	.section	.AMDGPU.csdata,"",@progbits
; Kernel info:
; codeLenInByte = 20220
; TotalNumSgprs: 44
; NumVgprs: 151
; NumAgprs: 0
; TotalNumVgprs: 151
; ScratchSize: 0
; MemoryBound: 0
; FloatMode: 240
; IeeeMode: 1
; LDSByteSize: 5120 bytes/workgroup (compile time only)
; SGPRBlocks: 5
; VGPRBlocks: 18
; NumSGPRsForWavesPerEU: 44
; NumVGPRsForWavesPerEU: 151
; AccumOffset: 152
; Occupancy: 3
; WaveLimiterHint : 1
; COMPUTE_PGM_RSRC2:SCRATCH_EN: 0
; COMPUTE_PGM_RSRC2:USER_SGPR: 2
; COMPUTE_PGM_RSRC2:TRAP_HANDLER: 0
; COMPUTE_PGM_RSRC2:TGID_X_EN: 1
; COMPUTE_PGM_RSRC2:TGID_Y_EN: 0
; COMPUTE_PGM_RSRC2:TGID_Z_EN: 1
; COMPUTE_PGM_RSRC2:TIDIG_COMP_CNT: 1
; COMPUTE_PGM_RSRC3_GFX90A:ACCUM_OFFSET: 37
; COMPUTE_PGM_RSRC3_GFX90A:TG_SPLIT: 0
	.section	.text._ZN12_GLOBAL__N_120geam_min_plus_kernelIDF16_Dv2_DF16_S1_Li8ELi32ELi64ELi256ELi4ELi64ELi4ELi64ELi4ELc78ELc84ELb0ELb1ELb1EDF16_KPKDF16_KPDF16_EEviiiT16_PT17_ilS9_ilS7_S9_ilPT18_ili26rocblas_geam_ex_operation_,"axG",@progbits,_ZN12_GLOBAL__N_120geam_min_plus_kernelIDF16_Dv2_DF16_S1_Li8ELi32ELi64ELi256ELi4ELi64ELi4ELi64ELi4ELc78ELc84ELb0ELb1ELb1EDF16_KPKDF16_KPDF16_EEviiiT16_PT17_ilS9_ilS7_S9_ilPT18_ili26rocblas_geam_ex_operation_,comdat
	.globl	_ZN12_GLOBAL__N_120geam_min_plus_kernelIDF16_Dv2_DF16_S1_Li8ELi32ELi64ELi256ELi4ELi64ELi4ELi64ELi4ELc78ELc84ELb0ELb1ELb1EDF16_KPKDF16_KPDF16_EEviiiT16_PT17_ilS9_ilS7_S9_ilPT18_ili26rocblas_geam_ex_operation_ ; -- Begin function _ZN12_GLOBAL__N_120geam_min_plus_kernelIDF16_Dv2_DF16_S1_Li8ELi32ELi64ELi256ELi4ELi64ELi4ELi64ELi4ELc78ELc84ELb0ELb1ELb1EDF16_KPKDF16_KPDF16_EEviiiT16_PT17_ilS9_ilS7_S9_ilPT18_ili26rocblas_geam_ex_operation_
	.p2align	8
	.type	_ZN12_GLOBAL__N_120geam_min_plus_kernelIDF16_Dv2_DF16_S1_Li8ELi32ELi64ELi256ELi4ELi64ELi4ELi64ELi4ELc78ELc84ELb0ELb1ELb1EDF16_KPKDF16_KPDF16_EEviiiT16_PT17_ilS9_ilS7_S9_ilPT18_ili26rocblas_geam_ex_operation_,@function
_ZN12_GLOBAL__N_120geam_min_plus_kernelIDF16_Dv2_DF16_S1_Li8ELi32ELi64ELi256ELi4ELi64ELi4ELi64ELi4ELc78ELc84ELb0ELb1ELb1EDF16_KPKDF16_KPDF16_EEviiiT16_PT17_ilS9_ilS7_S9_ilPT18_ili26rocblas_geam_ex_operation_: ; @_ZN12_GLOBAL__N_120geam_min_plus_kernelIDF16_Dv2_DF16_S1_Li8ELi32ELi64ELi256ELi4ELi64ELi4ELi64ELi4ELc78ELc84ELb0ELb1ELb1EDF16_KPKDF16_KPDF16_EEviiiT16_PT17_ilS9_ilS7_S9_ilPT18_ili26rocblas_geam_ex_operation_
; %bb.0:
	s_load_dwordx4 s[20:23], s[0:1], 0x0
	s_load_dwordx4 s[4:7], s[0:1], 0x20
	s_mov_b32 s8, s3
	s_mov_b32 s9, 0
	s_waitcnt lgkmcnt(0)
	v_cmp_eq_f16_e64 s[10:11], s23, 0
	s_and_b64 vcc, exec, s[10:11]
	s_cbranch_vccnz .LBB224_3
; %bb.1:
	s_load_dwordx2 s[12:13], s[0:1], 0x10
	s_lshl_b64 s[14:15], s[8:9], 3
	s_waitcnt lgkmcnt(0)
	s_add_u32 s12, s12, s14
	s_addc_u32 s13, s13, s15
	s_load_dwordx2 s[12:13], s[12:13], 0x0
	s_lshl_b64 s[4:5], s[4:5], 1
	s_waitcnt lgkmcnt(0)
	s_add_u32 s28, s12, s4
	s_addc_u32 s29, s13, s5
	s_andn2_b64 vcc, exec, s[10:11]
	s_cbranch_vccnz .LBB224_4
.LBB224_2:
	s_mov_b32 s11, 0
	s_mov_b32 s10, s8
	s_mov_b64 s[24:25], 0
	s_mov_b64 s[16:17], 0
	s_cbranch_execz .LBB224_5
	s_branch .LBB224_6
.LBB224_3:
	s_mov_b64 s[28:29], 0
	s_andn2_b64 vcc, exec, s[10:11]
	s_cbranch_vccz .LBB224_2
.LBB224_4:
	s_mov_b64 s[10:11], s[8:9]
	s_mov_b64 s[24:25], 0
	;; [unrolled: 1-line block ×3, first 2 shown]
.LBB224_5:
	s_lshl_b64 s[8:9], s[8:9], 3
	s_add_u32 s6, s6, s8
	s_load_dwordx2 s[4:5], s[0:1], 0x38
	s_addc_u32 s7, s7, s9
	s_load_dwordx2 s[6:7], s[6:7], 0x0
	s_waitcnt lgkmcnt(0)
	s_lshl_b64 s[4:5], s[4:5], 1
	s_add_u32 s16, s6, s4
	s_addc_u32 s17, s7, s5
.LBB224_6:
	s_load_dword s33, s[0:1], 0x40
	s_load_dwordx4 s[4:7], s[0:1], 0x58
	s_waitcnt lgkmcnt(0)
	v_cmp_eq_f16_e64 s[8:9], s33, 0
	v_cmp_neq_f16_e64 s[14:15], s33, 0
	s_and_b64 vcc, exec, s[8:9]
	s_cbranch_vccnz .LBB224_8
; %bb.7:
	s_load_dwordx2 s[8:9], s[0:1], 0x48
	s_lshl_b64 s[12:13], s[10:11], 3
	s_waitcnt lgkmcnt(0)
	s_add_u32 s8, s8, s12
	s_addc_u32 s9, s9, s13
	s_load_dwordx2 s[8:9], s[8:9], 0x0
	s_lshl_b64 s[4:5], s[4:5], 1
	s_waitcnt lgkmcnt(0)
	s_add_u32 s24, s8, s4
	s_addc_u32 s25, s9, s5
.LBB224_8:
	s_load_dword s30, s[0:1], 0x18
	s_lshl_b64 s[4:5], s[10:11], 3
	v_and_b32_e32 v48, 0x3ff, v0
	v_bfe_u32 v49, v0, 10, 10
	v_cmp_eq_f16_e64 s[18:19], s23, 0
	s_waitcnt lgkmcnt(0)
	s_ashr_i32 s31, s30, 31
	s_add_u32 s26, s6, s4
	s_addc_u32 s27, s7, s5
	s_add_i32 s3, s20, -1
	s_ashr_i32 s4, s3, 31
	s_lshr_b32 s4, s4, 26
	s_add_i32 s3, s3, s4
	s_ashr_i32 s3, s3, 6
	s_add_i32 s4, s3, 1
	v_cvt_f32_u32_e32 v1, s4
	s_not_b32 s3, s3
                                        ; implicit-def: $vgpr3
	v_rcp_iflag_f32_e32 v0, v1
	v_lshl_add_u32 v1, v49, 3, v48
	v_and_b32_e32 v2, 63, v1
	v_lshrrev_b32_e32 v50, 6, v1
	v_mul_f32_e32 v0, 0x4f7ffffe, v0
	v_cvt_u32_f32_e32 v0, v0
	v_cmp_le_i32_e64 s[10:11], s22, v50
	v_readfirstlane_b32 s5, v0
	s_mul_i32 s3, s3, s5
	s_mul_hi_u32 s3, s5, s3
	s_add_i32 s5, s5, s3
	s_mul_hi_u32 s3, s2, s5
	s_mul_i32 s5, s3, s4
	s_sub_i32 s5, s2, s5
	s_add_i32 s6, s3, 1
	s_sub_i32 s7, s5, s4
	s_cmp_ge_u32 s5, s4
	s_cselect_b32 s3, s6, s3
	s_cselect_b32 s5, s7, s5
	s_add_i32 s6, s3, 1
	s_cmp_ge_u32 s5, s4
	s_cselect_b32 s6, s6, s3
	s_mul_i32 s3, s6, s4
	s_sub_i32 s2, s2, s3
	s_lshl_b32 s36, s2, 6
	v_or_b32_e32 v28, s36, v2
	v_cmp_le_i32_e32 vcc, s20, v28
	s_or_b64 s[2:3], vcc, s[10:11]
	s_nor_b64 s[4:5], s[18:19], s[2:3]
	v_ashrrev_i32_e32 v29, 31, v28
                                        ; implicit-def: $sgpr7
	s_and_saveexec_b64 s[8:9], s[4:5]
	s_xor_b64 s[4:5], exec, s[8:9]
	s_cbranch_execz .LBB224_10
; %bb.9:
	s_add_i32 s7, s22, -1
	v_min_u32_e32 v0, s7, v50
	v_mad_i64_i32 v[0:1], s[8:9], s30, v0, 0
	v_lshl_add_u64 v[0:1], v[0:1], 1, s[28:29]
	v_lshl_add_u64 v[0:1], v[28:29], 1, v[0:1]
	flat_load_ushort v0, v[0:1]
	s_waitcnt vmcnt(0) lgkmcnt(0)
	v_mul_f16_e32 v3, s23, v0
.LBB224_10:
	s_or_saveexec_b64 s[4:5], s[4:5]
	v_mov_b32_e32 v0, s7
	s_xor_b64 exec, exec, s[4:5]
; %bb.11:
	v_mov_b32_e32 v0, 0x7c00
	v_cndmask_b32_e64 v3, 0, v0, s[2:3]
	s_add_i32 s2, s22, -1
	v_mov_b32_e32 v0, s2
; %bb.12:
	s_or_b64 exec, exec, s[4:5]
	s_load_dword s38, s[0:1], 0x30
	s_lshl_b32 s37, s6, 8
	v_min_i32_e32 v0, v50, v0
	v_or_b32_e32 v32, s37, v2
	v_mov_b32_e32 v5, 0x7c00
	s_waitcnt lgkmcnt(0)
	v_mad_i64_i32 v[0:1], s[2:3], v0, s38, 0
	v_cmp_le_i32_e64 s[2:3], s21, v32
	s_or_b64 s[4:5], s[2:3], s[10:11]
	v_lshl_add_u64 v[0:1], v[0:1], 1, s[16:17]
	v_cndmask_b32_e64 v4, 0, v5, s[4:5]
	s_nor_b64 s[6:7], s[18:19], s[4:5]
	v_ashrrev_i32_e32 v33, 31, v32
	s_and_saveexec_b64 s[4:5], s[6:7]
	s_cbranch_execz .LBB224_14
; %bb.13:
	v_lshl_add_u64 v[6:7], v[32:33], 1, v[0:1]
	flat_load_ushort v4, v[6:7]
	s_waitcnt vmcnt(0) lgkmcnt(0)
	v_mul_f16_e32 v4, s23, v4
.LBB224_14:
	s_or_b64 exec, exec, s[4:5]
	v_or_b32_e32 v6, 64, v32
	s_add_i32 s12, s21, -1
	v_cmp_le_i32_e64 s[4:5], s21, v6
	v_min_i32_e32 v34, s12, v6
	s_or_b64 s[6:7], s[4:5], s[10:11]
	v_cndmask_b32_e64 v5, 0, v5, s[6:7]
	s_nor_b64 s[8:9], s[6:7], s[18:19]
	v_ashrrev_i32_e32 v35, 31, v34
	s_and_saveexec_b64 s[6:7], s[8:9]
	s_cbranch_execz .LBB224_16
; %bb.15:
	v_lshl_add_u64 v[6:7], v[34:35], 1, v[0:1]
	flat_load_ushort v5, v[6:7]
	s_waitcnt vmcnt(0) lgkmcnt(0)
	v_mul_f16_e32 v5, s23, v5
.LBB224_16:
	s_or_b64 exec, exec, s[6:7]
	v_or_b32_e32 v6, 0x80, v32
	v_cmp_le_i32_e64 s[6:7], s21, v6
	v_min_i32_e32 v36, s12, v6
	v_mov_b32_e32 v7, 0x7c00
	s_or_b64 s[8:9], s[6:7], s[10:11]
	v_cndmask_b32_e64 v6, 0, v7, s[8:9]
	s_nor_b64 s[34:35], s[8:9], s[18:19]
	v_ashrrev_i32_e32 v37, 31, v36
	s_and_saveexec_b64 s[8:9], s[34:35]
	s_cbranch_execz .LBB224_18
; %bb.17:
	v_lshl_add_u64 v[8:9], v[36:37], 1, v[0:1]
	flat_load_ushort v6, v[8:9]
	s_waitcnt vmcnt(0) lgkmcnt(0)
	v_mul_f16_e32 v6, s23, v6
.LBB224_18:
	s_or_b64 exec, exec, s[8:9]
	v_or_b32_e32 v8, 0xc0, v32
	v_cmp_le_i32_e64 s[8:9], s21, v8
	v_min_i32_e32 v38, s12, v8
	s_or_b64 s[10:11], s[8:9], s[10:11]
	v_cndmask_b32_e64 v7, 0, v7, s[10:11]
	s_nor_b64 s[12:13], s[10:11], s[18:19]
	v_ashrrev_i32_e32 v39, 31, v38
	s_and_saveexec_b64 s[10:11], s[12:13]
	s_cbranch_execz .LBB224_20
; %bb.19:
	v_lshl_add_u64 v[0:1], v[38:39], 1, v[0:1]
	flat_load_ushort v0, v[0:1]
	s_waitcnt vmcnt(0) lgkmcnt(0)
	v_mul_f16_e32 v7, s23, v0
.LBB224_20:
	s_or_b64 exec, exec, s[10:11]
	v_add_u32_e32 v0, 4, v50
	v_cmp_le_i32_e64 s[10:11], s22, v0
	s_or_b64 s[12:13], vcc, s[10:11]
	s_nor_b64 s[34:35], s[18:19], s[12:13]
                                        ; implicit-def: $vgpr30
                                        ; implicit-def: $sgpr39
	s_and_saveexec_b64 s[40:41], s[34:35]
	s_xor_b64 s[34:35], exec, s[40:41]
	s_cbranch_execz .LBB224_22
; %bb.21:
	s_add_i32 s39, s22, -1
	v_min_u32_e32 v1, s39, v0
	v_mad_u64_u32 v[8:9], s[40:41], s30, v1, 0
	v_mov_b32_e32 v10, v9
	v_mad_u64_u32 v[10:11], s[40:41], s31, v1, v[10:11]
	v_mov_b32_e32 v9, v10
	v_lshl_add_u64 v[8:9], v[8:9], 1, s[28:29]
	v_lshl_add_u64 v[8:9], v[28:29], 1, v[8:9]
	flat_load_ushort v1, v[8:9]
	s_waitcnt vmcnt(0) lgkmcnt(0)
	v_mul_f16_e32 v30, s23, v1
.LBB224_22:
	s_or_saveexec_b64 s[34:35], s[34:35]
	v_mov_b32_e32 v1, s39
	s_xor_b64 exec, exec, s[34:35]
; %bb.23:
	v_mov_b32_e32 v1, 0x7c00
	v_cndmask_b32_e64 v30, 0, v1, s[12:13]
	s_add_i32 s12, s22, -1
	v_mov_b32_e32 v1, s12
; %bb.24:
	s_or_b64 exec, exec, s[34:35]
	v_min_i32_e32 v0, v0, v1
	v_mad_i64_i32 v[0:1], s[12:13], v0, s38, 0
	v_mov_b32_e32 v8, 0x7c00
	s_or_b64 s[12:13], s[2:3], s[10:11]
	v_lshl_add_u64 v[0:1], v[0:1], 1, s[16:17]
	v_cndmask_b32_e64 v31, 0, v8, s[12:13]
	s_nor_b64 s[34:35], s[18:19], s[12:13]
	s_and_saveexec_b64 s[12:13], s[34:35]
	s_cbranch_execz .LBB224_26
; %bb.25:
	v_lshl_add_u64 v[10:11], v[32:33], 1, v[0:1]
	flat_load_ushort v9, v[10:11]
	s_waitcnt vmcnt(0) lgkmcnt(0)
	v_mul_f16_e32 v31, s23, v9
.LBB224_26:
	s_or_b64 exec, exec, s[12:13]
	s_or_b64 s[12:13], s[4:5], s[10:11]
	v_cndmask_b32_e64 v40, 0, v8, s[12:13]
	s_nor_b64 s[34:35], s[12:13], s[18:19]
	s_and_saveexec_b64 s[12:13], s[34:35]
	s_cbranch_execz .LBB224_28
; %bb.27:
	v_lshl_add_u64 v[8:9], v[34:35], 1, v[0:1]
	flat_load_ushort v8, v[8:9]
	s_waitcnt vmcnt(0) lgkmcnt(0)
	v_mul_f16_e32 v40, s23, v8
.LBB224_28:
	s_or_b64 exec, exec, s[12:13]
	v_mov_b32_e32 v8, 0x7c00
	s_or_b64 s[12:13], s[6:7], s[10:11]
	v_cndmask_b32_e64 v41, 0, v8, s[12:13]
	s_nor_b64 s[34:35], s[12:13], s[18:19]
	s_and_saveexec_b64 s[12:13], s[34:35]
	s_cbranch_execz .LBB224_30
; %bb.29:
	v_lshl_add_u64 v[10:11], v[36:37], 1, v[0:1]
	flat_load_ushort v9, v[10:11]
	s_waitcnt vmcnt(0) lgkmcnt(0)
	v_mul_f16_e32 v41, s23, v9
.LBB224_30:
	s_or_b64 exec, exec, s[12:13]
	s_or_b64 s[10:11], s[8:9], s[10:11]
	v_cndmask_b32_e64 v42, 0, v8, s[10:11]
	s_nor_b64 s[34:35], s[10:11], s[18:19]
	s_movk_i32 s12, 0x7c00
	s_and_saveexec_b64 s[10:11], s[34:35]
	s_cbranch_execz .LBB224_32
; %bb.31:
	v_lshl_add_u64 v[0:1], v[38:39], 1, v[0:1]
	flat_load_ushort v0, v[0:1]
	s_waitcnt vmcnt(0) lgkmcnt(0)
	v_mul_f16_e32 v42, s23, v0
.LBB224_32:
	s_or_b64 exec, exec, s[10:11]
	v_lshlrev_b32_e32 v0, 3, v2
	v_lshlrev_b32_e32 v92, 3, v48
	v_lshl_add_u32 v109, v50, 1, v0
	v_add_u32_e32 v110, 0x1000, v92
	s_load_dwordx2 s[26:27], s[26:27], 0x0
	ds_write_b16 v109, v3 offset:4096
	ds_write_b16 v109, v4
	ds_write_b16 v109, v5 offset:512
	ds_write_b16 v109, v6 offset:1024
	;; [unrolled: 1-line block ×3, first 2 shown]
	s_waitcnt lgkmcnt(0)
	s_barrier
	v_lshlrev_b32_e32 v51, 3, v49
	ds_read2_b64 v[16:19], v110 offset1:8
	ds_read2_b64 v[12:15], v110 offset0:16 offset1:24
	ds_read2_b64 v[4:7], v110 offset0:32 offset1:40
	ds_read2_b64 v[44:47], v51 offset1:32
	ds_read2_b64 v[0:3], v110 offset0:48 offset1:56
	ds_read2_b64 v[24:27], v51 offset0:64 offset1:96
	;; [unrolled: 1-line block ×4, first 2 shown]
	s_waitcnt lgkmcnt(4)
	v_pk_add_f16 v43, v16, v44
	v_pk_add_f16 v52, v18, v44
	;; [unrolled: 1-line block ×6, first 2 shown]
	s_waitcnt lgkmcnt(3)
	v_pk_add_f16 v57, v0, v44
	v_pk_add_f16 v44, v2, v44
	v_pk_add_f16 v58, v16, v46
	v_pk_add_f16 v59, v18, v46
	v_pk_add_f16 v60, v12, v46
	v_pk_add_f16 v61, v14, v46
	v_pk_add_f16 v62, v4, v46
	v_pk_add_f16 v63, v6, v46
	v_pk_add_f16 v64, v0, v46
	v_pk_add_f16 v46, v2, v46
	s_waitcnt lgkmcnt(2)
	v_pk_add_f16 v65, v16, v24
	v_pk_add_f16 v66, v18, v24
	v_pk_add_f16 v67, v12, v24
	v_pk_add_f16 v68, v14, v24
	v_pk_add_f16 v69, v4, v24
	v_pk_add_f16 v70, v6, v24
	v_pk_add_f16 v71, v0, v24
	v_pk_add_f16 v24, v2, v24
	v_pk_add_f16 v72, v16, v26
	v_pk_add_f16 v73, v18, v26
	v_pk_add_f16 v74, v12, v26
	v_pk_add_f16 v75, v14, v26
	v_pk_add_f16 v76, v4, v26
	v_pk_add_f16 v77, v6, v26
	v_pk_add_f16 v78, v0, v26
	v_pk_add_f16 v26, v2, v26
	s_waitcnt lgkmcnt(1)
	v_pk_add_f16 v79, v16, v20
	v_pk_add_f16 v80, v18, v20
	v_pk_add_f16 v81, v12, v20
	v_pk_add_f16 v119, v14, v20
	v_pk_add_f16 v120, v4, v20
	v_pk_add_f16 v121, v6, v20
	;; [unrolled: 17-line block ×3, first 2 shown]
	v_pk_add_f16 v136, v0, v8
	v_pk_add_f16 v8, v2, v8
	;; [unrolled: 1-line block ×11, first 2 shown]
	v_pk_min_f16 v10, v43, s12 op_sel_hi:[1,0]
	v_pk_min_f16 v8, v8, s12 op_sel_hi:[1,0]
	v_pk_min_f16 v118, v10, v2
	v_pk_add_f16 v2, v19, v45
	v_pk_min_f16 v10, v52, s12 op_sel_hi:[1,0]
	v_pk_min_f16 v4, v4, s12 op_sel_hi:[1,0]
	v_pk_min_f16 v117, v10, v2
	v_pk_add_f16 v2, v13, v45
	;; [unrolled: 4-line block ×3, first 2 shown]
	v_pk_min_f16 v10, v54, s12 op_sel_hi:[1,0]
	s_cmp_lt_i32 s22, 9
	v_pk_min_f16 v115, v10, v2
	v_pk_add_f16 v2, v5, v45
	v_pk_min_f16 v10, v55, s12 op_sel_hi:[1,0]
	ds_write_b16 v109, v30 offset:4608
	ds_write_b16 v109, v31 offset:2048
	;; [unrolled: 1-line block ×5, first 2 shown]
	v_pk_min_f16 v114, v10, v2
	v_pk_add_f16 v2, v7, v45
	v_pk_min_f16 v10, v56, s12 op_sel_hi:[1,0]
	s_waitcnt lgkmcnt(0)
	v_pk_min_f16 v113, v10, v2
	v_pk_add_f16 v2, v1, v45
	v_pk_min_f16 v10, v57, s12 op_sel_hi:[1,0]
	s_barrier
	v_pk_min_f16 v112, v10, v2
	v_pk_add_f16 v2, v3, v45
	v_pk_min_f16 v10, v44, s12 op_sel_hi:[1,0]
	s_nop 0
	v_pk_min_f16 v111, v10, v2
	v_pk_add_f16 v2, v17, v47
	v_pk_min_f16 v10, v58, s12 op_sel_hi:[1,0]
	s_nop 0
	;; [unrolled: 4-line block ×47, first 2 shown]
	v_pk_min_f16 v62, v10, v2
	v_pk_add_f16 v2, v1, v9
	v_pk_min_f16 v10, v136, s12 op_sel_hi:[1,0]
	v_pk_add_f16 v1, v1, v11
	v_pk_min_f16 v61, v10, v2
	v_pk_add_f16 v2, v3, v9
	s_nop 0
	v_pk_min_f16 v60, v8, v2
	v_pk_add_f16 v2, v17, v11
	v_pk_min_f16 v8, v16, s12 op_sel_hi:[1,0]
	s_nop 0
	v_pk_min_f16 v59, v8, v2
	v_pk_add_f16 v2, v19, v11
	v_pk_min_f16 v8, v18, s12 op_sel_hi:[1,0]
	;; [unrolled: 4-line block ×4, first 2 shown]
	s_nop 0
	v_pk_min_f16 v56, v8, v2
	v_pk_add_f16 v2, v5, v11
	s_nop 0
	v_pk_min_f16 v54, v4, v2
	v_pk_add_f16 v2, v7, v11
	v_pk_min_f16 v4, v6, s12 op_sel_hi:[1,0]
	s_nop 0
	v_pk_min_f16 v53, v4, v2
	v_pk_min_f16 v2, v137, s12 op_sel_hi:[1,0]
	s_nop 0
	v_pk_min_f16 v52, v2, v1
	v_pk_add_f16 v1, v3, v11
	s_nop 0
	v_pk_min_f16 v55, v0, v1
	s_cbranch_scc1 .LBB224_59
; %bb.33:
	v_mov_b32_e32 v0, 0x1200
	v_lshl_add_u32 v122, v48, 3, v0
	v_add_u32_e32 v0, v51, v48
	v_lshrrev_b32_e32 v2, 6, v0
	v_add_u32_e32 v0, 12, v2
	v_mad_i64_i32 v[0:1], s[10:11], v0, s30, 0
	v_lshlrev_b64 v[42:43], 1, v[0:1]
	v_add_u32_e32 v0, 8, v2
	v_mad_i64_i32 v[0:1], s[10:11], v0, s30, 0
	v_or_b32_e32 v119, 0x1000, v109
	v_add_u32_e32 v120, 0x1200, v109
	v_or_b32_e32 v121, 0x800, v109
	s_add_i32 s34, s22, -8
	v_lshl_add_u64 v[40:41], v[28:29], 1, s[28:29]
	v_add_u32_e32 v123, 0x800, v51
	s_add_i32 s35, s22, -1
	s_lshl_b64 s[28:29], s[30:31], 4
	v_lshlrev_b64 v[44:45], 1, v[0:1]
	s_mov_b32 s39, 0
	v_mov_b32_e32 v124, 0x7c00
	s_branch .LBB224_35
.LBB224_34:                             ;   in Loop: Header=BB224_35 Depth=1
	s_or_b64 exec, exec, s[10:11]
	v_pk_add_f16 v46, v12, v28
	v_pk_max_f16 v47, v118, v118
	v_pk_max_f16 v117, v117, v117
	v_pk_min_f16 v46, v47, v46
	v_pk_add_f16 v47, v14, v28
	v_pk_max_f16 v116, v116, v116
	v_pk_min_f16 v47, v117, v47
	v_pk_add_f16 v117, v8, v28
	v_pk_max_f16 v115, v115, v115
	v_pk_min_f16 v116, v116, v117
	v_pk_add_f16 v117, v10, v28
	v_pk_max_f16 v114, v114, v114
	v_pk_min_f16 v115, v115, v117
	v_pk_add_f16 v117, v4, v28
	v_pk_max_f16 v113, v113, v113
	v_pk_min_f16 v114, v114, v117
	v_pk_add_f16 v117, v6, v28
	v_pk_max_f16 v111, v111, v111
	v_pk_min_f16 v113, v113, v117
	v_pk_add_f16 v117, v0, v28
	v_pk_add_f16 v28, v2, v28
	v_pk_max_f16 v108, v108, v108
	v_pk_min_f16 v28, v111, v28
	v_pk_add_f16 v111, v12, v30
	v_pk_max_f16 v107, v107, v107
	v_pk_min_f16 v108, v108, v111
	v_pk_add_f16 v111, v14, v30
	v_pk_max_f16 v106, v106, v106
	v_pk_min_f16 v107, v107, v111
	v_pk_add_f16 v111, v8, v30
	v_pk_max_f16 v105, v105, v105
	v_pk_min_f16 v106, v106, v111
	v_pk_add_f16 v111, v10, v30
	v_pk_max_f16 v104, v104, v104
	v_pk_min_f16 v105, v105, v111
	v_pk_add_f16 v111, v4, v30
	v_pk_max_f16 v103, v103, v103
	v_pk_min_f16 v104, v104, v111
	v_pk_add_f16 v111, v6, v30
	v_pk_max_f16 v101, v101, v101
	v_pk_min_f16 v103, v103, v111
	v_pk_add_f16 v111, v0, v30
	v_pk_add_f16 v30, v2, v30
	v_pk_max_f16 v100, v100, v100
	v_pk_min_f16 v30, v101, v30
	v_pk_add_f16 v101, v12, v24
	;; [unrolled: 22-line block ×6, first 2 shown]
	v_pk_max_f16 v66, v66, v66
	v_pk_min_f16 v67, v67, v68
	v_pk_add_f16 v68, v14, v16
	v_pk_max_f16 v65, v65, v65
	v_pk_min_f16 v66, v66, v68
	v_pk_add_f16 v68, v8, v16
	;; [unrolled: 3-line block ×5, first 2 shown]
	v_pk_add_f16 v12, v12, v18
	v_pk_min_f16 v62, v62, v68
	v_pk_add_f16 v68, v0, v16
	v_pk_add_f16 v16, v2, v16
	;; [unrolled: 1-line block ×9, first 2 shown]
	v_pk_max_f16 v18, v55, v55
	v_pk_max_f16 v52, v52, v52
	v_pk_min_f16 v2, v18, v2
	v_pk_add_f16 v18, v13, v29
	v_pk_max_f16 v53, v53, v53
	v_pk_min_f16 v46, v46, v18
	v_pk_add_f16 v18, v15, v29
	v_pk_min_f16 v0, v52, v0
	v_pk_min_f16 v47, v47, v18
	v_pk_add_f16 v18, v9, v29
	v_pk_max_f16 v54, v54, v54
	v_pk_min_f16 v52, v116, v18
	v_pk_add_f16 v18, v11, v29
	v_pk_min_f16 v6, v53, v6
	v_pk_min_f16 v53, v115, v18
	v_pk_add_f16 v18, v5, v29
	v_pk_max_f16 v112, v112, v112
	v_pk_min_f16 v4, v54, v4
	v_pk_min_f16 v54, v114, v18
	v_pk_add_f16 v18, v7, v29
	v_pk_min_f16 v112, v112, v117
	v_pk_max_f16 v56, v56, v56
	v_pk_min_f16 v55, v113, v18
	v_pk_add_f16 v18, v1, v29
	v_pk_max_f16 v57, v57, v57
	v_pk_min_f16 v10, v56, v10
	v_pk_min_f16 v56, v112, v18
	v_pk_add_f16 v18, v3, v29
	v_pk_max_f16 v58, v58, v58
	v_pk_min_f16 v8, v57, v8
	;; [unrolled: 4-line block ×6, first 2 shown]
	v_pk_min_f16 v68, v105, v18
	v_pk_add_f16 v18, v5, v31
	v_pk_max_f16 v102, v102, v102
	v_pk_max_f16 v77, v77, v77
	v_pk_min_f16 v69, v69, v76
	v_pk_min_f16 v76, v104, v18
	v_pk_add_f16 v18, v7, v31
	v_pk_min_f16 v102, v102, v111
	v_pk_max_f16 v85, v85, v85
	v_pk_min_f16 v77, v77, v84
	v_pk_min_f16 v84, v103, v18
	v_pk_add_f16 v18, v1, v31
	v_pk_max_f16 v94, v94, v94
	v_pk_min_f16 v85, v85, v93
	v_pk_min_f16 v93, v102, v18
	v_pk_add_f16 v18, v3, v31
	v_pk_min_f16 v94, v94, v101
	v_pk_min_f16 v101, v30, v18
	v_pk_add_f16 v18, v13, v25
	v_pk_max_f16 v46, v46, v46
	v_pk_min_f16 v100, v100, v18
	v_pk_add_f16 v18, v15, v25
	v_pk_max_f16 v47, v47, v47
	v_pk_min_f16 v99, v99, v18
	v_pk_add_f16 v18, v9, v25
	v_pk_max_f16 v52, v52, v52
	v_pk_min_f16 v98, v98, v18
	v_pk_add_f16 v18, v11, v25
	v_pk_max_f16 v53, v53, v53
	v_pk_min_f16 v97, v97, v18
	v_pk_add_f16 v18, v5, v25
	v_pk_max_f16 v54, v54, v54
	v_pk_min_f16 v96, v96, v18
	v_pk_add_f16 v18, v7, v25
	v_pk_max_f16 v55, v55, v55
	v_pk_min_f16 v95, v95, v18
	v_pk_add_f16 v18, v1, v25
	s_add_i32 s39, s39, 8
	v_pk_min_f16 v94, v94, v18
	v_pk_add_f16 v18, v3, v25
	s_cmp_ge_i32 s39, s34
	v_pk_min_f16 v130, v24, v18
	v_pk_add_f16 v18, v13, v27
	v_lshl_add_u64 v[40:41], v[40:41], 0, s[28:29]
	v_pk_min_f16 v91, v91, v18
	v_pk_add_f16 v18, v15, v27
	s_nop 0
	v_pk_min_f16 v90, v90, v18
	v_pk_add_f16 v18, v9, v27
	s_nop 0
	;; [unrolled: 3-line block ×23, first 2 shown]
	v_pk_min_f16 v133, v22, v18
	v_pk_add_f16 v18, v13, v17
	v_pk_add_f16 v13, v13, v19
	v_pk_min_f16 v67, v67, v18
	v_pk_add_f16 v18, v15, v17
	v_pk_min_f16 v135, v12, v13
	v_pk_min_f16 v66, v66, v18
	v_pk_add_f16 v18, v9, v17
	v_pk_add_f16 v9, v9, v19
	v_pk_min_f16 v65, v65, v18
	v_pk_add_f16 v18, v11, v17
	v_pk_add_f16 v12, v15, v19
	;; [unrolled: 3-line block ×3, first 2 shown]
	v_pk_min_f16 v63, v63, v18
	v_pk_add_f16 v18, v7, v17
	v_pk_min_f16 v137, v8, v9
	v_pk_min_f16 v62, v62, v18
	v_pk_add_f16 v18, v1, v17
	v_pk_add_f16 v1, v1, v19
	;; [unrolled: 1-line block ×4, first 2 shown]
	v_pk_min_f16 v139, v4, v5
	v_pk_add_f16 v4, v7, v19
	v_pk_min_f16 v141, v0, v1
	v_pk_add_f16 v0, v3, v19
	v_pk_min_f16 v61, v61, v18
	v_pk_min_f16 v134, v16, v17
	;; [unrolled: 1-line block ×6, first 2 shown]
	ds_read2_b64 v[16:19], v110 offset1:8
	ds_read2_b64 v[8:11], v110 offset0:16 offset1:24
	ds_read2_b64 v[4:7], v110 offset0:32 offset1:40
	ds_read2_b64 v[24:27], v51 offset1:32
	ds_read2_b64 v[0:3], v110 offset0:48 offset1:56
	ds_read2_b64 v[28:31], v51 offset0:64 offset1:96
	;; [unrolled: 1-line block ×4, first 2 shown]
	s_waitcnt lgkmcnt(4)
	v_pk_add_f16 v102, v16, v24
	v_pk_add_f16 v103, v18, v24
	v_pk_min_f16 v46, v46, v102
	v_pk_add_f16 v102, v17, v25
	v_pk_add_f16 v104, v8, v24
	v_pk_min_f16 v118, v46, v102
	v_pk_min_f16 v47, v47, v103
	v_pk_add_f16 v102, v19, v25
	v_pk_add_f16 v105, v10, v24
	v_pk_min_f16 v117, v47, v102
	;; [unrolled: 4-line block ×4, first 2 shown]
	v_pk_min_f16 v54, v54, v106
	v_pk_add_f16 v102, v5, v25
	v_pk_min_f16 v55, v55, v107
	v_pk_min_f16 v114, v54, v102
	v_pk_add_f16 v102, v7, v25
	s_waitcnt lgkmcnt(3)
	v_pk_add_f16 v108, v0, v24
	v_pk_min_f16 v113, v55, v102
	v_pk_max_f16 v55, v56, v56
	v_pk_add_f16 v56, v1, v25
	v_pk_min_f16 v55, v55, v108
	v_pk_add_f16 v24, v2, v24
	v_pk_min_f16 v112, v55, v56
	v_pk_max_f16 v55, v57, v57
	v_pk_add_f16 v25, v3, v25
	v_pk_min_f16 v24, v55, v24
	;; [unrolled: 5-line block ×7, first 2 shown]
	v_pk_add_f16 v148, v6, v26
	v_pk_min_f16 v104, v24, v25
	v_pk_max_f16 v24, v84, v84
	v_pk_add_f16 v149, v0, v26
	v_pk_add_f16 v26, v2, v26
	s_waitcnt lgkmcnt(2)
	v_pk_add_f16 v150, v16, v28
	v_pk_add_f16 v151, v18, v28
	v_pk_add_f16 v152, v8, v28
	v_pk_add_f16 v153, v10, v28
	v_pk_add_f16 v154, v4, v28
	v_pk_add_f16 v155, v6, v28
	v_pk_add_f16 v156, v0, v28
	v_pk_add_f16 v28, v2, v28
	v_pk_add_f16 v157, v16, v30
	v_pk_add_f16 v158, v18, v30
	v_pk_add_f16 v159, v8, v30
	v_pk_add_f16 v160, v10, v30
	v_pk_add_f16 v161, v4, v30
	v_pk_add_f16 v162, v6, v30
	v_pk_add_f16 v163, v0, v30
	v_pk_add_f16 v30, v2, v30
	s_waitcnt lgkmcnt(1)
	v_pk_add_f16 v164, v16, v20
	v_pk_add_f16 v165, v18, v20
	v_pk_add_f16 v166, v8, v20
	v_pk_add_f16 v167, v10, v20
	v_pk_add_f16 v168, v4, v20
	v_pk_add_f16 v169, v6, v20
	v_pk_add_f16 v170, v0, v20
	v_pk_add_f16 v20, v2, v20
	v_pk_add_f16 v171, v16, v22
	v_pk_add_f16 v172, v18, v22
	v_pk_add_f16 v173, v8, v22
	v_pk_add_f16 v174, v10, v22
	v_pk_add_f16 v175, v4, v22
	v_pk_add_f16 v176, v6, v22
	;; [unrolled: 17-line block ×3, first 2 shown]
	v_pk_add_f16 v0, v0, v14
	v_pk_min_f16 v24, v24, v148
	v_pk_add_f16 v25, v7, v27
	v_pk_add_f16 v2, v2, v14
	v_pk_max_f16 v14, v93, v93
	v_pk_min_f16 v103, v24, v25
	v_pk_min_f16 v14, v14, v149
	v_pk_add_f16 v24, v1, v27
	ds_write_b16 v120, v125
	ds_write_b16 v121, v126
	ds_write_b16 v121, v127 offset:512
	ds_write_b16 v121, v128 offset:1024
	;; [unrolled: 1-line block ×3, first 2 shown]
	v_pk_min_f16 v102, v14, v24
	v_pk_max_f16 v24, v101, v101
	v_pk_add_f16 v14, v3, v27
	v_pk_min_f16 v24, v24, v26
	s_waitcnt lgkmcnt(0)
	v_pk_min_f16 v101, v24, v14
	v_pk_max_f16 v24, v100, v100
	v_pk_add_f16 v14, v17, v29
	v_pk_min_f16 v24, v24, v150
	s_barrier
	v_pk_min_f16 v100, v24, v14
	v_pk_max_f16 v24, v99, v99
	v_pk_add_f16 v14, v19, v29
	v_pk_min_f16 v24, v24, v151
	s_nop 0
	v_pk_min_f16 v99, v24, v14
	v_pk_max_f16 v24, v98, v98
	v_pk_add_f16 v14, v9, v29
	v_pk_min_f16 v24, v24, v152
	s_nop 0
	v_pk_min_f16 v98, v24, v14
	v_pk_max_f16 v24, v97, v97
	v_pk_add_f16 v14, v11, v29
	v_pk_min_f16 v24, v24, v153
	s_nop 0
	v_pk_min_f16 v97, v24, v14
	v_pk_max_f16 v24, v96, v96
	v_pk_add_f16 v14, v5, v29
	v_pk_min_f16 v24, v24, v154
	s_nop 0
	v_pk_min_f16 v96, v24, v14
	v_pk_max_f16 v24, v95, v95
	v_pk_add_f16 v14, v7, v29
	v_pk_min_f16 v24, v24, v155
	s_nop 0
	v_pk_min_f16 v95, v24, v14
	v_pk_max_f16 v24, v94, v94
	v_pk_add_f16 v14, v1, v29
	v_pk_min_f16 v24, v24, v156
	s_nop 0
	v_pk_min_f16 v94, v24, v14
	v_pk_max_f16 v24, v130, v130
	v_pk_add_f16 v14, v3, v29
	v_pk_min_f16 v24, v24, v28
	s_nop 0
	v_pk_min_f16 v93, v24, v14
	v_pk_max_f16 v24, v91, v91
	v_pk_add_f16 v14, v17, v31
	v_pk_min_f16 v24, v24, v157
	s_nop 0
	v_pk_min_f16 v91, v24, v14
	v_pk_max_f16 v24, v90, v90
	v_pk_add_f16 v14, v19, v31
	v_pk_min_f16 v24, v24, v158
	s_nop 0
	v_pk_min_f16 v90, v24, v14
	v_pk_max_f16 v24, v89, v89
	v_pk_add_f16 v14, v9, v31
	v_pk_min_f16 v24, v24, v159
	s_nop 0
	v_pk_min_f16 v89, v24, v14
	v_pk_max_f16 v24, v88, v88
	v_pk_add_f16 v14, v11, v31
	v_pk_min_f16 v24, v24, v160
	s_nop 0
	v_pk_min_f16 v88, v24, v14
	v_pk_max_f16 v24, v87, v87
	v_pk_add_f16 v14, v5, v31
	v_pk_min_f16 v24, v24, v161
	s_nop 0
	v_pk_min_f16 v87, v24, v14
	v_pk_max_f16 v24, v86, v86
	v_pk_add_f16 v14, v7, v31
	v_pk_min_f16 v24, v24, v162
	s_nop 0
	v_pk_min_f16 v86, v24, v14
	v_pk_max_f16 v24, v85, v85
	v_pk_add_f16 v14, v1, v31
	v_pk_min_f16 v24, v24, v163
	s_nop 0
	v_pk_min_f16 v85, v24, v14
	v_pk_max_f16 v24, v131, v131
	v_pk_add_f16 v14, v3, v31
	v_pk_min_f16 v24, v24, v30
	s_nop 0
	v_pk_min_f16 v84, v24, v14
	v_pk_max_f16 v24, v83, v83
	v_pk_add_f16 v14, v17, v21
	v_pk_min_f16 v24, v24, v164
	s_nop 0
	v_pk_min_f16 v83, v24, v14
	v_pk_max_f16 v24, v82, v82
	v_pk_add_f16 v14, v19, v21
	v_pk_min_f16 v24, v24, v165
	s_nop 0
	v_pk_min_f16 v82, v24, v14
	v_pk_max_f16 v24, v81, v81
	v_pk_add_f16 v14, v9, v21
	v_pk_min_f16 v24, v24, v166
	s_nop 0
	v_pk_min_f16 v81, v24, v14
	v_pk_max_f16 v24, v80, v80
	v_pk_add_f16 v14, v11, v21
	v_pk_min_f16 v24, v24, v167
	s_nop 0
	v_pk_min_f16 v80, v24, v14
	v_pk_max_f16 v24, v79, v79
	v_pk_add_f16 v14, v5, v21
	v_pk_min_f16 v24, v24, v168
	s_nop 0
	v_pk_min_f16 v79, v24, v14
	v_pk_max_f16 v24, v78, v78
	v_pk_add_f16 v14, v7, v21
	v_pk_min_f16 v24, v24, v169
	s_nop 0
	v_pk_min_f16 v78, v24, v14
	v_pk_max_f16 v24, v77, v77
	v_pk_add_f16 v14, v1, v21
	v_pk_min_f16 v24, v24, v170
	s_nop 0
	v_pk_min_f16 v77, v24, v14
	v_pk_add_f16 v14, v3, v21
	v_pk_max_f16 v21, v132, v132
	s_nop 0
	v_pk_min_f16 v20, v21, v20
	s_nop 0
	v_pk_min_f16 v76, v20, v14
	v_pk_max_f16 v20, v75, v75
	v_pk_add_f16 v14, v17, v23
	v_pk_min_f16 v20, v20, v171
	s_nop 0
	v_pk_min_f16 v75, v20, v14
	v_pk_max_f16 v20, v74, v74
	v_pk_add_f16 v14, v19, v23
	;; [unrolled: 5-line block ×11, first 2 shown]
	v_pk_min_f16 v20, v20, v46
	v_pk_add_f16 v9, v9, v15
	v_pk_min_f16 v65, v20, v14
	v_pk_max_f16 v20, v64, v64
	v_pk_add_f16 v14, v11, v13
	v_pk_min_f16 v20, v20, v47
	s_nop 0
	v_pk_min_f16 v64, v20, v14
	v_pk_max_f16 v20, v63, v63
	v_pk_add_f16 v14, v5, v13
	v_pk_min_f16 v20, v20, v52
	v_pk_add_f16 v5, v5, v15
	v_pk_min_f16 v63, v20, v14
	v_pk_max_f16 v20, v62, v62
	v_pk_add_f16 v14, v7, v13
	v_pk_min_f16 v20, v20, v53
	s_nop 0
	v_pk_min_f16 v62, v20, v14
	v_pk_max_f16 v20, v61, v61
	v_pk_add_f16 v14, v1, v13
	;; [unrolled: 10-line block ×3, first 2 shown]
	v_pk_min_f16 v13, v13, v16
	s_nop 0
	v_pk_min_f16 v59, v13, v12
	v_pk_max_f16 v13, v136, v136
	v_pk_add_f16 v12, v19, v15
	v_pk_min_f16 v13, v13, v18
	s_nop 0
	v_pk_min_f16 v58, v13, v12
	v_pk_max_f16 v12, v137, v137
	s_nop 0
	v_pk_min_f16 v8, v12, v8
	s_nop 0
	v_pk_min_f16 v57, v8, v9
	v_pk_max_f16 v9, v138, v138
	v_pk_add_f16 v8, v11, v15
	v_pk_min_f16 v9, v9, v10
	s_nop 0
	v_pk_min_f16 v56, v9, v8
	v_pk_max_f16 v8, v139, v139
	s_nop 0
	;; [unrolled: 10-line block ×3, first 2 shown]
	v_pk_min_f16 v0, v4, v0
	s_nop 0
	v_pk_min_f16 v52, v0, v1
	v_pk_max_f16 v1, v142, v142
	v_pk_add_f16 v0, v3, v15
	v_pk_min_f16 v1, v1, v2
	s_nop 0
	v_pk_min_f16 v55, v1, v0
	s_cbranch_scc1 .LBB224_59
.LBB224_35:                             ; =>This Inner Loop Header: Depth=1
	v_add_u32_e32 v46, s39, v50
	v_add_u32_e32 v0, 8, v46
	v_cmp_le_i32_e64 s[10:11], s22, v0
	s_or_b64 s[12:13], vcc, s[10:11]
	s_nor_b64 s[30:31], s[18:19], s[12:13]
                                        ; implicit-def: $vgpr47
	s_and_saveexec_b64 s[40:41], s[30:31]
	s_xor_b64 s[30:31], exec, s[40:41]
	s_cbranch_execz .LBB224_37
; %bb.36:                               ;   in Loop: Header=BB224_35 Depth=1
	v_lshl_add_u64 v[2:3], v[40:41], 0, v[44:45]
	flat_load_ushort v1, v[2:3]
	s_waitcnt vmcnt(0) lgkmcnt(0)
	v_mul_f16_e32 v47, s23, v1
.LBB224_37:                             ;   in Loop: Header=BB224_35 Depth=1
	s_andn2_saveexec_b64 s[30:31], s[30:31]
; %bb.38:                               ;   in Loop: Header=BB224_35 Depth=1
	v_cndmask_b32_e64 v47, 0, v124, s[12:13]
; %bb.39:                               ;   in Loop: Header=BB224_35 Depth=1
	s_or_b64 exec, exec, s[30:31]
	v_min_i32_e32 v0, s35, v0
	v_mad_i64_i32 v[0:1], s[12:13], v0, s38, 0
	s_or_b64 s[12:13], s[2:3], s[10:11]
	v_lshl_add_u64 v[0:1], v[0:1], 1, s[16:17]
	v_cndmask_b32_e64 v125, 0, v124, s[12:13]
	s_nor_b64 s[30:31], s[18:19], s[12:13]
	s_and_saveexec_b64 s[12:13], s[30:31]
	s_cbranch_execz .LBB224_41
; %bb.40:                               ;   in Loop: Header=BB224_35 Depth=1
	v_lshl_add_u64 v[2:3], v[32:33], 1, v[0:1]
	flat_load_ushort v2, v[2:3]
	s_waitcnt vmcnt(0) lgkmcnt(0)
	v_mul_f16_e32 v125, s23, v2
.LBB224_41:                             ;   in Loop: Header=BB224_35 Depth=1
	s_or_b64 exec, exec, s[12:13]
	s_or_b64 s[12:13], s[4:5], s[10:11]
	v_cndmask_b32_e64 v126, 0, v124, s[12:13]
	s_nor_b64 s[30:31], s[12:13], s[18:19]
	s_and_saveexec_b64 s[12:13], s[30:31]
	s_cbranch_execz .LBB224_43
; %bb.42:                               ;   in Loop: Header=BB224_35 Depth=1
	v_lshl_add_u64 v[2:3], v[34:35], 1, v[0:1]
	flat_load_ushort v2, v[2:3]
	s_waitcnt vmcnt(0) lgkmcnt(0)
	v_mul_f16_e32 v126, s23, v2
.LBB224_43:                             ;   in Loop: Header=BB224_35 Depth=1
	s_or_b64 exec, exec, s[12:13]
	s_or_b64 s[12:13], s[6:7], s[10:11]
	;; [unrolled: 12-line block ×3, first 2 shown]
	v_cndmask_b32_e64 v128, 0, v124, s[10:11]
	s_nor_b64 s[12:13], s[10:11], s[18:19]
	s_and_saveexec_b64 s[10:11], s[12:13]
	s_cbranch_execz .LBB224_47
; %bb.46:                               ;   in Loop: Header=BB224_35 Depth=1
	v_lshl_add_u64 v[0:1], v[38:39], 1, v[0:1]
	flat_load_ushort v0, v[0:1]
	s_waitcnt vmcnt(0) lgkmcnt(0)
	v_mul_f16_e32 v128, s23, v0
.LBB224_47:                             ;   in Loop: Header=BB224_35 Depth=1
	s_or_b64 exec, exec, s[10:11]
	ds_read2_b64 v[12:15], v122 offset1:8
	ds_read2_b64 v[8:11], v122 offset0:16 offset1:24
	ds_read2_b64 v[4:7], v122 offset0:32 offset1:40
	;; [unrolled: 1-line block ×3, first 2 shown]
	ds_read2_b64 v[28:31], v123 offset1:32
	ds_read2_b64 v[24:27], v123 offset0:64 offset1:96
	ds_read2_b64 v[20:23], v123 offset0:128 offset1:160
	;; [unrolled: 1-line block ×3, first 2 shown]
	v_add_u32_e32 v46, 12, v46
	v_cmp_le_i32_e64 s[10:11], s22, v46
	s_or_b64 s[12:13], vcc, s[10:11]
	s_nor_b64 s[30:31], s[18:19], s[12:13]
	ds_write_b16 v119, v47
	ds_write_b16 v109, v125
	ds_write_b16 v109, v126 offset:512
	ds_write_b16 v109, v127 offset:1024
	;; [unrolled: 1-line block ×3, first 2 shown]
	s_waitcnt lgkmcnt(0)
	s_barrier
                                        ; implicit-def: $vgpr125
	s_and_saveexec_b64 s[40:41], s[30:31]
	s_xor_b64 s[30:31], exec, s[40:41]
	s_cbranch_execz .LBB224_49
; %bb.48:                               ;   in Loop: Header=BB224_35 Depth=1
	v_lshl_add_u64 v[126:127], v[40:41], 0, v[42:43]
	flat_load_ushort v47, v[126:127]
	s_waitcnt vmcnt(0) lgkmcnt(0)
	v_mul_f16_e32 v125, s23, v47
.LBB224_49:                             ;   in Loop: Header=BB224_35 Depth=1
	s_andn2_saveexec_b64 s[30:31], s[30:31]
; %bb.50:                               ;   in Loop: Header=BB224_35 Depth=1
	v_cndmask_b32_e64 v125, 0, v124, s[12:13]
; %bb.51:                               ;   in Loop: Header=BB224_35 Depth=1
	s_or_b64 exec, exec, s[30:31]
	v_min_i32_e32 v46, s35, v46
	v_mad_i64_i32 v[46:47], s[12:13], v46, s38, 0
	s_or_b64 s[12:13], s[2:3], s[10:11]
	v_lshl_add_u64 v[46:47], v[46:47], 1, s[16:17]
	v_cndmask_b32_e64 v126, 0, v124, s[12:13]
	s_nor_b64 s[30:31], s[18:19], s[12:13]
	s_and_saveexec_b64 s[12:13], s[30:31]
	s_cbranch_execz .LBB224_53
; %bb.52:                               ;   in Loop: Header=BB224_35 Depth=1
	v_lshl_add_u64 v[126:127], v[32:33], 1, v[46:47]
	flat_load_ushort v126, v[126:127]
	s_waitcnt vmcnt(0) lgkmcnt(0)
	v_mul_f16_e32 v126, s23, v126
.LBB224_53:                             ;   in Loop: Header=BB224_35 Depth=1
	s_or_b64 exec, exec, s[12:13]
	s_or_b64 s[12:13], s[4:5], s[10:11]
	v_cndmask_b32_e64 v127, 0, v124, s[12:13]
	s_nor_b64 s[30:31], s[12:13], s[18:19]
	s_and_saveexec_b64 s[12:13], s[30:31]
	s_cbranch_execz .LBB224_55
; %bb.54:                               ;   in Loop: Header=BB224_35 Depth=1
	v_lshl_add_u64 v[128:129], v[34:35], 1, v[46:47]
	flat_load_ushort v127, v[128:129]
	s_waitcnt vmcnt(0) lgkmcnt(0)
	v_mul_f16_e32 v127, s23, v127
.LBB224_55:                             ;   in Loop: Header=BB224_35 Depth=1
	s_or_b64 exec, exec, s[12:13]
	s_or_b64 s[12:13], s[6:7], s[10:11]
	;; [unrolled: 12-line block ×3, first 2 shown]
	v_cndmask_b32_e64 v129, 0, v124, s[10:11]
	s_nor_b64 s[12:13], s[10:11], s[18:19]
	s_and_saveexec_b64 s[10:11], s[12:13]
	s_cbranch_execz .LBB224_34
; %bb.58:                               ;   in Loop: Header=BB224_35 Depth=1
	v_lshl_add_u64 v[46:47], v[38:39], 1, v[46:47]
	flat_load_ushort v46, v[46:47]
	s_waitcnt vmcnt(0) lgkmcnt(0)
	v_mul_f16_e32 v129, s23, v46
	s_branch .LBB224_34
.LBB224_59:
	s_load_dwordx2 s[2:3], s[0:1], 0x70
	s_load_dword s29, s[0:1], 0x50
	s_load_dword s28, s[0:1], 0x68
	v_add_u32_e32 v0, 0x1000, v92
	v_add_u32_e32 v4, 0x800, v51
	ds_read2_b64 v[16:19], v0 offset0:64 offset1:72
	ds_read2_b64 v[12:15], v0 offset0:80 offset1:88
	;; [unrolled: 1-line block ×4, first 2 shown]
	ds_read2_b64 v[28:31], v4 offset1:32
	ds_read2_b64 v[24:27], v4 offset0:64 offset1:96
	ds_read2_b64 v[20:23], v4 offset0:128 offset1:160
	;; [unrolled: 1-line block ×3, first 2 shown]
	s_waitcnt lgkmcnt(0)
	s_lshl_b64 s[0:1], s[2:3], 1
	s_add_u32 s22, s26, s0
	v_add_u32_e32 v92, s37, v49
	s_addc_u32 s23, s27, s1
	v_mad_i64_i32 v[34:35], s[0:1], v92, s29, 0
	v_add_u32_e32 v32, s36, v48
	v_lshl_add_u64 v[50:51], v[34:35], 1, s[24:25]
	v_mad_i64_i32 v[34:35], s[0:1], v92, s28, 0
	v_cmp_gt_i32_e64 s[2:3], s20, v32
	v_cmp_gt_i32_e64 s[18:19], s21, v92
	v_lshl_add_u64 v[48:49], v[34:35], 1, s[22:23]
	v_cndmask_b32_e64 v34, 0, 1, s[14:15]
	v_ashrrev_i32_e32 v33, 31, v32
	s_and_b64 s[6:7], s[2:3], s[18:19]
	v_cmp_ne_u32_e64 s[0:1], 1, v34
	s_and_saveexec_b64 s[4:5], s[6:7]
	s_cbranch_execz .LBB224_64
; %bb.60:
	s_and_b64 vcc, exec, s[0:1]
	s_cbranch_vccnz .LBB224_62
; %bb.61:
	v_lshl_add_u64 v[34:35], v[32:33], 1, v[50:51]
	flat_load_ushort v34, v[34:35]
	s_waitcnt vmcnt(0) lgkmcnt(0)
	v_mul_f16_e32 v34, s33, v34
	v_cvt_f32_f16_e32 v34, v34
	s_branch .LBB224_63
.LBB224_62:
	v_mov_b32_e32 v34, 0
.LBB224_63:
	v_pk_add_f16 v35, v16, v28
	v_max_f16_e32 v36, v118, v118
	v_pk_add_f16 v38, v17, v29
	v_min_f16_e32 v36, v36, v35
	v_lshrrev_b32_e32 v37, 16, v118
	v_lshrrev_b32_e32 v35, 16, v35
	v_lshrrev_b32_e32 v39, 16, v38
	v_min3_f16 v35, v37, v35, v39
	v_min3_f16 v35, v36, v38, v35
	v_cvt_f32_f16_e32 v35, v35
	v_max_f32_e32 v34, v34, v34
	v_min_f32_e32 v34, v34, v35
	v_cvt_f16_f32_e32 v36, v34
	v_lshl_add_u64 v[34:35], v[32:33], 1, v[48:49]
	flat_store_short v[34:35], v36
.LBB224_64:
	s_or_b64 exec, exec, s[4:5]
	v_add_u32_e32 v34, 8, v32
	v_cmp_gt_i32_e64 s[4:5], s20, v34
	v_ashrrev_i32_e32 v35, 31, v34
	s_and_b64 s[8:9], s[4:5], s[18:19]
	s_and_saveexec_b64 s[6:7], s[8:9]
	s_cbranch_execz .LBB224_69
; %bb.65:
	s_and_b64 vcc, exec, s[0:1]
	s_cbranch_vccnz .LBB224_67
; %bb.66:
	v_lshl_add_u64 v[36:37], v[34:35], 1, v[50:51]
	flat_load_ushort v36, v[36:37]
	s_waitcnt vmcnt(0) lgkmcnt(0)
	v_mul_f16_e32 v36, s33, v36
	v_cvt_f32_f16_e32 v36, v36
	s_branch .LBB224_68
.LBB224_67:
	v_mov_b32_e32 v36, 0
.LBB224_68:
	v_pk_add_f16 v37, v18, v28
	v_max_f16_e32 v38, v117, v117
	v_pk_add_f16 v40, v19, v29
	v_min_f16_e32 v38, v38, v37
	v_lshrrev_b32_e32 v39, 16, v117
	v_lshrrev_b32_e32 v37, 16, v37
	v_lshrrev_b32_e32 v41, 16, v40
	v_min3_f16 v37, v39, v37, v41
	v_min3_f16 v37, v38, v40, v37
	v_cvt_f32_f16_e32 v37, v37
	v_max_f32_e32 v36, v36, v36
	v_min_f32_e32 v36, v36, v37
	v_cvt_f16_f32_e32 v38, v36
	v_lshl_add_u64 v[36:37], v[34:35], 1, v[48:49]
	flat_store_short v[36:37], v38
.LBB224_69:
	s_or_b64 exec, exec, s[6:7]
	v_add_u32_e32 v36, 16, v32
	v_cmp_gt_i32_e64 s[6:7], s20, v36
	v_ashrrev_i32_e32 v37, 31, v36
	s_and_b64 s[10:11], s[6:7], s[18:19]
	;; [unrolled: 36-line block ×6, first 2 shown]
	s_and_saveexec_b64 s[16:17], s[26:27]
	s_cbranch_execz .LBB224_94
; %bb.90:
	s_and_b64 vcc, exec, s[0:1]
	s_cbranch_vccnz .LBB224_92
; %bb.91:
	v_lshl_add_u64 v[46:47], v[44:45], 1, v[50:51]
	flat_load_ushort v46, v[46:47]
	s_waitcnt vmcnt(0) lgkmcnt(0)
	v_mul_f16_e32 v46, s33, v46
	v_cvt_f32_f16_e32 v46, v46
	s_branch .LBB224_93
.LBB224_92:
	v_mov_b32_e32 v46, 0
.LBB224_93:
	v_pk_add_f16 v47, v0, v28
	v_max_f16_e32 v109, v112, v112
	v_lshrrev_b32_e32 v110, 16, v112
	v_pk_add_f16 v112, v1, v29
	v_min_f16_e32 v109, v109, v47
	v_lshrrev_b32_e32 v47, 16, v47
	v_lshrrev_b32_e32 v113, 16, v112
	v_min3_f16 v47, v110, v47, v113
	v_min3_f16 v47, v109, v112, v47
	v_cvt_f32_f16_e32 v47, v47
	v_max_f32_e32 v46, v46, v46
	v_min_f32_e32 v46, v46, v47
	v_cvt_f16_f32_e32 v109, v46
	v_lshl_add_u64 v[46:47], v[44:45], 1, v[48:49]
	flat_store_short v[46:47], v109
.LBB224_94:
	s_or_b64 exec, exec, s[16:17]
	v_add_u32_e32 v46, 56, v32
	v_cmp_gt_i32_e64 s[16:17], s20, v46
	v_ashrrev_i32_e32 v47, 31, v46
	s_and_b64 s[26:27], s[16:17], s[18:19]
	s_and_saveexec_b64 s[18:19], s[26:27]
	s_cbranch_execz .LBB224_99
; %bb.95:
	s_and_b64 vcc, exec, s[0:1]
	s_cbranch_vccnz .LBB224_97
; %bb.96:
	v_lshl_add_u64 v[50:51], v[46:47], 1, v[50:51]
	flat_load_ushort v50, v[50:51]
	s_waitcnt vmcnt(0) lgkmcnt(0)
	v_mul_f16_e32 v50, s33, v50
	v_cvt_f32_f16_e32 v50, v50
	s_branch .LBB224_98
.LBB224_97:
	v_mov_b32_e32 v50, 0
.LBB224_98:
	v_pk_add_f16 v28, v2, v28
	v_max_f16_e32 v51, v111, v111
	v_pk_add_f16 v29, v3, v29
	v_min_f16_e32 v51, v51, v28
	v_lshrrev_b32_e32 v109, 16, v111
	v_lshrrev_b32_e32 v28, 16, v28
	;; [unrolled: 1-line block ×3, first 2 shown]
	v_min3_f16 v28, v109, v28, v110
	v_min3_f16 v28, v51, v29, v28
	v_cvt_f32_f16_e32 v28, v28
	v_max_f32_e32 v29, v50, v50
	v_min_f32_e32 v28, v29, v28
	v_cvt_f16_f32_e32 v50, v28
	v_lshl_add_u64 v[28:29], v[46:47], 1, v[48:49]
	flat_store_short v[28:29], v50
.LBB224_99:
	s_or_b64 exec, exec, s[18:19]
	v_add_u32_e32 v50, 32, v92
	v_mad_i64_i32 v[28:29], s[26:27], v50, s29, 0
	v_cmp_gt_i32_e64 s[18:19], s21, v50
	v_lshl_add_u64 v[48:49], v[28:29], 1, s[24:25]
	v_mad_i64_i32 v[28:29], s[26:27], v50, s28, 0
	v_lshl_add_u64 v[28:29], v[28:29], 1, s[22:23]
	s_and_b64 s[30:31], s[2:3], s[18:19]
	s_and_saveexec_b64 s[26:27], s[30:31]
	s_cbranch_execnz .LBB224_107
; %bb.100:
	s_or_b64 exec, exec, s[26:27]
	s_and_b64 s[30:31], s[4:5], s[18:19]
	s_and_saveexec_b64 s[26:27], s[30:31]
	s_cbranch_execnz .LBB224_111
.LBB224_101:
	s_or_b64 exec, exec, s[26:27]
	s_and_b64 s[30:31], s[6:7], s[18:19]
	s_and_saveexec_b64 s[26:27], s[30:31]
	s_cbranch_execnz .LBB224_115
.LBB224_102:
	s_or_b64 exec, exec, s[26:27]
	s_and_b64 s[30:31], s[8:9], s[18:19]
	s_and_saveexec_b64 s[26:27], s[30:31]
	s_cbranch_execnz .LBB224_119
.LBB224_103:
	s_or_b64 exec, exec, s[26:27]
	s_and_b64 s[30:31], s[10:11], s[18:19]
	s_and_saveexec_b64 s[26:27], s[30:31]
	s_cbranch_execnz .LBB224_123
.LBB224_104:
	s_or_b64 exec, exec, s[26:27]
	s_and_b64 s[30:31], s[12:13], s[18:19]
	s_and_saveexec_b64 s[26:27], s[30:31]
	s_cbranch_execnz .LBB224_127
.LBB224_105:
	s_or_b64 exec, exec, s[26:27]
	s_and_b64 s[30:31], s[14:15], s[18:19]
	s_and_saveexec_b64 s[26:27], s[30:31]
	s_cbranch_execnz .LBB224_131
.LBB224_106:
	s_or_b64 exec, exec, s[26:27]
	s_and_b64 s[26:27], s[16:17], s[18:19]
	s_and_saveexec_b64 s[18:19], s[26:27]
	s_cbranch_execnz .LBB224_135
	s_branch .LBB224_139
.LBB224_107:
	s_and_b64 vcc, exec, s[0:1]
	s_cbranch_vccnz .LBB224_109
; %bb.108:
	v_lshl_add_u64 v[50:51], v[32:33], 1, v[48:49]
	flat_load_ushort v50, v[50:51]
	s_waitcnt vmcnt(0) lgkmcnt(0)
	v_mul_f16_e32 v50, s33, v50
	v_cvt_f32_f16_e32 v50, v50
	s_branch .LBB224_110
.LBB224_109:
	v_mov_b32_e32 v50, 0
.LBB224_110:
	v_pk_add_f16 v51, v16, v30
	v_max_f16_e32 v109, v108, v108
	v_pk_add_f16 v110, v17, v31
	v_min_f16_e32 v109, v109, v51
	v_lshrrev_b32_e32 v108, 16, v108
	v_lshrrev_b32_e32 v51, 16, v51
	;; [unrolled: 1-line block ×3, first 2 shown]
	v_min3_f16 v51, v108, v51, v111
	v_min3_f16 v51, v109, v110, v51
	v_cvt_f32_f16_e32 v51, v51
	v_max_f32_e32 v50, v50, v50
	v_min_f32_e32 v50, v50, v51
	v_cvt_f16_f32_e32 v108, v50
	v_lshl_add_u64 v[50:51], v[32:33], 1, v[28:29]
	flat_store_short v[50:51], v108
	s_or_b64 exec, exec, s[26:27]
	s_and_b64 s[30:31], s[4:5], s[18:19]
	s_and_saveexec_b64 s[26:27], s[30:31]
	s_cbranch_execz .LBB224_101
.LBB224_111:
	s_and_b64 vcc, exec, s[0:1]
	s_cbranch_vccnz .LBB224_113
; %bb.112:
	v_lshl_add_u64 v[50:51], v[34:35], 1, v[48:49]
	flat_load_ushort v50, v[50:51]
	s_waitcnt vmcnt(0) lgkmcnt(0)
	v_mul_f16_e32 v50, s33, v50
	v_cvt_f32_f16_e32 v50, v50
	s_branch .LBB224_114
.LBB224_113:
	v_mov_b32_e32 v50, 0
.LBB224_114:
	v_pk_add_f16 v51, v18, v30
	v_max_f16_e32 v108, v107, v107
	v_pk_add_f16 v109, v19, v31
	v_min_f16_e32 v108, v108, v51
	v_lshrrev_b32_e32 v107, 16, v107
	v_lshrrev_b32_e32 v51, 16, v51
	;; [unrolled: 1-line block ×3, first 2 shown]
	v_min3_f16 v51, v107, v51, v110
	v_min3_f16 v51, v108, v109, v51
	v_cvt_f32_f16_e32 v51, v51
	v_max_f32_e32 v50, v50, v50
	v_min_f32_e32 v50, v50, v51
	v_cvt_f16_f32_e32 v107, v50
	v_lshl_add_u64 v[50:51], v[34:35], 1, v[28:29]
	flat_store_short v[50:51], v107
	s_or_b64 exec, exec, s[26:27]
	s_and_b64 s[30:31], s[6:7], s[18:19]
	s_and_saveexec_b64 s[26:27], s[30:31]
	s_cbranch_execz .LBB224_102
.LBB224_115:
	s_and_b64 vcc, exec, s[0:1]
	s_cbranch_vccnz .LBB224_117
; %bb.116:
	v_lshl_add_u64 v[50:51], v[36:37], 1, v[48:49]
	flat_load_ushort v50, v[50:51]
	s_waitcnt vmcnt(0) lgkmcnt(0)
	v_mul_f16_e32 v50, s33, v50
	v_cvt_f32_f16_e32 v50, v50
	s_branch .LBB224_118
.LBB224_117:
	v_mov_b32_e32 v50, 0
.LBB224_118:
	v_pk_add_f16 v51, v12, v30
	v_max_f16_e32 v107, v106, v106
	v_pk_add_f16 v108, v13, v31
	v_min_f16_e32 v107, v107, v51
	v_lshrrev_b32_e32 v106, 16, v106
	v_lshrrev_b32_e32 v51, 16, v51
	;; [unrolled: 1-line block ×3, first 2 shown]
	v_min3_f16 v51, v106, v51, v109
	v_min3_f16 v51, v107, v108, v51
	v_cvt_f32_f16_e32 v51, v51
	v_max_f32_e32 v50, v50, v50
	v_min_f32_e32 v50, v50, v51
	v_cvt_f16_f32_e32 v106, v50
	v_lshl_add_u64 v[50:51], v[36:37], 1, v[28:29]
	flat_store_short v[50:51], v106
	s_or_b64 exec, exec, s[26:27]
	s_and_b64 s[30:31], s[8:9], s[18:19]
	s_and_saveexec_b64 s[26:27], s[30:31]
	s_cbranch_execz .LBB224_103
.LBB224_119:
	s_and_b64 vcc, exec, s[0:1]
	s_cbranch_vccnz .LBB224_121
; %bb.120:
	v_lshl_add_u64 v[50:51], v[38:39], 1, v[48:49]
	flat_load_ushort v50, v[50:51]
	s_waitcnt vmcnt(0) lgkmcnt(0)
	v_mul_f16_e32 v50, s33, v50
	v_cvt_f32_f16_e32 v50, v50
	s_branch .LBB224_122
.LBB224_121:
	v_mov_b32_e32 v50, 0
.LBB224_122:
	v_pk_add_f16 v51, v14, v30
	v_max_f16_e32 v106, v105, v105
	v_pk_add_f16 v107, v15, v31
	v_min_f16_e32 v106, v106, v51
	v_lshrrev_b32_e32 v105, 16, v105
	v_lshrrev_b32_e32 v51, 16, v51
	;; [unrolled: 1-line block ×3, first 2 shown]
	v_min3_f16 v51, v105, v51, v108
	v_min3_f16 v51, v106, v107, v51
	v_cvt_f32_f16_e32 v51, v51
	v_max_f32_e32 v50, v50, v50
	v_min_f32_e32 v50, v50, v51
	v_cvt_f16_f32_e32 v105, v50
	v_lshl_add_u64 v[50:51], v[38:39], 1, v[28:29]
	flat_store_short v[50:51], v105
	s_or_b64 exec, exec, s[26:27]
	s_and_b64 s[30:31], s[10:11], s[18:19]
	s_and_saveexec_b64 s[26:27], s[30:31]
	s_cbranch_execz .LBB224_104
.LBB224_123:
	s_and_b64 vcc, exec, s[0:1]
	s_cbranch_vccnz .LBB224_125
; %bb.124:
	v_lshl_add_u64 v[50:51], v[40:41], 1, v[48:49]
	flat_load_ushort v50, v[50:51]
	s_waitcnt vmcnt(0) lgkmcnt(0)
	v_mul_f16_e32 v50, s33, v50
	v_cvt_f32_f16_e32 v50, v50
	s_branch .LBB224_126
.LBB224_125:
	v_mov_b32_e32 v50, 0
.LBB224_126:
	v_pk_add_f16 v51, v8, v30
	v_max_f16_e32 v105, v104, v104
	v_pk_add_f16 v106, v9, v31
	v_min_f16_e32 v105, v105, v51
	v_lshrrev_b32_e32 v104, 16, v104
	v_lshrrev_b32_e32 v51, 16, v51
	;; [unrolled: 1-line block ×3, first 2 shown]
	v_min3_f16 v51, v104, v51, v107
	v_min3_f16 v51, v105, v106, v51
	v_cvt_f32_f16_e32 v51, v51
	v_max_f32_e32 v50, v50, v50
	v_min_f32_e32 v50, v50, v51
	v_cvt_f16_f32_e32 v104, v50
	v_lshl_add_u64 v[50:51], v[40:41], 1, v[28:29]
	flat_store_short v[50:51], v104
	s_or_b64 exec, exec, s[26:27]
	s_and_b64 s[30:31], s[12:13], s[18:19]
	s_and_saveexec_b64 s[26:27], s[30:31]
	s_cbranch_execz .LBB224_105
.LBB224_127:
	s_and_b64 vcc, exec, s[0:1]
	s_cbranch_vccnz .LBB224_129
; %bb.128:
	v_lshl_add_u64 v[50:51], v[42:43], 1, v[48:49]
	flat_load_ushort v50, v[50:51]
	s_waitcnt vmcnt(0) lgkmcnt(0)
	v_mul_f16_e32 v50, s33, v50
	v_cvt_f32_f16_e32 v50, v50
	s_branch .LBB224_130
.LBB224_129:
	v_mov_b32_e32 v50, 0
.LBB224_130:
	v_pk_add_f16 v51, v10, v30
	v_max_f16_e32 v104, v103, v103
	v_pk_add_f16 v105, v11, v31
	v_min_f16_e32 v104, v104, v51
	v_lshrrev_b32_e32 v103, 16, v103
	v_lshrrev_b32_e32 v51, 16, v51
	v_lshrrev_b32_e32 v106, 16, v105
	v_min3_f16 v51, v103, v51, v106
	v_min3_f16 v51, v104, v105, v51
	v_cvt_f32_f16_e32 v51, v51
	v_max_f32_e32 v50, v50, v50
	v_min_f32_e32 v50, v50, v51
	v_cvt_f16_f32_e32 v103, v50
	v_lshl_add_u64 v[50:51], v[42:43], 1, v[28:29]
	flat_store_short v[50:51], v103
	s_or_b64 exec, exec, s[26:27]
	s_and_b64 s[30:31], s[14:15], s[18:19]
	s_and_saveexec_b64 s[26:27], s[30:31]
	s_cbranch_execz .LBB224_106
.LBB224_131:
	s_and_b64 vcc, exec, s[0:1]
	s_cbranch_vccnz .LBB224_133
; %bb.132:
	v_lshl_add_u64 v[50:51], v[44:45], 1, v[48:49]
	flat_load_ushort v50, v[50:51]
	s_waitcnt vmcnt(0) lgkmcnt(0)
	v_mul_f16_e32 v50, s33, v50
	v_cvt_f32_f16_e32 v50, v50
	s_branch .LBB224_134
.LBB224_133:
	v_mov_b32_e32 v50, 0
.LBB224_134:
	v_pk_add_f16 v51, v0, v30
	v_max_f16_e32 v103, v102, v102
	v_pk_add_f16 v104, v1, v31
	v_min_f16_e32 v103, v103, v51
	v_lshrrev_b32_e32 v102, 16, v102
	v_lshrrev_b32_e32 v51, 16, v51
	;; [unrolled: 1-line block ×3, first 2 shown]
	v_min3_f16 v51, v102, v51, v105
	v_min3_f16 v51, v103, v104, v51
	v_cvt_f32_f16_e32 v51, v51
	v_max_f32_e32 v50, v50, v50
	v_min_f32_e32 v50, v50, v51
	v_cvt_f16_f32_e32 v102, v50
	v_lshl_add_u64 v[50:51], v[44:45], 1, v[28:29]
	flat_store_short v[50:51], v102
	s_or_b64 exec, exec, s[26:27]
	s_and_b64 s[26:27], s[16:17], s[18:19]
	s_and_saveexec_b64 s[18:19], s[26:27]
	s_cbranch_execz .LBB224_139
.LBB224_135:
	s_and_b64 vcc, exec, s[0:1]
	s_cbranch_vccnz .LBB224_137
; %bb.136:
	v_lshl_add_u64 v[48:49], v[46:47], 1, v[48:49]
	flat_load_ushort v48, v[48:49]
	s_waitcnt vmcnt(0) lgkmcnt(0)
	v_mul_f16_e32 v48, s33, v48
	v_cvt_f32_f16_e32 v48, v48
	s_branch .LBB224_138
.LBB224_137:
	v_mov_b32_e32 v48, 0
.LBB224_138:
	v_pk_add_f16 v30, v2, v30
	v_max_f16_e32 v49, v101, v101
	v_pk_add_f16 v31, v3, v31
	v_min_f16_e32 v49, v49, v30
	v_lshrrev_b32_e32 v50, 16, v101
	v_lshrrev_b32_e32 v30, 16, v30
	;; [unrolled: 1-line block ×3, first 2 shown]
	v_min3_f16 v30, v50, v30, v51
	v_min3_f16 v30, v49, v31, v30
	v_cvt_f32_f16_e32 v30, v30
	v_max_f32_e32 v31, v48, v48
	v_lshl_add_u64 v[28:29], v[46:47], 1, v[28:29]
	v_min_f32_e32 v30, v31, v30
	v_cvt_f16_f32_e32 v30, v30
	flat_store_short v[28:29], v30
.LBB224_139:
	s_or_b64 exec, exec, s[18:19]
	v_add_u32_e32 v48, 64, v92
	v_mad_i64_i32 v[28:29], s[26:27], v48, s29, 0
	v_cmp_gt_i32_e64 s[18:19], s21, v48
	v_lshl_add_u64 v[30:31], v[28:29], 1, s[24:25]
	v_mad_i64_i32 v[28:29], s[26:27], v48, s28, 0
	v_lshl_add_u64 v[28:29], v[28:29], 1, s[22:23]
	s_and_b64 s[30:31], s[2:3], s[18:19]
	s_and_saveexec_b64 s[26:27], s[30:31]
	s_cbranch_execnz .LBB224_147
; %bb.140:
	s_or_b64 exec, exec, s[26:27]
	s_and_b64 s[30:31], s[4:5], s[18:19]
	s_and_saveexec_b64 s[26:27], s[30:31]
	s_cbranch_execnz .LBB224_151
.LBB224_141:
	s_or_b64 exec, exec, s[26:27]
	s_and_b64 s[30:31], s[6:7], s[18:19]
	s_and_saveexec_b64 s[26:27], s[30:31]
	s_cbranch_execnz .LBB224_155
.LBB224_142:
	s_or_b64 exec, exec, s[26:27]
	s_and_b64 s[30:31], s[8:9], s[18:19]
	s_and_saveexec_b64 s[26:27], s[30:31]
	s_cbranch_execnz .LBB224_159
.LBB224_143:
	s_or_b64 exec, exec, s[26:27]
	s_and_b64 s[30:31], s[10:11], s[18:19]
	s_and_saveexec_b64 s[26:27], s[30:31]
	s_cbranch_execnz .LBB224_163
.LBB224_144:
	s_or_b64 exec, exec, s[26:27]
	s_and_b64 s[30:31], s[12:13], s[18:19]
	s_and_saveexec_b64 s[26:27], s[30:31]
	s_cbranch_execnz .LBB224_167
.LBB224_145:
	s_or_b64 exec, exec, s[26:27]
	s_and_b64 s[30:31], s[14:15], s[18:19]
	s_and_saveexec_b64 s[26:27], s[30:31]
	s_cbranch_execnz .LBB224_171
.LBB224_146:
	s_or_b64 exec, exec, s[26:27]
	s_and_b64 s[26:27], s[16:17], s[18:19]
	s_and_saveexec_b64 s[18:19], s[26:27]
	s_cbranch_execnz .LBB224_175
	s_branch .LBB224_179
.LBB224_147:
	s_and_b64 vcc, exec, s[0:1]
	s_cbranch_vccnz .LBB224_149
; %bb.148:
	v_lshl_add_u64 v[48:49], v[32:33], 1, v[30:31]
	flat_load_ushort v48, v[48:49]
	s_waitcnt vmcnt(0) lgkmcnt(0)
	v_mul_f16_e32 v48, s33, v48
	v_cvt_f32_f16_e32 v48, v48
	s_branch .LBB224_150
.LBB224_149:
	v_mov_b32_e32 v48, 0
.LBB224_150:
	v_pk_add_f16 v49, v16, v24
	v_max_f16_e32 v50, v100, v100
	v_lshrrev_b32_e32 v51, 16, v100
	v_pk_add_f16 v100, v17, v25
	v_min_f16_e32 v50, v50, v49
	v_lshrrev_b32_e32 v49, 16, v49
	v_lshrrev_b32_e32 v101, 16, v100
	v_min3_f16 v49, v51, v49, v101
	v_min3_f16 v49, v50, v100, v49
	v_cvt_f32_f16_e32 v49, v49
	v_max_f32_e32 v48, v48, v48
	v_min_f32_e32 v48, v48, v49
	v_cvt_f16_f32_e32 v50, v48
	v_lshl_add_u64 v[48:49], v[32:33], 1, v[28:29]
	flat_store_short v[48:49], v50
	s_or_b64 exec, exec, s[26:27]
	s_and_b64 s[30:31], s[4:5], s[18:19]
	s_and_saveexec_b64 s[26:27], s[30:31]
	s_cbranch_execz .LBB224_141
.LBB224_151:
	s_and_b64 vcc, exec, s[0:1]
	s_cbranch_vccnz .LBB224_153
; %bb.152:
	v_lshl_add_u64 v[48:49], v[34:35], 1, v[30:31]
	flat_load_ushort v48, v[48:49]
	s_waitcnt vmcnt(0) lgkmcnt(0)
	v_mul_f16_e32 v48, s33, v48
	v_cvt_f32_f16_e32 v48, v48
	s_branch .LBB224_154
.LBB224_153:
	v_mov_b32_e32 v48, 0
.LBB224_154:
	v_pk_add_f16 v49, v18, v24
	v_max_f16_e32 v50, v99, v99
	v_lshrrev_b32_e32 v51, 16, v99
	v_pk_add_f16 v99, v19, v25
	v_min_f16_e32 v50, v50, v49
	v_lshrrev_b32_e32 v49, 16, v49
	v_lshrrev_b32_e32 v100, 16, v99
	v_min3_f16 v49, v51, v49, v100
	v_min3_f16 v49, v50, v99, v49
	v_cvt_f32_f16_e32 v49, v49
	v_max_f32_e32 v48, v48, v48
	v_min_f32_e32 v48, v48, v49
	v_cvt_f16_f32_e32 v50, v48
	v_lshl_add_u64 v[48:49], v[34:35], 1, v[28:29]
	flat_store_short v[48:49], v50
	s_or_b64 exec, exec, s[26:27]
	s_and_b64 s[30:31], s[6:7], s[18:19]
	s_and_saveexec_b64 s[26:27], s[30:31]
	s_cbranch_execz .LBB224_142
.LBB224_155:
	s_and_b64 vcc, exec, s[0:1]
	s_cbranch_vccnz .LBB224_157
; %bb.156:
	v_lshl_add_u64 v[48:49], v[36:37], 1, v[30:31]
	flat_load_ushort v48, v[48:49]
	s_waitcnt vmcnt(0) lgkmcnt(0)
	v_mul_f16_e32 v48, s33, v48
	v_cvt_f32_f16_e32 v48, v48
	s_branch .LBB224_158
.LBB224_157:
	v_mov_b32_e32 v48, 0
.LBB224_158:
	v_pk_add_f16 v49, v12, v24
	v_max_f16_e32 v50, v98, v98
	v_lshrrev_b32_e32 v51, 16, v98
	v_pk_add_f16 v98, v13, v25
	v_min_f16_e32 v50, v50, v49
	v_lshrrev_b32_e32 v49, 16, v49
	v_lshrrev_b32_e32 v99, 16, v98
	v_min3_f16 v49, v51, v49, v99
	v_min3_f16 v49, v50, v98, v49
	v_cvt_f32_f16_e32 v49, v49
	v_max_f32_e32 v48, v48, v48
	v_min_f32_e32 v48, v48, v49
	v_cvt_f16_f32_e32 v50, v48
	v_lshl_add_u64 v[48:49], v[36:37], 1, v[28:29]
	flat_store_short v[48:49], v50
	s_or_b64 exec, exec, s[26:27]
	s_and_b64 s[30:31], s[8:9], s[18:19]
	s_and_saveexec_b64 s[26:27], s[30:31]
	s_cbranch_execz .LBB224_143
.LBB224_159:
	s_and_b64 vcc, exec, s[0:1]
	s_cbranch_vccnz .LBB224_161
; %bb.160:
	v_lshl_add_u64 v[48:49], v[38:39], 1, v[30:31]
	flat_load_ushort v48, v[48:49]
	s_waitcnt vmcnt(0) lgkmcnt(0)
	v_mul_f16_e32 v48, s33, v48
	v_cvt_f32_f16_e32 v48, v48
	s_branch .LBB224_162
.LBB224_161:
	v_mov_b32_e32 v48, 0
.LBB224_162:
	v_pk_add_f16 v49, v14, v24
	v_max_f16_e32 v50, v97, v97
	v_lshrrev_b32_e32 v51, 16, v97
	v_pk_add_f16 v97, v15, v25
	v_min_f16_e32 v50, v50, v49
	v_lshrrev_b32_e32 v49, 16, v49
	v_lshrrev_b32_e32 v98, 16, v97
	v_min3_f16 v49, v51, v49, v98
	v_min3_f16 v49, v50, v97, v49
	v_cvt_f32_f16_e32 v49, v49
	v_max_f32_e32 v48, v48, v48
	v_min_f32_e32 v48, v48, v49
	v_cvt_f16_f32_e32 v50, v48
	v_lshl_add_u64 v[48:49], v[38:39], 1, v[28:29]
	flat_store_short v[48:49], v50
	s_or_b64 exec, exec, s[26:27]
	s_and_b64 s[30:31], s[10:11], s[18:19]
	s_and_saveexec_b64 s[26:27], s[30:31]
	s_cbranch_execz .LBB224_144
.LBB224_163:
	s_and_b64 vcc, exec, s[0:1]
	s_cbranch_vccnz .LBB224_165
; %bb.164:
	v_lshl_add_u64 v[48:49], v[40:41], 1, v[30:31]
	flat_load_ushort v48, v[48:49]
	s_waitcnt vmcnt(0) lgkmcnt(0)
	v_mul_f16_e32 v48, s33, v48
	v_cvt_f32_f16_e32 v48, v48
	s_branch .LBB224_166
.LBB224_165:
	v_mov_b32_e32 v48, 0
.LBB224_166:
	v_pk_add_f16 v49, v8, v24
	v_max_f16_e32 v50, v96, v96
	v_lshrrev_b32_e32 v51, 16, v96
	v_pk_add_f16 v96, v9, v25
	v_min_f16_e32 v50, v50, v49
	v_lshrrev_b32_e32 v49, 16, v49
	v_lshrrev_b32_e32 v97, 16, v96
	v_min3_f16 v49, v51, v49, v97
	v_min3_f16 v49, v50, v96, v49
	v_cvt_f32_f16_e32 v49, v49
	v_max_f32_e32 v48, v48, v48
	v_min_f32_e32 v48, v48, v49
	v_cvt_f16_f32_e32 v50, v48
	v_lshl_add_u64 v[48:49], v[40:41], 1, v[28:29]
	flat_store_short v[48:49], v50
	s_or_b64 exec, exec, s[26:27]
	s_and_b64 s[30:31], s[12:13], s[18:19]
	s_and_saveexec_b64 s[26:27], s[30:31]
	s_cbranch_execz .LBB224_145
.LBB224_167:
	s_and_b64 vcc, exec, s[0:1]
	s_cbranch_vccnz .LBB224_169
; %bb.168:
	v_lshl_add_u64 v[48:49], v[42:43], 1, v[30:31]
	flat_load_ushort v48, v[48:49]
	s_waitcnt vmcnt(0) lgkmcnt(0)
	v_mul_f16_e32 v48, s33, v48
	v_cvt_f32_f16_e32 v48, v48
	s_branch .LBB224_170
.LBB224_169:
	v_mov_b32_e32 v48, 0
.LBB224_170:
	v_pk_add_f16 v49, v10, v24
	v_max_f16_e32 v50, v95, v95
	v_lshrrev_b32_e32 v51, 16, v95
	v_pk_add_f16 v95, v11, v25
	v_min_f16_e32 v50, v50, v49
	v_lshrrev_b32_e32 v49, 16, v49
	v_lshrrev_b32_e32 v96, 16, v95
	v_min3_f16 v49, v51, v49, v96
	v_min3_f16 v49, v50, v95, v49
	v_cvt_f32_f16_e32 v49, v49
	v_max_f32_e32 v48, v48, v48
	v_min_f32_e32 v48, v48, v49
	v_cvt_f16_f32_e32 v50, v48
	v_lshl_add_u64 v[48:49], v[42:43], 1, v[28:29]
	flat_store_short v[48:49], v50
	s_or_b64 exec, exec, s[26:27]
	s_and_b64 s[30:31], s[14:15], s[18:19]
	s_and_saveexec_b64 s[26:27], s[30:31]
	s_cbranch_execz .LBB224_146
.LBB224_171:
	s_and_b64 vcc, exec, s[0:1]
	s_cbranch_vccnz .LBB224_173
; %bb.172:
	v_lshl_add_u64 v[48:49], v[44:45], 1, v[30:31]
	flat_load_ushort v48, v[48:49]
	s_waitcnt vmcnt(0) lgkmcnt(0)
	v_mul_f16_e32 v48, s33, v48
	v_cvt_f32_f16_e32 v48, v48
	s_branch .LBB224_174
.LBB224_173:
	v_mov_b32_e32 v48, 0
.LBB224_174:
	v_pk_add_f16 v49, v0, v24
	v_max_f16_e32 v50, v94, v94
	v_lshrrev_b32_e32 v51, 16, v94
	v_pk_add_f16 v94, v1, v25
	v_min_f16_e32 v50, v50, v49
	v_lshrrev_b32_e32 v49, 16, v49
	v_lshrrev_b32_e32 v95, 16, v94
	v_min3_f16 v49, v51, v49, v95
	v_min3_f16 v49, v50, v94, v49
	v_cvt_f32_f16_e32 v49, v49
	v_max_f32_e32 v48, v48, v48
	v_min_f32_e32 v48, v48, v49
	v_cvt_f16_f32_e32 v50, v48
	v_lshl_add_u64 v[48:49], v[44:45], 1, v[28:29]
	flat_store_short v[48:49], v50
	s_or_b64 exec, exec, s[26:27]
	s_and_b64 s[26:27], s[16:17], s[18:19]
	s_and_saveexec_b64 s[18:19], s[26:27]
	s_cbranch_execz .LBB224_179
.LBB224_175:
	s_and_b64 vcc, exec, s[0:1]
	s_cbranch_vccnz .LBB224_177
; %bb.176:
	v_lshl_add_u64 v[30:31], v[46:47], 1, v[30:31]
	flat_load_ushort v30, v[30:31]
	s_waitcnt vmcnt(0) lgkmcnt(0)
	v_mul_f16_e32 v30, s33, v30
	v_cvt_f32_f16_e32 v30, v30
	s_branch .LBB224_178
.LBB224_177:
	v_mov_b32_e32 v30, 0
.LBB224_178:
	v_pk_add_f16 v24, v2, v24
	v_max_f16_e32 v31, v93, v93
	v_pk_add_f16 v25, v3, v25
	v_min_f16_e32 v31, v31, v24
	v_lshrrev_b32_e32 v48, 16, v93
	v_lshrrev_b32_e32 v24, 16, v24
	;; [unrolled: 1-line block ×3, first 2 shown]
	v_min3_f16 v24, v48, v24, v49
	v_min3_f16 v24, v31, v25, v24
	v_cvt_f32_f16_e32 v24, v24
	v_max_f32_e32 v25, v30, v30
	v_min_f32_e32 v24, v25, v24
	v_cvt_f16_f32_e32 v30, v24
	v_lshl_add_u64 v[24:25], v[46:47], 1, v[28:29]
	flat_store_short v[24:25], v30
.LBB224_179:
	s_or_b64 exec, exec, s[18:19]
	v_add_u32_e32 v30, 0x60, v92
	v_mad_i64_i32 v[24:25], s[26:27], v30, s29, 0
	v_cmp_gt_i32_e64 s[18:19], s21, v30
	v_lshl_add_u64 v[28:29], v[24:25], 1, s[24:25]
	v_mad_i64_i32 v[24:25], s[26:27], v30, s28, 0
	v_lshl_add_u64 v[24:25], v[24:25], 1, s[22:23]
	s_and_b64 s[30:31], s[2:3], s[18:19]
	s_and_saveexec_b64 s[26:27], s[30:31]
	s_cbranch_execnz .LBB224_187
; %bb.180:
	s_or_b64 exec, exec, s[26:27]
	s_and_b64 s[30:31], s[4:5], s[18:19]
	s_and_saveexec_b64 s[26:27], s[30:31]
	s_cbranch_execnz .LBB224_191
.LBB224_181:
	s_or_b64 exec, exec, s[26:27]
	s_and_b64 s[30:31], s[6:7], s[18:19]
	s_and_saveexec_b64 s[26:27], s[30:31]
	s_cbranch_execnz .LBB224_195
.LBB224_182:
	s_or_b64 exec, exec, s[26:27]
	s_and_b64 s[30:31], s[8:9], s[18:19]
	s_and_saveexec_b64 s[26:27], s[30:31]
	s_cbranch_execnz .LBB224_199
.LBB224_183:
	s_or_b64 exec, exec, s[26:27]
	s_and_b64 s[30:31], s[10:11], s[18:19]
	s_and_saveexec_b64 s[26:27], s[30:31]
	s_cbranch_execnz .LBB224_203
.LBB224_184:
	s_or_b64 exec, exec, s[26:27]
	s_and_b64 s[30:31], s[12:13], s[18:19]
	s_and_saveexec_b64 s[26:27], s[30:31]
	s_cbranch_execnz .LBB224_207
.LBB224_185:
	s_or_b64 exec, exec, s[26:27]
	s_and_b64 s[30:31], s[14:15], s[18:19]
	s_and_saveexec_b64 s[26:27], s[30:31]
	s_cbranch_execnz .LBB224_211
.LBB224_186:
	s_or_b64 exec, exec, s[26:27]
	s_and_b64 s[26:27], s[16:17], s[18:19]
	s_and_saveexec_b64 s[18:19], s[26:27]
	s_cbranch_execnz .LBB224_215
	s_branch .LBB224_219
.LBB224_187:
	s_and_b64 vcc, exec, s[0:1]
	s_cbranch_vccnz .LBB224_189
; %bb.188:
	v_lshl_add_u64 v[30:31], v[32:33], 1, v[28:29]
	flat_load_ushort v30, v[30:31]
	s_waitcnt vmcnt(0) lgkmcnt(0)
	v_mul_f16_e32 v30, s33, v30
	v_cvt_f32_f16_e32 v30, v30
	s_branch .LBB224_190
.LBB224_189:
	v_mov_b32_e32 v30, 0
.LBB224_190:
	v_pk_add_f16 v31, v16, v26
	v_max_f16_e32 v48, v91, v91
	v_pk_add_f16 v50, v17, v27
	v_min_f16_e32 v48, v48, v31
	v_lshrrev_b32_e32 v49, 16, v91
	v_lshrrev_b32_e32 v31, 16, v31
	;; [unrolled: 1-line block ×3, first 2 shown]
	v_min3_f16 v31, v49, v31, v51
	v_min3_f16 v31, v48, v50, v31
	v_cvt_f32_f16_e32 v31, v31
	v_max_f32_e32 v30, v30, v30
	v_min_f32_e32 v30, v30, v31
	v_cvt_f16_f32_e32 v48, v30
	v_lshl_add_u64 v[30:31], v[32:33], 1, v[24:25]
	flat_store_short v[30:31], v48
	s_or_b64 exec, exec, s[26:27]
	s_and_b64 s[30:31], s[4:5], s[18:19]
	s_and_saveexec_b64 s[26:27], s[30:31]
	s_cbranch_execz .LBB224_181
.LBB224_191:
	s_and_b64 vcc, exec, s[0:1]
	s_cbranch_vccnz .LBB224_193
; %bb.192:
	v_lshl_add_u64 v[30:31], v[34:35], 1, v[28:29]
	flat_load_ushort v30, v[30:31]
	s_waitcnt vmcnt(0) lgkmcnt(0)
	v_mul_f16_e32 v30, s33, v30
	v_cvt_f32_f16_e32 v30, v30
	s_branch .LBB224_194
.LBB224_193:
	v_mov_b32_e32 v30, 0
.LBB224_194:
	v_pk_add_f16 v31, v18, v26
	v_max_f16_e32 v48, v90, v90
	v_pk_add_f16 v50, v19, v27
	v_min_f16_e32 v48, v48, v31
	v_lshrrev_b32_e32 v49, 16, v90
	v_lshrrev_b32_e32 v31, 16, v31
	;; [unrolled: 1-line block ×3, first 2 shown]
	v_min3_f16 v31, v49, v31, v51
	v_min3_f16 v31, v48, v50, v31
	v_cvt_f32_f16_e32 v31, v31
	v_max_f32_e32 v30, v30, v30
	v_min_f32_e32 v30, v30, v31
	v_cvt_f16_f32_e32 v48, v30
	v_lshl_add_u64 v[30:31], v[34:35], 1, v[24:25]
	flat_store_short v[30:31], v48
	s_or_b64 exec, exec, s[26:27]
	s_and_b64 s[30:31], s[6:7], s[18:19]
	s_and_saveexec_b64 s[26:27], s[30:31]
	s_cbranch_execz .LBB224_182
.LBB224_195:
	s_and_b64 vcc, exec, s[0:1]
	s_cbranch_vccnz .LBB224_197
; %bb.196:
	v_lshl_add_u64 v[30:31], v[36:37], 1, v[28:29]
	flat_load_ushort v30, v[30:31]
	s_waitcnt vmcnt(0) lgkmcnt(0)
	v_mul_f16_e32 v30, s33, v30
	v_cvt_f32_f16_e32 v30, v30
	s_branch .LBB224_198
.LBB224_197:
	v_mov_b32_e32 v30, 0
.LBB224_198:
	v_pk_add_f16 v31, v12, v26
	v_max_f16_e32 v48, v89, v89
	v_pk_add_f16 v50, v13, v27
	v_min_f16_e32 v48, v48, v31
	v_lshrrev_b32_e32 v49, 16, v89
	v_lshrrev_b32_e32 v31, 16, v31
	v_lshrrev_b32_e32 v51, 16, v50
	v_min3_f16 v31, v49, v31, v51
	v_min3_f16 v31, v48, v50, v31
	v_cvt_f32_f16_e32 v31, v31
	v_max_f32_e32 v30, v30, v30
	v_min_f32_e32 v30, v30, v31
	v_cvt_f16_f32_e32 v48, v30
	v_lshl_add_u64 v[30:31], v[36:37], 1, v[24:25]
	flat_store_short v[30:31], v48
	s_or_b64 exec, exec, s[26:27]
	s_and_b64 s[30:31], s[8:9], s[18:19]
	s_and_saveexec_b64 s[26:27], s[30:31]
	s_cbranch_execz .LBB224_183
.LBB224_199:
	s_and_b64 vcc, exec, s[0:1]
	s_cbranch_vccnz .LBB224_201
; %bb.200:
	v_lshl_add_u64 v[30:31], v[38:39], 1, v[28:29]
	flat_load_ushort v30, v[30:31]
	s_waitcnt vmcnt(0) lgkmcnt(0)
	v_mul_f16_e32 v30, s33, v30
	v_cvt_f32_f16_e32 v30, v30
	s_branch .LBB224_202
.LBB224_201:
	v_mov_b32_e32 v30, 0
.LBB224_202:
	v_pk_add_f16 v31, v14, v26
	v_max_f16_e32 v48, v88, v88
	v_pk_add_f16 v50, v15, v27
	v_min_f16_e32 v48, v48, v31
	v_lshrrev_b32_e32 v49, 16, v88
	v_lshrrev_b32_e32 v31, 16, v31
	;; [unrolled: 1-line block ×3, first 2 shown]
	v_min3_f16 v31, v49, v31, v51
	v_min3_f16 v31, v48, v50, v31
	v_cvt_f32_f16_e32 v31, v31
	v_max_f32_e32 v30, v30, v30
	v_min_f32_e32 v30, v30, v31
	v_cvt_f16_f32_e32 v48, v30
	v_lshl_add_u64 v[30:31], v[38:39], 1, v[24:25]
	flat_store_short v[30:31], v48
	s_or_b64 exec, exec, s[26:27]
	s_and_b64 s[30:31], s[10:11], s[18:19]
	s_and_saveexec_b64 s[26:27], s[30:31]
	s_cbranch_execz .LBB224_184
.LBB224_203:
	s_and_b64 vcc, exec, s[0:1]
	s_cbranch_vccnz .LBB224_205
; %bb.204:
	v_lshl_add_u64 v[30:31], v[40:41], 1, v[28:29]
	flat_load_ushort v30, v[30:31]
	s_waitcnt vmcnt(0) lgkmcnt(0)
	v_mul_f16_e32 v30, s33, v30
	v_cvt_f32_f16_e32 v30, v30
	s_branch .LBB224_206
.LBB224_205:
	v_mov_b32_e32 v30, 0
.LBB224_206:
	v_pk_add_f16 v31, v8, v26
	v_max_f16_e32 v48, v87, v87
	v_pk_add_f16 v50, v9, v27
	v_min_f16_e32 v48, v48, v31
	v_lshrrev_b32_e32 v49, 16, v87
	v_lshrrev_b32_e32 v31, 16, v31
	;; [unrolled: 1-line block ×3, first 2 shown]
	v_min3_f16 v31, v49, v31, v51
	v_min3_f16 v31, v48, v50, v31
	v_cvt_f32_f16_e32 v31, v31
	v_max_f32_e32 v30, v30, v30
	v_min_f32_e32 v30, v30, v31
	v_cvt_f16_f32_e32 v48, v30
	v_lshl_add_u64 v[30:31], v[40:41], 1, v[24:25]
	flat_store_short v[30:31], v48
	s_or_b64 exec, exec, s[26:27]
	s_and_b64 s[30:31], s[12:13], s[18:19]
	s_and_saveexec_b64 s[26:27], s[30:31]
	s_cbranch_execz .LBB224_185
.LBB224_207:
	s_and_b64 vcc, exec, s[0:1]
	s_cbranch_vccnz .LBB224_209
; %bb.208:
	v_lshl_add_u64 v[30:31], v[42:43], 1, v[28:29]
	flat_load_ushort v30, v[30:31]
	s_waitcnt vmcnt(0) lgkmcnt(0)
	v_mul_f16_e32 v30, s33, v30
	v_cvt_f32_f16_e32 v30, v30
	s_branch .LBB224_210
.LBB224_209:
	v_mov_b32_e32 v30, 0
.LBB224_210:
	v_pk_add_f16 v31, v10, v26
	v_max_f16_e32 v48, v86, v86
	v_pk_add_f16 v50, v11, v27
	v_min_f16_e32 v48, v48, v31
	v_lshrrev_b32_e32 v49, 16, v86
	v_lshrrev_b32_e32 v31, 16, v31
	;; [unrolled: 1-line block ×3, first 2 shown]
	v_min3_f16 v31, v49, v31, v51
	v_min3_f16 v31, v48, v50, v31
	v_cvt_f32_f16_e32 v31, v31
	v_max_f32_e32 v30, v30, v30
	v_min_f32_e32 v30, v30, v31
	v_cvt_f16_f32_e32 v48, v30
	v_lshl_add_u64 v[30:31], v[42:43], 1, v[24:25]
	flat_store_short v[30:31], v48
	s_or_b64 exec, exec, s[26:27]
	s_and_b64 s[30:31], s[14:15], s[18:19]
	s_and_saveexec_b64 s[26:27], s[30:31]
	s_cbranch_execz .LBB224_186
.LBB224_211:
	s_and_b64 vcc, exec, s[0:1]
	s_cbranch_vccnz .LBB224_213
; %bb.212:
	v_lshl_add_u64 v[30:31], v[44:45], 1, v[28:29]
	flat_load_ushort v30, v[30:31]
	s_waitcnt vmcnt(0) lgkmcnt(0)
	v_mul_f16_e32 v30, s33, v30
	v_cvt_f32_f16_e32 v30, v30
	s_branch .LBB224_214
.LBB224_213:
	v_mov_b32_e32 v30, 0
.LBB224_214:
	v_pk_add_f16 v31, v0, v26
	v_max_f16_e32 v48, v85, v85
	v_pk_add_f16 v50, v1, v27
	v_min_f16_e32 v48, v48, v31
	v_lshrrev_b32_e32 v49, 16, v85
	v_lshrrev_b32_e32 v31, 16, v31
	;; [unrolled: 1-line block ×3, first 2 shown]
	v_min3_f16 v31, v49, v31, v51
	v_min3_f16 v31, v48, v50, v31
	v_cvt_f32_f16_e32 v31, v31
	v_max_f32_e32 v30, v30, v30
	v_min_f32_e32 v30, v30, v31
	v_cvt_f16_f32_e32 v48, v30
	v_lshl_add_u64 v[30:31], v[44:45], 1, v[24:25]
	flat_store_short v[30:31], v48
	s_or_b64 exec, exec, s[26:27]
	s_and_b64 s[26:27], s[16:17], s[18:19]
	s_and_saveexec_b64 s[18:19], s[26:27]
	s_cbranch_execz .LBB224_219
.LBB224_215:
	s_and_b64 vcc, exec, s[0:1]
	s_cbranch_vccnz .LBB224_217
; %bb.216:
	v_lshl_add_u64 v[28:29], v[46:47], 1, v[28:29]
	flat_load_ushort v28, v[28:29]
	s_waitcnt vmcnt(0) lgkmcnt(0)
	v_mul_f16_e32 v28, s33, v28
	v_cvt_f32_f16_e32 v28, v28
	s_branch .LBB224_218
.LBB224_217:
	v_mov_b32_e32 v28, 0
.LBB224_218:
	v_pk_add_f16 v26, v2, v26
	v_max_f16_e32 v29, v84, v84
	v_pk_add_f16 v27, v3, v27
	v_min_f16_e32 v29, v29, v26
	v_lshrrev_b32_e32 v30, 16, v84
	v_lshrrev_b32_e32 v26, 16, v26
	;; [unrolled: 1-line block ×3, first 2 shown]
	v_min3_f16 v26, v30, v26, v31
	v_min3_f16 v26, v29, v27, v26
	v_cvt_f32_f16_e32 v26, v26
	v_max_f32_e32 v27, v28, v28
	v_lshl_add_u64 v[24:25], v[46:47], 1, v[24:25]
	v_min_f32_e32 v26, v27, v26
	v_cvt_f16_f32_e32 v26, v26
	flat_store_short v[24:25], v26
.LBB224_219:
	s_or_b64 exec, exec, s[18:19]
	v_add_u32_e32 v28, 0x80, v92
	v_mad_i64_i32 v[24:25], s[26:27], v28, s29, 0
	v_cmp_gt_i32_e64 s[18:19], s21, v28
	v_lshl_add_u64 v[26:27], v[24:25], 1, s[24:25]
	v_mad_i64_i32 v[24:25], s[26:27], v28, s28, 0
	v_lshl_add_u64 v[24:25], v[24:25], 1, s[22:23]
	s_and_b64 s[30:31], s[2:3], s[18:19]
	s_and_saveexec_b64 s[26:27], s[30:31]
	s_cbranch_execnz .LBB224_227
; %bb.220:
	s_or_b64 exec, exec, s[26:27]
	s_and_b64 s[30:31], s[4:5], s[18:19]
	s_and_saveexec_b64 s[26:27], s[30:31]
	s_cbranch_execnz .LBB224_231
.LBB224_221:
	s_or_b64 exec, exec, s[26:27]
	s_and_b64 s[30:31], s[6:7], s[18:19]
	s_and_saveexec_b64 s[26:27], s[30:31]
	s_cbranch_execnz .LBB224_235
.LBB224_222:
	s_or_b64 exec, exec, s[26:27]
	s_and_b64 s[30:31], s[8:9], s[18:19]
	s_and_saveexec_b64 s[26:27], s[30:31]
	s_cbranch_execnz .LBB224_239
.LBB224_223:
	s_or_b64 exec, exec, s[26:27]
	s_and_b64 s[30:31], s[10:11], s[18:19]
	s_and_saveexec_b64 s[26:27], s[30:31]
	s_cbranch_execnz .LBB224_243
.LBB224_224:
	s_or_b64 exec, exec, s[26:27]
	s_and_b64 s[30:31], s[12:13], s[18:19]
	s_and_saveexec_b64 s[26:27], s[30:31]
	s_cbranch_execnz .LBB224_247
.LBB224_225:
	s_or_b64 exec, exec, s[26:27]
	s_and_b64 s[30:31], s[14:15], s[18:19]
	s_and_saveexec_b64 s[26:27], s[30:31]
	s_cbranch_execnz .LBB224_251
.LBB224_226:
	s_or_b64 exec, exec, s[26:27]
	s_and_b64 s[26:27], s[16:17], s[18:19]
	s_and_saveexec_b64 s[18:19], s[26:27]
	s_cbranch_execnz .LBB224_255
	s_branch .LBB224_259
.LBB224_227:
	s_and_b64 vcc, exec, s[0:1]
	s_cbranch_vccnz .LBB224_229
; %bb.228:
	v_lshl_add_u64 v[28:29], v[32:33], 1, v[26:27]
	flat_load_ushort v28, v[28:29]
	s_waitcnt vmcnt(0) lgkmcnt(0)
	v_mul_f16_e32 v28, s33, v28
	v_cvt_f32_f16_e32 v28, v28
	s_branch .LBB224_230
.LBB224_229:
	v_mov_b32_e32 v28, 0
.LBB224_230:
	v_pk_add_f16 v29, v16, v20
	v_max_f16_e32 v30, v83, v83
	v_pk_add_f16 v48, v17, v21
	v_min_f16_e32 v30, v30, v29
	v_lshrrev_b32_e32 v31, 16, v83
	v_lshrrev_b32_e32 v29, 16, v29
	;; [unrolled: 1-line block ×3, first 2 shown]
	v_min3_f16 v29, v31, v29, v49
	v_min3_f16 v29, v30, v48, v29
	v_cvt_f32_f16_e32 v29, v29
	v_max_f32_e32 v28, v28, v28
	v_min_f32_e32 v28, v28, v29
	v_cvt_f16_f32_e32 v30, v28
	v_lshl_add_u64 v[28:29], v[32:33], 1, v[24:25]
	flat_store_short v[28:29], v30
	s_or_b64 exec, exec, s[26:27]
	s_and_b64 s[30:31], s[4:5], s[18:19]
	s_and_saveexec_b64 s[26:27], s[30:31]
	s_cbranch_execz .LBB224_221
.LBB224_231:
	s_and_b64 vcc, exec, s[0:1]
	s_cbranch_vccnz .LBB224_233
; %bb.232:
	v_lshl_add_u64 v[28:29], v[34:35], 1, v[26:27]
	flat_load_ushort v28, v[28:29]
	s_waitcnt vmcnt(0) lgkmcnt(0)
	v_mul_f16_e32 v28, s33, v28
	v_cvt_f32_f16_e32 v28, v28
	s_branch .LBB224_234
.LBB224_233:
	v_mov_b32_e32 v28, 0
.LBB224_234:
	v_pk_add_f16 v29, v18, v20
	v_max_f16_e32 v30, v82, v82
	v_pk_add_f16 v48, v19, v21
	v_min_f16_e32 v30, v30, v29
	v_lshrrev_b32_e32 v31, 16, v82
	v_lshrrev_b32_e32 v29, 16, v29
	;; [unrolled: 1-line block ×3, first 2 shown]
	v_min3_f16 v29, v31, v29, v49
	v_min3_f16 v29, v30, v48, v29
	v_cvt_f32_f16_e32 v29, v29
	v_max_f32_e32 v28, v28, v28
	v_min_f32_e32 v28, v28, v29
	v_cvt_f16_f32_e32 v30, v28
	v_lshl_add_u64 v[28:29], v[34:35], 1, v[24:25]
	flat_store_short v[28:29], v30
	s_or_b64 exec, exec, s[26:27]
	s_and_b64 s[30:31], s[6:7], s[18:19]
	s_and_saveexec_b64 s[26:27], s[30:31]
	s_cbranch_execz .LBB224_222
.LBB224_235:
	s_and_b64 vcc, exec, s[0:1]
	s_cbranch_vccnz .LBB224_237
; %bb.236:
	v_lshl_add_u64 v[28:29], v[36:37], 1, v[26:27]
	flat_load_ushort v28, v[28:29]
	s_waitcnt vmcnt(0) lgkmcnt(0)
	v_mul_f16_e32 v28, s33, v28
	v_cvt_f32_f16_e32 v28, v28
	s_branch .LBB224_238
.LBB224_237:
	v_mov_b32_e32 v28, 0
.LBB224_238:
	v_pk_add_f16 v29, v12, v20
	v_max_f16_e32 v30, v81, v81
	v_pk_add_f16 v48, v13, v21
	v_min_f16_e32 v30, v30, v29
	v_lshrrev_b32_e32 v31, 16, v81
	v_lshrrev_b32_e32 v29, 16, v29
	;; [unrolled: 1-line block ×3, first 2 shown]
	v_min3_f16 v29, v31, v29, v49
	v_min3_f16 v29, v30, v48, v29
	v_cvt_f32_f16_e32 v29, v29
	v_max_f32_e32 v28, v28, v28
	v_min_f32_e32 v28, v28, v29
	v_cvt_f16_f32_e32 v30, v28
	v_lshl_add_u64 v[28:29], v[36:37], 1, v[24:25]
	flat_store_short v[28:29], v30
	s_or_b64 exec, exec, s[26:27]
	s_and_b64 s[30:31], s[8:9], s[18:19]
	s_and_saveexec_b64 s[26:27], s[30:31]
	s_cbranch_execz .LBB224_223
.LBB224_239:
	s_and_b64 vcc, exec, s[0:1]
	s_cbranch_vccnz .LBB224_241
; %bb.240:
	v_lshl_add_u64 v[28:29], v[38:39], 1, v[26:27]
	flat_load_ushort v28, v[28:29]
	s_waitcnt vmcnt(0) lgkmcnt(0)
	v_mul_f16_e32 v28, s33, v28
	v_cvt_f32_f16_e32 v28, v28
	s_branch .LBB224_242
.LBB224_241:
	v_mov_b32_e32 v28, 0
.LBB224_242:
	v_pk_add_f16 v29, v14, v20
	v_max_f16_e32 v30, v80, v80
	v_pk_add_f16 v48, v15, v21
	v_min_f16_e32 v30, v30, v29
	v_lshrrev_b32_e32 v31, 16, v80
	v_lshrrev_b32_e32 v29, 16, v29
	;; [unrolled: 1-line block ×3, first 2 shown]
	v_min3_f16 v29, v31, v29, v49
	v_min3_f16 v29, v30, v48, v29
	v_cvt_f32_f16_e32 v29, v29
	v_max_f32_e32 v28, v28, v28
	v_min_f32_e32 v28, v28, v29
	v_cvt_f16_f32_e32 v30, v28
	v_lshl_add_u64 v[28:29], v[38:39], 1, v[24:25]
	flat_store_short v[28:29], v30
	s_or_b64 exec, exec, s[26:27]
	s_and_b64 s[30:31], s[10:11], s[18:19]
	s_and_saveexec_b64 s[26:27], s[30:31]
	s_cbranch_execz .LBB224_224
.LBB224_243:
	s_and_b64 vcc, exec, s[0:1]
	s_cbranch_vccnz .LBB224_245
; %bb.244:
	v_lshl_add_u64 v[28:29], v[40:41], 1, v[26:27]
	flat_load_ushort v28, v[28:29]
	s_waitcnt vmcnt(0) lgkmcnt(0)
	v_mul_f16_e32 v28, s33, v28
	v_cvt_f32_f16_e32 v28, v28
	s_branch .LBB224_246
.LBB224_245:
	v_mov_b32_e32 v28, 0
.LBB224_246:
	v_pk_add_f16 v29, v8, v20
	v_max_f16_e32 v30, v79, v79
	v_pk_add_f16 v48, v9, v21
	v_min_f16_e32 v30, v30, v29
	v_lshrrev_b32_e32 v31, 16, v79
	v_lshrrev_b32_e32 v29, 16, v29
	;; [unrolled: 1-line block ×3, first 2 shown]
	v_min3_f16 v29, v31, v29, v49
	v_min3_f16 v29, v30, v48, v29
	v_cvt_f32_f16_e32 v29, v29
	v_max_f32_e32 v28, v28, v28
	v_min_f32_e32 v28, v28, v29
	v_cvt_f16_f32_e32 v30, v28
	v_lshl_add_u64 v[28:29], v[40:41], 1, v[24:25]
	flat_store_short v[28:29], v30
	s_or_b64 exec, exec, s[26:27]
	s_and_b64 s[30:31], s[12:13], s[18:19]
	s_and_saveexec_b64 s[26:27], s[30:31]
	s_cbranch_execz .LBB224_225
.LBB224_247:
	s_and_b64 vcc, exec, s[0:1]
	s_cbranch_vccnz .LBB224_249
; %bb.248:
	v_lshl_add_u64 v[28:29], v[42:43], 1, v[26:27]
	flat_load_ushort v28, v[28:29]
	s_waitcnt vmcnt(0) lgkmcnt(0)
	v_mul_f16_e32 v28, s33, v28
	v_cvt_f32_f16_e32 v28, v28
	s_branch .LBB224_250
.LBB224_249:
	v_mov_b32_e32 v28, 0
.LBB224_250:
	v_pk_add_f16 v29, v10, v20
	v_max_f16_e32 v30, v78, v78
	v_pk_add_f16 v48, v11, v21
	v_min_f16_e32 v30, v30, v29
	v_lshrrev_b32_e32 v31, 16, v78
	v_lshrrev_b32_e32 v29, 16, v29
	;; [unrolled: 1-line block ×3, first 2 shown]
	v_min3_f16 v29, v31, v29, v49
	v_min3_f16 v29, v30, v48, v29
	v_cvt_f32_f16_e32 v29, v29
	v_max_f32_e32 v28, v28, v28
	v_min_f32_e32 v28, v28, v29
	v_cvt_f16_f32_e32 v30, v28
	v_lshl_add_u64 v[28:29], v[42:43], 1, v[24:25]
	flat_store_short v[28:29], v30
	s_or_b64 exec, exec, s[26:27]
	s_and_b64 s[30:31], s[14:15], s[18:19]
	s_and_saveexec_b64 s[26:27], s[30:31]
	s_cbranch_execz .LBB224_226
.LBB224_251:
	s_and_b64 vcc, exec, s[0:1]
	s_cbranch_vccnz .LBB224_253
; %bb.252:
	v_lshl_add_u64 v[28:29], v[44:45], 1, v[26:27]
	flat_load_ushort v28, v[28:29]
	s_waitcnt vmcnt(0) lgkmcnt(0)
	v_mul_f16_e32 v28, s33, v28
	v_cvt_f32_f16_e32 v28, v28
	s_branch .LBB224_254
.LBB224_253:
	v_mov_b32_e32 v28, 0
.LBB224_254:
	v_pk_add_f16 v29, v0, v20
	v_max_f16_e32 v30, v77, v77
	v_pk_add_f16 v48, v1, v21
	v_min_f16_e32 v30, v30, v29
	v_lshrrev_b32_e32 v31, 16, v77
	v_lshrrev_b32_e32 v29, 16, v29
	;; [unrolled: 1-line block ×3, first 2 shown]
	v_min3_f16 v29, v31, v29, v49
	v_min3_f16 v29, v30, v48, v29
	v_cvt_f32_f16_e32 v29, v29
	v_max_f32_e32 v28, v28, v28
	v_min_f32_e32 v28, v28, v29
	v_cvt_f16_f32_e32 v30, v28
	v_lshl_add_u64 v[28:29], v[44:45], 1, v[24:25]
	flat_store_short v[28:29], v30
	s_or_b64 exec, exec, s[26:27]
	s_and_b64 s[26:27], s[16:17], s[18:19]
	s_and_saveexec_b64 s[18:19], s[26:27]
	s_cbranch_execz .LBB224_259
.LBB224_255:
	s_and_b64 vcc, exec, s[0:1]
	s_cbranch_vccnz .LBB224_257
; %bb.256:
	v_lshl_add_u64 v[26:27], v[46:47], 1, v[26:27]
	flat_load_ushort v26, v[26:27]
	s_waitcnt vmcnt(0) lgkmcnt(0)
	v_mul_f16_e32 v26, s33, v26
	v_cvt_f32_f16_e32 v26, v26
	s_branch .LBB224_258
.LBB224_257:
	v_mov_b32_e32 v26, 0
.LBB224_258:
	v_pk_add_f16 v20, v2, v20
	v_max_f16_e32 v27, v76, v76
	v_pk_add_f16 v21, v3, v21
	v_min_f16_e32 v27, v27, v20
	v_lshrrev_b32_e32 v28, 16, v76
	v_lshrrev_b32_e32 v20, 16, v20
	;; [unrolled: 1-line block ×3, first 2 shown]
	v_min3_f16 v20, v28, v20, v29
	v_min3_f16 v20, v27, v21, v20
	v_cvt_f32_f16_e32 v20, v20
	v_max_f32_e32 v21, v26, v26
	v_min_f32_e32 v20, v21, v20
	v_cvt_f16_f32_e32 v26, v20
	v_lshl_add_u64 v[20:21], v[46:47], 1, v[24:25]
	flat_store_short v[20:21], v26
.LBB224_259:
	s_or_b64 exec, exec, s[18:19]
	v_add_u32_e32 v26, 0xa0, v92
	v_mad_i64_i32 v[20:21], s[26:27], v26, s29, 0
	v_cmp_gt_i32_e64 s[18:19], s21, v26
	v_lshl_add_u64 v[24:25], v[20:21], 1, s[24:25]
	v_mad_i64_i32 v[20:21], s[26:27], v26, s28, 0
	v_lshl_add_u64 v[20:21], v[20:21], 1, s[22:23]
	s_and_b64 s[30:31], s[2:3], s[18:19]
	s_and_saveexec_b64 s[26:27], s[30:31]
	s_cbranch_execnz .LBB224_267
; %bb.260:
	s_or_b64 exec, exec, s[26:27]
	s_and_b64 s[30:31], s[4:5], s[18:19]
	s_and_saveexec_b64 s[26:27], s[30:31]
	s_cbranch_execnz .LBB224_271
.LBB224_261:
	s_or_b64 exec, exec, s[26:27]
	s_and_b64 s[30:31], s[6:7], s[18:19]
	s_and_saveexec_b64 s[26:27], s[30:31]
	s_cbranch_execnz .LBB224_275
.LBB224_262:
	s_or_b64 exec, exec, s[26:27]
	s_and_b64 s[30:31], s[8:9], s[18:19]
	s_and_saveexec_b64 s[26:27], s[30:31]
	s_cbranch_execnz .LBB224_279
.LBB224_263:
	s_or_b64 exec, exec, s[26:27]
	s_and_b64 s[30:31], s[10:11], s[18:19]
	s_and_saveexec_b64 s[26:27], s[30:31]
	s_cbranch_execnz .LBB224_283
.LBB224_264:
	s_or_b64 exec, exec, s[26:27]
	s_and_b64 s[30:31], s[12:13], s[18:19]
	s_and_saveexec_b64 s[26:27], s[30:31]
	s_cbranch_execnz .LBB224_287
.LBB224_265:
	s_or_b64 exec, exec, s[26:27]
	s_and_b64 s[30:31], s[14:15], s[18:19]
	s_and_saveexec_b64 s[26:27], s[30:31]
	s_cbranch_execnz .LBB224_291
.LBB224_266:
	s_or_b64 exec, exec, s[26:27]
	s_and_b64 s[26:27], s[16:17], s[18:19]
	s_and_saveexec_b64 s[18:19], s[26:27]
	s_cbranch_execnz .LBB224_295
	s_branch .LBB224_299
.LBB224_267:
	s_and_b64 vcc, exec, s[0:1]
	s_cbranch_vccnz .LBB224_269
; %bb.268:
	v_lshl_add_u64 v[26:27], v[32:33], 1, v[24:25]
	flat_load_ushort v26, v[26:27]
	s_waitcnt vmcnt(0) lgkmcnt(0)
	v_mul_f16_e32 v26, s33, v26
	v_cvt_f32_f16_e32 v26, v26
	s_branch .LBB224_270
.LBB224_269:
	v_mov_b32_e32 v26, 0
.LBB224_270:
	v_pk_add_f16 v27, v16, v22
	v_max_f16_e32 v28, v75, v75
	v_pk_add_f16 v30, v17, v23
	v_min_f16_e32 v28, v28, v27
	v_lshrrev_b32_e32 v29, 16, v75
	v_lshrrev_b32_e32 v27, 16, v27
	;; [unrolled: 1-line block ×3, first 2 shown]
	v_min3_f16 v27, v29, v27, v31
	v_min3_f16 v27, v28, v30, v27
	v_cvt_f32_f16_e32 v27, v27
	v_max_f32_e32 v26, v26, v26
	v_min_f32_e32 v26, v26, v27
	v_cvt_f16_f32_e32 v28, v26
	v_lshl_add_u64 v[26:27], v[32:33], 1, v[20:21]
	flat_store_short v[26:27], v28
	s_or_b64 exec, exec, s[26:27]
	s_and_b64 s[30:31], s[4:5], s[18:19]
	s_and_saveexec_b64 s[26:27], s[30:31]
	s_cbranch_execz .LBB224_261
.LBB224_271:
	s_and_b64 vcc, exec, s[0:1]
	s_cbranch_vccnz .LBB224_273
; %bb.272:
	v_lshl_add_u64 v[26:27], v[34:35], 1, v[24:25]
	flat_load_ushort v26, v[26:27]
	s_waitcnt vmcnt(0) lgkmcnt(0)
	v_mul_f16_e32 v26, s33, v26
	v_cvt_f32_f16_e32 v26, v26
	s_branch .LBB224_274
.LBB224_273:
	v_mov_b32_e32 v26, 0
.LBB224_274:
	v_pk_add_f16 v27, v18, v22
	v_max_f16_e32 v28, v74, v74
	v_pk_add_f16 v30, v19, v23
	v_min_f16_e32 v28, v28, v27
	v_lshrrev_b32_e32 v29, 16, v74
	v_lshrrev_b32_e32 v27, 16, v27
	;; [unrolled: 1-line block ×3, first 2 shown]
	v_min3_f16 v27, v29, v27, v31
	v_min3_f16 v27, v28, v30, v27
	v_cvt_f32_f16_e32 v27, v27
	v_max_f32_e32 v26, v26, v26
	v_min_f32_e32 v26, v26, v27
	v_cvt_f16_f32_e32 v28, v26
	v_lshl_add_u64 v[26:27], v[34:35], 1, v[20:21]
	flat_store_short v[26:27], v28
	s_or_b64 exec, exec, s[26:27]
	s_and_b64 s[30:31], s[6:7], s[18:19]
	s_and_saveexec_b64 s[26:27], s[30:31]
	s_cbranch_execz .LBB224_262
.LBB224_275:
	s_and_b64 vcc, exec, s[0:1]
	s_cbranch_vccnz .LBB224_277
; %bb.276:
	v_lshl_add_u64 v[26:27], v[36:37], 1, v[24:25]
	flat_load_ushort v26, v[26:27]
	s_waitcnt vmcnt(0) lgkmcnt(0)
	v_mul_f16_e32 v26, s33, v26
	v_cvt_f32_f16_e32 v26, v26
	s_branch .LBB224_278
.LBB224_277:
	v_mov_b32_e32 v26, 0
.LBB224_278:
	v_pk_add_f16 v27, v12, v22
	v_max_f16_e32 v28, v73, v73
	v_pk_add_f16 v30, v13, v23
	v_min_f16_e32 v28, v28, v27
	v_lshrrev_b32_e32 v29, 16, v73
	v_lshrrev_b32_e32 v27, 16, v27
	;; [unrolled: 1-line block ×3, first 2 shown]
	v_min3_f16 v27, v29, v27, v31
	v_min3_f16 v27, v28, v30, v27
	v_cvt_f32_f16_e32 v27, v27
	v_max_f32_e32 v26, v26, v26
	v_min_f32_e32 v26, v26, v27
	v_cvt_f16_f32_e32 v28, v26
	v_lshl_add_u64 v[26:27], v[36:37], 1, v[20:21]
	flat_store_short v[26:27], v28
	s_or_b64 exec, exec, s[26:27]
	s_and_b64 s[30:31], s[8:9], s[18:19]
	s_and_saveexec_b64 s[26:27], s[30:31]
	s_cbranch_execz .LBB224_263
.LBB224_279:
	s_and_b64 vcc, exec, s[0:1]
	s_cbranch_vccnz .LBB224_281
; %bb.280:
	v_lshl_add_u64 v[26:27], v[38:39], 1, v[24:25]
	flat_load_ushort v26, v[26:27]
	s_waitcnt vmcnt(0) lgkmcnt(0)
	v_mul_f16_e32 v26, s33, v26
	v_cvt_f32_f16_e32 v26, v26
	s_branch .LBB224_282
.LBB224_281:
	v_mov_b32_e32 v26, 0
.LBB224_282:
	v_pk_add_f16 v27, v14, v22
	v_max_f16_e32 v28, v72, v72
	v_pk_add_f16 v30, v15, v23
	v_min_f16_e32 v28, v28, v27
	v_lshrrev_b32_e32 v29, 16, v72
	v_lshrrev_b32_e32 v27, 16, v27
	;; [unrolled: 1-line block ×3, first 2 shown]
	v_min3_f16 v27, v29, v27, v31
	v_min3_f16 v27, v28, v30, v27
	v_cvt_f32_f16_e32 v27, v27
	v_max_f32_e32 v26, v26, v26
	v_min_f32_e32 v26, v26, v27
	v_cvt_f16_f32_e32 v28, v26
	v_lshl_add_u64 v[26:27], v[38:39], 1, v[20:21]
	flat_store_short v[26:27], v28
	s_or_b64 exec, exec, s[26:27]
	s_and_b64 s[30:31], s[10:11], s[18:19]
	s_and_saveexec_b64 s[26:27], s[30:31]
	s_cbranch_execz .LBB224_264
.LBB224_283:
	s_and_b64 vcc, exec, s[0:1]
	s_cbranch_vccnz .LBB224_285
; %bb.284:
	v_lshl_add_u64 v[26:27], v[40:41], 1, v[24:25]
	flat_load_ushort v26, v[26:27]
	s_waitcnt vmcnt(0) lgkmcnt(0)
	v_mul_f16_e32 v26, s33, v26
	v_cvt_f32_f16_e32 v26, v26
	s_branch .LBB224_286
.LBB224_285:
	v_mov_b32_e32 v26, 0
.LBB224_286:
	v_pk_add_f16 v27, v8, v22
	v_max_f16_e32 v28, v71, v71
	v_pk_add_f16 v30, v9, v23
	v_min_f16_e32 v28, v28, v27
	v_lshrrev_b32_e32 v29, 16, v71
	v_lshrrev_b32_e32 v27, 16, v27
	;; [unrolled: 1-line block ×3, first 2 shown]
	v_min3_f16 v27, v29, v27, v31
	v_min3_f16 v27, v28, v30, v27
	v_cvt_f32_f16_e32 v27, v27
	v_max_f32_e32 v26, v26, v26
	v_min_f32_e32 v26, v26, v27
	v_cvt_f16_f32_e32 v28, v26
	v_lshl_add_u64 v[26:27], v[40:41], 1, v[20:21]
	flat_store_short v[26:27], v28
	s_or_b64 exec, exec, s[26:27]
	s_and_b64 s[30:31], s[12:13], s[18:19]
	s_and_saveexec_b64 s[26:27], s[30:31]
	s_cbranch_execz .LBB224_265
.LBB224_287:
	s_and_b64 vcc, exec, s[0:1]
	s_cbranch_vccnz .LBB224_289
; %bb.288:
	v_lshl_add_u64 v[26:27], v[42:43], 1, v[24:25]
	flat_load_ushort v26, v[26:27]
	s_waitcnt vmcnt(0) lgkmcnt(0)
	v_mul_f16_e32 v26, s33, v26
	v_cvt_f32_f16_e32 v26, v26
	s_branch .LBB224_290
.LBB224_289:
	v_mov_b32_e32 v26, 0
.LBB224_290:
	v_pk_add_f16 v27, v10, v22
	v_max_f16_e32 v28, v70, v70
	v_pk_add_f16 v30, v11, v23
	v_min_f16_e32 v28, v28, v27
	v_lshrrev_b32_e32 v29, 16, v70
	v_lshrrev_b32_e32 v27, 16, v27
	;; [unrolled: 1-line block ×3, first 2 shown]
	v_min3_f16 v27, v29, v27, v31
	v_min3_f16 v27, v28, v30, v27
	v_cvt_f32_f16_e32 v27, v27
	v_max_f32_e32 v26, v26, v26
	v_min_f32_e32 v26, v26, v27
	v_cvt_f16_f32_e32 v28, v26
	v_lshl_add_u64 v[26:27], v[42:43], 1, v[20:21]
	flat_store_short v[26:27], v28
	s_or_b64 exec, exec, s[26:27]
	s_and_b64 s[30:31], s[14:15], s[18:19]
	s_and_saveexec_b64 s[26:27], s[30:31]
	s_cbranch_execz .LBB224_266
.LBB224_291:
	s_and_b64 vcc, exec, s[0:1]
	s_cbranch_vccnz .LBB224_293
; %bb.292:
	v_lshl_add_u64 v[26:27], v[44:45], 1, v[24:25]
	flat_load_ushort v26, v[26:27]
	s_waitcnt vmcnt(0) lgkmcnt(0)
	v_mul_f16_e32 v26, s33, v26
	v_cvt_f32_f16_e32 v26, v26
	s_branch .LBB224_294
.LBB224_293:
	v_mov_b32_e32 v26, 0
.LBB224_294:
	v_pk_add_f16 v27, v0, v22
	v_max_f16_e32 v28, v69, v69
	v_pk_add_f16 v30, v1, v23
	v_min_f16_e32 v28, v28, v27
	v_lshrrev_b32_e32 v29, 16, v69
	v_lshrrev_b32_e32 v27, 16, v27
	v_lshrrev_b32_e32 v31, 16, v30
	v_min3_f16 v27, v29, v27, v31
	v_min3_f16 v27, v28, v30, v27
	v_cvt_f32_f16_e32 v27, v27
	v_max_f32_e32 v26, v26, v26
	v_min_f32_e32 v26, v26, v27
	v_cvt_f16_f32_e32 v28, v26
	v_lshl_add_u64 v[26:27], v[44:45], 1, v[20:21]
	flat_store_short v[26:27], v28
	s_or_b64 exec, exec, s[26:27]
	s_and_b64 s[26:27], s[16:17], s[18:19]
	s_and_saveexec_b64 s[18:19], s[26:27]
	s_cbranch_execz .LBB224_299
.LBB224_295:
	s_and_b64 vcc, exec, s[0:1]
	s_cbranch_vccnz .LBB224_297
; %bb.296:
	v_lshl_add_u64 v[24:25], v[46:47], 1, v[24:25]
	flat_load_ushort v24, v[24:25]
	s_waitcnt vmcnt(0) lgkmcnt(0)
	v_mul_f16_e32 v24, s33, v24
	v_cvt_f32_f16_e32 v24, v24
	s_branch .LBB224_298
.LBB224_297:
	v_mov_b32_e32 v24, 0
.LBB224_298:
	v_pk_add_f16 v22, v2, v22
	v_max_f16_e32 v25, v68, v68
	v_pk_add_f16 v23, v3, v23
	v_min_f16_e32 v25, v25, v22
	v_lshrrev_b32_e32 v26, 16, v68
	v_lshrrev_b32_e32 v22, 16, v22
	;; [unrolled: 1-line block ×3, first 2 shown]
	v_min3_f16 v22, v26, v22, v27
	v_min3_f16 v22, v25, v23, v22
	v_cvt_f32_f16_e32 v22, v22
	v_max_f32_e32 v23, v24, v24
	v_lshl_add_u64 v[20:21], v[46:47], 1, v[20:21]
	v_min_f32_e32 v22, v23, v22
	v_cvt_f16_f32_e32 v22, v22
	flat_store_short v[20:21], v22
.LBB224_299:
	s_or_b64 exec, exec, s[18:19]
	v_add_u32_e32 v24, 0xc0, v92
	v_mad_i64_i32 v[20:21], s[26:27], v24, s29, 0
	v_cmp_gt_i32_e64 s[18:19], s21, v24
	v_lshl_add_u64 v[22:23], v[20:21], 1, s[24:25]
	v_mad_i64_i32 v[20:21], s[26:27], v24, s28, 0
	v_lshl_add_u64 v[20:21], v[20:21], 1, s[22:23]
	s_and_b64 s[30:31], s[2:3], s[18:19]
	s_and_saveexec_b64 s[26:27], s[30:31]
	s_cbranch_execnz .LBB224_307
; %bb.300:
	s_or_b64 exec, exec, s[26:27]
	s_and_b64 s[30:31], s[4:5], s[18:19]
	s_and_saveexec_b64 s[26:27], s[30:31]
	s_cbranch_execnz .LBB224_311
.LBB224_301:
	s_or_b64 exec, exec, s[26:27]
	s_and_b64 s[30:31], s[6:7], s[18:19]
	s_and_saveexec_b64 s[26:27], s[30:31]
	s_cbranch_execnz .LBB224_315
.LBB224_302:
	s_or_b64 exec, exec, s[26:27]
	s_and_b64 s[30:31], s[8:9], s[18:19]
	s_and_saveexec_b64 s[26:27], s[30:31]
	s_cbranch_execnz .LBB224_319
.LBB224_303:
	s_or_b64 exec, exec, s[26:27]
	s_and_b64 s[30:31], s[10:11], s[18:19]
	s_and_saveexec_b64 s[26:27], s[30:31]
	s_cbranch_execnz .LBB224_323
.LBB224_304:
	s_or_b64 exec, exec, s[26:27]
	s_and_b64 s[30:31], s[12:13], s[18:19]
	s_and_saveexec_b64 s[26:27], s[30:31]
	s_cbranch_execnz .LBB224_327
.LBB224_305:
	s_or_b64 exec, exec, s[26:27]
	s_and_b64 s[30:31], s[14:15], s[18:19]
	s_and_saveexec_b64 s[26:27], s[30:31]
	s_cbranch_execnz .LBB224_331
.LBB224_306:
	s_or_b64 exec, exec, s[26:27]
	s_and_b64 s[26:27], s[16:17], s[18:19]
	s_and_saveexec_b64 s[18:19], s[26:27]
	s_cbranch_execnz .LBB224_335
	s_branch .LBB224_339
.LBB224_307:
	s_and_b64 vcc, exec, s[0:1]
	s_cbranch_vccnz .LBB224_309
; %bb.308:
	v_lshl_add_u64 v[24:25], v[32:33], 1, v[22:23]
	flat_load_ushort v24, v[24:25]
	s_waitcnt vmcnt(0) lgkmcnt(0)
	v_mul_f16_e32 v24, s33, v24
	v_cvt_f32_f16_e32 v24, v24
	s_branch .LBB224_310
.LBB224_309:
	v_mov_b32_e32 v24, 0
.LBB224_310:
	v_pk_add_f16 v25, v16, v4
	v_max_f16_e32 v26, v67, v67
	v_pk_add_f16 v28, v17, v5
	v_min_f16_e32 v26, v26, v25
	v_lshrrev_b32_e32 v27, 16, v67
	v_lshrrev_b32_e32 v25, 16, v25
	;; [unrolled: 1-line block ×3, first 2 shown]
	v_min3_f16 v25, v27, v25, v29
	v_min3_f16 v25, v26, v28, v25
	v_cvt_f32_f16_e32 v25, v25
	v_max_f32_e32 v24, v24, v24
	v_min_f32_e32 v24, v24, v25
	v_cvt_f16_f32_e32 v26, v24
	v_lshl_add_u64 v[24:25], v[32:33], 1, v[20:21]
	flat_store_short v[24:25], v26
	s_or_b64 exec, exec, s[26:27]
	s_and_b64 s[30:31], s[4:5], s[18:19]
	s_and_saveexec_b64 s[26:27], s[30:31]
	s_cbranch_execz .LBB224_301
.LBB224_311:
	s_and_b64 vcc, exec, s[0:1]
	s_cbranch_vccnz .LBB224_313
; %bb.312:
	v_lshl_add_u64 v[24:25], v[34:35], 1, v[22:23]
	flat_load_ushort v24, v[24:25]
	s_waitcnt vmcnt(0) lgkmcnt(0)
	v_mul_f16_e32 v24, s33, v24
	v_cvt_f32_f16_e32 v24, v24
	s_branch .LBB224_314
.LBB224_313:
	v_mov_b32_e32 v24, 0
.LBB224_314:
	v_pk_add_f16 v25, v18, v4
	v_max_f16_e32 v26, v66, v66
	v_pk_add_f16 v28, v19, v5
	v_min_f16_e32 v26, v26, v25
	v_lshrrev_b32_e32 v27, 16, v66
	v_lshrrev_b32_e32 v25, 16, v25
	;; [unrolled: 1-line block ×3, first 2 shown]
	v_min3_f16 v25, v27, v25, v29
	v_min3_f16 v25, v26, v28, v25
	v_cvt_f32_f16_e32 v25, v25
	v_max_f32_e32 v24, v24, v24
	v_min_f32_e32 v24, v24, v25
	v_cvt_f16_f32_e32 v26, v24
	v_lshl_add_u64 v[24:25], v[34:35], 1, v[20:21]
	flat_store_short v[24:25], v26
	s_or_b64 exec, exec, s[26:27]
	s_and_b64 s[30:31], s[6:7], s[18:19]
	s_and_saveexec_b64 s[26:27], s[30:31]
	s_cbranch_execz .LBB224_302
.LBB224_315:
	s_and_b64 vcc, exec, s[0:1]
	s_cbranch_vccnz .LBB224_317
; %bb.316:
	v_lshl_add_u64 v[24:25], v[36:37], 1, v[22:23]
	flat_load_ushort v24, v[24:25]
	s_waitcnt vmcnt(0) lgkmcnt(0)
	v_mul_f16_e32 v24, s33, v24
	v_cvt_f32_f16_e32 v24, v24
	s_branch .LBB224_318
.LBB224_317:
	v_mov_b32_e32 v24, 0
.LBB224_318:
	v_pk_add_f16 v25, v12, v4
	v_max_f16_e32 v26, v65, v65
	v_pk_add_f16 v28, v13, v5
	v_min_f16_e32 v26, v26, v25
	v_lshrrev_b32_e32 v27, 16, v65
	v_lshrrev_b32_e32 v25, 16, v25
	;; [unrolled: 1-line block ×3, first 2 shown]
	v_min3_f16 v25, v27, v25, v29
	v_min3_f16 v25, v26, v28, v25
	v_cvt_f32_f16_e32 v25, v25
	v_max_f32_e32 v24, v24, v24
	v_min_f32_e32 v24, v24, v25
	v_cvt_f16_f32_e32 v26, v24
	v_lshl_add_u64 v[24:25], v[36:37], 1, v[20:21]
	flat_store_short v[24:25], v26
	s_or_b64 exec, exec, s[26:27]
	s_and_b64 s[30:31], s[8:9], s[18:19]
	s_and_saveexec_b64 s[26:27], s[30:31]
	s_cbranch_execz .LBB224_303
.LBB224_319:
	s_and_b64 vcc, exec, s[0:1]
	s_cbranch_vccnz .LBB224_321
; %bb.320:
	v_lshl_add_u64 v[24:25], v[38:39], 1, v[22:23]
	flat_load_ushort v24, v[24:25]
	s_waitcnt vmcnt(0) lgkmcnt(0)
	v_mul_f16_e32 v24, s33, v24
	v_cvt_f32_f16_e32 v24, v24
	s_branch .LBB224_322
.LBB224_321:
	v_mov_b32_e32 v24, 0
.LBB224_322:
	v_pk_add_f16 v25, v14, v4
	v_max_f16_e32 v26, v64, v64
	v_pk_add_f16 v28, v15, v5
	v_min_f16_e32 v26, v26, v25
	v_lshrrev_b32_e32 v27, 16, v64
	v_lshrrev_b32_e32 v25, 16, v25
	v_lshrrev_b32_e32 v29, 16, v28
	v_min3_f16 v25, v27, v25, v29
	v_min3_f16 v25, v26, v28, v25
	v_cvt_f32_f16_e32 v25, v25
	v_max_f32_e32 v24, v24, v24
	v_min_f32_e32 v24, v24, v25
	v_cvt_f16_f32_e32 v26, v24
	v_lshl_add_u64 v[24:25], v[38:39], 1, v[20:21]
	flat_store_short v[24:25], v26
	s_or_b64 exec, exec, s[26:27]
	s_and_b64 s[30:31], s[10:11], s[18:19]
	s_and_saveexec_b64 s[26:27], s[30:31]
	s_cbranch_execz .LBB224_304
.LBB224_323:
	s_and_b64 vcc, exec, s[0:1]
	s_cbranch_vccnz .LBB224_325
; %bb.324:
	v_lshl_add_u64 v[24:25], v[40:41], 1, v[22:23]
	flat_load_ushort v24, v[24:25]
	s_waitcnt vmcnt(0) lgkmcnt(0)
	v_mul_f16_e32 v24, s33, v24
	v_cvt_f32_f16_e32 v24, v24
	s_branch .LBB224_326
.LBB224_325:
	v_mov_b32_e32 v24, 0
.LBB224_326:
	v_pk_add_f16 v25, v8, v4
	v_max_f16_e32 v26, v63, v63
	v_pk_add_f16 v28, v9, v5
	v_min_f16_e32 v26, v26, v25
	v_lshrrev_b32_e32 v27, 16, v63
	v_lshrrev_b32_e32 v25, 16, v25
	;; [unrolled: 1-line block ×3, first 2 shown]
	v_min3_f16 v25, v27, v25, v29
	v_min3_f16 v25, v26, v28, v25
	v_cvt_f32_f16_e32 v25, v25
	v_max_f32_e32 v24, v24, v24
	v_min_f32_e32 v24, v24, v25
	v_cvt_f16_f32_e32 v26, v24
	v_lshl_add_u64 v[24:25], v[40:41], 1, v[20:21]
	flat_store_short v[24:25], v26
	s_or_b64 exec, exec, s[26:27]
	s_and_b64 s[30:31], s[12:13], s[18:19]
	s_and_saveexec_b64 s[26:27], s[30:31]
	s_cbranch_execz .LBB224_305
.LBB224_327:
	s_and_b64 vcc, exec, s[0:1]
	s_cbranch_vccnz .LBB224_329
; %bb.328:
	v_lshl_add_u64 v[24:25], v[42:43], 1, v[22:23]
	flat_load_ushort v24, v[24:25]
	s_waitcnt vmcnt(0) lgkmcnt(0)
	v_mul_f16_e32 v24, s33, v24
	v_cvt_f32_f16_e32 v24, v24
	s_branch .LBB224_330
.LBB224_329:
	v_mov_b32_e32 v24, 0
.LBB224_330:
	v_pk_add_f16 v25, v10, v4
	v_max_f16_e32 v26, v62, v62
	v_pk_add_f16 v28, v11, v5
	v_min_f16_e32 v26, v26, v25
	v_lshrrev_b32_e32 v27, 16, v62
	v_lshrrev_b32_e32 v25, 16, v25
	;; [unrolled: 1-line block ×3, first 2 shown]
	v_min3_f16 v25, v27, v25, v29
	v_min3_f16 v25, v26, v28, v25
	v_cvt_f32_f16_e32 v25, v25
	v_max_f32_e32 v24, v24, v24
	v_min_f32_e32 v24, v24, v25
	v_cvt_f16_f32_e32 v26, v24
	v_lshl_add_u64 v[24:25], v[42:43], 1, v[20:21]
	flat_store_short v[24:25], v26
	s_or_b64 exec, exec, s[26:27]
	s_and_b64 s[30:31], s[14:15], s[18:19]
	s_and_saveexec_b64 s[26:27], s[30:31]
	s_cbranch_execz .LBB224_306
.LBB224_331:
	s_and_b64 vcc, exec, s[0:1]
	s_cbranch_vccnz .LBB224_333
; %bb.332:
	v_lshl_add_u64 v[24:25], v[44:45], 1, v[22:23]
	flat_load_ushort v24, v[24:25]
	s_waitcnt vmcnt(0) lgkmcnt(0)
	v_mul_f16_e32 v24, s33, v24
	v_cvt_f32_f16_e32 v24, v24
	s_branch .LBB224_334
.LBB224_333:
	v_mov_b32_e32 v24, 0
.LBB224_334:
	v_pk_add_f16 v25, v0, v4
	v_max_f16_e32 v26, v61, v61
	v_pk_add_f16 v28, v1, v5
	v_min_f16_e32 v26, v26, v25
	v_lshrrev_b32_e32 v27, 16, v61
	v_lshrrev_b32_e32 v25, 16, v25
	;; [unrolled: 1-line block ×3, first 2 shown]
	v_min3_f16 v25, v27, v25, v29
	v_min3_f16 v25, v26, v28, v25
	v_cvt_f32_f16_e32 v25, v25
	v_max_f32_e32 v24, v24, v24
	v_min_f32_e32 v24, v24, v25
	v_cvt_f16_f32_e32 v26, v24
	v_lshl_add_u64 v[24:25], v[44:45], 1, v[20:21]
	flat_store_short v[24:25], v26
	s_or_b64 exec, exec, s[26:27]
	s_and_b64 s[26:27], s[16:17], s[18:19]
	s_and_saveexec_b64 s[18:19], s[26:27]
	s_cbranch_execz .LBB224_339
.LBB224_335:
	s_and_b64 vcc, exec, s[0:1]
	s_cbranch_vccnz .LBB224_337
; %bb.336:
	v_lshl_add_u64 v[22:23], v[46:47], 1, v[22:23]
	flat_load_ushort v22, v[22:23]
	s_waitcnt vmcnt(0) lgkmcnt(0)
	v_mul_f16_e32 v22, s33, v22
	v_cvt_f32_f16_e32 v22, v22
	s_branch .LBB224_338
.LBB224_337:
	v_mov_b32_e32 v22, 0
.LBB224_338:
	v_pk_add_f16 v4, v2, v4
	v_max_f16_e32 v23, v60, v60
	v_pk_add_f16 v5, v3, v5
	v_min_f16_e32 v23, v23, v4
	v_lshrrev_b32_e32 v24, 16, v60
	v_lshrrev_b32_e32 v4, 16, v4
	;; [unrolled: 1-line block ×3, first 2 shown]
	v_min3_f16 v4, v24, v4, v25
	v_min3_f16 v4, v23, v5, v4
	v_cvt_f32_f16_e32 v4, v4
	v_max_f32_e32 v5, v22, v22
	v_min_f32_e32 v4, v5, v4
	v_cvt_f16_f32_e32 v22, v4
	v_lshl_add_u64 v[4:5], v[46:47], 1, v[20:21]
	flat_store_short v[4:5], v22
.LBB224_339:
	s_or_b64 exec, exec, s[18:19]
	v_add_u32_e32 v22, 0xe0, v92
	v_cmp_gt_i32_e64 s[18:19], s21, v22
	v_mad_i64_i32 v[4:5], s[20:21], v22, s29, 0
	v_lshl_add_u64 v[20:21], v[4:5], 1, s[24:25]
	v_mad_i64_i32 v[4:5], s[20:21], v22, s28, 0
	v_lshl_add_u64 v[4:5], v[4:5], 1, s[22:23]
	s_and_b64 s[20:21], s[2:3], s[18:19]
	s_and_saveexec_b64 s[2:3], s[20:21]
	s_cbranch_execnz .LBB224_348
; %bb.340:
	s_or_b64 exec, exec, s[2:3]
	s_and_b64 s[4:5], s[4:5], s[18:19]
	s_and_saveexec_b64 s[2:3], s[4:5]
	s_cbranch_execnz .LBB224_352
.LBB224_341:
	s_or_b64 exec, exec, s[2:3]
	s_and_b64 s[4:5], s[6:7], s[18:19]
	s_and_saveexec_b64 s[2:3], s[4:5]
	s_cbranch_execnz .LBB224_356
.LBB224_342:
	s_or_b64 exec, exec, s[2:3]
	s_and_b64 s[4:5], s[8:9], s[18:19]
	s_and_saveexec_b64 s[2:3], s[4:5]
	s_cbranch_execnz .LBB224_360
.LBB224_343:
	s_or_b64 exec, exec, s[2:3]
	s_and_b64 s[4:5], s[10:11], s[18:19]
	s_and_saveexec_b64 s[2:3], s[4:5]
	s_cbranch_execnz .LBB224_364
.LBB224_344:
	s_or_b64 exec, exec, s[2:3]
	s_and_b64 s[4:5], s[12:13], s[18:19]
	s_and_saveexec_b64 s[2:3], s[4:5]
	s_cbranch_execnz .LBB224_368
.LBB224_345:
	s_or_b64 exec, exec, s[2:3]
	s_and_b64 s[4:5], s[14:15], s[18:19]
	s_and_saveexec_b64 s[2:3], s[4:5]
	s_cbranch_execnz .LBB224_372
.LBB224_346:
	s_or_b64 exec, exec, s[2:3]
	s_and_b64 s[2:3], s[16:17], s[18:19]
	s_and_saveexec_b64 s[4:5], s[2:3]
	s_cbranch_execnz .LBB224_376
.LBB224_347:
	s_endpgm
.LBB224_348:
	s_and_b64 vcc, exec, s[0:1]
	s_cbranch_vccnz .LBB224_350
; %bb.349:
	v_lshl_add_u64 v[22:23], v[32:33], 1, v[20:21]
	flat_load_ushort v22, v[22:23]
	s_waitcnt vmcnt(0) lgkmcnt(0)
	v_mul_f16_e32 v22, s33, v22
	v_cvt_f32_f16_e32 v22, v22
	s_branch .LBB224_351
.LBB224_350:
	v_mov_b32_e32 v22, 0
.LBB224_351:
	v_pk_add_f16 v16, v16, v6
	v_max_f16_e32 v23, v59, v59
	v_pk_add_f16 v17, v17, v7
	v_min_f16_e32 v23, v23, v16
	v_lshrrev_b32_e32 v24, 16, v59
	v_lshrrev_b32_e32 v16, 16, v16
	;; [unrolled: 1-line block ×3, first 2 shown]
	v_min3_f16 v16, v24, v16, v25
	v_min3_f16 v16, v23, v17, v16
	v_cvt_f32_f16_e32 v16, v16
	v_max_f32_e32 v17, v22, v22
	v_min_f32_e32 v16, v17, v16
	v_cvt_f16_f32_e32 v22, v16
	v_lshl_add_u64 v[16:17], v[32:33], 1, v[4:5]
	flat_store_short v[16:17], v22
	s_or_b64 exec, exec, s[2:3]
	s_and_b64 s[4:5], s[4:5], s[18:19]
	s_and_saveexec_b64 s[2:3], s[4:5]
	s_cbranch_execz .LBB224_341
.LBB224_352:
	s_and_b64 vcc, exec, s[0:1]
	s_cbranch_vccnz .LBB224_354
; %bb.353:
	v_lshl_add_u64 v[16:17], v[34:35], 1, v[20:21]
	flat_load_ushort v16, v[16:17]
	s_waitcnt vmcnt(0) lgkmcnt(0)
	v_mul_f16_e32 v16, s33, v16
	v_cvt_f32_f16_e32 v16, v16
	s_branch .LBB224_355
.LBB224_354:
	v_mov_b32_e32 v16, 0
.LBB224_355:
	v_pk_add_f16 v17, v18, v6
	v_max_f16_e32 v18, v58, v58
	v_pk_add_f16 v19, v19, v7
	v_min_f16_e32 v18, v18, v17
	v_lshrrev_b32_e32 v22, 16, v58
	v_lshrrev_b32_e32 v17, 16, v17
	;; [unrolled: 1-line block ×3, first 2 shown]
	v_min3_f16 v17, v22, v17, v23
	v_min3_f16 v17, v18, v19, v17
	v_cvt_f32_f16_e32 v17, v17
	v_max_f32_e32 v16, v16, v16
	v_min_f32_e32 v16, v16, v17
	v_cvt_f16_f32_e32 v18, v16
	v_lshl_add_u64 v[16:17], v[34:35], 1, v[4:5]
	flat_store_short v[16:17], v18
	s_or_b64 exec, exec, s[2:3]
	s_and_b64 s[4:5], s[6:7], s[18:19]
	s_and_saveexec_b64 s[2:3], s[4:5]
	s_cbranch_execz .LBB224_342
.LBB224_356:
	s_and_b64 vcc, exec, s[0:1]
	s_cbranch_vccnz .LBB224_358
; %bb.357:
	v_lshl_add_u64 v[16:17], v[36:37], 1, v[20:21]
	flat_load_ushort v16, v[16:17]
	s_waitcnt vmcnt(0) lgkmcnt(0)
	v_mul_f16_e32 v16, s33, v16
	v_cvt_f32_f16_e32 v16, v16
	s_branch .LBB224_359
.LBB224_358:
	v_mov_b32_e32 v16, 0
.LBB224_359:
	v_pk_add_f16 v12, v12, v6
	v_max_f16_e32 v17, v57, v57
	v_pk_add_f16 v13, v13, v7
	v_min_f16_e32 v17, v17, v12
	v_lshrrev_b32_e32 v18, 16, v57
	v_lshrrev_b32_e32 v12, 16, v12
	;; [unrolled: 1-line block ×3, first 2 shown]
	v_min3_f16 v12, v18, v12, v19
	v_min3_f16 v12, v17, v13, v12
	v_cvt_f32_f16_e32 v12, v12
	v_max_f32_e32 v13, v16, v16
	v_min_f32_e32 v12, v13, v12
	v_cvt_f16_f32_e32 v16, v12
	v_lshl_add_u64 v[12:13], v[36:37], 1, v[4:5]
	flat_store_short v[12:13], v16
	s_or_b64 exec, exec, s[2:3]
	s_and_b64 s[4:5], s[8:9], s[18:19]
	s_and_saveexec_b64 s[2:3], s[4:5]
	s_cbranch_execz .LBB224_343
.LBB224_360:
	s_and_b64 vcc, exec, s[0:1]
	s_cbranch_vccnz .LBB224_362
; %bb.361:
	v_lshl_add_u64 v[12:13], v[38:39], 1, v[20:21]
	flat_load_ushort v12, v[12:13]
	s_waitcnt vmcnt(0) lgkmcnt(0)
	v_mul_f16_e32 v12, s33, v12
	v_cvt_f32_f16_e32 v12, v12
	s_branch .LBB224_363
.LBB224_362:
	v_mov_b32_e32 v12, 0
.LBB224_363:
	v_pk_add_f16 v13, v14, v6
	v_max_f16_e32 v14, v56, v56
	v_pk_add_f16 v15, v15, v7
	v_min_f16_e32 v14, v14, v13
	v_lshrrev_b32_e32 v16, 16, v56
	v_lshrrev_b32_e32 v13, 16, v13
	;; [unrolled: 1-line block ×3, first 2 shown]
	v_min3_f16 v13, v16, v13, v17
	v_min3_f16 v13, v14, v15, v13
	v_cvt_f32_f16_e32 v13, v13
	v_max_f32_e32 v12, v12, v12
	v_min_f32_e32 v12, v12, v13
	v_cvt_f16_f32_e32 v14, v12
	v_lshl_add_u64 v[12:13], v[38:39], 1, v[4:5]
	flat_store_short v[12:13], v14
	s_or_b64 exec, exec, s[2:3]
	s_and_b64 s[4:5], s[10:11], s[18:19]
	s_and_saveexec_b64 s[2:3], s[4:5]
	s_cbranch_execz .LBB224_344
.LBB224_364:
	s_and_b64 vcc, exec, s[0:1]
	s_cbranch_vccnz .LBB224_366
; %bb.365:
	v_lshl_add_u64 v[12:13], v[40:41], 1, v[20:21]
	flat_load_ushort v12, v[12:13]
	s_waitcnt vmcnt(0) lgkmcnt(0)
	v_mul_f16_e32 v12, s33, v12
	v_cvt_f32_f16_e32 v12, v12
	s_branch .LBB224_367
.LBB224_366:
	v_mov_b32_e32 v12, 0
.LBB224_367:
	v_pk_add_f16 v8, v8, v6
	v_max_f16_e32 v13, v54, v54
	v_pk_add_f16 v9, v9, v7
	v_min_f16_e32 v13, v13, v8
	v_lshrrev_b32_e32 v14, 16, v54
	v_lshrrev_b32_e32 v8, 16, v8
	;; [unrolled: 1-line block ×3, first 2 shown]
	v_min3_f16 v8, v14, v8, v15
	v_min3_f16 v8, v13, v9, v8
	v_cvt_f32_f16_e32 v8, v8
	v_max_f32_e32 v9, v12, v12
	v_min_f32_e32 v8, v9, v8
	v_cvt_f16_f32_e32 v12, v8
	v_lshl_add_u64 v[8:9], v[40:41], 1, v[4:5]
	flat_store_short v[8:9], v12
	s_or_b64 exec, exec, s[2:3]
	s_and_b64 s[4:5], s[12:13], s[18:19]
	s_and_saveexec_b64 s[2:3], s[4:5]
	s_cbranch_execz .LBB224_345
.LBB224_368:
	s_and_b64 vcc, exec, s[0:1]
	s_cbranch_vccnz .LBB224_370
; %bb.369:
	v_lshl_add_u64 v[8:9], v[42:43], 1, v[20:21]
	flat_load_ushort v8, v[8:9]
	s_waitcnt vmcnt(0) lgkmcnt(0)
	v_mul_f16_e32 v8, s33, v8
	v_cvt_f32_f16_e32 v8, v8
	s_branch .LBB224_371
.LBB224_370:
	v_mov_b32_e32 v8, 0
.LBB224_371:
	v_pk_add_f16 v9, v10, v6
	v_max_f16_e32 v10, v53, v53
	v_pk_add_f16 v11, v11, v7
	v_min_f16_e32 v10, v10, v9
	v_lshrrev_b32_e32 v12, 16, v53
	v_lshrrev_b32_e32 v9, 16, v9
	v_lshrrev_b32_e32 v13, 16, v11
	v_min3_f16 v9, v12, v9, v13
	v_min3_f16 v9, v10, v11, v9
	v_cvt_f32_f16_e32 v9, v9
	v_max_f32_e32 v8, v8, v8
	v_min_f32_e32 v8, v8, v9
	v_cvt_f16_f32_e32 v10, v8
	v_lshl_add_u64 v[8:9], v[42:43], 1, v[4:5]
	flat_store_short v[8:9], v10
	s_or_b64 exec, exec, s[2:3]
	s_and_b64 s[4:5], s[14:15], s[18:19]
	s_and_saveexec_b64 s[2:3], s[4:5]
	s_cbranch_execz .LBB224_346
.LBB224_372:
	s_and_b64 vcc, exec, s[0:1]
	s_cbranch_vccnz .LBB224_374
; %bb.373:
	v_lshl_add_u64 v[8:9], v[44:45], 1, v[20:21]
	flat_load_ushort v8, v[8:9]
	s_waitcnt vmcnt(0) lgkmcnt(0)
	v_mul_f16_e32 v8, s33, v8
	v_cvt_f32_f16_e32 v8, v8
	s_branch .LBB224_375
.LBB224_374:
	v_mov_b32_e32 v8, 0
.LBB224_375:
	v_pk_add_f16 v0, v0, v6
	v_max_f16_e32 v9, v52, v52
	v_pk_add_f16 v1, v1, v7
	v_min_f16_e32 v9, v9, v0
	v_lshrrev_b32_e32 v10, 16, v52
	v_lshrrev_b32_e32 v0, 16, v0
	;; [unrolled: 1-line block ×3, first 2 shown]
	v_min3_f16 v0, v10, v0, v11
	v_min3_f16 v0, v9, v1, v0
	v_cvt_f32_f16_e32 v0, v0
	v_max_f32_e32 v1, v8, v8
	v_min_f32_e32 v0, v1, v0
	v_cvt_f16_f32_e32 v8, v0
	v_lshl_add_u64 v[0:1], v[44:45], 1, v[4:5]
	flat_store_short v[0:1], v8
	s_or_b64 exec, exec, s[2:3]
	s_and_b64 s[2:3], s[16:17], s[18:19]
	s_and_saveexec_b64 s[4:5], s[2:3]
	s_cbranch_execz .LBB224_347
.LBB224_376:
	s_and_b64 vcc, exec, s[0:1]
	s_cbranch_vccnz .LBB224_378
; %bb.377:
	v_lshl_add_u64 v[0:1], v[46:47], 1, v[20:21]
	flat_load_ushort v0, v[0:1]
	s_waitcnt vmcnt(0) lgkmcnt(0)
	v_mul_f16_e32 v0, s33, v0
	v_cvt_f32_f16_e32 v0, v0
	s_branch .LBB224_379
.LBB224_378:
	v_mov_b32_e32 v0, 0
.LBB224_379:
	v_pk_add_f16 v1, v2, v6
	v_max_f16_e32 v2, v55, v55
	v_pk_add_f16 v3, v3, v7
	v_min_f16_e32 v2, v2, v1
	v_lshrrev_b32_e32 v6, 16, v55
	v_lshrrev_b32_e32 v1, 16, v1
	;; [unrolled: 1-line block ×3, first 2 shown]
	v_min3_f16 v1, v6, v1, v7
	v_min3_f16 v1, v2, v3, v1
	v_cvt_f32_f16_e32 v1, v1
	v_max_f32_e32 v0, v0, v0
	v_min_f32_e32 v0, v0, v1
	v_cvt_f16_f32_e32 v2, v0
	v_lshl_add_u64 v[0:1], v[46:47], 1, v[4:5]
	flat_store_short v[0:1], v2
	s_endpgm
	.section	.rodata,"a",@progbits
	.p2align	6, 0x0
	.amdhsa_kernel _ZN12_GLOBAL__N_120geam_min_plus_kernelIDF16_Dv2_DF16_S1_Li8ELi32ELi64ELi256ELi4ELi64ELi4ELi64ELi4ELc78ELc84ELb0ELb1ELb1EDF16_KPKDF16_KPDF16_EEviiiT16_PT17_ilS9_ilS7_S9_ilPT18_ili26rocblas_geam_ex_operation_
		.amdhsa_group_segment_fixed_size 5120
		.amdhsa_private_segment_fixed_size 0
		.amdhsa_kernarg_size 128
		.amdhsa_user_sgpr_count 2
		.amdhsa_user_sgpr_dispatch_ptr 0
		.amdhsa_user_sgpr_queue_ptr 0
		.amdhsa_user_sgpr_kernarg_segment_ptr 1
		.amdhsa_user_sgpr_dispatch_id 0
		.amdhsa_user_sgpr_kernarg_preload_length 0
		.amdhsa_user_sgpr_kernarg_preload_offset 0
		.amdhsa_user_sgpr_private_segment_size 0
		.amdhsa_uses_dynamic_stack 0
		.amdhsa_enable_private_segment 0
		.amdhsa_system_sgpr_workgroup_id_x 1
		.amdhsa_system_sgpr_workgroup_id_y 0
		.amdhsa_system_sgpr_workgroup_id_z 1
		.amdhsa_system_sgpr_workgroup_info 0
		.amdhsa_system_vgpr_workitem_id 1
		.amdhsa_next_free_vgpr 180
		.amdhsa_next_free_sgpr 42
		.amdhsa_accum_offset 180
		.amdhsa_reserve_vcc 1
		.amdhsa_float_round_mode_32 0
		.amdhsa_float_round_mode_16_64 0
		.amdhsa_float_denorm_mode_32 3
		.amdhsa_float_denorm_mode_16_64 3
		.amdhsa_dx10_clamp 1
		.amdhsa_ieee_mode 1
		.amdhsa_fp16_overflow 0
		.amdhsa_tg_split 0
		.amdhsa_exception_fp_ieee_invalid_op 0
		.amdhsa_exception_fp_denorm_src 0
		.amdhsa_exception_fp_ieee_div_zero 0
		.amdhsa_exception_fp_ieee_overflow 0
		.amdhsa_exception_fp_ieee_underflow 0
		.amdhsa_exception_fp_ieee_inexact 0
		.amdhsa_exception_int_div_zero 0
	.end_amdhsa_kernel
	.section	.text._ZN12_GLOBAL__N_120geam_min_plus_kernelIDF16_Dv2_DF16_S1_Li8ELi32ELi64ELi256ELi4ELi64ELi4ELi64ELi4ELc78ELc84ELb0ELb1ELb1EDF16_KPKDF16_KPDF16_EEviiiT16_PT17_ilS9_ilS7_S9_ilPT18_ili26rocblas_geam_ex_operation_,"axG",@progbits,_ZN12_GLOBAL__N_120geam_min_plus_kernelIDF16_Dv2_DF16_S1_Li8ELi32ELi64ELi256ELi4ELi64ELi4ELi64ELi4ELc78ELc84ELb0ELb1ELb1EDF16_KPKDF16_KPDF16_EEviiiT16_PT17_ilS9_ilS7_S9_ilPT18_ili26rocblas_geam_ex_operation_,comdat
.Lfunc_end224:
	.size	_ZN12_GLOBAL__N_120geam_min_plus_kernelIDF16_Dv2_DF16_S1_Li8ELi32ELi64ELi256ELi4ELi64ELi4ELi64ELi4ELc78ELc84ELb0ELb1ELb1EDF16_KPKDF16_KPDF16_EEviiiT16_PT17_ilS9_ilS7_S9_ilPT18_ili26rocblas_geam_ex_operation_, .Lfunc_end224-_ZN12_GLOBAL__N_120geam_min_plus_kernelIDF16_Dv2_DF16_S1_Li8ELi32ELi64ELi256ELi4ELi64ELi4ELi64ELi4ELc78ELc84ELb0ELb1ELb1EDF16_KPKDF16_KPDF16_EEviiiT16_PT17_ilS9_ilS7_S9_ilPT18_ili26rocblas_geam_ex_operation_
                                        ; -- End function
	.set _ZN12_GLOBAL__N_120geam_min_plus_kernelIDF16_Dv2_DF16_S1_Li8ELi32ELi64ELi256ELi4ELi64ELi4ELi64ELi4ELc78ELc84ELb0ELb1ELb1EDF16_KPKDF16_KPDF16_EEviiiT16_PT17_ilS9_ilS7_S9_ilPT18_ili26rocblas_geam_ex_operation_.num_vgpr, 180
	.set _ZN12_GLOBAL__N_120geam_min_plus_kernelIDF16_Dv2_DF16_S1_Li8ELi32ELi64ELi256ELi4ELi64ELi4ELi64ELi4ELc78ELc84ELb0ELb1ELb1EDF16_KPKDF16_KPDF16_EEviiiT16_PT17_ilS9_ilS7_S9_ilPT18_ili26rocblas_geam_ex_operation_.num_agpr, 0
	.set _ZN12_GLOBAL__N_120geam_min_plus_kernelIDF16_Dv2_DF16_S1_Li8ELi32ELi64ELi256ELi4ELi64ELi4ELi64ELi4ELc78ELc84ELb0ELb1ELb1EDF16_KPKDF16_KPDF16_EEviiiT16_PT17_ilS9_ilS7_S9_ilPT18_ili26rocblas_geam_ex_operation_.numbered_sgpr, 42
	.set _ZN12_GLOBAL__N_120geam_min_plus_kernelIDF16_Dv2_DF16_S1_Li8ELi32ELi64ELi256ELi4ELi64ELi4ELi64ELi4ELc78ELc84ELb0ELb1ELb1EDF16_KPKDF16_KPDF16_EEviiiT16_PT17_ilS9_ilS7_S9_ilPT18_ili26rocblas_geam_ex_operation_.num_named_barrier, 0
	.set _ZN12_GLOBAL__N_120geam_min_plus_kernelIDF16_Dv2_DF16_S1_Li8ELi32ELi64ELi256ELi4ELi64ELi4ELi64ELi4ELc78ELc84ELb0ELb1ELb1EDF16_KPKDF16_KPDF16_EEviiiT16_PT17_ilS9_ilS7_S9_ilPT18_ili26rocblas_geam_ex_operation_.private_seg_size, 0
	.set _ZN12_GLOBAL__N_120geam_min_plus_kernelIDF16_Dv2_DF16_S1_Li8ELi32ELi64ELi256ELi4ELi64ELi4ELi64ELi4ELc78ELc84ELb0ELb1ELb1EDF16_KPKDF16_KPDF16_EEviiiT16_PT17_ilS9_ilS7_S9_ilPT18_ili26rocblas_geam_ex_operation_.uses_vcc, 1
	.set _ZN12_GLOBAL__N_120geam_min_plus_kernelIDF16_Dv2_DF16_S1_Li8ELi32ELi64ELi256ELi4ELi64ELi4ELi64ELi4ELc78ELc84ELb0ELb1ELb1EDF16_KPKDF16_KPDF16_EEviiiT16_PT17_ilS9_ilS7_S9_ilPT18_ili26rocblas_geam_ex_operation_.uses_flat_scratch, 0
	.set _ZN12_GLOBAL__N_120geam_min_plus_kernelIDF16_Dv2_DF16_S1_Li8ELi32ELi64ELi256ELi4ELi64ELi4ELi64ELi4ELc78ELc84ELb0ELb1ELb1EDF16_KPKDF16_KPDF16_EEviiiT16_PT17_ilS9_ilS7_S9_ilPT18_ili26rocblas_geam_ex_operation_.has_dyn_sized_stack, 0
	.set _ZN12_GLOBAL__N_120geam_min_plus_kernelIDF16_Dv2_DF16_S1_Li8ELi32ELi64ELi256ELi4ELi64ELi4ELi64ELi4ELc78ELc84ELb0ELb1ELb1EDF16_KPKDF16_KPDF16_EEviiiT16_PT17_ilS9_ilS7_S9_ilPT18_ili26rocblas_geam_ex_operation_.has_recursion, 0
	.set _ZN12_GLOBAL__N_120geam_min_plus_kernelIDF16_Dv2_DF16_S1_Li8ELi32ELi64ELi256ELi4ELi64ELi4ELi64ELi4ELc78ELc84ELb0ELb1ELb1EDF16_KPKDF16_KPDF16_EEviiiT16_PT17_ilS9_ilS7_S9_ilPT18_ili26rocblas_geam_ex_operation_.has_indirect_call, 0
	.section	.AMDGPU.csdata,"",@progbits
; Kernel info:
; codeLenInByte = 20900
; TotalNumSgprs: 48
; NumVgprs: 180
; NumAgprs: 0
; TotalNumVgprs: 180
; ScratchSize: 0
; MemoryBound: 0
; FloatMode: 240
; IeeeMode: 1
; LDSByteSize: 5120 bytes/workgroup (compile time only)
; SGPRBlocks: 5
; VGPRBlocks: 22
; NumSGPRsForWavesPerEU: 48
; NumVGPRsForWavesPerEU: 180
; AccumOffset: 180
; Occupancy: 2
; WaveLimiterHint : 1
; COMPUTE_PGM_RSRC2:SCRATCH_EN: 0
; COMPUTE_PGM_RSRC2:USER_SGPR: 2
; COMPUTE_PGM_RSRC2:TRAP_HANDLER: 0
; COMPUTE_PGM_RSRC2:TGID_X_EN: 1
; COMPUTE_PGM_RSRC2:TGID_Y_EN: 0
; COMPUTE_PGM_RSRC2:TGID_Z_EN: 1
; COMPUTE_PGM_RSRC2:TIDIG_COMP_CNT: 1
; COMPUTE_PGM_RSRC3_GFX90A:ACCUM_OFFSET: 44
; COMPUTE_PGM_RSRC3_GFX90A:TG_SPLIT: 0
	.section	.text._ZN12_GLOBAL__N_120geam_min_plus_kernelIDF16_Dv2_DF16_S1_Li8ELi32ELi64ELi256ELi4ELi4ELi64ELi64ELi4ELc84ELc84ELb0ELb0ELb1EPKDF16_KS3_KPDF16_EEviiiT16_PT17_ilS9_ilS7_S9_ilPT18_ili26rocblas_geam_ex_operation_,"axG",@progbits,_ZN12_GLOBAL__N_120geam_min_plus_kernelIDF16_Dv2_DF16_S1_Li8ELi32ELi64ELi256ELi4ELi4ELi64ELi64ELi4ELc84ELc84ELb0ELb0ELb1EPKDF16_KS3_KPDF16_EEviiiT16_PT17_ilS9_ilS7_S9_ilPT18_ili26rocblas_geam_ex_operation_,comdat
	.globl	_ZN12_GLOBAL__N_120geam_min_plus_kernelIDF16_Dv2_DF16_S1_Li8ELi32ELi64ELi256ELi4ELi4ELi64ELi64ELi4ELc84ELc84ELb0ELb0ELb1EPKDF16_KS3_KPDF16_EEviiiT16_PT17_ilS9_ilS7_S9_ilPT18_ili26rocblas_geam_ex_operation_ ; -- Begin function _ZN12_GLOBAL__N_120geam_min_plus_kernelIDF16_Dv2_DF16_S1_Li8ELi32ELi64ELi256ELi4ELi4ELi64ELi64ELi4ELc84ELc84ELb0ELb0ELb1EPKDF16_KS3_KPDF16_EEviiiT16_PT17_ilS9_ilS7_S9_ilPT18_ili26rocblas_geam_ex_operation_
	.p2align	8
	.type	_ZN12_GLOBAL__N_120geam_min_plus_kernelIDF16_Dv2_DF16_S1_Li8ELi32ELi64ELi256ELi4ELi4ELi64ELi64ELi4ELc84ELc84ELb0ELb0ELb1EPKDF16_KS3_KPDF16_EEviiiT16_PT17_ilS9_ilS7_S9_ilPT18_ili26rocblas_geam_ex_operation_,@function
_ZN12_GLOBAL__N_120geam_min_plus_kernelIDF16_Dv2_DF16_S1_Li8ELi32ELi64ELi256ELi4ELi4ELi64ELi64ELi4ELc84ELc84ELb0ELb0ELb1EPKDF16_KS3_KPDF16_EEviiiT16_PT17_ilS9_ilS7_S9_ilPT18_ili26rocblas_geam_ex_operation_: ; @_ZN12_GLOBAL__N_120geam_min_plus_kernelIDF16_Dv2_DF16_S1_Li8ELi32ELi64ELi256ELi4ELi4ELi64ELi64ELi4ELc84ELc84ELb0ELb0ELb1EPKDF16_KS3_KPDF16_EEviiiT16_PT17_ilS9_ilS7_S9_ilPT18_ili26rocblas_geam_ex_operation_
; %bb.0:
	s_load_dwordx4 s[4:7], s[0:1], 0x10
	s_load_dwordx4 s[12:15], s[0:1], 0x28
	s_mov_b32 s22, s3
	s_mov_b32 s23, 0
	s_lshl_b64 s[8:9], s[22:23], 1
	s_waitcnt lgkmcnt(0)
	s_add_u32 s4, s4, s8
	s_addc_u32 s5, s5, s9
	v_mov_b32_e32 v1, 0
	global_load_ushort v53, v1, s[4:5]
	s_load_dwordx4 s[16:19], s[0:1], 0x40
	s_load_dwordx2 s[10:11], s[0:1], 0x50
	s_mov_b64 s[20:21], 0
	s_waitcnt lgkmcnt(0)
	s_add_u32 s24, s18, s8
	s_addc_u32 s25, s19, s9
	s_mov_b64 s[18:19], 0
	s_waitcnt vmcnt(0)
	v_cmp_eq_f16_e32 vcc, 0, v53
	s_and_b64 s[4:5], exec, vcc
	v_cmp_neq_f16_e64 s[8:9], 0, v53
	s_mov_b64 vcc, s[4:5]
	s_cbranch_vccnz .LBB225_2
; %bb.1:
	s_lshl_b64 s[18:19], s[22:23], 3
	s_add_u32 s6, s6, s18
	s_addc_u32 s7, s7, s19
	s_load_dwordx2 s[6:7], s[6:7], 0x0
	s_lshl_b64 s[12:13], s[12:13], 1
	s_waitcnt lgkmcnt(0)
	s_add_u32 s18, s6, s12
	s_addc_u32 s19, s7, s13
.LBB225_2:
	global_load_ushort v52, v1, s[24:25]
	v_cndmask_b32_e64 v1, 0, 1, s[8:9]
	v_cmp_ne_u32_e64 s[6:7], 1, v1
	s_andn2_b64 vcc, exec, s[8:9]
	s_cbranch_vccnz .LBB225_4
; %bb.3:
	s_lshl_b64 s[8:9], s[22:23], 3
	s_add_u32 s8, s14, s8
	s_addc_u32 s9, s15, s9
	s_load_dwordx2 s[8:9], s[8:9], 0x0
	s_lshl_b64 s[12:13], s[16:17], 1
	s_waitcnt lgkmcnt(0)
	s_add_u32 s20, s8, s12
	s_addc_u32 s21, s9, s13
.LBB225_4:
	s_load_dwordx4 s[12:15], s[0:1], 0x60
	s_waitcnt vmcnt(0)
	v_cmp_eq_f16_e32 vcc, 0, v52
	s_and_b64 s[8:9], exec, vcc
	s_mov_b64 vcc, s[8:9]
	s_cbranch_vccnz .LBB225_6
; %bb.5:
	s_lshl_b64 s[16:17], s[22:23], 3
	s_add_u32 s10, s10, s16
	s_addc_u32 s11, s11, s17
	s_load_dwordx2 s[10:11], s[10:11], 0x0
	s_waitcnt lgkmcnt(0)
	s_lshl_b64 s[12:13], s[12:13], 1
	s_add_u32 s10, s10, s12
	s_addc_u32 s11, s11, s13
	s_branch .LBB225_7
.LBB225_6:
	s_mov_b64 s[10:11], 0
.LBB225_7:
	s_load_dword s24, s[0:1], 0x0
	s_load_dword s3, s[0:1], 0x20
	s_waitcnt lgkmcnt(0)
	s_lshl_b64 s[12:13], s[22:23], 3
	s_add_u32 s16, s14, s12
	s_addc_u32 s17, s15, s13
	s_add_i32 s12, s24, -1
	s_ashr_i32 s13, s12, 31
	s_lshr_b32 s13, s13, 26
	s_add_i32 s12, s12, s13
	s_ashr_i32 s12, s12, 6
	s_add_i32 s13, s12, 1
	v_cvt_f32_u32_e32 v1, s13
	s_not_b32 s12, s12
	v_and_b32_e32 v50, 0x3ff, v0
	v_bfe_u32 v51, v0, 10, 10
	v_rcp_iflag_f32_e32 v1, v1
	v_lshl_add_u32 v2, v51, 3, v50
	v_and_b32_e32 v0, 3, v0
	v_lshrrev_b32_e32 v28, 2, v2
	v_mul_f32_e32 v1, 0x4f7ffffe, v1
	v_cvt_u32_f32_e32 v1, v1
	v_mov_b32_e32 v8, 0
	v_lshlrev_b32_e32 v0, 1, v0
	v_mov_b32_e32 v6, 0
	v_readfirstlane_b32 s14, v1
	s_mul_i32 s12, s12, s14
	s_mul_hi_u32 s12, s14, s12
	s_add_i32 s14, s14, s12
	s_mul_hi_u32 s12, s2, s14
	s_mul_i32 s14, s12, s13
	s_sub_i32 s14, s2, s14
	s_add_i32 s15, s12, 1
	s_sub_i32 s22, s14, s13
	s_cmp_ge_u32 s14, s13
	s_cselect_b32 s12, s15, s12
	s_cselect_b32 s14, s22, s14
	s_add_i32 s15, s12, 1
	s_cmp_ge_u32 s14, s13
	s_cselect_b32 s12, s15, s12
	s_mul_i32 s24, s12, s13
	s_sub_i32 s13, s2, s24
	s_lshl_b32 s22, s13, 6
	s_and_b64 vcc, exec, s[6:7]
	v_add_u32_e32 v7, s22, v28
	s_cbranch_vccnz .LBB225_9
; %bb.8:
	v_mad_i64_i32 v[4:5], s[14:15], v7, s3, 0
	v_lshl_add_u64 v[4:5], v[4:5], 1, s[18:19]
	v_mov_b32_e32 v1, 0
	v_lshl_add_u64 v[4:5], v[4:5], 0, v[0:1]
	flat_load_ushort v1, v[4:5]
	s_waitcnt vmcnt(0) lgkmcnt(0)
	v_mul_f16_e32 v6, v53, v1
.LBB225_9:
	s_load_dword s14, s[0:1], 0x38
	v_and_b32_e32 v30, 63, v2
	v_lshrrev_b32_e32 v29, 6, v2
	s_lshl_b32 s23, s12, 8
	v_or_b32_e32 v2, s23, v30
	s_waitcnt lgkmcnt(0)
	v_mad_i64_i32 v[4:5], s[12:13], s14, v29, 0
	v_lshl_add_u64 v[4:5], v[4:5], 1, s[20:21]
	s_and_b64 vcc, exec, s[6:7]
	v_ashrrev_i32_e32 v3, 31, v2
	s_cbranch_vccnz .LBB225_11
; %bb.10:
	v_lshl_add_u64 v[8:9], v[2:3], 1, v[4:5]
	flat_load_ushort v1, v[8:9]
	flat_load_ushort v10, v[8:9] offset:128
	s_waitcnt vmcnt(0) lgkmcnt(0)
	v_mul_f16_e32 v1, v53, v1
	v_mul_f16_e32 v8, v53, v10
	v_pack_b32_f16 v9, v1, 0
	s_branch .LBB225_12
.LBB225_11:
	v_mov_b32_e32 v9, 0
.LBB225_12:
	s_mov_b32 s12, 0x5040100
	v_mov_b32_e32 v1, 0
	s_ashr_i32 s15, s14, 31
	v_perm_b32 v32, v8, v9, s12
	s_mov_b64 vcc, s[4:5]
	s_cbranch_vccz .LBB225_14
; %bb.13:
	v_and_b32_e32 v33, 0xffff0000, v1
	v_mov_b32_e32 v34, 0
	v_mov_b32_e32 v31, 0
	s_cbranch_execz .LBB225_15
	s_branch .LBB225_16
.LBB225_14:
	v_mov_b32_e32 v34, 0
	v_mov_b32_e32 v31, 0
.LBB225_15:
	v_lshl_add_u64 v[4:5], v[2:3], 1, v[4:5]
	flat_load_ushort v8, v[4:5] offset:256
	flat_load_ushort v9, v[4:5] offset:384
	s_mov_b32 s12, 0xffff
	s_waitcnt vmcnt(0) lgkmcnt(0)
	v_mul_f16_e32 v4, v53, v8
	v_bfi_b32 v33, s12, v4, v1
	v_mul_f16_e32 v31, v53, v9
.LBB225_16:
	s_and_b64 vcc, exec, s[6:7]
	s_cbranch_vccnz .LBB225_18
; %bb.17:
	v_mad_i64_i32 v[4:5], s[12:13], v7, s3, 0
	v_lshl_add_u64 v[4:5], v[4:5], 1, s[18:19]
	v_mov_b32_e32 v1, 0
	v_lshl_add_u64 v[4:5], v[4:5], 0, v[0:1]
	flat_load_ushort v1, v[4:5] offset:8
	s_waitcnt vmcnt(0) lgkmcnt(0)
	v_mul_f16_e32 v34, v53, v1
.LBB225_18:
	v_add_u32_e32 v1, 4, v29
	v_mad_i64_i32 v[4:5], s[12:13], s14, v1, 0
	s_and_b64 vcc, exec, s[6:7]
	v_lshl_add_u64 v[4:5], v[4:5], 1, s[20:21]
	s_cbranch_vccnz .LBB225_20
; %bb.19:
	v_lshl_add_u64 v[8:9], v[2:3], 1, v[4:5]
	flat_load_ushort v1, v[8:9]
	flat_load_ushort v7, v[8:9] offset:128
	s_waitcnt vmcnt(0) lgkmcnt(0)
	v_mul_f16_e32 v1, v53, v1
	v_mul_f16_e32 v7, v53, v7
	v_pack_b32_f16 v8, v1, 0
	s_branch .LBB225_21
.LBB225_20:
	v_mov_b32_e32 v8, 0
	v_mov_b32_e32 v7, 0
.LBB225_21:
	s_mov_b32 s12, 0x5040100
	v_mov_b32_e32 v1, 0
	v_perm_b32 v44, v7, v8, s12
	s_mov_b64 vcc, s[4:5]
	s_cbranch_vccz .LBB225_23
; %bb.22:
	v_and_b32_e32 v45, 0xffff0000, v1
	v_mov_b32_e32 v35, 0
	s_cbranch_execz .LBB225_24
	s_branch .LBB225_25
.LBB225_23:
	v_mov_b32_e32 v35, 0
.LBB225_24:
	v_lshl_add_u64 v[2:3], v[2:3], 1, v[4:5]
	flat_load_ushort v4, v[2:3] offset:256
	flat_load_ushort v5, v[2:3] offset:384
	s_mov_b32 s12, 0xffff
	s_waitcnt vmcnt(0) lgkmcnt(0)
	v_mul_f16_e32 v2, v53, v4
	v_bfi_b32 v45, s12, v2, v1
	v_mul_f16_e32 v35, v53, v5
.LBB225_25:
	v_lshl_or_b32 v36, v28, 3, v0
	v_lshlrev_b32_e32 v0, 3, v30
	v_lshlrev_b32_e32 v58, 3, v50
	v_lshl_add_u32 v71, v29, 1, v0
	v_add_u32_e32 v72, 0x1000, v58
	s_load_dwordx2 s[12:13], s[16:17], 0x0
	s_load_dword s25, s[0:1], 0x8
	ds_write_b16 v36, v6 offset:4096
	ds_write_b16 v71, v32
	ds_write_b16_d16_hi v71, v32 offset:512
	ds_write_b16 v71, v33 offset:1024
	ds_write_b16 v71, v31 offset:1536
	s_waitcnt lgkmcnt(0)
	s_barrier
	v_lshlrev_b32_e32 v56, 3, v51
	ds_read2_b64 v[16:19], v72 offset1:8
	ds_read2_b64 v[12:15], v72 offset0:16 offset1:24
	ds_read2_b64 v[4:7], v72 offset0:32 offset1:40
	ds_read2_b64 v[38:41], v56 offset1:32
	ds_read2_b64 v[0:3], v72 offset0:48 offset1:56
	ds_read2_b64 v[24:27], v56 offset0:64 offset1:96
	;; [unrolled: 1-line block ×4, first 2 shown]
	s_waitcnt lgkmcnt(4)
	v_pk_add_f16 v37, v16, v38
	s_movk_i32 s16, 0x7c00
	v_pk_add_f16 v42, v18, v38
	v_pk_add_f16 v43, v12, v38
	;; [unrolled: 1-line block ×5, first 2 shown]
	s_waitcnt lgkmcnt(3)
	v_pk_add_f16 v49, v0, v38
	v_pk_add_f16 v38, v2, v38
	v_pk_add_f16 v54, v16, v40
	v_pk_add_f16 v55, v18, v40
	v_pk_add_f16 v57, v12, v40
	v_pk_add_f16 v59, v14, v40
	v_pk_add_f16 v60, v4, v40
	v_pk_add_f16 v61, v6, v40
	v_pk_add_f16 v62, v0, v40
	v_pk_add_f16 v40, v2, v40
	s_waitcnt lgkmcnt(2)
	v_pk_add_f16 v63, v16, v24
	v_pk_add_f16 v64, v18, v24
	v_pk_add_f16 v65, v12, v24
	v_pk_add_f16 v66, v14, v24
	v_pk_add_f16 v67, v4, v24
	v_pk_add_f16 v68, v6, v24
	v_pk_add_f16 v69, v0, v24
	v_pk_add_f16 v24, v2, v24
	v_pk_add_f16 v70, v16, v26
	v_pk_add_f16 v73, v18, v26
	v_pk_add_f16 v74, v12, v26
	v_pk_add_f16 v75, v14, v26
	v_pk_add_f16 v76, v4, v26
	v_pk_add_f16 v77, v6, v26
	v_pk_add_f16 v78, v0, v26
	v_pk_add_f16 v26, v2, v26
	s_waitcnt lgkmcnt(1)
	v_pk_add_f16 v79, v16, v20
	v_pk_add_f16 v80, v18, v20
	v_pk_add_f16 v81, v12, v20
	v_pk_add_f16 v82, v14, v20
	v_pk_add_f16 v83, v4, v20
	v_pk_add_f16 v85, v6, v20
	;; [unrolled: 17-line block ×3, first 2 shown]
	v_pk_add_f16 v136, v0, v8
	v_pk_add_f16 v8, v2, v8
	;; [unrolled: 1-line block ×11, first 2 shown]
	v_pk_min_f16 v10, v37, s16 op_sel_hi:[1,0]
	v_pk_min_f16 v8, v8, s16 op_sel_hi:[1,0]
	v_pk_min_f16 v121, v10, v2
	v_pk_add_f16 v2, v19, v39
	v_pk_min_f16 v10, v42, s16 op_sel_hi:[1,0]
	v_pk_min_f16 v4, v4, s16 op_sel_hi:[1,0]
	v_pk_min_f16 v120, v10, v2
	v_pk_add_f16 v2, v13, v39
	;; [unrolled: 4-line block ×3, first 2 shown]
	v_pk_min_f16 v10, v46, s16 op_sel_hi:[1,0]
	s_cmp_lt_i32 s25, 9
	v_pk_min_f16 v118, v10, v2
	v_pk_add_f16 v2, v5, v39
	v_pk_min_f16 v10, v47, s16 op_sel_hi:[1,0]
	ds_write_b16 v36, v34 offset:4608
	ds_write_b16 v71, v44 offset:2048
	ds_write_b16_d16_hi v71, v44 offset:2560
	ds_write_b16 v71, v45 offset:3072
	ds_write_b16 v71, v35 offset:3584
	v_pk_min_f16 v117, v10, v2
	v_pk_add_f16 v2, v7, v39
	v_pk_min_f16 v10, v48, s16 op_sel_hi:[1,0]
	s_waitcnt lgkmcnt(0)
	v_pk_min_f16 v115, v10, v2
	v_pk_add_f16 v2, v1, v39
	v_pk_min_f16 v10, v49, s16 op_sel_hi:[1,0]
	s_barrier
	v_pk_min_f16 v116, v10, v2
	v_pk_add_f16 v2, v3, v39
	v_pk_min_f16 v10, v38, s16 op_sel_hi:[1,0]
	s_nop 0
	v_pk_min_f16 v114, v10, v2
	v_pk_add_f16 v2, v17, v41
	v_pk_min_f16 v10, v54, s16 op_sel_hi:[1,0]
	s_nop 0
	;; [unrolled: 4-line block ×47, first 2 shown]
	v_pk_min_f16 v66, v10, v2
	v_pk_add_f16 v2, v1, v9
	v_pk_min_f16 v10, v136, s16 op_sel_hi:[1,0]
	v_pk_add_f16 v1, v1, v11
	v_pk_min_f16 v65, v10, v2
	v_pk_add_f16 v2, v3, v9
	s_nop 0
	v_pk_min_f16 v64, v8, v2
	v_pk_add_f16 v2, v17, v11
	v_pk_min_f16 v8, v16, s16 op_sel_hi:[1,0]
	s_nop 0
	v_pk_min_f16 v63, v8, v2
	v_pk_add_f16 v2, v19, v11
	v_pk_min_f16 v8, v18, s16 op_sel_hi:[1,0]
	;; [unrolled: 4-line block ×4, first 2 shown]
	s_nop 0
	v_pk_min_f16 v59, v8, v2
	v_pk_add_f16 v2, v5, v11
	s_nop 0
	v_pk_min_f16 v57, v4, v2
	v_pk_add_f16 v2, v7, v11
	v_pk_min_f16 v4, v6, s16 op_sel_hi:[1,0]
	s_nop 0
	v_pk_min_f16 v54, v4, v2
	v_pk_min_f16 v2, v137, s16 op_sel_hi:[1,0]
	s_nop 0
	v_pk_min_f16 v55, v2, v1
	v_pk_add_f16 v1, v3, v11
	s_nop 0
	v_pk_min_f16 v61, v0, v1
	s_cbranch_scc1 .LBB225_48
; %bb.26:
	v_mov_b32_e32 v0, 0x1200
	v_lshl_add_u32 v125, v50, 3, v0
	v_mov_b32_e32 v0, 0x800
	v_lshl_add_u32 v126, v51, 3, v0
	v_lshl_add_u32 v0, s2, 6, v28
	s_lshl_b32 s2, s24, 6
	v_subrev_u32_e32 v0, s2, v0
	v_and_b32_e32 v2, 3, v50
	v_mad_i64_i32 v[0:1], s[2:3], s3, v0, 0
	v_lshlrev_b32_e32 v2, 1, v2
	v_mov_b32_e32 v3, 0
	v_lshl_add_u64 v[0:1], v[0:1], 1, v[2:3]
	s_mov_b32 s17, 0x5040100
	v_lshl_add_u64 v[0:1], s[18:19], 0, v[0:1]
	v_perm_b32 v45, v35, v45, s17
	v_lshl_add_u64 v[34:35], v[0:1], 0, 16
	v_add_u32_e32 v0, 8, v29
	v_mad_i64_i32 v[0:1], s[2:3], v0, s14, 0
	v_add_u32_e32 v122, 0x1000, v36
	v_add_u32_e32 v123, 0x1200, v36
	v_lshlrev_b64 v[36:37], 1, v[0:1]
	v_add_u32_e32 v0, s23, v30
	v_ashrrev_i32_e32 v1, 31, v0
	v_lshl_add_u64 v[38:39], v[0:1], 1, s[20:21]
	v_add_u32_e32 v0, 12, v29
	s_lshl_b64 s[2:3], s[14:15], 4
	v_mad_i64_i32 v[0:1], s[14:15], v0, s14, 0
	v_or_b32_e32 v124, 0x800, v71
	s_add_i32 s16, s25, -8
	v_perm_b32 v33, v31, v33, s17
	v_lshlrev_b64 v[40:41], 1, v[0:1]
	s_mov_b32 s18, 0
	s_mov_b32 s19, 0xffff
	s_and_b64 vcc, exec, s[6:7]
	v_mov_b32_e32 v42, 0
	s_cbranch_vccz .LBB225_28
	s_branch .LBB225_29
.LBB225_27:                             ;   in Loop: Header=BB225_29 Depth=1
	v_mov_b32_e32 v44, v42
	s_and_b64 vcc, exec, s[6:7]
	v_mov_b32_e32 v42, 0
	s_cbranch_vccnz .LBB225_29
.LBB225_28:
	flat_load_ushort v0, v[34:35]
	s_waitcnt vmcnt(0) lgkmcnt(0)
	v_mul_f16_e32 v42, v53, v0
.LBB225_29:                             ; =>This Inner Loop Header: Depth=1
	s_mov_b64 s[14:15], -1
	s_mov_b64 vcc, s[4:5]
                                        ; implicit-def: $vgpr0_vgpr1
	s_cbranch_vccz .LBB225_33
; %bb.30:                               ;   in Loop: Header=BB225_29 Depth=1
	v_and_b32_e32 v0, 0xffff0000, v32
	v_mov_b32_e32 v1, v33
	v_mov_b32_e32 v4, 0
	v_lshl_add_u64 v[2:3], v[38:39], 0, v[36:37]
	s_cbranch_execz .LBB225_34
.LBB225_31:                             ;   in Loop: Header=BB225_29 Depth=1
	v_perm_b32 v32, v4, v0, s17
	s_mov_b64 s[14:15], -1
	s_mov_b64 vcc, s[4:5]
	s_cbranch_vccz .LBB225_35
.LBB225_32:                             ;   in Loop: Header=BB225_29 Depth=1
	v_and_b32_e32 v33, 0xffff0000, v1
	v_mov_b32_e32 v127, 0
	v_mov_b32_e32 v129, 0
	s_cbranch_execz .LBB225_36
	s_branch .LBB225_37
.LBB225_33:                             ;   in Loop: Header=BB225_29 Depth=1
	v_mov_b32_e32 v4, 0
	s_andn2_b64 vcc, exec, s[14:15]
	v_lshl_add_u64 v[2:3], v[38:39], 0, v[36:37]
	s_cbranch_vccnz .LBB225_31
.LBB225_34:                             ;   in Loop: Header=BB225_29 Depth=1
	flat_load_ushort v0, v[2:3]
	flat_load_ushort v1, v[2:3] offset:128
	s_waitcnt vmcnt(0) lgkmcnt(0)
	v_mul_f16_e32 v0, v53, v0
	v_bfi_b32 v32, s19, v0, v32
	v_mul_f16_e32 v4, v53, v1
	v_mov_b64_e32 v[0:1], v[32:33]
	v_perm_b32 v32, v4, v0, s17
	s_mov_b64 s[14:15], -1
	s_mov_b64 vcc, s[4:5]
	s_cbranch_vccnz .LBB225_32
.LBB225_35:                             ;   in Loop: Header=BB225_29 Depth=1
	v_mov_b32_e32 v127, 0
	s_andn2_b64 vcc, exec, s[14:15]
	v_mov_b32_e32 v129, 0
	s_cbranch_vccnz .LBB225_37
.LBB225_36:                             ;   in Loop: Header=BB225_29 Depth=1
	flat_load_ushort v0, v[2:3] offset:256
	flat_load_ushort v4, v[2:3] offset:384
	s_waitcnt vmcnt(0) lgkmcnt(0)
	v_mul_f16_e32 v0, v53, v0
	v_bfi_b32 v33, s19, v0, v1
	v_mul_f16_e32 v129, v53, v4
.LBB225_37:                             ;   in Loop: Header=BB225_29 Depth=1
	ds_read2_b64 v[16:19], v125 offset1:8
	ds_read2_b64 v[12:15], v125 offset0:16 offset1:24
	ds_read2_b64 v[4:7], v125 offset0:32 offset1:40
	;; [unrolled: 1-line block ×3, first 2 shown]
	ds_read2_b64 v[28:31], v126 offset1:32
	ds_read2_b64 v[24:27], v126 offset0:64 offset1:96
	ds_read2_b64 v[20:23], v126 offset0:128 offset1:160
	;; [unrolled: 1-line block ×3, first 2 shown]
	s_and_b64 vcc, exec, s[6:7]
	ds_write_b16 v122, v42
	ds_write_b16 v71, v32
	ds_write_b16_d16_hi v71, v32 offset:512
	ds_write_b16 v71, v33 offset:1024
	ds_write_b16 v71, v129 offset:1536
	s_waitcnt lgkmcnt(0)
	s_barrier
	s_cbranch_vccnz .LBB225_39
; %bb.38:                               ;   in Loop: Header=BB225_29 Depth=1
	flat_load_ushort v42, v[34:35] offset:8
	s_waitcnt vmcnt(0) lgkmcnt(0)
	v_mul_f16_e32 v127, v53, v42
.LBB225_39:                             ;   in Loop: Header=BB225_29 Depth=1
	s_mov_b64 s[14:15], -1
	s_mov_b64 vcc, s[4:5]
                                        ; implicit-def: $vgpr46_vgpr47
	s_cbranch_vccz .LBB225_41
; %bb.40:                               ;   in Loop: Header=BB225_29 Depth=1
	v_and_b32_e32 v46, 0xffff0000, v44
	v_mov_b32_e32 v47, v45
	v_mov_b32_e32 v42, 0
	v_lshl_add_u64 v[48:49], v[38:39], 0, v[40:41]
	s_cbranch_execnz .LBB225_43
	s_branch .LBB225_42
.LBB225_41:                             ;   in Loop: Header=BB225_29 Depth=1
	v_mov_b32_e32 v42, 0
	s_andn2_b64 vcc, exec, s[14:15]
	v_lshl_add_u64 v[48:49], v[38:39], 0, v[40:41]
	s_cbranch_vccnz .LBB225_43
.LBB225_42:                             ;   in Loop: Header=BB225_29 Depth=1
	flat_load_ushort v42, v[48:49]
	flat_load_ushort v43, v[48:49] offset:128
	s_waitcnt vmcnt(0) lgkmcnt(0)
	v_mul_f16_e32 v42, v53, v42
	v_bfi_b32 v44, s19, v42, v44
	v_mul_f16_e32 v42, v53, v43
	v_mov_b64_e32 v[46:47], v[44:45]
.LBB225_43:                             ;   in Loop: Header=BB225_29 Depth=1
	v_perm_b32 v42, v42, v46, s17
	s_mov_b64 s[14:15], -1
	s_mov_b64 vcc, s[4:5]
                                        ; implicit-def: $vgpr43
	s_cbranch_vccz .LBB225_45
; %bb.44:                               ;   in Loop: Header=BB225_29 Depth=1
	v_and_b32_e32 v43, 0xffff0000, v47
	v_mov_b32_e32 v46, 0
	s_cbranch_execz .LBB225_46
	s_branch .LBB225_47
.LBB225_45:                             ;   in Loop: Header=BB225_29 Depth=1
	s_andn2_b64 vcc, exec, s[14:15]
	v_mov_b32_e32 v46, 0
	s_cbranch_vccnz .LBB225_47
.LBB225_46:                             ;   in Loop: Header=BB225_29 Depth=1
	flat_load_ushort v43, v[48:49] offset:256
	flat_load_ushort v44, v[48:49] offset:384
	s_waitcnt vmcnt(0) lgkmcnt(0)
	v_mul_f16_e32 v43, v53, v43
	v_bfi_b32 v43, s19, v43, v47
	v_mul_f16_e32 v46, v53, v44
.LBB225_47:                             ;   in Loop: Header=BB225_29 Depth=1
	v_pk_add_f16 v44, v16, v28
	v_pk_max_f16 v45, v121, v121
	v_pk_max_f16 v47, v120, v120
	v_pk_min_f16 v44, v45, v44
	v_pk_add_f16 v45, v18, v28
	v_pk_max_f16 v48, v119, v119
	v_pk_min_f16 v45, v47, v45
	v_pk_add_f16 v47, v12, v28
	v_pk_max_f16 v49, v118, v118
	v_pk_min_f16 v47, v48, v47
	v_pk_add_f16 v48, v14, v28
	v_pk_max_f16 v117, v117, v117
	v_pk_min_f16 v48, v49, v48
	v_pk_add_f16 v49, v4, v28
	v_pk_max_f16 v115, v115, v115
	v_pk_min_f16 v49, v117, v49
	v_pk_add_f16 v117, v6, v28
	v_pk_max_f16 v114, v114, v114
	v_pk_min_f16 v115, v115, v117
	v_pk_add_f16 v117, v0, v28
	v_pk_add_f16 v28, v2, v28
	v_pk_max_f16 v111, v111, v111
	v_pk_min_f16 v28, v114, v28
	v_pk_add_f16 v114, v16, v30
	v_pk_max_f16 v109, v109, v109
	v_pk_min_f16 v111, v111, v114
	v_pk_add_f16 v114, v18, v30
	v_pk_max_f16 v107, v107, v107
	v_pk_min_f16 v109, v109, v114
	v_pk_add_f16 v114, v12, v30
	v_pk_max_f16 v105, v105, v105
	v_pk_min_f16 v107, v107, v114
	v_pk_add_f16 v114, v14, v30
	v_pk_max_f16 v103, v103, v103
	v_pk_min_f16 v105, v105, v114
	v_pk_add_f16 v114, v4, v30
	v_pk_max_f16 v101, v101, v101
	v_pk_min_f16 v103, v103, v114
	v_pk_add_f16 v114, v6, v30
	v_pk_max_f16 v95, v95, v95
	v_pk_min_f16 v101, v101, v114
	v_pk_add_f16 v114, v0, v30
	v_pk_add_f16 v30, v2, v30
	v_pk_max_f16 v94, v94, v94
	v_pk_min_f16 v30, v95, v30
	v_pk_add_f16 v95, v16, v24
	;; [unrolled: 22-line block ×4, first 2 shown]
	v_pk_max_f16 v93, v93, v93
	v_pk_min_f16 v96, v96, v97
	v_pk_add_f16 v97, v18, v20
	v_pk_max_f16 v91, v91, v91
	v_pk_min_f16 v93, v93, v97
	v_pk_add_f16 v97, v12, v20
	;; [unrolled: 3-line block ×5, first 2 shown]
	v_pk_max_f16 v85, v85, v85
	v_pk_min_f16 v99, v99, v112
	v_pk_min_f16 v112, v85, v87
	v_pk_add_f16 v85, v0, v20
	v_pk_add_f16 v20, v2, v20
	v_pk_max_f16 v82, v82, v82
	v_pk_max_f16 v98, v98, v98
	v_pk_min_f16 v20, v82, v20
	v_pk_add_f16 v82, v16, v22
	v_pk_max_f16 v81, v81, v81
	v_pk_max_f16 v116, v116, v116
	v_pk_min_f16 v98, v98, v114
	v_pk_min_f16 v114, v81, v82
	v_pk_add_f16 v81, v18, v22
	v_pk_max_f16 v80, v80, v80
	v_pk_min_f16 v116, v116, v117
	v_pk_min_f16 v117, v80, v81
	v_pk_add_f16 v80, v12, v22
	v_pk_max_f16 v79, v79, v79
	v_pk_max_f16 v78, v78, v78
	v_pk_min_f16 v118, v79, v80
	v_pk_add_f16 v79, v14, v22
	v_pk_max_f16 v77, v77, v77
	v_pk_min_f16 v119, v78, v79
	v_pk_add_f16 v78, v4, v22
	;; [unrolled: 3-line block ×4, first 2 shown]
	v_pk_add_f16 v22, v2, v22
	v_pk_min_f16 v128, v74, v75
	v_pk_max_f16 v74, v76, v76
	v_pk_max_f16 v73, v73, v73
	v_pk_min_f16 v22, v74, v22
	v_pk_add_f16 v74, v16, v8
	v_pk_max_f16 v70, v70, v70
	v_pk_min_f16 v130, v73, v74
	v_pk_add_f16 v73, v18, v8
	;; [unrolled: 3-line block ×6, first 2 shown]
	v_pk_add_f16 v16, v16, v10
	v_pk_min_f16 v135, v66, v67
	v_pk_add_f16 v66, v0, v8
	v_pk_add_f16 v8, v2, v8
	;; [unrolled: 1-line block ×9, first 2 shown]
	v_pk_max_f16 v10, v61, v61
	v_pk_max_f16 v113, v113, v113
	v_pk_min_f16 v2, v10, v2
	v_pk_add_f16 v10, v17, v29
	v_pk_min_f16 v95, v113, v95
	v_pk_min_f16 v137, v44, v10
	v_pk_add_f16 v10, v19, v29
	v_pk_max_f16 v83, v83, v83
	v_pk_min_f16 v138, v45, v10
	v_pk_add_f16 v10, v13, v29
	v_pk_min_f16 v113, v83, v85
	v_pk_min_f16 v139, v47, v10
	v_pk_add_f16 v10, v15, v29
	;; [unrolled: 6-line block ×11, first 2 shown]
	v_perm_b32 v33, v129, v33, s17
	v_pk_min_f16 v84, v84, v10
	v_pk_add_f16 v10, v1, v25
	s_add_i32 s18, s18, 8
	v_pk_min_f16 v87, v95, v10
	v_pk_add_f16 v10, v3, v25
	v_pk_max_f16 v87, v87, v87
	v_pk_min_f16 v85, v24, v10
	v_pk_add_f16 v10, v17, v27
	v_pk_max_f16 v85, v85, v85
	;; [unrolled: 3-line block ×10, first 2 shown]
	v_pk_min_f16 v77, v96, v10
	v_pk_add_f16 v10, v19, v21
	v_lshl_add_u64 v[34:35], v[34:35], 0, 16
	v_pk_min_f16 v76, v93, v10
	v_pk_add_f16 v10, v13, v21
	s_cmp_ge_i32 s18, s16
	v_pk_min_f16 v74, v91, v10
	v_pk_add_f16 v10, v15, v21
	v_lshl_add_u64 v[38:39], v[38:39], 0, s[2:3]
	v_pk_min_f16 v70, v89, v10
	v_pk_add_f16 v10, v5, v21
	v_pk_max_f16 v70, v70, v70
	v_pk_min_f16 v69, v97, v10
	v_pk_add_f16 v10, v7, v21
	v_pk_max_f16 v69, v69, v69
	;; [unrolled: 3-line block ×6, first 2 shown]
	v_pk_min_f16 v64, v117, v10
	v_pk_add_f16 v10, v13, v23
	s_nop 0
	v_pk_min_f16 v63, v118, v10
	v_pk_add_f16 v10, v15, v23
	s_nop 0
	;; [unrolled: 3-line block ×10, first 2 shown]
	v_pk_min_f16 v28, v133, v10
	v_pk_add_f16 v10, v5, v9
	v_pk_add_f16 v5, v5, v11
	v_pk_min_f16 v27, v134, v10
	v_pk_add_f16 v10, v7, v9
	v_pk_min_f16 v55, v4, v5
	v_pk_min_f16 v26, v135, v10
	v_pk_add_f16 v10, v1, v9
	v_pk_add_f16 v9, v3, v9
	;; [unrolled: 1-line block ×3, first 2 shown]
	v_pk_min_f16 v24, v8, v9
	v_pk_add_f16 v8, v17, v11
	v_pk_add_f16 v4, v7, v11
	v_pk_min_f16 v44, v16, v8
	v_pk_add_f16 v8, v19, v11
	v_pk_min_f16 v128, v0, v1
	v_pk_min_f16 v30, v18, v8
	v_pk_add_f16 v8, v13, v11
	v_pk_add_f16 v0, v3, v11
	v_pk_min_f16 v49, v12, v8
	v_pk_add_f16 v8, v15, v11
	v_pk_min_f16 v25, v136, v10
	v_pk_min_f16 v48, v14, v8
	;; [unrolled: 1-line block ×4, first 2 shown]
	ds_read2_b64 v[8:11], v72 offset1:8
	ds_read2_b64 v[16:19], v56 offset1:32
	ds_read2_b64 v[12:15], v72 offset0:16 offset1:24
	ds_read2_b64 v[4:7], v72 offset0:32 offset1:40
	;; [unrolled: 1-line block ×4, first 2 shown]
	s_waitcnt lgkmcnt(4)
	v_pk_add_f16 v89, v8, v16
	v_pk_add_f16 v102, v8, v18
	;; [unrolled: 1-line block ×3, first 2 shown]
	s_waitcnt lgkmcnt(1)
	v_pk_add_f16 v99, v0, v16
	v_pk_add_f16 v106, v12, v18
	;; [unrolled: 1-line block ×7, first 2 shown]
	v_pk_max_f16 v18, v137, v137
	v_pk_add_f16 v91, v10, v16
	v_pk_add_f16 v93, v12, v16
	;; [unrolled: 1-line block ×7, first 2 shown]
	v_pk_min_f16 v18, v18, v89
	v_pk_add_f16 v89, v1, v17
	v_pk_min_f16 v99, v114, v99
	v_pk_min_f16 v121, v18, v16
	v_pk_max_f16 v18, v138, v138
	v_pk_min_f16 v116, v99, v89
	v_pk_max_f16 v99, v142, v142
	v_pk_add_f16 v16, v11, v17
	v_pk_min_f16 v18, v18, v91
	v_pk_add_f16 v91, v3, v17
	v_pk_min_f16 v99, v99, v100
	v_pk_min_f16 v120, v18, v16
	v_pk_max_f16 v18, v139, v139
	v_pk_min_f16 v114, v99, v91
	v_pk_max_f16 v99, v111, v111
	v_pk_add_f16 v16, v13, v17
	v_pk_min_f16 v18, v18, v93
	v_pk_add_f16 v93, v9, v19
	v_pk_min_f16 v99, v99, v102
	v_pk_min_f16 v119, v18, v16
	v_pk_max_f16 v18, v140, v140
	v_pk_min_f16 v111, v99, v93
	v_pk_max_f16 v99, v109, v109
	v_pk_add_f16 v16, v15, v17
	v_pk_min_f16 v18, v18, v95
	v_pk_add_f16 v95, v11, v19
	v_pk_min_f16 v99, v99, v104
	v_pk_min_f16 v118, v18, v16
	v_pk_max_f16 v18, v141, v141
	s_waitcnt lgkmcnt(0)
	v_pk_add_f16 v134, v8, v20
	v_pk_add_f16 v89, v10, v20
	;; [unrolled: 1-line block ×7, first 2 shown]
	v_pk_min_f16 v109, v99, v95
	v_pk_add_f16 v99, v2, v20
	v_pk_max_f16 v20, v107, v107
	v_pk_add_f16 v16, v5, v17
	v_pk_min_f16 v18, v18, v96
	v_pk_add_f16 v96, v13, v19
	v_pk_min_f16 v20, v20, v106
	v_pk_min_f16 v117, v18, v16
	v_pk_max_f16 v18, v115, v115
	v_pk_min_f16 v107, v20, v96
	v_pk_max_f16 v20, v105, v105
	v_pk_min_f16 v18, v18, v97
	v_pk_add_f16 v97, v15, v19
	v_pk_min_f16 v20, v20, v108
	v_pk_add_f16 v130, v5, v19
	v_pk_min_f16 v105, v20, v97
	v_pk_max_f16 v20, v103, v103
	v_pk_add_f16 v131, v7, v19
	v_pk_min_f16 v20, v20, v110
	v_pk_add_f16 v132, v1, v19
	v_pk_min_f16 v103, v20, v130
	v_pk_max_f16 v20, v101, v101
	;; [unrolled: 5-line block ×4, first 2 shown]
	v_pk_add_f16 v97, v14, v22
	v_pk_add_f16 v136, v4, v22
	;; [unrolled: 1-line block ×5, first 2 shown]
	v_pk_min_f16 v20, v20, v129
	v_pk_max_f16 v22, v94, v94
	v_pk_min_f16 v95, v20, v133
	v_pk_add_f16 v20, v9, v21
	v_pk_min_f16 v22, v22, v134
	v_pk_add_f16 v16, v7, v17
	v_pk_min_f16 v94, v22, v20
	v_pk_max_f16 v22, v92, v92
	v_pk_min_f16 v115, v18, v16
	ds_read2_b64 v[16:19], v56 offset0:128 offset1:160
	v_pk_add_f16 v20, v11, v21
	v_pk_min_f16 v22, v22, v89
	v_pk_add_f16 v138, v3, v23
	v_pk_min_f16 v92, v22, v20
	v_pk_max_f16 v22, v90, v90
	v_pk_add_f16 v20, v13, v21
	v_pk_min_f16 v22, v22, v100
	v_pk_min_f16 v73, v73, v131
	;; [unrolled: 1-line block ×3, first 2 shown]
	v_pk_max_f16 v22, v88, v88
	v_pk_add_f16 v20, v15, v21
	v_pk_min_f16 v22, v22, v91
	v_pk_add_f16 v134, v1, v23
	v_pk_min_f16 v88, v22, v20
	v_pk_max_f16 v22, v86, v86
	s_waitcnt lgkmcnt(0)
	v_pk_add_f16 v139, v8, v16
	v_pk_min_f16 v80, v80, v97
	v_pk_min_f16 v75, v75, v137
	;; [unrolled: 1-line block ×3, first 2 shown]
	v_pk_max_f16 v73, v77, v77
	v_pk_add_f16 v20, v5, v21
	v_pk_min_f16 v22, v22, v102
	v_pk_add_f16 v89, v1, v21
	v_pk_min_f16 v87, v87, v104
	v_pk_min_f16 v85, v85, v99
	v_pk_min_f16 v99, v75, v134
	v_pk_min_f16 v73, v73, v139
	v_pk_add_f16 v75, v9, v17
	v_pk_min_f16 v86, v22, v20
	v_pk_max_f16 v22, v84, v84
	v_pk_min_f16 v113, v87, v89
	v_pk_add_f16 v87, v10, v16
	v_pk_min_f16 v82, v82, v96
	v_pk_min_f16 v96, v73, v75
	v_pk_max_f16 v73, v76, v76
	v_pk_min_f16 v22, v22, v93
	v_pk_add_f16 v93, v9, v23
	v_pk_min_f16 v83, v83, v106
	v_pk_min_f16 v73, v73, v87
	v_pk_add_f16 v75, v11, v17
	v_pk_add_f16 v91, v3, v21
	;; [unrolled: 1-line block ×3, first 2 shown]
	v_pk_min_f16 v110, v83, v93
	v_pk_min_f16 v93, v73, v75
	v_pk_max_f16 v73, v74, v74
	v_pk_min_f16 v112, v85, v91
	v_pk_add_f16 v85, v14, v16
	v_pk_min_f16 v73, v73, v89
	v_pk_add_f16 v74, v13, v17
	v_pk_add_f16 v140, v4, v16
	v_pk_min_f16 v91, v73, v74
	v_pk_min_f16 v70, v70, v85
	v_pk_add_f16 v73, v15, v17
	v_pk_add_f16 v83, v6, v16
	v_pk_min_f16 v89, v70, v73
	v_pk_min_f16 v69, v69, v140
	v_pk_add_f16 v70, v5, v17
	v_pk_add_f16 v141, v0, v16
	;; [unrolled: 1-line block ×3, first 2 shown]
	v_pk_min_f16 v87, v69, v70
	v_pk_min_f16 v68, v68, v83
	v_pk_add_f16 v69, v7, v17
	v_pk_add_f16 v100, v11, v23
	v_pk_min_f16 v85, v68, v69
	v_pk_add_f16 v68, v1, v17
	v_pk_min_f16 v16, v66, v16
	;; [unrolled: 2-line block ×3, first 2 shown]
	v_pk_min_f16 v81, v81, v135
	v_pk_add_f16 v135, v8, v18
	v_pk_min_f16 v82, v16, v17
	v_pk_max_f16 v16, v65, v65
	v_pk_add_f16 v102, v13, v23
	v_pk_min_f16 v16, v16, v135
	v_pk_add_f16 v17, v9, v19
	v_pk_min_f16 v106, v81, v102
	;; [unrolled: 2-line block ×3, first 2 shown]
	v_pk_max_f16 v16, v64, v64
	v_pk_add_f16 v129, v15, v23
	v_pk_min_f16 v16, v16, v142
	v_pk_add_f16 v17, v11, v19
	v_pk_add_f16 v143, v12, v18
	v_pk_min_f16 v104, v80, v129
	v_pk_min_f16 v80, v16, v17
	v_pk_max_f16 v16, v63, v63
	v_pk_add_f16 v132, v5, v23
	v_pk_min_f16 v79, v79, v136
	v_pk_min_f16 v16, v16, v143
	v_pk_add_f16 v17, v13, v19
	v_pk_add_f16 v129, v14, v18
	v_pk_min_f16 v102, v79, v132
	v_pk_min_f16 v79, v16, v17
	v_pk_max_f16 v16, v62, v62
	v_pk_add_f16 v133, v7, v23
	v_pk_min_f16 v78, v78, v130
	;; [unrolled: 8-line block ×3, first 2 shown]
	v_pk_add_f16 v20, v7, v21
	v_pk_add_f16 v132, v6, v18
	v_pk_min_f16 v77, v16, v17
	v_pk_max_f16 v17, v59, v59
	v_pk_min_f16 v84, v22, v20
	ds_read2_b64 v[20:23], v56 offset0:192 offset1:224
	v_pk_add_f16 v16, v7, v19
	v_pk_min_f16 v17, v17, v132
	v_pk_add_f16 v130, v0, v18
	v_pk_min_f16 v75, v17, v16
	v_pk_max_f16 v17, v57, v57
	v_pk_add_f16 v16, v1, v19
	v_pk_min_f16 v17, v17, v130
	v_pk_add_f16 v18, v2, v18
	v_pk_min_f16 v74, v17, v16
	v_pk_max_f16 v17, v31, v31
	v_pk_add_f16 v16, v3, v19
	v_pk_min_f16 v17, v17, v18
	s_waitcnt lgkmcnt(0)
	v_pk_add_f16 v133, v8, v20
	v_pk_min_f16 v76, v17, v16
	v_pk_max_f16 v17, v47, v47
	v_pk_add_f16 v16, v9, v21
	v_pk_min_f16 v17, v17, v133
	v_pk_add_f16 v134, v10, v20
	v_pk_min_f16 v73, v17, v16
	v_pk_max_f16 v17, v45, v45
	v_pk_add_f16 v16, v11, v21
	v_pk_min_f16 v17, v17, v134
	;; [unrolled: 5-line block ×3, first 2 shown]
	v_pk_add_f16 v137, v14, v20
	v_pk_min_f16 v69, v17, v16
	v_pk_max_f16 v17, v28, v28
	v_pk_min_f16 v67, v67, v141
	v_pk_add_f16 v16, v15, v21
	v_pk_min_f16 v17, v17, v137
	v_pk_add_f16 v138, v4, v20
	v_pk_min_f16 v83, v67, v68
	v_pk_min_f16 v68, v17, v16
	v_pk_max_f16 v17, v27, v27
	v_pk_add_f16 v16, v5, v21
	v_pk_min_f16 v17, v17, v138
	v_pk_add_f16 v139, v6, v20
	v_pk_min_f16 v67, v17, v16
	v_pk_max_f16 v17, v26, v26
	v_pk_add_f16 v16, v7, v21
	v_pk_min_f16 v17, v17, v139
	v_pk_add_f16 v144, v0, v20
	;; [unrolled: 5-line block ×11, first 2 shown]
	v_pk_min_f16 v55, v0, v1
	v_pk_max_f16 v1, v61, v61
	v_pk_add_f16 v0, v3, v23
	v_pk_min_f16 v1, v1, v2
	v_perm_b32 v45, v46, v43, s17
	v_pk_min_f16 v61, v1, v0
	ds_write_b16 v123, v127
	ds_write_b16 v124, v42
	ds_write_b16_d16_hi v124, v42 offset:512
	ds_write_b16 v124, v43 offset:1024
	ds_write_b16 v124, v46 offset:1536
	s_waitcnt lgkmcnt(0)
	s_barrier
	s_cbranch_scc0 .LBB225_27
.LBB225_48:
	s_load_dword s6, s[0:1], 0x58
	ds_read_b64 v[30:31], v58 offset:4608
	ds_read_b64 v[46:47], v56 offset:2048
	v_add_u32_e32 v53, s23, v51
	v_cmp_neq_f16_e64 s[4:5], 0, v52
	v_add_u32_e32 v28, s22, v50
	s_waitcnt lgkmcnt(0)
	v_mad_i64_i32 v[0:1], s[2:3], v53, s6, 0
	v_ashrrev_i32_e32 v29, 31, v28
	v_lshl_add_u64 v[48:49], v[0:1], 1, s[10:11]
	v_mov_b32_e32 v34, 0
	s_and_b64 vcc, exec, s[4:5]
	v_mov_b32_e32 v35, 0
	s_cbranch_vccz .LBB225_50
; %bb.49:
	v_lshl_add_u64 v[0:1], v[28:29], 1, v[48:49]
	flat_load_ushort v0, v[0:1]
	s_waitcnt vmcnt(0) lgkmcnt(0)
	v_mul_f16_e32 v0, v52, v0
	v_cvt_f32_f16_e32 v35, v0
.LBB225_50:
	v_pk_add_f16 v32, v30, v46
	v_max_f16_e32 v33, v121, v121
	v_pk_add_f16 v37, v31, v47
	v_min_f16_e32 v36, v33, v32
	v_lshrrev_b32_e32 v33, 16, v121
	v_lshrrev_b32_e32 v32, 16, v32
	;; [unrolled: 1-line block ×3, first 2 shown]
	v_add_u32_e32 v0, 0x1000, v58
	v_min3_f16 v38, v33, v32, v38
	ds_read2_b64 v[8:11], v0 offset0:72 offset1:80
	ds_read2_b64 v[4:7], v0 offset0:88 offset1:96
	;; [unrolled: 1-line block ×3, first 2 shown]
	ds_read_b64 v[24:25], v58 offset:5056
	s_load_dword s7, s[0:1], 0x70
	s_load_dwordx2 s[2:3], s[0:1], 0x78
	v_min3_f16 v36, v36, v37, v38
	v_cvt_f32_f16_e32 v38, v36
	v_add_u32_e32 v12, 0x800, v56
	ds_read2_b64 v[20:23], v12 offset0:32 offset1:64
	ds_read2_b64 v[16:19], v12 offset0:96 offset1:128
	;; [unrolled: 1-line block ×3, first 2 shown]
	ds_read_b64 v[26:27], v56 offset:3840
	v_max_f32_e32 v35, v35, v35
	s_waitcnt lgkmcnt(0)
	s_lshl_b64 s[0:1], s[2:3], 1
	v_min_f32_e32 v35, v35, v38
	s_add_u32 s2, s12, s0
	v_cvt_f16_f32_e32 v35, v35
	s_addc_u32 s3, s13, s1
	v_mad_i64_i32 v[36:37], s[0:1], v53, s7, 0
	v_add_u32_e32 v32, 8, v28
	v_lshl_add_u64 v[50:51], v[36:37], 1, s[2:3]
	v_cndmask_b32_e64 v38, 0, 1, s[4:5]
	v_ashrrev_i32_e32 v33, 31, v32
	v_lshl_add_u64 v[36:37], v[28:29], 1, v[50:51]
	v_cmp_ne_u32_e64 s[0:1], 1, v38
	s_andn2_b64 vcc, exec, s[4:5]
	flat_store_short v[36:37], v35
	s_cbranch_vccnz .LBB225_52
; %bb.51:
	v_lshl_add_u64 v[34:35], v[32:33], 1, v[48:49]
	flat_load_ushort v34, v[34:35]
	s_waitcnt vmcnt(0) lgkmcnt(0)
	v_mul_f16_e32 v34, v52, v34
	v_cvt_f32_f16_e32 v34, v34
.LBB225_52:
	v_pk_add_f16 v35, v8, v46
	v_max_f16_e32 v36, v120, v120
	v_pk_add_f16 v38, v9, v47
	v_min_f16_e32 v36, v36, v35
	v_lshrrev_b32_e32 v37, 16, v120
	v_lshrrev_b32_e32 v35, 16, v35
	;; [unrolled: 1-line block ×3, first 2 shown]
	v_min3_f16 v35, v37, v35, v39
	v_min3_f16 v35, v36, v38, v35
	v_cvt_f32_f16_e32 v35, v35
	v_max_f32_e32 v34, v34, v34
	v_lshl_add_u64 v[36:37], v[32:33], 1, v[50:51]
	s_and_b64 vcc, exec, s[0:1]
	v_min_f32_e32 v34, v34, v35
	v_cvt_f16_f32_e32 v38, v34
	v_add_u32_e32 v34, 16, v28
	v_ashrrev_i32_e32 v35, 31, v34
	flat_store_short v[36:37], v38
	v_mov_b32_e32 v38, 0
	v_mov_b32_e32 v37, 0
	s_cbranch_vccnz .LBB225_54
; %bb.53:
	v_lshl_add_u64 v[36:37], v[34:35], 1, v[48:49]
	flat_load_ushort v36, v[36:37]
	s_waitcnt vmcnt(0) lgkmcnt(0)
	v_mul_f16_e32 v36, v52, v36
	v_cvt_f32_f16_e32 v37, v36
.LBB225_54:
	v_pk_add_f16 v36, v10, v46
	v_max_f16_e32 v39, v119, v119
	v_pk_add_f16 v41, v11, v47
	v_min_f16_e32 v39, v39, v36
	v_lshrrev_b32_e32 v40, 16, v119
	v_lshrrev_b32_e32 v36, 16, v36
	;; [unrolled: 1-line block ×3, first 2 shown]
	v_min3_f16 v36, v40, v36, v42
	v_min3_f16 v36, v39, v41, v36
	v_cvt_f32_f16_e32 v39, v36
	v_max_f32_e32 v37, v37, v37
	v_add_u32_e32 v36, 24, v28
	v_lshl_add_u64 v[40:41], v[34:35], 1, v[50:51]
	v_min_f32_e32 v37, v37, v39
	v_cvt_f16_f32_e32 v39, v37
	v_ashrrev_i32_e32 v37, 31, v36
	s_and_b64 vcc, exec, s[0:1]
	flat_store_short v[40:41], v39
	s_cbranch_vccnz .LBB225_56
; %bb.55:
	v_lshl_add_u64 v[38:39], v[36:37], 1, v[48:49]
	flat_load_ushort v38, v[38:39]
	s_waitcnt vmcnt(0) lgkmcnt(0)
	v_mul_f16_e32 v38, v52, v38
	v_cvt_f32_f16_e32 v38, v38
.LBB225_56:
	v_pk_add_f16 v39, v4, v46
	v_max_f16_e32 v40, v118, v118
	v_pk_add_f16 v42, v5, v47
	v_min_f16_e32 v40, v40, v39
	v_lshrrev_b32_e32 v41, 16, v118
	v_lshrrev_b32_e32 v39, 16, v39
	v_lshrrev_b32_e32 v43, 16, v42
	v_min3_f16 v39, v41, v39, v43
	v_min3_f16 v39, v40, v42, v39
	v_cvt_f32_f16_e32 v39, v39
	v_max_f32_e32 v38, v38, v38
	v_add_u32_e32 v40, 32, v28
	v_ashrrev_i32_e32 v41, 31, v40
	v_min_f32_e32 v38, v38, v39
	v_cvt_f16_f32_e32 v42, v38
	v_lshl_add_u64 v[38:39], v[36:37], 1, v[50:51]
	s_and_b64 vcc, exec, s[0:1]
	flat_store_short v[38:39], v42
	v_mov_b32_e32 v42, 0
	v_mov_b32_e32 v39, 0
	s_cbranch_vccnz .LBB225_58
; %bb.57:
	v_lshl_add_u64 v[38:39], v[40:41], 1, v[48:49]
	flat_load_ushort v38, v[38:39]
	s_waitcnt vmcnt(0) lgkmcnt(0)
	v_mul_f16_e32 v38, v52, v38
	v_cvt_f32_f16_e32 v39, v38
.LBB225_58:
	v_pk_add_f16 v38, v6, v46
	v_max_f16_e32 v43, v117, v117
	v_pk_add_f16 v45, v7, v47
	v_min_f16_e32 v43, v43, v38
	v_lshrrev_b32_e32 v44, 16, v117
	v_lshrrev_b32_e32 v38, 16, v38
	;; [unrolled: 1-line block ×3, first 2 shown]
	v_min3_f16 v38, v44, v38, v56
	v_min3_f16 v38, v43, v45, v38
	v_cvt_f32_f16_e32 v43, v38
	v_max_f32_e32 v39, v39, v39
	v_add_u32_e32 v38, 40, v28
	v_lshl_add_u64 v[44:45], v[40:41], 1, v[50:51]
	v_min_f32_e32 v39, v39, v43
	v_cvt_f16_f32_e32 v43, v39
	v_ashrrev_i32_e32 v39, 31, v38
	s_and_b64 vcc, exec, s[0:1]
	flat_store_short v[44:45], v43
	s_cbranch_vccnz .LBB225_60
; %bb.59:
	v_lshl_add_u64 v[42:43], v[38:39], 1, v[48:49]
	flat_load_ushort v42, v[42:43]
	s_waitcnt vmcnt(0) lgkmcnt(0)
	v_mul_f16_e32 v42, v52, v42
	v_cvt_f32_f16_e32 v42, v42
.LBB225_60:
	v_pk_add_f16 v43, v0, v46
	v_max_f16_e32 v44, v115, v115
	v_pk_add_f16 v56, v1, v47
	v_min_f16_e32 v44, v44, v43
	v_lshrrev_b32_e32 v45, 16, v115
	v_lshrrev_b32_e32 v43, 16, v43
	v_lshrrev_b32_e32 v58, 16, v56
	v_min3_f16 v43, v45, v43, v58
	v_min3_f16 v43, v44, v56, v43
	v_cvt_f32_f16_e32 v43, v43
	v_max_f32_e32 v42, v42, v42
	v_lshl_add_u64 v[44:45], v[38:39], 1, v[50:51]
	s_and_b64 vcc, exec, s[0:1]
	v_min_f32_e32 v42, v42, v43
	v_cvt_f16_f32_e32 v56, v42
	v_add_u32_e32 v42, 48, v28
	v_ashrrev_i32_e32 v43, 31, v42
	flat_store_short v[44:45], v56
	v_mov_b32_e32 v56, 0
	v_mov_b32_e32 v45, 0
	s_cbranch_vccnz .LBB225_62
; %bb.61:
	v_lshl_add_u64 v[44:45], v[42:43], 1, v[48:49]
	flat_load_ushort v44, v[44:45]
	s_waitcnt vmcnt(0) lgkmcnt(0)
	v_mul_f16_e32 v44, v52, v44
	v_cvt_f32_f16_e32 v45, v44
.LBB225_62:
	v_pk_add_f16 v44, v2, v46
	v_max_f16_e32 v58, v116, v116
	v_pk_add_f16 v72, v3, v47
	v_min_f16_e32 v58, v58, v44
	v_lshrrev_b32_e32 v71, 16, v116
	v_lshrrev_b32_e32 v44, 16, v44
	;; [unrolled: 1-line block ×3, first 2 shown]
	v_min3_f16 v44, v71, v44, v115
	v_min3_f16 v44, v58, v72, v44
	v_cvt_f32_f16_e32 v58, v44
	v_max_f32_e32 v45, v45, v45
	v_add_u32_e32 v44, 56, v28
	v_lshl_add_u64 v[116:117], v[42:43], 1, v[50:51]
	v_min_f32_e32 v45, v45, v58
	v_cvt_f16_f32_e32 v58, v45
	v_ashrrev_i32_e32 v45, 31, v44
	s_and_b64 vcc, exec, s[0:1]
	flat_store_short v[116:117], v58
	s_cbranch_vccnz .LBB225_64
; %bb.63:
	v_lshl_add_u64 v[48:49], v[44:45], 1, v[48:49]
	flat_load_ushort v48, v[48:49]
	s_waitcnt vmcnt(0) lgkmcnt(0)
	v_mul_f16_e32 v48, v52, v48
	v_cvt_f32_f16_e32 v56, v48
.LBB225_64:
	v_pk_add_f16 v46, v24, v46
	v_max_f16_e32 v48, v114, v114
	v_pk_add_f16 v47, v25, v47
	v_min_f16_e32 v48, v48, v46
	v_lshrrev_b32_e32 v49, 16, v114
	v_lshrrev_b32_e32 v46, 16, v46
	;; [unrolled: 1-line block ×3, first 2 shown]
	v_min3_f16 v46, v49, v46, v58
	v_min3_f16 v46, v48, v47, v46
	v_cvt_f32_f16_e32 v46, v46
	v_max_f32_e32 v47, v56, v56
	s_and_b64 vcc, exec, s[0:1]
	v_mov_b32_e32 v49, 0
	v_min_f32_e32 v46, v47, v46
	v_cvt_f16_f32_e32 v48, v46
	v_lshl_add_u64 v[46:47], v[44:45], 1, v[50:51]
	v_mov_b32_e32 v50, 0
	flat_store_short v[46:47], v48
	v_add_u32_e32 v48, 32, v53
	v_mad_i64_i32 v[46:47], s[4:5], v48, s6, 0
	v_lshl_add_u64 v[46:47], v[46:47], 1, s[10:11]
	s_cbranch_vccnz .LBB225_66
; %bb.65:
	v_lshl_add_u64 v[114:115], v[28:29], 1, v[46:47]
	flat_load_ushort v49, v[114:115]
	s_waitcnt vmcnt(0) lgkmcnt(0)
	v_mul_f16_e32 v49, v52, v49
	v_cvt_f32_f16_e32 v49, v49
.LBB225_66:
	v_pk_add_f16 v51, v30, v20
	v_max_f16_e32 v56, v111, v111
	v_pk_add_f16 v71, v31, v21
	v_min_f16_e32 v56, v56, v51
	v_lshrrev_b32_e32 v58, 16, v111
	v_lshrrev_b32_e32 v51, 16, v51
	;; [unrolled: 1-line block ×3, first 2 shown]
	v_min3_f16 v51, v58, v51, v72
	v_min3_f16 v51, v56, v71, v51
	v_cvt_f32_f16_e32 v51, v51
	v_mad_i64_i32 v[114:115], s[4:5], v48, s7, 0
	v_max_f32_e32 v48, v49, v49
	v_min_f32_e32 v48, v48, v51
	v_cvt_f16_f32_e32 v51, v48
	v_lshl_add_u64 v[48:49], v[114:115], 1, s[2:3]
	v_lshl_add_u64 v[114:115], v[28:29], 1, v[48:49]
	s_and_b64 vcc, exec, s[0:1]
	flat_store_short v[114:115], v51
	s_cbranch_vccnz .LBB225_68
; %bb.67:
	v_lshl_add_u64 v[50:51], v[32:33], 1, v[46:47]
	flat_load_ushort v50, v[50:51]
	s_waitcnt vmcnt(0) lgkmcnt(0)
	v_mul_f16_e32 v50, v52, v50
	v_cvt_f32_f16_e32 v50, v50
.LBB225_68:
	v_pk_add_f16 v51, v8, v20
	v_max_f16_e32 v56, v109, v109
	v_pk_add_f16 v71, v9, v21
	v_min_f16_e32 v56, v56, v51
	v_lshrrev_b32_e32 v58, 16, v109
	v_lshrrev_b32_e32 v51, 16, v51
	v_lshrrev_b32_e32 v72, 16, v71
	v_min3_f16 v51, v58, v51, v72
	v_min3_f16 v51, v56, v71, v51
	v_cvt_f32_f16_e32 v51, v51
	v_max_f32_e32 v50, v50, v50
	s_and_b64 vcc, exec, s[0:1]
	v_min_f32_e32 v50, v50, v51
	v_cvt_f16_f32_e32 v56, v50
	v_lshl_add_u64 v[50:51], v[32:33], 1, v[48:49]
	flat_store_short v[50:51], v56
	v_mov_b32_e32 v50, 0
	v_mov_b32_e32 v51, 0
	s_cbranch_vccnz .LBB225_70
; %bb.69:
	v_lshl_add_u64 v[114:115], v[34:35], 1, v[46:47]
	flat_load_ushort v51, v[114:115]
	s_waitcnt vmcnt(0) lgkmcnt(0)
	v_mul_f16_e32 v51, v52, v51
	v_cvt_f32_f16_e32 v51, v51
.LBB225_70:
	v_pk_add_f16 v56, v10, v20
	v_max_f16_e32 v58, v107, v107
	v_pk_add_f16 v72, v11, v21
	v_min_f16_e32 v58, v58, v56
	v_lshrrev_b32_e32 v71, 16, v107
	v_lshrrev_b32_e32 v56, 16, v56
	v_lshrrev_b32_e32 v107, 16, v72
	v_min3_f16 v56, v71, v56, v107
	v_min3_f16 v56, v58, v72, v56
	v_cvt_f32_f16_e32 v56, v56
	v_max_f32_e32 v51, v51, v51
	v_lshl_add_u64 v[114:115], v[34:35], 1, v[48:49]
	s_and_b64 vcc, exec, s[0:1]
	v_min_f32_e32 v51, v51, v56
	v_cvt_f16_f32_e32 v51, v51
	flat_store_short v[114:115], v51
	s_cbranch_vccnz .LBB225_72
; %bb.71:
	v_lshl_add_u64 v[50:51], v[36:37], 1, v[46:47]
	flat_load_ushort v50, v[50:51]
	s_waitcnt vmcnt(0) lgkmcnt(0)
	v_mul_f16_e32 v50, v52, v50
	v_cvt_f32_f16_e32 v50, v50
.LBB225_72:
	v_pk_add_f16 v51, v4, v20
	v_max_f16_e32 v56, v105, v105
	v_pk_add_f16 v71, v5, v21
	v_min_f16_e32 v56, v56, v51
	v_lshrrev_b32_e32 v58, 16, v105
	v_lshrrev_b32_e32 v51, 16, v51
	v_lshrrev_b32_e32 v72, 16, v71
	v_min3_f16 v51, v58, v51, v72
	v_min3_f16 v51, v56, v71, v51
	v_cvt_f32_f16_e32 v51, v51
	v_max_f32_e32 v50, v50, v50
	s_and_b64 vcc, exec, s[0:1]
	v_min_f32_e32 v50, v50, v51
	v_cvt_f16_f32_e32 v56, v50
	v_lshl_add_u64 v[50:51], v[36:37], 1, v[48:49]
	flat_store_short v[50:51], v56
	v_mov_b32_e32 v50, 0
	v_mov_b32_e32 v51, 0
	s_cbranch_vccnz .LBB225_74
; %bb.73:
	v_lshl_add_u64 v[114:115], v[40:41], 1, v[46:47]
	flat_load_ushort v51, v[114:115]
	s_waitcnt vmcnt(0) lgkmcnt(0)
	v_mul_f16_e32 v51, v52, v51
	v_cvt_f32_f16_e32 v51, v51
.LBB225_74:
	v_pk_add_f16 v56, v6, v20
	v_max_f16_e32 v58, v103, v103
	v_pk_add_f16 v72, v7, v21
	v_min_f16_e32 v58, v58, v56
	v_lshrrev_b32_e32 v71, 16, v103
	v_lshrrev_b32_e32 v56, 16, v56
	v_lshrrev_b32_e32 v103, 16, v72
	v_min3_f16 v56, v71, v56, v103
	v_min3_f16 v56, v58, v72, v56
	v_cvt_f32_f16_e32 v56, v56
	v_max_f32_e32 v51, v51, v51
	v_lshl_add_u64 v[114:115], v[40:41], 1, v[48:49]
	s_and_b64 vcc, exec, s[0:1]
	v_min_f32_e32 v51, v51, v56
	v_cvt_f16_f32_e32 v51, v51
	;; [unrolled: 50-line block ×3, first 2 shown]
	flat_store_short v[114:115], v51
	s_cbranch_vccnz .LBB225_80
; %bb.79:
	v_lshl_add_u64 v[46:47], v[44:45], 1, v[46:47]
	flat_load_ushort v46, v[46:47]
	s_waitcnt vmcnt(0) lgkmcnt(0)
	v_mul_f16_e32 v46, v52, v46
	v_cvt_f32_f16_e32 v50, v46
.LBB225_80:
	v_pk_add_f16 v20, v24, v20
	v_max_f16_e32 v46, v95, v95
	v_pk_add_f16 v21, v25, v21
	v_min_f16_e32 v46, v46, v20
	v_lshrrev_b32_e32 v47, 16, v95
	v_lshrrev_b32_e32 v20, 16, v20
	v_lshrrev_b32_e32 v51, 16, v21
	v_min3_f16 v20, v47, v20, v51
	v_min3_f16 v20, v46, v21, v20
	v_cvt_f32_f16_e32 v20, v20
	v_max_f32_e32 v21, v50, v50
	s_and_b64 vcc, exec, s[0:1]
	v_mov_b32_e32 v47, 0
	v_min_f32_e32 v20, v21, v20
	v_cvt_f16_f32_e32 v46, v20
	v_lshl_add_u64 v[20:21], v[44:45], 1, v[48:49]
	v_mov_b32_e32 v48, 0
	flat_store_short v[20:21], v46
	v_add_u32_e32 v46, 64, v53
	v_mad_i64_i32 v[20:21], s[4:5], v46, s6, 0
	v_lshl_add_u64 v[20:21], v[20:21], 1, s[10:11]
	s_cbranch_vccnz .LBB225_82
; %bb.81:
	v_lshl_add_u64 v[50:51], v[28:29], 1, v[20:21]
	flat_load_ushort v47, v[50:51]
	s_waitcnt vmcnt(0) lgkmcnt(0)
	v_mul_f16_e32 v47, v52, v47
	v_cvt_f32_f16_e32 v47, v47
.LBB225_82:
	v_pk_add_f16 v49, v30, v22
	v_max_f16_e32 v50, v94, v94
	v_pk_add_f16 v56, v31, v23
	v_min_f16_e32 v50, v50, v49
	v_lshrrev_b32_e32 v51, 16, v94
	v_lshrrev_b32_e32 v49, 16, v49
	;; [unrolled: 1-line block ×3, first 2 shown]
	v_min3_f16 v49, v51, v49, v58
	v_min3_f16 v49, v50, v56, v49
	v_cvt_f32_f16_e32 v49, v49
	v_mad_i64_i32 v[50:51], s[4:5], v46, s7, 0
	v_max_f32_e32 v46, v47, v47
	v_min_f32_e32 v46, v46, v49
	v_cvt_f16_f32_e32 v49, v46
	v_lshl_add_u64 v[46:47], v[50:51], 1, s[2:3]
	v_lshl_add_u64 v[50:51], v[28:29], 1, v[46:47]
	s_and_b64 vcc, exec, s[0:1]
	flat_store_short v[50:51], v49
	s_cbranch_vccnz .LBB225_84
; %bb.83:
	v_lshl_add_u64 v[48:49], v[32:33], 1, v[20:21]
	flat_load_ushort v48, v[48:49]
	s_waitcnt vmcnt(0) lgkmcnt(0)
	v_mul_f16_e32 v48, v52, v48
	v_cvt_f32_f16_e32 v48, v48
.LBB225_84:
	v_pk_add_f16 v49, v8, v22
	v_max_f16_e32 v50, v92, v92
	v_pk_add_f16 v56, v9, v23
	v_min_f16_e32 v50, v50, v49
	v_lshrrev_b32_e32 v51, 16, v92
	v_lshrrev_b32_e32 v49, 16, v49
	v_lshrrev_b32_e32 v58, 16, v56
	v_min3_f16 v49, v51, v49, v58
	v_min3_f16 v49, v50, v56, v49
	v_cvt_f32_f16_e32 v49, v49
	v_max_f32_e32 v48, v48, v48
	s_and_b64 vcc, exec, s[0:1]
	v_min_f32_e32 v48, v48, v49
	v_cvt_f16_f32_e32 v50, v48
	v_lshl_add_u64 v[48:49], v[32:33], 1, v[46:47]
	flat_store_short v[48:49], v50
	v_mov_b32_e32 v48, 0
	v_mov_b32_e32 v49, 0
	s_cbranch_vccnz .LBB225_86
; %bb.85:
	v_lshl_add_u64 v[50:51], v[34:35], 1, v[20:21]
	flat_load_ushort v49, v[50:51]
	s_waitcnt vmcnt(0) lgkmcnt(0)
	v_mul_f16_e32 v49, v52, v49
	v_cvt_f32_f16_e32 v49, v49
.LBB225_86:
	v_pk_add_f16 v50, v10, v22
	v_max_f16_e32 v51, v90, v90
	v_pk_add_f16 v58, v11, v23
	v_min_f16_e32 v51, v51, v50
	v_lshrrev_b32_e32 v56, 16, v90
	v_lshrrev_b32_e32 v50, 16, v50
	v_lshrrev_b32_e32 v71, 16, v58
	v_min3_f16 v50, v56, v50, v71
	v_min3_f16 v50, v51, v58, v50
	v_cvt_f32_f16_e32 v50, v50
	v_max_f32_e32 v49, v49, v49
	s_and_b64 vcc, exec, s[0:1]
	v_min_f32_e32 v49, v49, v50
	v_cvt_f16_f32_e32 v49, v49
	v_lshl_add_u64 v[50:51], v[34:35], 1, v[46:47]
	flat_store_short v[50:51], v49
	s_cbranch_vccnz .LBB225_88
; %bb.87:
	v_lshl_add_u64 v[48:49], v[36:37], 1, v[20:21]
	flat_load_ushort v48, v[48:49]
	s_waitcnt vmcnt(0) lgkmcnt(0)
	v_mul_f16_e32 v48, v52, v48
	v_cvt_f32_f16_e32 v48, v48
.LBB225_88:
	v_pk_add_f16 v49, v4, v22
	v_max_f16_e32 v50, v88, v88
	v_pk_add_f16 v56, v5, v23
	v_min_f16_e32 v50, v50, v49
	v_lshrrev_b32_e32 v51, 16, v88
	v_lshrrev_b32_e32 v49, 16, v49
	v_lshrrev_b32_e32 v58, 16, v56
	v_min3_f16 v49, v51, v49, v58
	v_min3_f16 v49, v50, v56, v49
	v_cvt_f32_f16_e32 v49, v49
	v_max_f32_e32 v48, v48, v48
	s_and_b64 vcc, exec, s[0:1]
	v_min_f32_e32 v48, v48, v49
	v_cvt_f16_f32_e32 v50, v48
	v_lshl_add_u64 v[48:49], v[36:37], 1, v[46:47]
	flat_store_short v[48:49], v50
	v_mov_b32_e32 v48, 0
	v_mov_b32_e32 v49, 0
	s_cbranch_vccnz .LBB225_90
; %bb.89:
	v_lshl_add_u64 v[50:51], v[40:41], 1, v[20:21]
	flat_load_ushort v49, v[50:51]
	s_waitcnt vmcnt(0) lgkmcnt(0)
	v_mul_f16_e32 v49, v52, v49
	v_cvt_f32_f16_e32 v49, v49
.LBB225_90:
	v_pk_add_f16 v50, v6, v22
	v_max_f16_e32 v51, v86, v86
	v_pk_add_f16 v58, v7, v23
	v_min_f16_e32 v51, v51, v50
	v_lshrrev_b32_e32 v56, 16, v86
	v_lshrrev_b32_e32 v50, 16, v50
	v_lshrrev_b32_e32 v71, 16, v58
	v_min3_f16 v50, v56, v50, v71
	v_min3_f16 v50, v51, v58, v50
	v_cvt_f32_f16_e32 v50, v50
	v_max_f32_e32 v49, v49, v49
	s_and_b64 vcc, exec, s[0:1]
	v_min_f32_e32 v49, v49, v50
	v_cvt_f16_f32_e32 v49, v49
	v_lshl_add_u64 v[50:51], v[40:41], 1, v[46:47]
	;; [unrolled: 50-line block ×3, first 2 shown]
	flat_store_short v[50:51], v49
	s_cbranch_vccnz .LBB225_96
; %bb.95:
	v_lshl_add_u64 v[20:21], v[44:45], 1, v[20:21]
	flat_load_ushort v20, v[20:21]
	s_waitcnt vmcnt(0) lgkmcnt(0)
	v_mul_f16_e32 v20, v52, v20
	v_cvt_f32_f16_e32 v48, v20
.LBB225_96:
	v_pk_add_f16 v20, v24, v22
	v_max_f16_e32 v21, v112, v112
	v_pk_add_f16 v23, v25, v23
	v_min_f16_e32 v21, v21, v20
	v_lshrrev_b32_e32 v22, 16, v112
	v_lshrrev_b32_e32 v20, 16, v20
	;; [unrolled: 1-line block ×3, first 2 shown]
	v_min3_f16 v20, v22, v20, v49
	v_min3_f16 v20, v21, v23, v20
	v_cvt_f32_f16_e32 v20, v20
	v_max_f32_e32 v21, v48, v48
	s_and_b64 vcc, exec, s[0:1]
	v_mov_b32_e32 v23, 0
	v_min_f32_e32 v20, v21, v20
	v_cvt_f16_f32_e32 v22, v20
	v_lshl_add_u64 v[20:21], v[44:45], 1, v[46:47]
	v_mov_b32_e32 v46, 0
	flat_store_short v[20:21], v22
	v_add_u32_e32 v22, 0x60, v53
	v_mad_i64_i32 v[20:21], s[4:5], v22, s6, 0
	v_lshl_add_u64 v[20:21], v[20:21], 1, s[10:11]
	s_cbranch_vccnz .LBB225_98
; %bb.97:
	v_lshl_add_u64 v[48:49], v[28:29], 1, v[20:21]
	flat_load_ushort v23, v[48:49]
	s_waitcnt vmcnt(0) lgkmcnt(0)
	v_mul_f16_e32 v23, v52, v23
	v_cvt_f32_f16_e32 v23, v23
.LBB225_98:
	v_pk_add_f16 v47, v30, v16
	v_max_f16_e32 v48, v110, v110
	v_pk_add_f16 v50, v31, v17
	v_min_f16_e32 v48, v48, v47
	v_lshrrev_b32_e32 v49, 16, v110
	v_lshrrev_b32_e32 v47, 16, v47
	;; [unrolled: 1-line block ×3, first 2 shown]
	v_min3_f16 v47, v49, v47, v51
	v_min3_f16 v47, v48, v50, v47
	v_cvt_f32_f16_e32 v47, v47
	v_mad_i64_i32 v[48:49], s[4:5], v22, s7, 0
	v_max_f32_e32 v22, v23, v23
	v_min_f32_e32 v22, v22, v47
	v_cvt_f16_f32_e32 v47, v22
	v_lshl_add_u64 v[22:23], v[48:49], 1, s[2:3]
	v_lshl_add_u64 v[48:49], v[28:29], 1, v[22:23]
	s_and_b64 vcc, exec, s[0:1]
	flat_store_short v[48:49], v47
	s_cbranch_vccnz .LBB225_100
; %bb.99:
	v_lshl_add_u64 v[46:47], v[32:33], 1, v[20:21]
	flat_load_ushort v46, v[46:47]
	s_waitcnt vmcnt(0) lgkmcnt(0)
	v_mul_f16_e32 v46, v52, v46
	v_cvt_f32_f16_e32 v46, v46
.LBB225_100:
	v_pk_add_f16 v47, v8, v16
	v_max_f16_e32 v48, v108, v108
	v_pk_add_f16 v50, v9, v17
	v_min_f16_e32 v48, v48, v47
	v_lshrrev_b32_e32 v49, 16, v108
	v_lshrrev_b32_e32 v47, 16, v47
	v_lshrrev_b32_e32 v51, 16, v50
	v_min3_f16 v47, v49, v47, v51
	v_min3_f16 v47, v48, v50, v47
	v_cvt_f32_f16_e32 v47, v47
	v_max_f32_e32 v46, v46, v46
	s_and_b64 vcc, exec, s[0:1]
	v_min_f32_e32 v46, v46, v47
	v_cvt_f16_f32_e32 v48, v46
	v_lshl_add_u64 v[46:47], v[32:33], 1, v[22:23]
	flat_store_short v[46:47], v48
	v_mov_b32_e32 v46, 0
	v_mov_b32_e32 v47, 0
	s_cbranch_vccnz .LBB225_102
; %bb.101:
	v_lshl_add_u64 v[48:49], v[34:35], 1, v[20:21]
	flat_load_ushort v47, v[48:49]
	s_waitcnt vmcnt(0) lgkmcnt(0)
	v_mul_f16_e32 v47, v52, v47
	v_cvt_f32_f16_e32 v47, v47
.LBB225_102:
	v_pk_add_f16 v48, v10, v16
	v_max_f16_e32 v49, v106, v106
	v_pk_add_f16 v51, v11, v17
	v_min_f16_e32 v49, v49, v48
	v_lshrrev_b32_e32 v50, 16, v106
	v_lshrrev_b32_e32 v48, 16, v48
	v_lshrrev_b32_e32 v56, 16, v51
	v_min3_f16 v48, v50, v48, v56
	v_min3_f16 v48, v49, v51, v48
	v_cvt_f32_f16_e32 v48, v48
	v_max_f32_e32 v47, v47, v47
	s_and_b64 vcc, exec, s[0:1]
	v_min_f32_e32 v47, v47, v48
	v_cvt_f16_f32_e32 v47, v47
	v_lshl_add_u64 v[48:49], v[34:35], 1, v[22:23]
	flat_store_short v[48:49], v47
	s_cbranch_vccnz .LBB225_104
; %bb.103:
	v_lshl_add_u64 v[46:47], v[36:37], 1, v[20:21]
	flat_load_ushort v46, v[46:47]
	s_waitcnt vmcnt(0) lgkmcnt(0)
	v_mul_f16_e32 v46, v52, v46
	v_cvt_f32_f16_e32 v46, v46
.LBB225_104:
	v_pk_add_f16 v47, v4, v16
	v_max_f16_e32 v48, v104, v104
	v_pk_add_f16 v50, v5, v17
	v_min_f16_e32 v48, v48, v47
	v_lshrrev_b32_e32 v49, 16, v104
	v_lshrrev_b32_e32 v47, 16, v47
	v_lshrrev_b32_e32 v51, 16, v50
	v_min3_f16 v47, v49, v47, v51
	v_min3_f16 v47, v48, v50, v47
	v_cvt_f32_f16_e32 v47, v47
	v_max_f32_e32 v46, v46, v46
	s_and_b64 vcc, exec, s[0:1]
	v_min_f32_e32 v46, v46, v47
	v_cvt_f16_f32_e32 v48, v46
	v_lshl_add_u64 v[46:47], v[36:37], 1, v[22:23]
	flat_store_short v[46:47], v48
	v_mov_b32_e32 v46, 0
	v_mov_b32_e32 v47, 0
	s_cbranch_vccnz .LBB225_106
; %bb.105:
	v_lshl_add_u64 v[48:49], v[40:41], 1, v[20:21]
	flat_load_ushort v47, v[48:49]
	s_waitcnt vmcnt(0) lgkmcnt(0)
	v_mul_f16_e32 v47, v52, v47
	v_cvt_f32_f16_e32 v47, v47
.LBB225_106:
	v_pk_add_f16 v48, v6, v16
	v_max_f16_e32 v49, v102, v102
	v_pk_add_f16 v51, v7, v17
	v_min_f16_e32 v49, v49, v48
	v_lshrrev_b32_e32 v50, 16, v102
	v_lshrrev_b32_e32 v48, 16, v48
	v_lshrrev_b32_e32 v56, 16, v51
	v_min3_f16 v48, v50, v48, v56
	v_min3_f16 v48, v49, v51, v48
	v_cvt_f32_f16_e32 v48, v48
	v_max_f32_e32 v47, v47, v47
	s_and_b64 vcc, exec, s[0:1]
	v_min_f32_e32 v47, v47, v48
	v_cvt_f16_f32_e32 v47, v47
	v_lshl_add_u64 v[48:49], v[40:41], 1, v[22:23]
	;; [unrolled: 50-line block ×3, first 2 shown]
	flat_store_short v[48:49], v47
	s_cbranch_vccnz .LBB225_112
; %bb.111:
	v_lshl_add_u64 v[20:21], v[44:45], 1, v[20:21]
	flat_load_ushort v20, v[20:21]
	s_waitcnt vmcnt(0) lgkmcnt(0)
	v_mul_f16_e32 v20, v52, v20
	v_cvt_f32_f16_e32 v46, v20
.LBB225_112:
	v_pk_add_f16 v16, v24, v16
	v_max_f16_e32 v20, v97, v97
	v_pk_add_f16 v17, v25, v17
	v_min_f16_e32 v20, v20, v16
	v_lshrrev_b32_e32 v21, 16, v97
	v_lshrrev_b32_e32 v16, 16, v16
	;; [unrolled: 1-line block ×3, first 2 shown]
	v_min3_f16 v16, v21, v16, v47
	v_min3_f16 v16, v20, v17, v16
	v_cvt_f32_f16_e32 v16, v16
	v_max_f32_e32 v17, v46, v46
	s_and_b64 vcc, exec, s[0:1]
	v_mov_b32_e32 v21, 0
	v_min_f32_e32 v16, v17, v16
	v_cvt_f16_f32_e32 v20, v16
	v_lshl_add_u64 v[16:17], v[44:45], 1, v[22:23]
	v_mov_b32_e32 v22, 0
	flat_store_short v[16:17], v20
	v_add_u32_e32 v20, 0x80, v53
	v_mad_i64_i32 v[16:17], s[4:5], v20, s6, 0
	v_lshl_add_u64 v[16:17], v[16:17], 1, s[10:11]
	s_cbranch_vccnz .LBB225_114
; %bb.113:
	v_lshl_add_u64 v[46:47], v[28:29], 1, v[16:17]
	flat_load_ushort v21, v[46:47]
	s_waitcnt vmcnt(0) lgkmcnt(0)
	v_mul_f16_e32 v21, v52, v21
	v_cvt_f32_f16_e32 v21, v21
.LBB225_114:
	v_pk_add_f16 v23, v30, v18
	v_max_f16_e32 v46, v96, v96
	v_pk_add_f16 v48, v31, v19
	v_min_f16_e32 v46, v46, v23
	v_lshrrev_b32_e32 v47, 16, v96
	v_lshrrev_b32_e32 v23, 16, v23
	;; [unrolled: 1-line block ×3, first 2 shown]
	v_min3_f16 v23, v47, v23, v49
	v_min3_f16 v23, v46, v48, v23
	v_cvt_f32_f16_e32 v23, v23
	v_mad_i64_i32 v[46:47], s[4:5], v20, s7, 0
	v_max_f32_e32 v20, v21, v21
	v_min_f32_e32 v20, v20, v23
	v_cvt_f16_f32_e32 v23, v20
	v_lshl_add_u64 v[20:21], v[46:47], 1, s[2:3]
	v_lshl_add_u64 v[46:47], v[28:29], 1, v[20:21]
	s_and_b64 vcc, exec, s[0:1]
	flat_store_short v[46:47], v23
	s_cbranch_vccnz .LBB225_116
; %bb.115:
	v_lshl_add_u64 v[22:23], v[32:33], 1, v[16:17]
	flat_load_ushort v22, v[22:23]
	s_waitcnt vmcnt(0) lgkmcnt(0)
	v_mul_f16_e32 v22, v52, v22
	v_cvt_f32_f16_e32 v22, v22
.LBB225_116:
	v_pk_add_f16 v23, v8, v18
	v_max_f16_e32 v46, v93, v93
	v_pk_add_f16 v48, v9, v19
	v_min_f16_e32 v46, v46, v23
	v_lshrrev_b32_e32 v47, 16, v93
	v_lshrrev_b32_e32 v23, 16, v23
	v_lshrrev_b32_e32 v49, 16, v48
	v_min3_f16 v23, v47, v23, v49
	v_min3_f16 v23, v46, v48, v23
	v_cvt_f32_f16_e32 v23, v23
	v_max_f32_e32 v22, v22, v22
	s_and_b64 vcc, exec, s[0:1]
	v_min_f32_e32 v22, v22, v23
	v_cvt_f16_f32_e32 v46, v22
	v_lshl_add_u64 v[22:23], v[32:33], 1, v[20:21]
	flat_store_short v[22:23], v46
	v_mov_b32_e32 v22, 0
	v_mov_b32_e32 v23, 0
	s_cbranch_vccnz .LBB225_118
; %bb.117:
	v_lshl_add_u64 v[46:47], v[34:35], 1, v[16:17]
	flat_load_ushort v23, v[46:47]
	s_waitcnt vmcnt(0) lgkmcnt(0)
	v_mul_f16_e32 v23, v52, v23
	v_cvt_f32_f16_e32 v23, v23
.LBB225_118:
	v_pk_add_f16 v46, v10, v18
	v_max_f16_e32 v47, v91, v91
	v_pk_add_f16 v49, v11, v19
	v_min_f16_e32 v47, v47, v46
	v_lshrrev_b32_e32 v48, 16, v91
	v_lshrrev_b32_e32 v46, 16, v46
	v_lshrrev_b32_e32 v50, 16, v49
	v_min3_f16 v46, v48, v46, v50
	v_min3_f16 v46, v47, v49, v46
	v_cvt_f32_f16_e32 v46, v46
	v_max_f32_e32 v23, v23, v23
	s_and_b64 vcc, exec, s[0:1]
	v_min_f32_e32 v23, v23, v46
	v_cvt_f16_f32_e32 v23, v23
	v_lshl_add_u64 v[46:47], v[34:35], 1, v[20:21]
	flat_store_short v[46:47], v23
	s_cbranch_vccnz .LBB225_120
; %bb.119:
	v_lshl_add_u64 v[22:23], v[36:37], 1, v[16:17]
	flat_load_ushort v22, v[22:23]
	s_waitcnt vmcnt(0) lgkmcnt(0)
	v_mul_f16_e32 v22, v52, v22
	v_cvt_f32_f16_e32 v22, v22
.LBB225_120:
	v_pk_add_f16 v23, v4, v18
	v_max_f16_e32 v46, v89, v89
	v_pk_add_f16 v48, v5, v19
	v_min_f16_e32 v46, v46, v23
	v_lshrrev_b32_e32 v47, 16, v89
	v_lshrrev_b32_e32 v23, 16, v23
	v_lshrrev_b32_e32 v49, 16, v48
	v_min3_f16 v23, v47, v23, v49
	v_min3_f16 v23, v46, v48, v23
	v_cvt_f32_f16_e32 v23, v23
	v_max_f32_e32 v22, v22, v22
	s_and_b64 vcc, exec, s[0:1]
	v_min_f32_e32 v22, v22, v23
	v_cvt_f16_f32_e32 v46, v22
	v_lshl_add_u64 v[22:23], v[36:37], 1, v[20:21]
	flat_store_short v[22:23], v46
	v_mov_b32_e32 v22, 0
	v_mov_b32_e32 v23, 0
	s_cbranch_vccnz .LBB225_122
; %bb.121:
	v_lshl_add_u64 v[46:47], v[40:41], 1, v[16:17]
	flat_load_ushort v23, v[46:47]
	s_waitcnt vmcnt(0) lgkmcnt(0)
	v_mul_f16_e32 v23, v52, v23
	v_cvt_f32_f16_e32 v23, v23
.LBB225_122:
	v_pk_add_f16 v46, v6, v18
	v_max_f16_e32 v47, v87, v87
	v_pk_add_f16 v49, v7, v19
	v_min_f16_e32 v47, v47, v46
	v_lshrrev_b32_e32 v48, 16, v87
	v_lshrrev_b32_e32 v46, 16, v46
	v_lshrrev_b32_e32 v50, 16, v49
	v_min3_f16 v46, v48, v46, v50
	v_min3_f16 v46, v47, v49, v46
	v_cvt_f32_f16_e32 v46, v46
	v_max_f32_e32 v23, v23, v23
	s_and_b64 vcc, exec, s[0:1]
	v_min_f32_e32 v23, v23, v46
	v_cvt_f16_f32_e32 v23, v23
	v_lshl_add_u64 v[46:47], v[40:41], 1, v[20:21]
	;; [unrolled: 50-line block ×3, first 2 shown]
	flat_store_short v[46:47], v23
	s_cbranch_vccnz .LBB225_128
; %bb.127:
	v_lshl_add_u64 v[16:17], v[44:45], 1, v[16:17]
	flat_load_ushort v16, v[16:17]
	s_waitcnt vmcnt(0) lgkmcnt(0)
	v_mul_f16_e32 v16, v52, v16
	v_cvt_f32_f16_e32 v22, v16
.LBB225_128:
	v_pk_add_f16 v16, v24, v18
	v_max_f16_e32 v17, v82, v82
	v_pk_add_f16 v19, v25, v19
	v_min_f16_e32 v17, v17, v16
	v_lshrrev_b32_e32 v18, 16, v82
	v_lshrrev_b32_e32 v16, 16, v16
	;; [unrolled: 1-line block ×3, first 2 shown]
	v_min3_f16 v16, v18, v16, v23
	v_min3_f16 v16, v17, v19, v16
	v_cvt_f32_f16_e32 v16, v16
	v_max_f32_e32 v17, v22, v22
	s_and_b64 vcc, exec, s[0:1]
	v_mov_b32_e32 v19, 0
	v_min_f32_e32 v16, v17, v16
	v_cvt_f16_f32_e32 v18, v16
	v_lshl_add_u64 v[16:17], v[44:45], 1, v[20:21]
	v_mov_b32_e32 v20, 0
	flat_store_short v[16:17], v18
	v_add_u32_e32 v18, 0xa0, v53
	v_mad_i64_i32 v[16:17], s[4:5], v18, s6, 0
	v_lshl_add_u64 v[16:17], v[16:17], 1, s[10:11]
	s_cbranch_vccnz .LBB225_130
; %bb.129:
	v_lshl_add_u64 v[22:23], v[28:29], 1, v[16:17]
	flat_load_ushort v19, v[22:23]
	s_waitcnt vmcnt(0) lgkmcnt(0)
	v_mul_f16_e32 v19, v52, v19
	v_cvt_f32_f16_e32 v19, v19
.LBB225_130:
	v_pk_add_f16 v21, v30, v12
	v_max_f16_e32 v22, v81, v81
	v_pk_add_f16 v46, v31, v13
	v_min_f16_e32 v22, v22, v21
	v_lshrrev_b32_e32 v23, 16, v81
	v_lshrrev_b32_e32 v21, 16, v21
	;; [unrolled: 1-line block ×3, first 2 shown]
	v_min3_f16 v21, v23, v21, v47
	v_min3_f16 v21, v22, v46, v21
	v_cvt_f32_f16_e32 v21, v21
	v_mad_i64_i32 v[22:23], s[4:5], v18, s7, 0
	v_max_f32_e32 v18, v19, v19
	v_min_f32_e32 v18, v18, v21
	v_cvt_f16_f32_e32 v21, v18
	v_lshl_add_u64 v[18:19], v[22:23], 1, s[2:3]
	v_lshl_add_u64 v[22:23], v[28:29], 1, v[18:19]
	s_and_b64 vcc, exec, s[0:1]
	flat_store_short v[22:23], v21
	s_cbranch_vccnz .LBB225_132
; %bb.131:
	v_lshl_add_u64 v[20:21], v[32:33], 1, v[16:17]
	flat_load_ushort v20, v[20:21]
	s_waitcnt vmcnt(0) lgkmcnt(0)
	v_mul_f16_e32 v20, v52, v20
	v_cvt_f32_f16_e32 v20, v20
.LBB225_132:
	v_pk_add_f16 v21, v8, v12
	v_max_f16_e32 v22, v80, v80
	v_pk_add_f16 v46, v9, v13
	v_min_f16_e32 v22, v22, v21
	v_lshrrev_b32_e32 v23, 16, v80
	v_lshrrev_b32_e32 v21, 16, v21
	v_lshrrev_b32_e32 v47, 16, v46
	v_min3_f16 v21, v23, v21, v47
	v_min3_f16 v21, v22, v46, v21
	v_cvt_f32_f16_e32 v21, v21
	v_max_f32_e32 v20, v20, v20
	s_and_b64 vcc, exec, s[0:1]
	v_min_f32_e32 v20, v20, v21
	v_cvt_f16_f32_e32 v22, v20
	v_lshl_add_u64 v[20:21], v[32:33], 1, v[18:19]
	flat_store_short v[20:21], v22
	v_mov_b32_e32 v20, 0
	v_mov_b32_e32 v21, 0
	s_cbranch_vccnz .LBB225_134
; %bb.133:
	v_lshl_add_u64 v[22:23], v[34:35], 1, v[16:17]
	flat_load_ushort v21, v[22:23]
	s_waitcnt vmcnt(0) lgkmcnt(0)
	v_mul_f16_e32 v21, v52, v21
	v_cvt_f32_f16_e32 v21, v21
.LBB225_134:
	v_pk_add_f16 v22, v10, v12
	v_max_f16_e32 v23, v79, v79
	v_pk_add_f16 v47, v11, v13
	v_min_f16_e32 v23, v23, v22
	v_lshrrev_b32_e32 v46, 16, v79
	v_lshrrev_b32_e32 v22, 16, v22
	v_lshrrev_b32_e32 v48, 16, v47
	v_min3_f16 v22, v46, v22, v48
	v_min3_f16 v22, v23, v47, v22
	v_cvt_f32_f16_e32 v22, v22
	v_max_f32_e32 v21, v21, v21
	s_and_b64 vcc, exec, s[0:1]
	v_min_f32_e32 v21, v21, v22
	v_cvt_f16_f32_e32 v21, v21
	v_lshl_add_u64 v[22:23], v[34:35], 1, v[18:19]
	flat_store_short v[22:23], v21
	s_cbranch_vccnz .LBB225_136
; %bb.135:
	v_lshl_add_u64 v[20:21], v[36:37], 1, v[16:17]
	flat_load_ushort v20, v[20:21]
	s_waitcnt vmcnt(0) lgkmcnt(0)
	v_mul_f16_e32 v20, v52, v20
	v_cvt_f32_f16_e32 v20, v20
.LBB225_136:
	v_pk_add_f16 v21, v4, v12
	v_max_f16_e32 v22, v78, v78
	v_pk_add_f16 v46, v5, v13
	v_min_f16_e32 v22, v22, v21
	v_lshrrev_b32_e32 v23, 16, v78
	v_lshrrev_b32_e32 v21, 16, v21
	v_lshrrev_b32_e32 v47, 16, v46
	v_min3_f16 v21, v23, v21, v47
	v_min3_f16 v21, v22, v46, v21
	v_cvt_f32_f16_e32 v21, v21
	v_max_f32_e32 v20, v20, v20
	s_and_b64 vcc, exec, s[0:1]
	v_min_f32_e32 v20, v20, v21
	v_cvt_f16_f32_e32 v22, v20
	v_lshl_add_u64 v[20:21], v[36:37], 1, v[18:19]
	flat_store_short v[20:21], v22
	v_mov_b32_e32 v20, 0
	v_mov_b32_e32 v21, 0
	s_cbranch_vccnz .LBB225_138
; %bb.137:
	v_lshl_add_u64 v[22:23], v[40:41], 1, v[16:17]
	flat_load_ushort v21, v[22:23]
	s_waitcnt vmcnt(0) lgkmcnt(0)
	v_mul_f16_e32 v21, v52, v21
	v_cvt_f32_f16_e32 v21, v21
.LBB225_138:
	v_pk_add_f16 v22, v6, v12
	v_max_f16_e32 v23, v77, v77
	v_pk_add_f16 v47, v7, v13
	v_min_f16_e32 v23, v23, v22
	v_lshrrev_b32_e32 v46, 16, v77
	v_lshrrev_b32_e32 v22, 16, v22
	v_lshrrev_b32_e32 v48, 16, v47
	v_min3_f16 v22, v46, v22, v48
	v_min3_f16 v22, v23, v47, v22
	v_cvt_f32_f16_e32 v22, v22
	v_max_f32_e32 v21, v21, v21
	s_and_b64 vcc, exec, s[0:1]
	v_min_f32_e32 v21, v21, v22
	v_cvt_f16_f32_e32 v21, v21
	v_lshl_add_u64 v[22:23], v[40:41], 1, v[18:19]
	;; [unrolled: 50-line block ×3, first 2 shown]
	flat_store_short v[22:23], v21
	s_cbranch_vccnz .LBB225_144
; %bb.143:
	v_lshl_add_u64 v[16:17], v[44:45], 1, v[16:17]
	flat_load_ushort v16, v[16:17]
	s_waitcnt vmcnt(0) lgkmcnt(0)
	v_mul_f16_e32 v16, v52, v16
	v_cvt_f32_f16_e32 v20, v16
.LBB225_144:
	v_pk_add_f16 v12, v24, v12
	v_max_f16_e32 v16, v76, v76
	v_pk_add_f16 v13, v25, v13
	v_min_f16_e32 v16, v16, v12
	v_lshrrev_b32_e32 v17, 16, v76
	v_lshrrev_b32_e32 v12, 16, v12
	;; [unrolled: 1-line block ×3, first 2 shown]
	v_min3_f16 v12, v17, v12, v21
	v_min3_f16 v12, v16, v13, v12
	v_cvt_f32_f16_e32 v12, v12
	v_max_f32_e32 v13, v20, v20
	s_and_b64 vcc, exec, s[0:1]
	v_mov_b32_e32 v17, 0
	v_min_f32_e32 v12, v13, v12
	v_cvt_f16_f32_e32 v16, v12
	v_lshl_add_u64 v[12:13], v[44:45], 1, v[18:19]
	v_mov_b32_e32 v18, 0
	flat_store_short v[12:13], v16
	v_add_u32_e32 v16, 0xc0, v53
	v_mad_i64_i32 v[12:13], s[4:5], v16, s6, 0
	v_lshl_add_u64 v[12:13], v[12:13], 1, s[10:11]
	s_cbranch_vccnz .LBB225_146
; %bb.145:
	v_lshl_add_u64 v[20:21], v[28:29], 1, v[12:13]
	flat_load_ushort v17, v[20:21]
	s_waitcnt vmcnt(0) lgkmcnt(0)
	v_mul_f16_e32 v17, v52, v17
	v_cvt_f32_f16_e32 v17, v17
.LBB225_146:
	v_pk_add_f16 v19, v30, v14
	v_max_f16_e32 v20, v73, v73
	v_pk_add_f16 v22, v31, v15
	v_min_f16_e32 v20, v20, v19
	v_lshrrev_b32_e32 v21, 16, v73
	v_lshrrev_b32_e32 v19, 16, v19
	;; [unrolled: 1-line block ×3, first 2 shown]
	v_min3_f16 v19, v21, v19, v23
	v_min3_f16 v19, v20, v22, v19
	v_cvt_f32_f16_e32 v19, v19
	v_mad_i64_i32 v[20:21], s[4:5], v16, s7, 0
	v_max_f32_e32 v16, v17, v17
	v_min_f32_e32 v16, v16, v19
	v_cvt_f16_f32_e32 v19, v16
	v_lshl_add_u64 v[16:17], v[20:21], 1, s[2:3]
	v_lshl_add_u64 v[20:21], v[28:29], 1, v[16:17]
	s_and_b64 vcc, exec, s[0:1]
	flat_store_short v[20:21], v19
	s_cbranch_vccnz .LBB225_148
; %bb.147:
	v_lshl_add_u64 v[18:19], v[32:33], 1, v[12:13]
	flat_load_ushort v18, v[18:19]
	s_waitcnt vmcnt(0) lgkmcnt(0)
	v_mul_f16_e32 v18, v52, v18
	v_cvt_f32_f16_e32 v18, v18
.LBB225_148:
	v_pk_add_f16 v19, v8, v14
	v_max_f16_e32 v20, v70, v70
	v_pk_add_f16 v22, v9, v15
	v_min_f16_e32 v20, v20, v19
	v_lshrrev_b32_e32 v21, 16, v70
	v_lshrrev_b32_e32 v19, 16, v19
	v_lshrrev_b32_e32 v23, 16, v22
	v_min3_f16 v19, v21, v19, v23
	v_min3_f16 v19, v20, v22, v19
	v_cvt_f32_f16_e32 v19, v19
	v_max_f32_e32 v18, v18, v18
	s_and_b64 vcc, exec, s[0:1]
	v_min_f32_e32 v18, v18, v19
	v_cvt_f16_f32_e32 v20, v18
	v_lshl_add_u64 v[18:19], v[32:33], 1, v[16:17]
	flat_store_short v[18:19], v20
	v_mov_b32_e32 v18, 0
	v_mov_b32_e32 v19, 0
	s_cbranch_vccnz .LBB225_150
; %bb.149:
	v_lshl_add_u64 v[20:21], v[34:35], 1, v[12:13]
	flat_load_ushort v19, v[20:21]
	s_waitcnt vmcnt(0) lgkmcnt(0)
	v_mul_f16_e32 v19, v52, v19
	v_cvt_f32_f16_e32 v19, v19
.LBB225_150:
	v_pk_add_f16 v20, v10, v14
	v_max_f16_e32 v21, v69, v69
	v_pk_add_f16 v23, v11, v15
	v_min_f16_e32 v21, v21, v20
	v_lshrrev_b32_e32 v22, 16, v69
	v_lshrrev_b32_e32 v20, 16, v20
	v_lshrrev_b32_e32 v46, 16, v23
	v_min3_f16 v20, v22, v20, v46
	v_min3_f16 v20, v21, v23, v20
	v_cvt_f32_f16_e32 v20, v20
	v_max_f32_e32 v19, v19, v19
	s_and_b64 vcc, exec, s[0:1]
	v_min_f32_e32 v19, v19, v20
	v_cvt_f16_f32_e32 v19, v19
	v_lshl_add_u64 v[20:21], v[34:35], 1, v[16:17]
	flat_store_short v[20:21], v19
	s_cbranch_vccnz .LBB225_152
; %bb.151:
	v_lshl_add_u64 v[18:19], v[36:37], 1, v[12:13]
	flat_load_ushort v18, v[18:19]
	s_waitcnt vmcnt(0) lgkmcnt(0)
	v_mul_f16_e32 v18, v52, v18
	v_cvt_f32_f16_e32 v18, v18
.LBB225_152:
	v_pk_add_f16 v19, v4, v14
	v_max_f16_e32 v20, v68, v68
	v_pk_add_f16 v22, v5, v15
	v_min_f16_e32 v20, v20, v19
	v_lshrrev_b32_e32 v21, 16, v68
	v_lshrrev_b32_e32 v19, 16, v19
	v_lshrrev_b32_e32 v23, 16, v22
	v_min3_f16 v19, v21, v19, v23
	v_min3_f16 v19, v20, v22, v19
	v_cvt_f32_f16_e32 v19, v19
	v_max_f32_e32 v18, v18, v18
	s_and_b64 vcc, exec, s[0:1]
	v_min_f32_e32 v18, v18, v19
	v_cvt_f16_f32_e32 v20, v18
	v_lshl_add_u64 v[18:19], v[36:37], 1, v[16:17]
	flat_store_short v[18:19], v20
	v_mov_b32_e32 v18, 0
	v_mov_b32_e32 v19, 0
	s_cbranch_vccnz .LBB225_154
; %bb.153:
	v_lshl_add_u64 v[20:21], v[40:41], 1, v[12:13]
	flat_load_ushort v19, v[20:21]
	s_waitcnt vmcnt(0) lgkmcnt(0)
	v_mul_f16_e32 v19, v52, v19
	v_cvt_f32_f16_e32 v19, v19
.LBB225_154:
	v_pk_add_f16 v20, v6, v14
	v_max_f16_e32 v21, v67, v67
	v_pk_add_f16 v23, v7, v15
	v_min_f16_e32 v21, v21, v20
	v_lshrrev_b32_e32 v22, 16, v67
	v_lshrrev_b32_e32 v20, 16, v20
	v_lshrrev_b32_e32 v46, 16, v23
	v_min3_f16 v20, v22, v20, v46
	v_min3_f16 v20, v21, v23, v20
	v_cvt_f32_f16_e32 v20, v20
	v_max_f32_e32 v19, v19, v19
	s_and_b64 vcc, exec, s[0:1]
	v_min_f32_e32 v19, v19, v20
	v_cvt_f16_f32_e32 v19, v19
	v_lshl_add_u64 v[20:21], v[40:41], 1, v[16:17]
	flat_store_short v[20:21], v19
	s_cbranch_vccnz .LBB225_156
; %bb.155:
	v_lshl_add_u64 v[18:19], v[38:39], 1, v[12:13]
	flat_load_ushort v18, v[18:19]
	s_waitcnt vmcnt(0) lgkmcnt(0)
	v_mul_f16_e32 v18, v52, v18
	v_cvt_f32_f16_e32 v18, v18
.LBB225_156:
	v_pk_add_f16 v19, v0, v14
	v_max_f16_e32 v20, v66, v66
	v_pk_add_f16 v22, v1, v15
	v_min_f16_e32 v20, v20, v19
	v_lshrrev_b32_e32 v21, 16, v66
	v_lshrrev_b32_e32 v19, 16, v19
	v_lshrrev_b32_e32 v23, 16, v22
	v_min3_f16 v19, v21, v19, v23
	v_min3_f16 v19, v20, v22, v19
	v_cvt_f32_f16_e32 v19, v19
	v_max_f32_e32 v18, v18, v18
	s_and_b64 vcc, exec, s[0:1]
	v_min_f32_e32 v18, v18, v19
	v_cvt_f16_f32_e32 v20, v18
	v_lshl_add_u64 v[18:19], v[38:39], 1, v[16:17]
	flat_store_short v[18:19], v20
	v_mov_b32_e32 v18, 0
	v_mov_b32_e32 v19, 0
	s_cbranch_vccnz .LBB225_158
; %bb.157:
	v_lshl_add_u64 v[20:21], v[42:43], 1, v[12:13]
	flat_load_ushort v19, v[20:21]
	s_waitcnt vmcnt(0) lgkmcnt(0)
	v_mul_f16_e32 v19, v52, v19
	v_cvt_f32_f16_e32 v19, v19
.LBB225_158:
	v_pk_add_f16 v20, v2, v14
	v_max_f16_e32 v21, v65, v65
	v_pk_add_f16 v23, v3, v15
	v_min_f16_e32 v21, v21, v20
	v_lshrrev_b32_e32 v22, 16, v65
	v_lshrrev_b32_e32 v20, 16, v20
	v_lshrrev_b32_e32 v46, 16, v23
	v_min3_f16 v20, v22, v20, v46
	v_min3_f16 v20, v21, v23, v20
	v_cvt_f32_f16_e32 v20, v20
	v_max_f32_e32 v19, v19, v19
	s_and_b64 vcc, exec, s[0:1]
	v_min_f32_e32 v19, v19, v20
	v_cvt_f16_f32_e32 v19, v19
	v_lshl_add_u64 v[20:21], v[42:43], 1, v[16:17]
	flat_store_short v[20:21], v19
	s_cbranch_vccnz .LBB225_160
; %bb.159:
	v_lshl_add_u64 v[12:13], v[44:45], 1, v[12:13]
	flat_load_ushort v12, v[12:13]
	s_waitcnt vmcnt(0) lgkmcnt(0)
	v_mul_f16_e32 v12, v52, v12
	v_cvt_f32_f16_e32 v18, v12
.LBB225_160:
	v_pk_add_f16 v12, v24, v14
	v_max_f16_e32 v13, v64, v64
	v_pk_add_f16 v15, v25, v15
	v_min_f16_e32 v13, v13, v12
	v_lshrrev_b32_e32 v14, 16, v64
	v_lshrrev_b32_e32 v12, 16, v12
	;; [unrolled: 1-line block ×3, first 2 shown]
	v_min3_f16 v12, v14, v12, v19
	v_min3_f16 v12, v13, v15, v12
	v_cvt_f32_f16_e32 v12, v12
	v_max_f32_e32 v13, v18, v18
	s_and_b64 vcc, exec, s[0:1]
	v_mov_b32_e32 v15, 0
	v_min_f32_e32 v12, v13, v12
	v_cvt_f16_f32_e32 v14, v12
	v_lshl_add_u64 v[12:13], v[44:45], 1, v[16:17]
	v_mov_b32_e32 v16, 0
	flat_store_short v[12:13], v14
	v_add_u32_e32 v14, 0xe0, v53
	v_mad_i64_i32 v[12:13], s[4:5], v14, s6, 0
	v_lshl_add_u64 v[12:13], v[12:13], 1, s[10:11]
	s_cbranch_vccnz .LBB225_162
; %bb.161:
	v_lshl_add_u64 v[18:19], v[28:29], 1, v[12:13]
	flat_load_ushort v15, v[18:19]
	s_waitcnt vmcnt(0) lgkmcnt(0)
	v_mul_f16_e32 v15, v52, v15
	v_cvt_f32_f16_e32 v15, v15
.LBB225_162:
	v_pk_add_f16 v17, v30, v26
	v_max_f16_e32 v18, v63, v63
	v_pk_add_f16 v20, v31, v27
	v_min_f16_e32 v18, v18, v17
	v_lshrrev_b32_e32 v19, 16, v63
	v_lshrrev_b32_e32 v17, 16, v17
	;; [unrolled: 1-line block ×3, first 2 shown]
	v_min3_f16 v17, v19, v17, v21
	v_min3_f16 v17, v18, v20, v17
	v_cvt_f32_f16_e32 v17, v17
	v_mad_i64_i32 v[18:19], s[4:5], v14, s7, 0
	v_max_f32_e32 v14, v15, v15
	v_min_f32_e32 v14, v14, v17
	v_cvt_f16_f32_e32 v17, v14
	v_lshl_add_u64 v[14:15], v[18:19], 1, s[2:3]
	v_lshl_add_u64 v[18:19], v[28:29], 1, v[14:15]
	s_and_b64 vcc, exec, s[0:1]
	flat_store_short v[18:19], v17
	s_cbranch_vccnz .LBB225_164
; %bb.163:
	v_lshl_add_u64 v[16:17], v[32:33], 1, v[12:13]
	flat_load_ushort v16, v[16:17]
	s_waitcnt vmcnt(0) lgkmcnt(0)
	v_mul_f16_e32 v16, v52, v16
	v_cvt_f32_f16_e32 v16, v16
.LBB225_164:
	v_pk_add_f16 v8, v8, v26
	v_max_f16_e32 v17, v62, v62
	v_pk_add_f16 v9, v9, v27
	v_min_f16_e32 v17, v17, v8
	v_lshrrev_b32_e32 v18, 16, v62
	v_lshrrev_b32_e32 v8, 16, v8
	;; [unrolled: 1-line block ×3, first 2 shown]
	v_min3_f16 v8, v18, v8, v19
	v_min3_f16 v8, v17, v9, v8
	v_cvt_f32_f16_e32 v8, v8
	v_max_f32_e32 v9, v16, v16
	s_and_b64 vcc, exec, s[0:1]
	v_min_f32_e32 v8, v9, v8
	v_cvt_f16_f32_e32 v16, v8
	v_lshl_add_u64 v[8:9], v[32:33], 1, v[14:15]
	flat_store_short v[8:9], v16
	v_mov_b32_e32 v8, 0
	v_mov_b32_e32 v9, 0
	s_cbranch_vccnz .LBB225_166
; %bb.165:
	v_lshl_add_u64 v[16:17], v[34:35], 1, v[12:13]
	flat_load_ushort v9, v[16:17]
	s_waitcnt vmcnt(0) lgkmcnt(0)
	v_mul_f16_e32 v9, v52, v9
	v_cvt_f32_f16_e32 v9, v9
.LBB225_166:
	v_pk_add_f16 v10, v10, v26
	v_max_f16_e32 v16, v60, v60
	v_pk_add_f16 v11, v11, v27
	v_min_f16_e32 v16, v16, v10
	v_lshrrev_b32_e32 v17, 16, v60
	v_lshrrev_b32_e32 v10, 16, v10
	;; [unrolled: 1-line block ×3, first 2 shown]
	v_min3_f16 v10, v17, v10, v18
	v_min3_f16 v10, v16, v11, v10
	v_cvt_f32_f16_e32 v10, v10
	v_max_f32_e32 v9, v9, v9
	s_and_b64 vcc, exec, s[0:1]
	v_min_f32_e32 v9, v9, v10
	v_cvt_f16_f32_e32 v9, v9
	v_lshl_add_u64 v[10:11], v[34:35], 1, v[14:15]
	flat_store_short v[10:11], v9
	s_cbranch_vccnz .LBB225_168
; %bb.167:
	v_lshl_add_u64 v[8:9], v[36:37], 1, v[12:13]
	flat_load_ushort v8, v[8:9]
	s_waitcnt vmcnt(0) lgkmcnt(0)
	v_mul_f16_e32 v8, v52, v8
	v_cvt_f32_f16_e32 v8, v8
.LBB225_168:
	v_pk_add_f16 v4, v4, v26
	v_max_f16_e32 v9, v59, v59
	v_pk_add_f16 v5, v5, v27
	v_min_f16_e32 v9, v9, v4
	v_lshrrev_b32_e32 v10, 16, v59
	v_lshrrev_b32_e32 v4, 16, v4
	;; [unrolled: 1-line block ×3, first 2 shown]
	v_min3_f16 v4, v10, v4, v11
	v_min3_f16 v4, v9, v5, v4
	v_cvt_f32_f16_e32 v4, v4
	v_max_f32_e32 v5, v8, v8
	s_and_b64 vcc, exec, s[0:1]
	v_min_f32_e32 v4, v5, v4
	v_cvt_f16_f32_e32 v8, v4
	v_lshl_add_u64 v[4:5], v[36:37], 1, v[14:15]
	flat_store_short v[4:5], v8
	v_mov_b32_e32 v4, 0
	v_mov_b32_e32 v5, 0
	s_cbranch_vccnz .LBB225_170
; %bb.169:
	v_lshl_add_u64 v[8:9], v[40:41], 1, v[12:13]
	flat_load_ushort v5, v[8:9]
	s_waitcnt vmcnt(0) lgkmcnt(0)
	v_mul_f16_e32 v5, v52, v5
	v_cvt_f32_f16_e32 v5, v5
.LBB225_170:
	v_pk_add_f16 v6, v6, v26
	v_max_f16_e32 v8, v57, v57
	v_pk_add_f16 v7, v7, v27
	v_min_f16_e32 v8, v8, v6
	v_lshrrev_b32_e32 v9, 16, v57
	v_lshrrev_b32_e32 v6, 16, v6
	v_lshrrev_b32_e32 v10, 16, v7
	v_min3_f16 v6, v9, v6, v10
	v_min3_f16 v6, v8, v7, v6
	v_cvt_f32_f16_e32 v6, v6
	v_max_f32_e32 v5, v5, v5
	s_and_b64 vcc, exec, s[0:1]
	v_min_f32_e32 v5, v5, v6
	v_cvt_f16_f32_e32 v5, v5
	v_lshl_add_u64 v[6:7], v[40:41], 1, v[14:15]
	flat_store_short v[6:7], v5
	s_cbranch_vccnz .LBB225_172
; %bb.171:
	v_lshl_add_u64 v[4:5], v[38:39], 1, v[12:13]
	flat_load_ushort v4, v[4:5]
	s_waitcnt vmcnt(0) lgkmcnt(0)
	v_mul_f16_e32 v4, v52, v4
	v_cvt_f32_f16_e32 v4, v4
.LBB225_172:
	v_pk_add_f16 v0, v0, v26
	v_max_f16_e32 v5, v54, v54
	v_pk_add_f16 v1, v1, v27
	v_min_f16_e32 v5, v5, v0
	v_lshrrev_b32_e32 v6, 16, v54
	v_lshrrev_b32_e32 v0, 16, v0
	;; [unrolled: 1-line block ×3, first 2 shown]
	v_min3_f16 v0, v6, v0, v7
	v_min3_f16 v0, v5, v1, v0
	v_cvt_f32_f16_e32 v0, v0
	v_max_f32_e32 v4, v4, v4
	v_pk_add_f16 v1, v2, v26
	v_max_f16_e32 v2, v55, v55
	v_min_f32_e32 v0, v4, v0
	v_cvt_f16_f32_e32 v4, v0
	v_pk_add_f16 v3, v3, v27
	v_min_f16_e32 v2, v2, v1
	v_lshrrev_b32_e32 v5, 16, v55
	v_lshrrev_b32_e32 v1, 16, v1
	;; [unrolled: 1-line block ×3, first 2 shown]
	v_min3_f16 v5, v5, v1, v0
	v_lshl_add_u64 v[0:1], v[38:39], 1, v[14:15]
	flat_store_short v[0:1], v4
	v_min3_f16 v0, v2, v3, v5
	s_mov_b64 s[0:1], -1
	s_mov_b64 vcc, s[8:9]
	s_cbranch_vccz .LBB225_174
; %bb.173:
	v_cvt_f32_f16_e32 v1, v0
	v_lshl_add_u64 v[2:3], v[42:43], 1, v[14:15]
	s_mov_b64 s[0:1], 0
	v_min_f32_e32 v1, 0, v1
	v_cvt_f16_f32_e32 v1, v1
	flat_store_short v[2:3], v1
.LBB225_174:
	s_andn2_b64 vcc, exec, s[0:1]
	v_mov_b32_e32 v1, 0
	s_cbranch_vccnz .LBB225_176
; %bb.175:
	v_lshlrev_b64 v[2:3], 1, v[42:43]
	v_lshl_add_u64 v[4:5], v[12:13], 0, v[2:3]
	flat_load_ushort v4, v[4:5]
	v_max_f16_e32 v5, v0, v0
	v_lshl_add_u64 v[0:1], v[14:15], 0, v[2:3]
	s_waitcnt vmcnt(0) lgkmcnt(0)
	v_mul_f16_e32 v2, v52, v4
	v_min_f16_e32 v2, v2, v5
	flat_store_short v[0:1], v2
	v_lshl_add_u64 v[0:1], v[44:45], 1, v[12:13]
	flat_load_ushort v0, v[0:1]
	s_waitcnt vmcnt(0) lgkmcnt(0)
	v_mul_f16_e32 v0, v52, v0
	v_cvt_f32_f16_e32 v1, v0
.LBB225_176:
	v_pk_add_f16 v0, v24, v26
	v_max_f16_e32 v2, v61, v61
	v_pk_add_f16 v3, v25, v27
	v_min_f16_e32 v2, v2, v0
	v_lshrrev_b32_e32 v4, 16, v61
	v_lshrrev_b32_e32 v0, 16, v0
	;; [unrolled: 1-line block ×3, first 2 shown]
	v_min3_f16 v0, v4, v0, v5
	v_min3_f16 v0, v2, v3, v0
	v_cvt_f32_f16_e32 v0, v0
	v_max_f32_e32 v1, v1, v1
	v_min_f32_e32 v0, v1, v0
	v_cvt_f16_f32_e32 v2, v0
	v_lshl_add_u64 v[0:1], v[44:45], 1, v[14:15]
	flat_store_short v[0:1], v2
	s_endpgm
	.section	.rodata,"a",@progbits
	.p2align	6, 0x0
	.amdhsa_kernel _ZN12_GLOBAL__N_120geam_min_plus_kernelIDF16_Dv2_DF16_S1_Li8ELi32ELi64ELi256ELi4ELi4ELi64ELi64ELi4ELc84ELc84ELb0ELb0ELb1EPKDF16_KS3_KPDF16_EEviiiT16_PT17_ilS9_ilS7_S9_ilPT18_ili26rocblas_geam_ex_operation_
		.amdhsa_group_segment_fixed_size 5120
		.amdhsa_private_segment_fixed_size 0
		.amdhsa_kernarg_size 136
		.amdhsa_user_sgpr_count 2
		.amdhsa_user_sgpr_dispatch_ptr 0
		.amdhsa_user_sgpr_queue_ptr 0
		.amdhsa_user_sgpr_kernarg_segment_ptr 1
		.amdhsa_user_sgpr_dispatch_id 0
		.amdhsa_user_sgpr_kernarg_preload_length 0
		.amdhsa_user_sgpr_kernarg_preload_offset 0
		.amdhsa_user_sgpr_private_segment_size 0
		.amdhsa_uses_dynamic_stack 0
		.amdhsa_enable_private_segment 0
		.amdhsa_system_sgpr_workgroup_id_x 1
		.amdhsa_system_sgpr_workgroup_id_y 0
		.amdhsa_system_sgpr_workgroup_id_z 1
		.amdhsa_system_sgpr_workgroup_info 0
		.amdhsa_system_vgpr_workitem_id 1
		.amdhsa_next_free_vgpr 145
		.amdhsa_next_free_sgpr 26
		.amdhsa_accum_offset 148
		.amdhsa_reserve_vcc 1
		.amdhsa_float_round_mode_32 0
		.amdhsa_float_round_mode_16_64 0
		.amdhsa_float_denorm_mode_32 3
		.amdhsa_float_denorm_mode_16_64 3
		.amdhsa_dx10_clamp 1
		.amdhsa_ieee_mode 1
		.amdhsa_fp16_overflow 0
		.amdhsa_tg_split 0
		.amdhsa_exception_fp_ieee_invalid_op 0
		.amdhsa_exception_fp_denorm_src 0
		.amdhsa_exception_fp_ieee_div_zero 0
		.amdhsa_exception_fp_ieee_overflow 0
		.amdhsa_exception_fp_ieee_underflow 0
		.amdhsa_exception_fp_ieee_inexact 0
		.amdhsa_exception_int_div_zero 0
	.end_amdhsa_kernel
	.section	.text._ZN12_GLOBAL__N_120geam_min_plus_kernelIDF16_Dv2_DF16_S1_Li8ELi32ELi64ELi256ELi4ELi4ELi64ELi64ELi4ELc84ELc84ELb0ELb0ELb1EPKDF16_KS3_KPDF16_EEviiiT16_PT17_ilS9_ilS7_S9_ilPT18_ili26rocblas_geam_ex_operation_,"axG",@progbits,_ZN12_GLOBAL__N_120geam_min_plus_kernelIDF16_Dv2_DF16_S1_Li8ELi32ELi64ELi256ELi4ELi4ELi64ELi64ELi4ELc84ELc84ELb0ELb0ELb1EPKDF16_KS3_KPDF16_EEviiiT16_PT17_ilS9_ilS7_S9_ilPT18_ili26rocblas_geam_ex_operation_,comdat
.Lfunc_end225:
	.size	_ZN12_GLOBAL__N_120geam_min_plus_kernelIDF16_Dv2_DF16_S1_Li8ELi32ELi64ELi256ELi4ELi4ELi64ELi64ELi4ELc84ELc84ELb0ELb0ELb1EPKDF16_KS3_KPDF16_EEviiiT16_PT17_ilS9_ilS7_S9_ilPT18_ili26rocblas_geam_ex_operation_, .Lfunc_end225-_ZN12_GLOBAL__N_120geam_min_plus_kernelIDF16_Dv2_DF16_S1_Li8ELi32ELi64ELi256ELi4ELi4ELi64ELi64ELi4ELc84ELc84ELb0ELb0ELb1EPKDF16_KS3_KPDF16_EEviiiT16_PT17_ilS9_ilS7_S9_ilPT18_ili26rocblas_geam_ex_operation_
                                        ; -- End function
	.set _ZN12_GLOBAL__N_120geam_min_plus_kernelIDF16_Dv2_DF16_S1_Li8ELi32ELi64ELi256ELi4ELi4ELi64ELi64ELi4ELc84ELc84ELb0ELb0ELb1EPKDF16_KS3_KPDF16_EEviiiT16_PT17_ilS9_ilS7_S9_ilPT18_ili26rocblas_geam_ex_operation_.num_vgpr, 145
	.set _ZN12_GLOBAL__N_120geam_min_plus_kernelIDF16_Dv2_DF16_S1_Li8ELi32ELi64ELi256ELi4ELi4ELi64ELi64ELi4ELc84ELc84ELb0ELb0ELb1EPKDF16_KS3_KPDF16_EEviiiT16_PT17_ilS9_ilS7_S9_ilPT18_ili26rocblas_geam_ex_operation_.num_agpr, 0
	.set _ZN12_GLOBAL__N_120geam_min_plus_kernelIDF16_Dv2_DF16_S1_Li8ELi32ELi64ELi256ELi4ELi4ELi64ELi64ELi4ELc84ELc84ELb0ELb0ELb1EPKDF16_KS3_KPDF16_EEviiiT16_PT17_ilS9_ilS7_S9_ilPT18_ili26rocblas_geam_ex_operation_.numbered_sgpr, 26
	.set _ZN12_GLOBAL__N_120geam_min_plus_kernelIDF16_Dv2_DF16_S1_Li8ELi32ELi64ELi256ELi4ELi4ELi64ELi64ELi4ELc84ELc84ELb0ELb0ELb1EPKDF16_KS3_KPDF16_EEviiiT16_PT17_ilS9_ilS7_S9_ilPT18_ili26rocblas_geam_ex_operation_.num_named_barrier, 0
	.set _ZN12_GLOBAL__N_120geam_min_plus_kernelIDF16_Dv2_DF16_S1_Li8ELi32ELi64ELi256ELi4ELi4ELi64ELi64ELi4ELc84ELc84ELb0ELb0ELb1EPKDF16_KS3_KPDF16_EEviiiT16_PT17_ilS9_ilS7_S9_ilPT18_ili26rocblas_geam_ex_operation_.private_seg_size, 0
	.set _ZN12_GLOBAL__N_120geam_min_plus_kernelIDF16_Dv2_DF16_S1_Li8ELi32ELi64ELi256ELi4ELi4ELi64ELi64ELi4ELc84ELc84ELb0ELb0ELb1EPKDF16_KS3_KPDF16_EEviiiT16_PT17_ilS9_ilS7_S9_ilPT18_ili26rocblas_geam_ex_operation_.uses_vcc, 1
	.set _ZN12_GLOBAL__N_120geam_min_plus_kernelIDF16_Dv2_DF16_S1_Li8ELi32ELi64ELi256ELi4ELi4ELi64ELi64ELi4ELc84ELc84ELb0ELb0ELb1EPKDF16_KS3_KPDF16_EEviiiT16_PT17_ilS9_ilS7_S9_ilPT18_ili26rocblas_geam_ex_operation_.uses_flat_scratch, 0
	.set _ZN12_GLOBAL__N_120geam_min_plus_kernelIDF16_Dv2_DF16_S1_Li8ELi32ELi64ELi256ELi4ELi4ELi64ELi64ELi4ELc84ELc84ELb0ELb0ELb1EPKDF16_KS3_KPDF16_EEviiiT16_PT17_ilS9_ilS7_S9_ilPT18_ili26rocblas_geam_ex_operation_.has_dyn_sized_stack, 0
	.set _ZN12_GLOBAL__N_120geam_min_plus_kernelIDF16_Dv2_DF16_S1_Li8ELi32ELi64ELi256ELi4ELi4ELi64ELi64ELi4ELc84ELc84ELb0ELb0ELb1EPKDF16_KS3_KPDF16_EEviiiT16_PT17_ilS9_ilS7_S9_ilPT18_ili26rocblas_geam_ex_operation_.has_recursion, 0
	.set _ZN12_GLOBAL__N_120geam_min_plus_kernelIDF16_Dv2_DF16_S1_Li8ELi32ELi64ELi256ELi4ELi4ELi64ELi64ELi4ELc84ELc84ELb0ELb0ELb1EPKDF16_KS3_KPDF16_EEviiiT16_PT17_ilS9_ilS7_S9_ilPT18_ili26rocblas_geam_ex_operation_.has_indirect_call, 0
	.section	.AMDGPU.csdata,"",@progbits
; Kernel info:
; codeLenInByte = 18172
; TotalNumSgprs: 32
; NumVgprs: 145
; NumAgprs: 0
; TotalNumVgprs: 145
; ScratchSize: 0
; MemoryBound: 0
; FloatMode: 240
; IeeeMode: 1
; LDSByteSize: 5120 bytes/workgroup (compile time only)
; SGPRBlocks: 3
; VGPRBlocks: 18
; NumSGPRsForWavesPerEU: 32
; NumVGPRsForWavesPerEU: 145
; AccumOffset: 148
; Occupancy: 3
; WaveLimiterHint : 1
; COMPUTE_PGM_RSRC2:SCRATCH_EN: 0
; COMPUTE_PGM_RSRC2:USER_SGPR: 2
; COMPUTE_PGM_RSRC2:TRAP_HANDLER: 0
; COMPUTE_PGM_RSRC2:TGID_X_EN: 1
; COMPUTE_PGM_RSRC2:TGID_Y_EN: 0
; COMPUTE_PGM_RSRC2:TGID_Z_EN: 1
; COMPUTE_PGM_RSRC2:TIDIG_COMP_CNT: 1
; COMPUTE_PGM_RSRC3_GFX90A:ACCUM_OFFSET: 36
; COMPUTE_PGM_RSRC3_GFX90A:TG_SPLIT: 0
	.section	.text._ZN12_GLOBAL__N_120geam_min_plus_kernelIDF16_Dv2_DF16_S1_Li8ELi32ELi64ELi256ELi4ELi4ELi64ELi64ELi4ELc84ELc84ELb1ELb0ELb1EDF16_KPKDF16_KPDF16_EEviiiT16_PT17_ilS9_ilS7_S9_ilPT18_ili26rocblas_geam_ex_operation_,"axG",@progbits,_ZN12_GLOBAL__N_120geam_min_plus_kernelIDF16_Dv2_DF16_S1_Li8ELi32ELi64ELi256ELi4ELi4ELi64ELi64ELi4ELc84ELc84ELb1ELb0ELb1EDF16_KPKDF16_KPDF16_EEviiiT16_PT17_ilS9_ilS7_S9_ilPT18_ili26rocblas_geam_ex_operation_,comdat
	.globl	_ZN12_GLOBAL__N_120geam_min_plus_kernelIDF16_Dv2_DF16_S1_Li8ELi32ELi64ELi256ELi4ELi4ELi64ELi64ELi4ELc84ELc84ELb1ELb0ELb1EDF16_KPKDF16_KPDF16_EEviiiT16_PT17_ilS9_ilS7_S9_ilPT18_ili26rocblas_geam_ex_operation_ ; -- Begin function _ZN12_GLOBAL__N_120geam_min_plus_kernelIDF16_Dv2_DF16_S1_Li8ELi32ELi64ELi256ELi4ELi4ELi64ELi64ELi4ELc84ELc84ELb1ELb0ELb1EDF16_KPKDF16_KPDF16_EEviiiT16_PT17_ilS9_ilS7_S9_ilPT18_ili26rocblas_geam_ex_operation_
	.p2align	8
	.type	_ZN12_GLOBAL__N_120geam_min_plus_kernelIDF16_Dv2_DF16_S1_Li8ELi32ELi64ELi256ELi4ELi4ELi64ELi64ELi4ELc84ELc84ELb1ELb0ELb1EDF16_KPKDF16_KPDF16_EEviiiT16_PT17_ilS9_ilS7_S9_ilPT18_ili26rocblas_geam_ex_operation_,@function
_ZN12_GLOBAL__N_120geam_min_plus_kernelIDF16_Dv2_DF16_S1_Li8ELi32ELi64ELi256ELi4ELi4ELi64ELi64ELi4ELc84ELc84ELb1ELb0ELb1EDF16_KPKDF16_KPDF16_EEviiiT16_PT17_ilS9_ilS7_S9_ilPT18_ili26rocblas_geam_ex_operation_: ; @_ZN12_GLOBAL__N_120geam_min_plus_kernelIDF16_Dv2_DF16_S1_Li8ELi32ELi64ELi256ELi4ELi4ELi64ELi64ELi4ELc84ELc84ELb1ELb0ELb1EDF16_KPKDF16_KPDF16_EEviiiT16_PT17_ilS9_ilS7_S9_ilPT18_ili26rocblas_geam_ex_operation_
; %bb.0:
	s_load_dwordx2 s[14:15], s[0:1], 0x8
	s_load_dwordx4 s[4:7], s[0:1], 0x20
	s_mov_b32 s8, s3
	s_mov_b32 s9, 0
	s_waitcnt lgkmcnt(0)
	v_cmp_eq_f16_e64 s[10:11], s15, 0
	s_and_b64 vcc, exec, s[10:11]
	s_cbranch_vccnz .LBB226_3
; %bb.1:
	s_load_dwordx2 s[12:13], s[0:1], 0x10
	s_lshl_b64 s[16:17], s[8:9], 3
	s_waitcnt lgkmcnt(0)
	s_add_u32 s12, s12, s16
	s_addc_u32 s13, s13, s17
	s_load_dwordx2 s[12:13], s[12:13], 0x0
	s_lshl_b64 s[4:5], s[4:5], 1
	s_waitcnt lgkmcnt(0)
	s_add_u32 s16, s12, s4
	s_addc_u32 s17, s13, s5
	s_andn2_b64 vcc, exec, s[10:11]
	s_cbranch_vccnz .LBB226_4
.LBB226_2:
	s_mov_b32 s21, 0
	s_mov_b32 s20, s8
	s_mov_b64 s[12:13], 0
	s_mov_b64 s[18:19], 0
	s_cbranch_execz .LBB226_5
	s_branch .LBB226_6
.LBB226_3:
	s_mov_b64 s[16:17], 0
	s_andn2_b64 vcc, exec, s[10:11]
	s_cbranch_vccz .LBB226_2
.LBB226_4:
	s_mov_b64 s[20:21], s[8:9]
	s_mov_b64 s[12:13], 0
	;; [unrolled: 1-line block ×3, first 2 shown]
.LBB226_5:
	s_lshl_b64 s[8:9], s[8:9], 3
	s_add_u32 s6, s6, s8
	s_load_dwordx2 s[4:5], s[0:1], 0x38
	s_addc_u32 s7, s7, s9
	s_load_dwordx2 s[6:7], s[6:7], 0x0
	s_waitcnt lgkmcnt(0)
	s_lshl_b64 s[4:5], s[4:5], 1
	s_add_u32 s18, s6, s4
	s_addc_u32 s19, s7, s5
.LBB226_6:
	s_load_dword s15, s[0:1], 0x40
	s_load_dwordx4 s[8:11], s[0:1], 0x58
	s_waitcnt lgkmcnt(0)
	v_cmp_eq_f16_e64 s[4:5], s15, 0
	s_and_b64 s[4:5], exec, s[4:5]
	s_mov_b64 vcc, s[4:5]
	s_cbranch_vccnz .LBB226_8
; %bb.7:
	s_load_dwordx2 s[6:7], s[0:1], 0x48
	s_lshl_b64 s[12:13], s[20:21], 3
	s_waitcnt lgkmcnt(0)
	s_add_u32 s6, s6, s12
	s_addc_u32 s7, s7, s13
	s_load_dwordx2 s[6:7], s[6:7], 0x0
	s_lshl_b64 s[8:9], s[8:9], 1
	s_waitcnt lgkmcnt(0)
	s_add_u32 s12, s6, s8
	s_addc_u32 s13, s7, s9
.LBB226_8:
	s_load_dword s3, s[0:1], 0x0
	s_load_dword s9, s[0:1], 0x18
	;; [unrolled: 1-line block ×3, first 2 shown]
	s_lshl_b64 s[6:7], s[20:21], 3
	s_add_u32 s6, s10, s6
	s_addc_u32 s7, s11, s7
	s_waitcnt lgkmcnt(0)
	s_add_i32 s3, s3, -1
	s_ashr_i32 s10, s3, 31
	s_lshr_b32 s10, s10, 26
	s_add_i32 s3, s3, s10
	s_ashr_i32 s3, s3, 6
	s_add_i32 s10, s3, 1
	v_cvt_f32_u32_e32 v1, s10
	s_not_b32 s3, s3
	v_bfe_u32 v48, v0, 10, 10
	v_and_b32_e32 v45, 0x3ff, v0
	v_rcp_iflag_f32_e32 v1, v1
	v_lshlrev_b32_e32 v44, 3, v48
	v_add_u32_e32 v2, v44, v45
	v_lshrrev_b32_e32 v6, 2, v2
	v_mul_f32_e32 v1, 0x4f7ffffe, v1
	v_cvt_u32_f32_e32 v1, v1
	v_and_b32_e32 v7, 63, v2
	v_lshlrev_b32_e32 v0, 1, v0
	v_lshrrev_b32_e32 v38, 6, v2
	v_readfirstlane_b32 s11, v1
	s_mul_i32 s3, s3, s11
	s_mul_hi_u32 s3, s11, s3
	s_add_i32 s11, s11, s3
	s_mul_hi_u32 s3, s2, s11
	s_mul_i32 s11, s3, s10
	s_sub_i32 s11, s2, s11
	s_add_i32 s20, s3, 1
	s_sub_i32 s21, s11, s10
	s_cmp_ge_u32 s11, s10
	s_cselect_b32 s3, s20, s3
	s_cselect_b32 s11, s21, s11
	s_add_i32 s20, s3, 1
	s_cmp_ge_u32 s11, s10
	s_cselect_b32 s3, s20, s3
	s_mul_i32 s10, s3, s10
	s_sub_i32 s2, s2, s10
	s_lshl_b32 s10, s2, 6
	v_add_u32_e32 v1, s10, v6
	s_lshl_b32 s11, s3, 8
	v_mad_i64_i32 v[28:29], s[2:3], v1, s9, 0
	v_lshl_add_u64 v[2:3], v[28:29], 1, s[16:17]
	v_and_b32_e32 v30, 6, v0
	v_mov_b32_e32 v31, 0
	v_or_b32_e32 v32, s11, v7
	v_lshl_add_u64 v[0:1], v[2:3], 0, v[30:31]
	v_mad_i64_i32 v[2:3], s[2:3], s8, v38, 0
	v_ashrrev_i32_e32 v33, 31, v32
	v_lshl_add_u64 v[2:3], v[2:3], 1, s[18:19]
	v_lshlrev_b64 v[4:5], 1, v[32:33]
	v_lshl_add_u64 v[2:3], v[2:3], 0, v[4:5]
	flat_load_ushort v8, v[2:3]
	flat_load_ushort v9, v[2:3] offset:128
	flat_load_ushort v10, v[2:3] offset:256
	;; [unrolled: 1-line block ×3, first 2 shown]
	flat_load_ushort v12, v[0:1]
	v_add_u32_e32 v2, 4, v38
	s_load_dwordx2 s[2:3], s[6:7], 0x0
	v_mad_i64_i32 v[2:3], s[6:7], s8, v2, 0
	v_lshl_add_u64 v[2:3], v[2:3], 1, s[18:19]
	v_lshl_add_u64 v[2:3], v[2:3], 0, v[4:5]
	flat_load_ushort v34, v[2:3]
	flat_load_ushort v35, v[2:3] offset:128
	flat_load_ushort v36, v[2:3] offset:256
	;; [unrolled: 1-line block ×4, first 2 shown]
	v_lshlrev_b32_e32 v50, 3, v45
	v_lshl_or_b32 v30, v6, 3, v30
	v_lshlrev_b32_e32 v6, 3, v7
	v_add_u32_e32 v46, 0x1000, v50
	v_lshl_add_u32 v47, v38, 1, v6
	s_movk_i32 s6, 0x7c00
	s_cmp_lt_i32 s14, 9
	s_waitcnt vmcnt(0) lgkmcnt(0)
	ds_write_b16 v47, v8
	ds_write_b16 v47, v9 offset:512
	ds_write_b16 v47, v10 offset:1024
	;; [unrolled: 1-line block ×4, first 2 shown]
	s_waitcnt lgkmcnt(0)
	s_barrier
	ds_read2_b64 v[16:19], v46 offset1:8
	ds_read2_b64 v[12:15], v46 offset0:16 offset1:24
	ds_read2_b64 v[4:7], v46 offset0:32 offset1:40
	ds_read2_b64 v[40:43], v44 offset1:32
	ds_read2_b64 v[0:3], v46 offset0:48 offset1:56
	ds_read2_b64 v[24:27], v44 offset0:64 offset1:96
	;; [unrolled: 1-line block ×4, first 2 shown]
	s_waitcnt lgkmcnt(4)
	v_pk_add_f16 v49, v16, v40
	v_pk_add_f16 v51, v18, v40
	;; [unrolled: 1-line block ×6, first 2 shown]
	s_waitcnt lgkmcnt(3)
	v_pk_add_f16 v56, v0, v40
	v_pk_add_f16 v40, v2, v40
	v_pk_add_f16 v57, v16, v42
	v_pk_add_f16 v58, v18, v42
	v_pk_add_f16 v59, v12, v42
	v_pk_add_f16 v60, v14, v42
	v_pk_add_f16 v61, v4, v42
	v_pk_add_f16 v62, v6, v42
	v_pk_add_f16 v63, v0, v42
	v_pk_add_f16 v42, v2, v42
	s_waitcnt lgkmcnt(2)
	v_pk_add_f16 v64, v16, v24
	v_pk_add_f16 v65, v18, v24
	v_pk_add_f16 v66, v12, v24
	v_pk_add_f16 v67, v14, v24
	v_pk_add_f16 v68, v4, v24
	v_pk_add_f16 v69, v6, v24
	v_pk_add_f16 v70, v0, v24
	v_pk_add_f16 v24, v2, v24
	v_pk_add_f16 v71, v16, v26
	v_pk_add_f16 v72, v18, v26
	v_pk_add_f16 v73, v12, v26
	v_pk_add_f16 v74, v14, v26
	v_pk_add_f16 v75, v4, v26
	v_pk_add_f16 v76, v6, v26
	v_pk_add_f16 v77, v0, v26
	v_pk_add_f16 v26, v2, v26
	s_waitcnt lgkmcnt(1)
	v_pk_add_f16 v78, v16, v20
	v_pk_add_f16 v79, v18, v20
	v_pk_add_f16 v80, v12, v20
	v_pk_add_f16 v95, v14, v20
	v_pk_add_f16 v96, v4, v20
	v_pk_add_f16 v97, v6, v20
	;; [unrolled: 17-line block ×3, first 2 shown]
	v_pk_add_f16 v133, v0, v8
	v_pk_add_f16 v8, v2, v8
	;; [unrolled: 1-line block ×11, first 2 shown]
	v_pk_min_f16 v10, v49, s6 op_sel_hi:[1,0]
	v_pk_min_f16 v8, v8, s6 op_sel_hi:[1,0]
	v_pk_min_f16 v119, v10, v2
	v_pk_add_f16 v2, v19, v41
	v_pk_min_f16 v10, v51, s6 op_sel_hi:[1,0]
	v_pk_min_f16 v4, v4, s6 op_sel_hi:[1,0]
	v_pk_min_f16 v118, v10, v2
	v_pk_add_f16 v2, v13, v41
	;; [unrolled: 4-line block ×3, first 2 shown]
	v_pk_min_f16 v10, v53, s6 op_sel_hi:[1,0]
	ds_write_b16 v30, v39 offset:4608
	ds_write_b16 v47, v34 offset:2048
	;; [unrolled: 1-line block ×5, first 2 shown]
	v_pk_min_f16 v116, v10, v2
	v_pk_add_f16 v2, v5, v41
	v_pk_min_f16 v10, v54, s6 op_sel_hi:[1,0]
	s_waitcnt lgkmcnt(0)
	v_pk_min_f16 v115, v10, v2
	v_pk_add_f16 v2, v7, v41
	v_pk_min_f16 v10, v55, s6 op_sel_hi:[1,0]
	s_barrier
	v_pk_min_f16 v114, v10, v2
	v_pk_add_f16 v2, v1, v41
	v_pk_min_f16 v10, v56, s6 op_sel_hi:[1,0]
	s_nop 0
	v_pk_min_f16 v113, v10, v2
	v_pk_add_f16 v2, v3, v41
	v_pk_min_f16 v10, v40, s6 op_sel_hi:[1,0]
	s_nop 0
	;; [unrolled: 4-line block ×48, first 2 shown]
	v_pk_min_f16 v62, v10, v2
	v_pk_add_f16 v2, v1, v9
	v_pk_min_f16 v10, v133, s6 op_sel_hi:[1,0]
	v_pk_add_f16 v1, v1, v11
	v_pk_min_f16 v61, v10, v2
	v_pk_add_f16 v2, v3, v9
	s_nop 0
	v_pk_min_f16 v60, v8, v2
	v_pk_add_f16 v2, v17, v11
	v_pk_min_f16 v8, v16, s6 op_sel_hi:[1,0]
	s_nop 0
	v_pk_min_f16 v59, v8, v2
	v_pk_add_f16 v2, v19, v11
	v_pk_min_f16 v8, v18, s6 op_sel_hi:[1,0]
	;; [unrolled: 4-line block ×4, first 2 shown]
	s_nop 0
	v_pk_min_f16 v56, v8, v2
	v_pk_add_f16 v2, v5, v11
	s_nop 0
	v_pk_min_f16 v55, v4, v2
	v_pk_add_f16 v2, v7, v11
	v_pk_min_f16 v4, v6, s6 op_sel_hi:[1,0]
	s_nop 0
	v_pk_min_f16 v54, v4, v2
	v_pk_min_f16 v2, v134, s6 op_sel_hi:[1,0]
	s_nop 0
	v_pk_min_f16 v52, v2, v1
	v_pk_add_f16 v1, v3, v11
	s_nop 0
	v_pk_min_f16 v53, v0, v1
	s_cbranch_scc1 .LBB226_11
; %bb.9:
	v_mov_b32_e32 v0, 0x1200
	v_lshl_add_u32 v96, v45, 3, v0
	v_add_u32_e32 v0, 12, v38
	v_mad_i64_i32 v[0:1], s[6:7], v0, s8, 0
	v_lshlrev_b64 v[34:35], 1, v[0:1]
	v_and_b32_e32 v0, 3, v45
	v_add_u32_e32 v49, 0x1000, v30
	v_add_u32_e32 v51, 0x1200, v30
	v_lshlrev_b32_e32 v30, 1, v0
	v_lshl_add_u64 v[0:1], v[28:29], 1, v[30:31]
	v_lshl_add_u64 v[0:1], s[16:17], 0, v[0:1]
	s_ashr_i32 s9, s8, 31
	v_lshl_add_u64 v[36:37], v[0:1], 0, 16
	v_add_u32_e32 v0, 8, v38
	s_lshl_b64 s[6:7], s[8:9], 4
	v_mad_i64_i32 v[0:1], s[8:9], v0, s8, 0
	v_or_b32_e32 v95, 0x800, v47
	s_add_i32 s14, s14, -8
	v_add_u32_e32 v97, 0x800, v44
	v_lshl_add_u64 v[32:33], v[32:33], 1, s[18:19]
	v_lshlrev_b64 v[38:39], 1, v[0:1]
	s_mov_b32 s8, 0
.LBB226_10:                             ; =>This Inner Loop Header: Depth=1
	v_lshl_add_u64 v[40:41], v[32:33], 0, v[38:39]
	flat_load_ushort v112, v[36:37]
	ds_read2_b64 v[12:15], v96 offset1:8
	ds_read2_b64 v[8:11], v96 offset0:16 offset1:24
	ds_read2_b64 v[4:7], v96 offset0:32 offset1:40
	;; [unrolled: 1-line block ×3, first 2 shown]
	ds_read2_b64 v[28:31], v97 offset1:32
	ds_read2_b64 v[24:27], v97 offset0:64 offset1:96
	ds_read2_b64 v[20:23], v97 offset0:128 offset1:160
	;; [unrolled: 1-line block ×3, first 2 shown]
	flat_load_ushort v120, v[40:41]
	flat_load_ushort v121, v[40:41] offset:128
	flat_load_ushort v122, v[40:41] offset:256
	;; [unrolled: 1-line block ×3, first 2 shown]
	v_lshl_add_u64 v[42:43], v[32:33], 0, v[34:35]
	v_pk_max_f16 v119, v119, v119
	v_pk_max_f16 v116, v116, v116
	;; [unrolled: 1-line block ×27, first 2 shown]
	s_waitcnt lgkmcnt(0)
	v_pk_add_f16 v40, v12, v28
	v_pk_add_f16 v41, v14, v28
	;; [unrolled: 1-line block ×49, first 2 shown]
	s_waitcnt vmcnt(0)
	ds_write_b16 v49, v112
	ds_write_b16 v47, v120
	ds_write_b16 v47, v121 offset:512
	ds_write_b16 v47, v122 offset:1024
	;; [unrolled: 1-line block ×3, first 2 shown]
	s_waitcnt lgkmcnt(0)
	s_barrier
	flat_load_ushort v112, v[36:37] offset:8
	flat_load_ushort v120, v[42:43]
	flat_load_ushort v121, v[42:43] offset:128
	flat_load_ushort v122, v[42:43] offset:256
	;; [unrolled: 1-line block ×3, first 2 shown]
	v_pk_add_f16 v165, v14, v16
	v_pk_add_f16 v166, v8, v16
	;; [unrolled: 1-line block ×15, first 2 shown]
	v_pk_max_f16 v118, v118, v118
	v_pk_max_f16 v117, v117, v117
	v_pk_add_f16 v18, v13, v29
	v_pk_add_f16 v171, v15, v29
	;; [unrolled: 1-line block ×64, first 2 shown]
	v_pk_min_f16 v19, v119, v40
	v_pk_min_f16 v116, v116, v125
	;; [unrolled: 1-line block ×56, first 2 shown]
	ds_read2_b64 v[0:3], v46 offset1:8
	ds_read2_b64 v[4:7], v46 offset0:16 offset1:24
	ds_read2_b64 v[8:11], v46 offset0:32 offset1:40
	;; [unrolled: 1-line block ×3, first 2 shown]
	ds_read2_b64 v[16:19], v44 offset1:32
	ds_read2_b64 v[20:23], v44 offset0:64 offset1:96
	ds_read2_b64 v[24:27], v44 offset0:128 offset1:160
	;; [unrolled: 1-line block ×3, first 2 shown]
	v_pk_max_f16 v102, v102, v102
	v_pk_max_f16 v101, v101, v101
	;; [unrolled: 1-line block ×35, first 2 shown]
	v_pk_min_f16 v102, v102, v136
	v_pk_min_f16 v101, v101, v137
	;; [unrolled: 1-line block ×72, first 2 shown]
	s_waitcnt lgkmcnt(0)
	v_pk_add_f16 v42, v0, v16
	v_pk_add_f16 v43, v2, v16
	;; [unrolled: 1-line block ×64, first 2 shown]
	s_add_i32 s8, s8, 8
	v_pk_add_f16 v30, v1, v17
	v_pk_add_f16 v169, v3, v17
	;; [unrolled: 1-line block ×64, first 2 shown]
	v_pk_min_f16 v31, v52, v42
	v_pk_min_f16 v40, v40, v43
	;; [unrolled: 1-line block ×64, first 2 shown]
	v_lshl_add_u64 v[32:33], v[32:33], 0, s[6:7]
	s_cmp_ge_i32 s8, s14
	v_lshl_add_u64 v[36:37], v[36:37], 0, 16
	v_pk_min_f16 v119, v31, v30
	v_pk_min_f16 v118, v40, v169
	;; [unrolled: 1-line block ×64, first 2 shown]
	s_waitcnt vmcnt(0)
	ds_write_b16 v51, v112
	ds_write_b16 v95, v120
	ds_write_b16 v95, v121 offset:512
	ds_write_b16 v95, v122 offset:1024
	;; [unrolled: 1-line block ×3, first 2 shown]
	s_waitcnt lgkmcnt(0)
	s_barrier
	s_cbranch_scc0 .LBB226_10
.LBB226_11:
	s_load_dword s8, s[0:1], 0x50
	ds_read_b64 v[30:31], v50 offset:4608
	ds_read_b64 v[46:47], v44 offset:2048
	v_add_u32_e32 v95, s11, v48
	v_cmp_neq_f16_e64 s[6:7], s15, 0
	v_add_u32_e32 v28, s10, v45
	s_waitcnt lgkmcnt(0)
	v_mad_i64_i32 v[0:1], s[10:11], v95, s8, 0
	v_ashrrev_i32_e32 v29, 31, v28
	v_lshl_add_u64 v[48:49], v[0:1], 1, s[12:13]
	v_mov_b32_e32 v34, 0
	s_and_b64 vcc, exec, s[6:7]
	v_mov_b32_e32 v35, 0
	s_cbranch_vccz .LBB226_13
; %bb.12:
	v_lshl_add_u64 v[0:1], v[28:29], 1, v[48:49]
	flat_load_ushort v0, v[0:1]
	s_waitcnt vmcnt(0) lgkmcnt(0)
	v_mul_f16_e32 v0, s15, v0
	v_cvt_f32_f16_e32 v35, v0
.LBB226_13:
	v_pk_add_f16 v32, v30, v46
	v_max_f16_e32 v33, v119, v119
	v_pk_add_f16 v37, v31, v47
	v_min_f16_e32 v36, v33, v32
	v_lshrrev_b32_e32 v33, 16, v119
	v_lshrrev_b32_e32 v32, 16, v32
	;; [unrolled: 1-line block ×3, first 2 shown]
	v_add_u32_e32 v0, 0x1000, v50
	v_min3_f16 v38, v33, v32, v38
	ds_read2_b64 v[8:11], v0 offset0:72 offset1:80
	ds_read2_b64 v[4:7], v0 offset0:88 offset1:96
	;; [unrolled: 1-line block ×3, first 2 shown]
	ds_read_b64 v[24:25], v50 offset:5056
	s_load_dword s9, s[0:1], 0x68
	s_load_dwordx2 s[10:11], s[0:1], 0x70
	v_min3_f16 v36, v36, v37, v38
	v_cvt_f32_f16_e32 v38, v36
	v_add_u32_e32 v12, 0x800, v44
	ds_read2_b64 v[20:23], v12 offset0:32 offset1:64
	ds_read2_b64 v[16:19], v12 offset0:96 offset1:128
	;; [unrolled: 1-line block ×3, first 2 shown]
	ds_read_b64 v[26:27], v44 offset:3840
	v_max_f32_e32 v35, v35, v35
	s_waitcnt lgkmcnt(0)
	s_lshl_b64 s[0:1], s[10:11], 1
	v_min_f32_e32 v35, v35, v38
	s_add_u32 s2, s2, s0
	v_cvt_f16_f32_e32 v35, v35
	s_addc_u32 s3, s3, s1
	v_mad_i64_i32 v[36:37], s[0:1], v95, s9, 0
	v_add_u32_e32 v32, 8, v28
	v_lshl_add_u64 v[50:51], v[36:37], 1, s[2:3]
	v_cndmask_b32_e64 v38, 0, 1, s[6:7]
	v_ashrrev_i32_e32 v33, 31, v32
	v_lshl_add_u64 v[36:37], v[28:29], 1, v[50:51]
	v_cmp_ne_u32_e64 s[0:1], 1, v38
	s_andn2_b64 vcc, exec, s[6:7]
	flat_store_short v[36:37], v35
	s_cbranch_vccnz .LBB226_15
; %bb.14:
	v_lshl_add_u64 v[34:35], v[32:33], 1, v[48:49]
	flat_load_ushort v34, v[34:35]
	s_waitcnt vmcnt(0) lgkmcnt(0)
	v_mul_f16_e32 v34, s15, v34
	v_cvt_f32_f16_e32 v34, v34
.LBB226_15:
	v_pk_add_f16 v35, v8, v46
	v_max_f16_e32 v36, v118, v118
	v_pk_add_f16 v38, v9, v47
	v_min_f16_e32 v36, v36, v35
	v_lshrrev_b32_e32 v37, 16, v118
	v_lshrrev_b32_e32 v35, 16, v35
	;; [unrolled: 1-line block ×3, first 2 shown]
	v_min3_f16 v35, v37, v35, v39
	v_min3_f16 v35, v36, v38, v35
	v_cvt_f32_f16_e32 v35, v35
	v_max_f32_e32 v34, v34, v34
	v_lshl_add_u64 v[36:37], v[32:33], 1, v[50:51]
	s_and_b64 vcc, exec, s[0:1]
	v_min_f32_e32 v34, v34, v35
	v_cvt_f16_f32_e32 v38, v34
	v_add_u32_e32 v34, 16, v28
	v_ashrrev_i32_e32 v35, 31, v34
	flat_store_short v[36:37], v38
	v_mov_b32_e32 v38, 0
	v_mov_b32_e32 v37, 0
	s_cbranch_vccnz .LBB226_17
; %bb.16:
	v_lshl_add_u64 v[36:37], v[34:35], 1, v[48:49]
	flat_load_ushort v36, v[36:37]
	s_waitcnt vmcnt(0) lgkmcnt(0)
	v_mul_f16_e32 v36, s15, v36
	v_cvt_f32_f16_e32 v37, v36
.LBB226_17:
	v_pk_add_f16 v36, v10, v46
	v_max_f16_e32 v39, v117, v117
	v_pk_add_f16 v41, v11, v47
	v_min_f16_e32 v39, v39, v36
	v_lshrrev_b32_e32 v40, 16, v117
	v_lshrrev_b32_e32 v36, 16, v36
	;; [unrolled: 1-line block ×3, first 2 shown]
	v_min3_f16 v36, v40, v36, v42
	v_min3_f16 v36, v39, v41, v36
	v_cvt_f32_f16_e32 v39, v36
	v_max_f32_e32 v37, v37, v37
	v_add_u32_e32 v36, 24, v28
	v_lshl_add_u64 v[40:41], v[34:35], 1, v[50:51]
	v_min_f32_e32 v37, v37, v39
	v_cvt_f16_f32_e32 v39, v37
	v_ashrrev_i32_e32 v37, 31, v36
	s_and_b64 vcc, exec, s[0:1]
	flat_store_short v[40:41], v39
	s_cbranch_vccnz .LBB226_19
; %bb.18:
	v_lshl_add_u64 v[38:39], v[36:37], 1, v[48:49]
	flat_load_ushort v38, v[38:39]
	s_waitcnt vmcnt(0) lgkmcnt(0)
	v_mul_f16_e32 v38, s15, v38
	v_cvt_f32_f16_e32 v38, v38
.LBB226_19:
	v_pk_add_f16 v39, v4, v46
	v_max_f16_e32 v40, v116, v116
	v_pk_add_f16 v42, v5, v47
	v_min_f16_e32 v40, v40, v39
	v_lshrrev_b32_e32 v41, 16, v116
	v_lshrrev_b32_e32 v39, 16, v39
	;; [unrolled: 1-line block ×3, first 2 shown]
	v_min3_f16 v39, v41, v39, v43
	v_min3_f16 v39, v40, v42, v39
	v_cvt_f32_f16_e32 v39, v39
	v_max_f32_e32 v38, v38, v38
	v_add_u32_e32 v40, 32, v28
	v_ashrrev_i32_e32 v41, 31, v40
	v_min_f32_e32 v38, v38, v39
	v_cvt_f16_f32_e32 v42, v38
	v_lshl_add_u64 v[38:39], v[36:37], 1, v[50:51]
	s_and_b64 vcc, exec, s[0:1]
	flat_store_short v[38:39], v42
	v_mov_b32_e32 v42, 0
	v_mov_b32_e32 v39, 0
	s_cbranch_vccnz .LBB226_21
; %bb.20:
	v_lshl_add_u64 v[38:39], v[40:41], 1, v[48:49]
	flat_load_ushort v38, v[38:39]
	s_waitcnt vmcnt(0) lgkmcnt(0)
	v_mul_f16_e32 v38, s15, v38
	v_cvt_f32_f16_e32 v39, v38
.LBB226_21:
	v_pk_add_f16 v38, v6, v46
	v_max_f16_e32 v43, v115, v115
	v_pk_add_f16 v45, v7, v47
	v_min_f16_e32 v43, v43, v38
	v_lshrrev_b32_e32 v44, 16, v115
	v_lshrrev_b32_e32 v38, 16, v38
	;; [unrolled: 1-line block ×3, first 2 shown]
	v_min3_f16 v38, v44, v38, v96
	v_min3_f16 v38, v43, v45, v38
	v_cvt_f32_f16_e32 v43, v38
	v_max_f32_e32 v39, v39, v39
	v_add_u32_e32 v38, 40, v28
	v_lshl_add_u64 v[44:45], v[40:41], 1, v[50:51]
	v_min_f32_e32 v39, v39, v43
	v_cvt_f16_f32_e32 v43, v39
	v_ashrrev_i32_e32 v39, 31, v38
	s_and_b64 vcc, exec, s[0:1]
	flat_store_short v[44:45], v43
	s_cbranch_vccnz .LBB226_23
; %bb.22:
	v_lshl_add_u64 v[42:43], v[38:39], 1, v[48:49]
	flat_load_ushort v42, v[42:43]
	s_waitcnt vmcnt(0) lgkmcnt(0)
	v_mul_f16_e32 v42, s15, v42
	v_cvt_f32_f16_e32 v42, v42
.LBB226_23:
	v_pk_add_f16 v43, v0, v46
	v_max_f16_e32 v44, v114, v114
	v_pk_add_f16 v96, v1, v47
	v_min_f16_e32 v44, v44, v43
	v_lshrrev_b32_e32 v45, 16, v114
	v_lshrrev_b32_e32 v43, 16, v43
	;; [unrolled: 1-line block ×3, first 2 shown]
	v_min3_f16 v43, v45, v43, v97
	v_min3_f16 v43, v44, v96, v43
	v_cvt_f32_f16_e32 v43, v43
	v_max_f32_e32 v42, v42, v42
	v_lshl_add_u64 v[44:45], v[38:39], 1, v[50:51]
	s_and_b64 vcc, exec, s[0:1]
	v_min_f32_e32 v42, v42, v43
	v_cvt_f16_f32_e32 v96, v42
	v_add_u32_e32 v42, 48, v28
	v_ashrrev_i32_e32 v43, 31, v42
	flat_store_short v[44:45], v96
	v_mov_b32_e32 v96, 0
	v_mov_b32_e32 v45, 0
	s_cbranch_vccnz .LBB226_25
; %bb.24:
	v_lshl_add_u64 v[44:45], v[42:43], 1, v[48:49]
	flat_load_ushort v44, v[44:45]
	s_waitcnt vmcnt(0) lgkmcnt(0)
	v_mul_f16_e32 v44, s15, v44
	v_cvt_f32_f16_e32 v45, v44
.LBB226_25:
	v_pk_add_f16 v44, v2, v46
	v_max_f16_e32 v97, v113, v113
	v_lshrrev_b32_e32 v112, 16, v113
	v_pk_add_f16 v113, v3, v47
	v_min_f16_e32 v97, v97, v44
	v_lshrrev_b32_e32 v44, 16, v44
	v_lshrrev_b32_e32 v114, 16, v113
	v_min3_f16 v44, v112, v44, v114
	v_min3_f16 v44, v97, v113, v44
	v_cvt_f32_f16_e32 v97, v44
	v_max_f32_e32 v45, v45, v45
	v_add_u32_e32 v44, 56, v28
	v_lshl_add_u64 v[112:113], v[42:43], 1, v[50:51]
	v_min_f32_e32 v45, v45, v97
	v_cvt_f16_f32_e32 v97, v45
	v_ashrrev_i32_e32 v45, 31, v44
	s_and_b64 vcc, exec, s[0:1]
	flat_store_short v[112:113], v97
	s_cbranch_vccnz .LBB226_27
; %bb.26:
	v_lshl_add_u64 v[48:49], v[44:45], 1, v[48:49]
	flat_load_ushort v48, v[48:49]
	s_waitcnt vmcnt(0) lgkmcnt(0)
	v_mul_f16_e32 v48, s15, v48
	v_cvt_f32_f16_e32 v96, v48
.LBB226_27:
	v_pk_add_f16 v46, v24, v46
	v_max_f16_e32 v48, v111, v111
	v_pk_add_f16 v47, v25, v47
	v_min_f16_e32 v48, v48, v46
	v_lshrrev_b32_e32 v49, 16, v111
	v_lshrrev_b32_e32 v46, 16, v46
	;; [unrolled: 1-line block ×3, first 2 shown]
	v_min3_f16 v46, v49, v46, v97
	v_min3_f16 v46, v48, v47, v46
	v_cvt_f32_f16_e32 v46, v46
	v_max_f32_e32 v47, v96, v96
	s_and_b64 vcc, exec, s[0:1]
	v_mov_b32_e32 v49, 0
	v_min_f32_e32 v46, v47, v46
	v_cvt_f16_f32_e32 v48, v46
	v_lshl_add_u64 v[46:47], v[44:45], 1, v[50:51]
	v_mov_b32_e32 v50, 0
	flat_store_short v[46:47], v48
	v_add_u32_e32 v48, 32, v95
	v_mad_i64_i32 v[46:47], s[6:7], v48, s8, 0
	v_lshl_add_u64 v[46:47], v[46:47], 1, s[12:13]
	s_cbranch_vccnz .LBB226_29
; %bb.28:
	v_lshl_add_u64 v[96:97], v[28:29], 1, v[46:47]
	flat_load_ushort v49, v[96:97]
	s_waitcnt vmcnt(0) lgkmcnt(0)
	v_mul_f16_e32 v49, s15, v49
	v_cvt_f32_f16_e32 v49, v49
.LBB226_29:
	v_pk_add_f16 v51, v30, v20
	v_max_f16_e32 v96, v110, v110
	v_lshrrev_b32_e32 v97, 16, v110
	v_pk_add_f16 v110, v31, v21
	v_min_f16_e32 v96, v96, v51
	v_lshrrev_b32_e32 v51, 16, v51
	v_lshrrev_b32_e32 v111, 16, v110
	v_min3_f16 v51, v97, v51, v111
	v_min3_f16 v51, v96, v110, v51
	v_cvt_f32_f16_e32 v51, v51
	v_mad_i64_i32 v[96:97], s[6:7], v48, s9, 0
	v_max_f32_e32 v48, v49, v49
	v_min_f32_e32 v48, v48, v51
	v_cvt_f16_f32_e32 v51, v48
	v_lshl_add_u64 v[48:49], v[96:97], 1, s[2:3]
	v_lshl_add_u64 v[96:97], v[28:29], 1, v[48:49]
	s_and_b64 vcc, exec, s[0:1]
	flat_store_short v[96:97], v51
	s_cbranch_vccnz .LBB226_31
; %bb.30:
	v_lshl_add_u64 v[50:51], v[32:33], 1, v[46:47]
	flat_load_ushort v50, v[50:51]
	s_waitcnt vmcnt(0) lgkmcnt(0)
	v_mul_f16_e32 v50, s15, v50
	v_cvt_f32_f16_e32 v50, v50
.LBB226_31:
	v_pk_add_f16 v51, v8, v20
	v_max_f16_e32 v96, v109, v109
	v_lshrrev_b32_e32 v97, 16, v109
	v_pk_add_f16 v109, v9, v21
	v_min_f16_e32 v96, v96, v51
	v_lshrrev_b32_e32 v51, 16, v51
	v_lshrrev_b32_e32 v110, 16, v109
	v_min3_f16 v51, v97, v51, v110
	v_min3_f16 v51, v96, v109, v51
	v_cvt_f32_f16_e32 v51, v51
	v_max_f32_e32 v50, v50, v50
	s_and_b64 vcc, exec, s[0:1]
	v_min_f32_e32 v50, v50, v51
	v_cvt_f16_f32_e32 v96, v50
	v_lshl_add_u64 v[50:51], v[32:33], 1, v[48:49]
	flat_store_short v[50:51], v96
	v_mov_b32_e32 v50, 0
	v_mov_b32_e32 v51, 0
	s_cbranch_vccnz .LBB226_33
; %bb.32:
	v_lshl_add_u64 v[96:97], v[34:35], 1, v[46:47]
	flat_load_ushort v51, v[96:97]
	s_waitcnt vmcnt(0) lgkmcnt(0)
	v_mul_f16_e32 v51, s15, v51
	v_cvt_f32_f16_e32 v51, v51
.LBB226_33:
	v_pk_add_f16 v96, v10, v20
	v_max_f16_e32 v97, v108, v108
	v_pk_add_f16 v109, v11, v21
	v_min_f16_e32 v97, v97, v96
	v_lshrrev_b32_e32 v108, 16, v108
	v_lshrrev_b32_e32 v96, 16, v96
	v_lshrrev_b32_e32 v110, 16, v109
	v_min3_f16 v96, v108, v96, v110
	v_min3_f16 v96, v97, v109, v96
	v_cvt_f32_f16_e32 v96, v96
	v_max_f32_e32 v51, v51, v51
	s_and_b64 vcc, exec, s[0:1]
	v_min_f32_e32 v51, v51, v96
	v_cvt_f16_f32_e32 v51, v51
	v_lshl_add_u64 v[96:97], v[34:35], 1, v[48:49]
	flat_store_short v[96:97], v51
	s_cbranch_vccnz .LBB226_35
; %bb.34:
	v_lshl_add_u64 v[50:51], v[36:37], 1, v[46:47]
	flat_load_ushort v50, v[50:51]
	s_waitcnt vmcnt(0) lgkmcnt(0)
	v_mul_f16_e32 v50, s15, v50
	v_cvt_f32_f16_e32 v50, v50
.LBB226_35:
	v_pk_add_f16 v51, v4, v20
	v_max_f16_e32 v96, v107, v107
	v_lshrrev_b32_e32 v97, 16, v107
	v_pk_add_f16 v107, v5, v21
	v_min_f16_e32 v96, v96, v51
	v_lshrrev_b32_e32 v51, 16, v51
	v_lshrrev_b32_e32 v108, 16, v107
	v_min3_f16 v51, v97, v51, v108
	v_min3_f16 v51, v96, v107, v51
	v_cvt_f32_f16_e32 v51, v51
	v_max_f32_e32 v50, v50, v50
	s_and_b64 vcc, exec, s[0:1]
	v_min_f32_e32 v50, v50, v51
	v_cvt_f16_f32_e32 v96, v50
	v_lshl_add_u64 v[50:51], v[36:37], 1, v[48:49]
	flat_store_short v[50:51], v96
	v_mov_b32_e32 v50, 0
	v_mov_b32_e32 v51, 0
	s_cbranch_vccnz .LBB226_37
; %bb.36:
	v_lshl_add_u64 v[96:97], v[40:41], 1, v[46:47]
	flat_load_ushort v51, v[96:97]
	s_waitcnt vmcnt(0) lgkmcnt(0)
	v_mul_f16_e32 v51, s15, v51
	v_cvt_f32_f16_e32 v51, v51
.LBB226_37:
	v_pk_add_f16 v96, v6, v20
	v_max_f16_e32 v97, v106, v106
	v_pk_add_f16 v107, v7, v21
	v_min_f16_e32 v97, v97, v96
	v_lshrrev_b32_e32 v106, 16, v106
	v_lshrrev_b32_e32 v96, 16, v96
	v_lshrrev_b32_e32 v108, 16, v107
	v_min3_f16 v96, v106, v96, v108
	v_min3_f16 v96, v97, v107, v96
	v_cvt_f32_f16_e32 v96, v96
	v_max_f32_e32 v51, v51, v51
	s_and_b64 vcc, exec, s[0:1]
	v_min_f32_e32 v51, v51, v96
	v_cvt_f16_f32_e32 v51, v51
	v_lshl_add_u64 v[96:97], v[40:41], 1, v[48:49]
	;; [unrolled: 50-line block ×3, first 2 shown]
	flat_store_short v[96:97], v51
	s_cbranch_vccnz .LBB226_43
; %bb.42:
	v_lshl_add_u64 v[46:47], v[44:45], 1, v[46:47]
	flat_load_ushort v46, v[46:47]
	s_waitcnt vmcnt(0) lgkmcnt(0)
	v_mul_f16_e32 v46, s15, v46
	v_cvt_f32_f16_e32 v50, v46
.LBB226_43:
	v_pk_add_f16 v20, v24, v20
	v_max_f16_e32 v46, v103, v103
	v_pk_add_f16 v21, v25, v21
	v_min_f16_e32 v46, v46, v20
	v_lshrrev_b32_e32 v47, 16, v103
	v_lshrrev_b32_e32 v20, 16, v20
	;; [unrolled: 1-line block ×3, first 2 shown]
	v_min3_f16 v20, v47, v20, v51
	v_min3_f16 v20, v46, v21, v20
	v_cvt_f32_f16_e32 v20, v20
	v_max_f32_e32 v21, v50, v50
	s_and_b64 vcc, exec, s[0:1]
	v_mov_b32_e32 v47, 0
	v_min_f32_e32 v20, v21, v20
	v_cvt_f16_f32_e32 v46, v20
	v_lshl_add_u64 v[20:21], v[44:45], 1, v[48:49]
	v_mov_b32_e32 v48, 0
	flat_store_short v[20:21], v46
	v_add_u32_e32 v46, 64, v95
	v_mad_i64_i32 v[20:21], s[6:7], v46, s8, 0
	v_lshl_add_u64 v[20:21], v[20:21], 1, s[12:13]
	s_cbranch_vccnz .LBB226_45
; %bb.44:
	v_lshl_add_u64 v[50:51], v[28:29], 1, v[20:21]
	flat_load_ushort v47, v[50:51]
	s_waitcnt vmcnt(0) lgkmcnt(0)
	v_mul_f16_e32 v47, s15, v47
	v_cvt_f32_f16_e32 v47, v47
.LBB226_45:
	v_pk_add_f16 v49, v30, v22
	v_max_f16_e32 v50, v102, v102
	v_pk_add_f16 v96, v31, v23
	v_min_f16_e32 v50, v50, v49
	v_lshrrev_b32_e32 v51, 16, v102
	v_lshrrev_b32_e32 v49, 16, v49
	;; [unrolled: 1-line block ×3, first 2 shown]
	v_min3_f16 v49, v51, v49, v97
	v_min3_f16 v49, v50, v96, v49
	v_cvt_f32_f16_e32 v49, v49
	v_mad_i64_i32 v[50:51], s[6:7], v46, s9, 0
	v_max_f32_e32 v46, v47, v47
	v_min_f32_e32 v46, v46, v49
	v_cvt_f16_f32_e32 v49, v46
	v_lshl_add_u64 v[46:47], v[50:51], 1, s[2:3]
	v_lshl_add_u64 v[50:51], v[28:29], 1, v[46:47]
	s_and_b64 vcc, exec, s[0:1]
	flat_store_short v[50:51], v49
	s_cbranch_vccnz .LBB226_47
; %bb.46:
	v_lshl_add_u64 v[48:49], v[32:33], 1, v[20:21]
	flat_load_ushort v48, v[48:49]
	s_waitcnt vmcnt(0) lgkmcnt(0)
	v_mul_f16_e32 v48, s15, v48
	v_cvt_f32_f16_e32 v48, v48
.LBB226_47:
	v_pk_add_f16 v49, v8, v22
	v_max_f16_e32 v50, v101, v101
	v_pk_add_f16 v96, v9, v23
	v_min_f16_e32 v50, v50, v49
	v_lshrrev_b32_e32 v51, 16, v101
	v_lshrrev_b32_e32 v49, 16, v49
	;; [unrolled: 1-line block ×3, first 2 shown]
	v_min3_f16 v49, v51, v49, v97
	v_min3_f16 v49, v50, v96, v49
	v_cvt_f32_f16_e32 v49, v49
	v_max_f32_e32 v48, v48, v48
	s_and_b64 vcc, exec, s[0:1]
	v_min_f32_e32 v48, v48, v49
	v_cvt_f16_f32_e32 v50, v48
	v_lshl_add_u64 v[48:49], v[32:33], 1, v[46:47]
	flat_store_short v[48:49], v50
	v_mov_b32_e32 v48, 0
	v_mov_b32_e32 v49, 0
	s_cbranch_vccnz .LBB226_49
; %bb.48:
	v_lshl_add_u64 v[50:51], v[34:35], 1, v[20:21]
	flat_load_ushort v49, v[50:51]
	s_waitcnt vmcnt(0) lgkmcnt(0)
	v_mul_f16_e32 v49, s15, v49
	v_cvt_f32_f16_e32 v49, v49
.LBB226_49:
	v_pk_add_f16 v50, v10, v22
	v_max_f16_e32 v51, v100, v100
	v_pk_add_f16 v97, v11, v23
	v_min_f16_e32 v51, v51, v50
	v_lshrrev_b32_e32 v96, 16, v100
	v_lshrrev_b32_e32 v50, 16, v50
	;; [unrolled: 1-line block ×3, first 2 shown]
	v_min3_f16 v50, v96, v50, v100
	v_min3_f16 v50, v51, v97, v50
	v_cvt_f32_f16_e32 v50, v50
	v_max_f32_e32 v49, v49, v49
	s_and_b64 vcc, exec, s[0:1]
	v_min_f32_e32 v49, v49, v50
	v_cvt_f16_f32_e32 v49, v49
	v_lshl_add_u64 v[50:51], v[34:35], 1, v[46:47]
	flat_store_short v[50:51], v49
	s_cbranch_vccnz .LBB226_51
; %bb.50:
	v_lshl_add_u64 v[48:49], v[36:37], 1, v[20:21]
	flat_load_ushort v48, v[48:49]
	s_waitcnt vmcnt(0) lgkmcnt(0)
	v_mul_f16_e32 v48, s15, v48
	v_cvt_f32_f16_e32 v48, v48
.LBB226_51:
	v_pk_add_f16 v49, v4, v22
	v_max_f16_e32 v50, v99, v99
	v_pk_add_f16 v96, v5, v23
	v_min_f16_e32 v50, v50, v49
	v_lshrrev_b32_e32 v51, 16, v99
	v_lshrrev_b32_e32 v49, 16, v49
	;; [unrolled: 1-line block ×3, first 2 shown]
	v_min3_f16 v49, v51, v49, v97
	v_min3_f16 v49, v50, v96, v49
	v_cvt_f32_f16_e32 v49, v49
	v_max_f32_e32 v48, v48, v48
	s_and_b64 vcc, exec, s[0:1]
	v_min_f32_e32 v48, v48, v49
	v_cvt_f16_f32_e32 v50, v48
	v_lshl_add_u64 v[48:49], v[36:37], 1, v[46:47]
	flat_store_short v[48:49], v50
	v_mov_b32_e32 v48, 0
	v_mov_b32_e32 v49, 0
	s_cbranch_vccnz .LBB226_53
; %bb.52:
	v_lshl_add_u64 v[50:51], v[40:41], 1, v[20:21]
	flat_load_ushort v49, v[50:51]
	s_waitcnt vmcnt(0) lgkmcnt(0)
	v_mul_f16_e32 v49, s15, v49
	v_cvt_f32_f16_e32 v49, v49
.LBB226_53:
	v_pk_add_f16 v50, v6, v22
	v_max_f16_e32 v51, v98, v98
	v_pk_add_f16 v97, v7, v23
	v_min_f16_e32 v51, v51, v50
	v_lshrrev_b32_e32 v96, 16, v98
	v_lshrrev_b32_e32 v50, 16, v50
	;; [unrolled: 1-line block ×3, first 2 shown]
	v_min3_f16 v50, v96, v50, v98
	v_min3_f16 v50, v51, v97, v50
	v_cvt_f32_f16_e32 v50, v50
	v_max_f32_e32 v49, v49, v49
	s_and_b64 vcc, exec, s[0:1]
	v_min_f32_e32 v49, v49, v50
	v_cvt_f16_f32_e32 v49, v49
	v_lshl_add_u64 v[50:51], v[40:41], 1, v[46:47]
	flat_store_short v[50:51], v49
	s_cbranch_vccnz .LBB226_55
; %bb.54:
	v_lshl_add_u64 v[48:49], v[38:39], 1, v[20:21]
	flat_load_ushort v48, v[48:49]
	s_waitcnt vmcnt(0) lgkmcnt(0)
	v_mul_f16_e32 v48, s15, v48
	v_cvt_f32_f16_e32 v48, v48
.LBB226_55:
	v_pk_add_f16 v49, v0, v22
	v_max_f16_e32 v50, v94, v94
	v_lshrrev_b32_e32 v51, 16, v94
	v_pk_add_f16 v94, v1, v23
	v_min_f16_e32 v50, v50, v49
	v_lshrrev_b32_e32 v49, 16, v49
	v_lshrrev_b32_e32 v96, 16, v94
	v_min3_f16 v49, v51, v49, v96
	v_min3_f16 v49, v50, v94, v49
	v_cvt_f32_f16_e32 v49, v49
	v_max_f32_e32 v48, v48, v48
	s_and_b64 vcc, exec, s[0:1]
	v_min_f32_e32 v48, v48, v49
	v_cvt_f16_f32_e32 v50, v48
	v_lshl_add_u64 v[48:49], v[38:39], 1, v[46:47]
	flat_store_short v[48:49], v50
	v_mov_b32_e32 v48, 0
	v_mov_b32_e32 v49, 0
	s_cbranch_vccnz .LBB226_57
; %bb.56:
	v_lshl_add_u64 v[50:51], v[42:43], 1, v[20:21]
	flat_load_ushort v49, v[50:51]
	s_waitcnt vmcnt(0) lgkmcnt(0)
	v_mul_f16_e32 v49, s15, v49
	v_cvt_f32_f16_e32 v49, v49
.LBB226_57:
	v_pk_add_f16 v50, v2, v22
	v_max_f16_e32 v51, v93, v93
	v_pk_add_f16 v94, v3, v23
	v_min_f16_e32 v51, v51, v50
	v_lshrrev_b32_e32 v93, 16, v93
	v_lshrrev_b32_e32 v50, 16, v50
	;; [unrolled: 1-line block ×3, first 2 shown]
	v_min3_f16 v50, v93, v50, v96
	v_min3_f16 v50, v51, v94, v50
	v_cvt_f32_f16_e32 v50, v50
	v_max_f32_e32 v49, v49, v49
	s_and_b64 vcc, exec, s[0:1]
	v_min_f32_e32 v49, v49, v50
	v_cvt_f16_f32_e32 v49, v49
	v_lshl_add_u64 v[50:51], v[42:43], 1, v[46:47]
	flat_store_short v[50:51], v49
	s_cbranch_vccnz .LBB226_59
; %bb.58:
	v_lshl_add_u64 v[20:21], v[44:45], 1, v[20:21]
	flat_load_ushort v20, v[20:21]
	s_waitcnt vmcnt(0) lgkmcnt(0)
	v_mul_f16_e32 v20, s15, v20
	v_cvt_f32_f16_e32 v48, v20
.LBB226_59:
	v_pk_add_f16 v20, v24, v22
	v_max_f16_e32 v21, v92, v92
	v_pk_add_f16 v23, v25, v23
	v_min_f16_e32 v21, v21, v20
	v_lshrrev_b32_e32 v22, 16, v92
	v_lshrrev_b32_e32 v20, 16, v20
	;; [unrolled: 1-line block ×3, first 2 shown]
	v_min3_f16 v20, v22, v20, v49
	v_min3_f16 v20, v21, v23, v20
	v_cvt_f32_f16_e32 v20, v20
	v_max_f32_e32 v21, v48, v48
	s_and_b64 vcc, exec, s[0:1]
	v_mov_b32_e32 v23, 0
	v_min_f32_e32 v20, v21, v20
	v_cvt_f16_f32_e32 v22, v20
	v_lshl_add_u64 v[20:21], v[44:45], 1, v[46:47]
	v_mov_b32_e32 v46, 0
	flat_store_short v[20:21], v22
	v_add_u32_e32 v22, 0x60, v95
	v_mad_i64_i32 v[20:21], s[6:7], v22, s8, 0
	v_lshl_add_u64 v[20:21], v[20:21], 1, s[12:13]
	s_cbranch_vccnz .LBB226_61
; %bb.60:
	v_lshl_add_u64 v[48:49], v[28:29], 1, v[20:21]
	flat_load_ushort v23, v[48:49]
	s_waitcnt vmcnt(0) lgkmcnt(0)
	v_mul_f16_e32 v23, s15, v23
	v_cvt_f32_f16_e32 v23, v23
.LBB226_61:
	v_pk_add_f16 v47, v30, v16
	v_max_f16_e32 v48, v91, v91
	v_pk_add_f16 v50, v31, v17
	v_min_f16_e32 v48, v48, v47
	v_lshrrev_b32_e32 v49, 16, v91
	v_lshrrev_b32_e32 v47, 16, v47
	;; [unrolled: 1-line block ×3, first 2 shown]
	v_min3_f16 v47, v49, v47, v51
	v_min3_f16 v47, v48, v50, v47
	v_cvt_f32_f16_e32 v47, v47
	v_mad_i64_i32 v[48:49], s[6:7], v22, s9, 0
	v_max_f32_e32 v22, v23, v23
	v_min_f32_e32 v22, v22, v47
	v_cvt_f16_f32_e32 v47, v22
	v_lshl_add_u64 v[22:23], v[48:49], 1, s[2:3]
	v_lshl_add_u64 v[48:49], v[28:29], 1, v[22:23]
	s_and_b64 vcc, exec, s[0:1]
	flat_store_short v[48:49], v47
	s_cbranch_vccnz .LBB226_63
; %bb.62:
	v_lshl_add_u64 v[46:47], v[32:33], 1, v[20:21]
	flat_load_ushort v46, v[46:47]
	s_waitcnt vmcnt(0) lgkmcnt(0)
	v_mul_f16_e32 v46, s15, v46
	v_cvt_f32_f16_e32 v46, v46
.LBB226_63:
	v_pk_add_f16 v47, v8, v16
	v_max_f16_e32 v48, v90, v90
	v_pk_add_f16 v50, v9, v17
	v_min_f16_e32 v48, v48, v47
	v_lshrrev_b32_e32 v49, 16, v90
	v_lshrrev_b32_e32 v47, 16, v47
	v_lshrrev_b32_e32 v51, 16, v50
	v_min3_f16 v47, v49, v47, v51
	v_min3_f16 v47, v48, v50, v47
	v_cvt_f32_f16_e32 v47, v47
	v_max_f32_e32 v46, v46, v46
	s_and_b64 vcc, exec, s[0:1]
	v_min_f32_e32 v46, v46, v47
	v_cvt_f16_f32_e32 v48, v46
	v_lshl_add_u64 v[46:47], v[32:33], 1, v[22:23]
	flat_store_short v[46:47], v48
	v_mov_b32_e32 v46, 0
	v_mov_b32_e32 v47, 0
	s_cbranch_vccnz .LBB226_65
; %bb.64:
	v_lshl_add_u64 v[48:49], v[34:35], 1, v[20:21]
	flat_load_ushort v47, v[48:49]
	s_waitcnt vmcnt(0) lgkmcnt(0)
	v_mul_f16_e32 v47, s15, v47
	v_cvt_f32_f16_e32 v47, v47
.LBB226_65:
	v_pk_add_f16 v48, v10, v16
	v_max_f16_e32 v49, v89, v89
	v_pk_add_f16 v51, v11, v17
	v_min_f16_e32 v49, v49, v48
	v_lshrrev_b32_e32 v50, 16, v89
	v_lshrrev_b32_e32 v48, 16, v48
	v_lshrrev_b32_e32 v89, 16, v51
	v_min3_f16 v48, v50, v48, v89
	v_min3_f16 v48, v49, v51, v48
	v_cvt_f32_f16_e32 v48, v48
	v_max_f32_e32 v47, v47, v47
	s_and_b64 vcc, exec, s[0:1]
	v_min_f32_e32 v47, v47, v48
	v_cvt_f16_f32_e32 v47, v47
	v_lshl_add_u64 v[48:49], v[34:35], 1, v[22:23]
	flat_store_short v[48:49], v47
	s_cbranch_vccnz .LBB226_67
; %bb.66:
	v_lshl_add_u64 v[46:47], v[36:37], 1, v[20:21]
	flat_load_ushort v46, v[46:47]
	s_waitcnt vmcnt(0) lgkmcnt(0)
	v_mul_f16_e32 v46, s15, v46
	v_cvt_f32_f16_e32 v46, v46
.LBB226_67:
	v_pk_add_f16 v47, v4, v16
	v_max_f16_e32 v48, v88, v88
	v_pk_add_f16 v50, v5, v17
	v_min_f16_e32 v48, v48, v47
	v_lshrrev_b32_e32 v49, 16, v88
	v_lshrrev_b32_e32 v47, 16, v47
	v_lshrrev_b32_e32 v51, 16, v50
	v_min3_f16 v47, v49, v47, v51
	v_min3_f16 v47, v48, v50, v47
	v_cvt_f32_f16_e32 v47, v47
	v_max_f32_e32 v46, v46, v46
	s_and_b64 vcc, exec, s[0:1]
	v_min_f32_e32 v46, v46, v47
	v_cvt_f16_f32_e32 v48, v46
	v_lshl_add_u64 v[46:47], v[36:37], 1, v[22:23]
	flat_store_short v[46:47], v48
	v_mov_b32_e32 v46, 0
	v_mov_b32_e32 v47, 0
	s_cbranch_vccnz .LBB226_69
; %bb.68:
	v_lshl_add_u64 v[48:49], v[40:41], 1, v[20:21]
	flat_load_ushort v47, v[48:49]
	s_waitcnt vmcnt(0) lgkmcnt(0)
	v_mul_f16_e32 v47, s15, v47
	v_cvt_f32_f16_e32 v47, v47
.LBB226_69:
	v_pk_add_f16 v48, v6, v16
	v_max_f16_e32 v49, v87, v87
	v_pk_add_f16 v51, v7, v17
	v_min_f16_e32 v49, v49, v48
	v_lshrrev_b32_e32 v50, 16, v87
	v_lshrrev_b32_e32 v48, 16, v48
	v_lshrrev_b32_e32 v87, 16, v51
	v_min3_f16 v48, v50, v48, v87
	v_min3_f16 v48, v49, v51, v48
	v_cvt_f32_f16_e32 v48, v48
	v_max_f32_e32 v47, v47, v47
	s_and_b64 vcc, exec, s[0:1]
	v_min_f32_e32 v47, v47, v48
	v_cvt_f16_f32_e32 v47, v47
	v_lshl_add_u64 v[48:49], v[40:41], 1, v[22:23]
	;; [unrolled: 50-line block ×3, first 2 shown]
	flat_store_short v[48:49], v47
	s_cbranch_vccnz .LBB226_75
; %bb.74:
	v_lshl_add_u64 v[20:21], v[44:45], 1, v[20:21]
	flat_load_ushort v20, v[20:21]
	s_waitcnt vmcnt(0) lgkmcnt(0)
	v_mul_f16_e32 v20, s15, v20
	v_cvt_f32_f16_e32 v46, v20
.LBB226_75:
	v_pk_add_f16 v16, v24, v16
	v_max_f16_e32 v20, v84, v84
	v_pk_add_f16 v17, v25, v17
	v_min_f16_e32 v20, v20, v16
	v_lshrrev_b32_e32 v21, 16, v84
	v_lshrrev_b32_e32 v16, 16, v16
	;; [unrolled: 1-line block ×3, first 2 shown]
	v_min3_f16 v16, v21, v16, v47
	v_min3_f16 v16, v20, v17, v16
	v_cvt_f32_f16_e32 v16, v16
	v_max_f32_e32 v17, v46, v46
	s_and_b64 vcc, exec, s[0:1]
	v_mov_b32_e32 v21, 0
	v_min_f32_e32 v16, v17, v16
	v_cvt_f16_f32_e32 v20, v16
	v_lshl_add_u64 v[16:17], v[44:45], 1, v[22:23]
	v_mov_b32_e32 v22, 0
	flat_store_short v[16:17], v20
	v_add_u32_e32 v20, 0x80, v95
	v_mad_i64_i32 v[16:17], s[6:7], v20, s8, 0
	v_lshl_add_u64 v[16:17], v[16:17], 1, s[12:13]
	s_cbranch_vccnz .LBB226_77
; %bb.76:
	v_lshl_add_u64 v[46:47], v[28:29], 1, v[16:17]
	flat_load_ushort v21, v[46:47]
	s_waitcnt vmcnt(0) lgkmcnt(0)
	v_mul_f16_e32 v21, s15, v21
	v_cvt_f32_f16_e32 v21, v21
.LBB226_77:
	v_pk_add_f16 v23, v30, v18
	v_max_f16_e32 v46, v83, v83
	v_pk_add_f16 v48, v31, v19
	v_min_f16_e32 v46, v46, v23
	v_lshrrev_b32_e32 v47, 16, v83
	v_lshrrev_b32_e32 v23, 16, v23
	;; [unrolled: 1-line block ×3, first 2 shown]
	v_min3_f16 v23, v47, v23, v49
	v_min3_f16 v23, v46, v48, v23
	v_cvt_f32_f16_e32 v23, v23
	v_mad_i64_i32 v[46:47], s[6:7], v20, s9, 0
	v_max_f32_e32 v20, v21, v21
	v_min_f32_e32 v20, v20, v23
	v_cvt_f16_f32_e32 v23, v20
	v_lshl_add_u64 v[20:21], v[46:47], 1, s[2:3]
	v_lshl_add_u64 v[46:47], v[28:29], 1, v[20:21]
	s_and_b64 vcc, exec, s[0:1]
	flat_store_short v[46:47], v23
	s_cbranch_vccnz .LBB226_79
; %bb.78:
	v_lshl_add_u64 v[22:23], v[32:33], 1, v[16:17]
	flat_load_ushort v22, v[22:23]
	s_waitcnt vmcnt(0) lgkmcnt(0)
	v_mul_f16_e32 v22, s15, v22
	v_cvt_f32_f16_e32 v22, v22
.LBB226_79:
	v_pk_add_f16 v23, v8, v18
	v_max_f16_e32 v46, v82, v82
	v_pk_add_f16 v48, v9, v19
	v_min_f16_e32 v46, v46, v23
	v_lshrrev_b32_e32 v47, 16, v82
	v_lshrrev_b32_e32 v23, 16, v23
	v_lshrrev_b32_e32 v49, 16, v48
	v_min3_f16 v23, v47, v23, v49
	v_min3_f16 v23, v46, v48, v23
	v_cvt_f32_f16_e32 v23, v23
	v_max_f32_e32 v22, v22, v22
	s_and_b64 vcc, exec, s[0:1]
	v_min_f32_e32 v22, v22, v23
	v_cvt_f16_f32_e32 v46, v22
	v_lshl_add_u64 v[22:23], v[32:33], 1, v[20:21]
	flat_store_short v[22:23], v46
	v_mov_b32_e32 v22, 0
	v_mov_b32_e32 v23, 0
	s_cbranch_vccnz .LBB226_81
; %bb.80:
	v_lshl_add_u64 v[46:47], v[34:35], 1, v[16:17]
	flat_load_ushort v23, v[46:47]
	s_waitcnt vmcnt(0) lgkmcnt(0)
	v_mul_f16_e32 v23, s15, v23
	v_cvt_f32_f16_e32 v23, v23
.LBB226_81:
	v_pk_add_f16 v46, v10, v18
	v_max_f16_e32 v47, v81, v81
	v_pk_add_f16 v49, v11, v19
	v_min_f16_e32 v47, v47, v46
	v_lshrrev_b32_e32 v48, 16, v81
	v_lshrrev_b32_e32 v46, 16, v46
	v_lshrrev_b32_e32 v50, 16, v49
	v_min3_f16 v46, v48, v46, v50
	v_min3_f16 v46, v47, v49, v46
	v_cvt_f32_f16_e32 v46, v46
	v_max_f32_e32 v23, v23, v23
	s_and_b64 vcc, exec, s[0:1]
	v_min_f32_e32 v23, v23, v46
	v_cvt_f16_f32_e32 v23, v23
	v_lshl_add_u64 v[46:47], v[34:35], 1, v[20:21]
	flat_store_short v[46:47], v23
	s_cbranch_vccnz .LBB226_83
; %bb.82:
	v_lshl_add_u64 v[22:23], v[36:37], 1, v[16:17]
	flat_load_ushort v22, v[22:23]
	s_waitcnt vmcnt(0) lgkmcnt(0)
	v_mul_f16_e32 v22, s15, v22
	v_cvt_f32_f16_e32 v22, v22
.LBB226_83:
	v_pk_add_f16 v23, v4, v18
	v_max_f16_e32 v46, v80, v80
	v_pk_add_f16 v48, v5, v19
	v_min_f16_e32 v46, v46, v23
	v_lshrrev_b32_e32 v47, 16, v80
	v_lshrrev_b32_e32 v23, 16, v23
	v_lshrrev_b32_e32 v49, 16, v48
	v_min3_f16 v23, v47, v23, v49
	v_min3_f16 v23, v46, v48, v23
	v_cvt_f32_f16_e32 v23, v23
	v_max_f32_e32 v22, v22, v22
	s_and_b64 vcc, exec, s[0:1]
	v_min_f32_e32 v22, v22, v23
	v_cvt_f16_f32_e32 v46, v22
	v_lshl_add_u64 v[22:23], v[36:37], 1, v[20:21]
	flat_store_short v[22:23], v46
	v_mov_b32_e32 v22, 0
	v_mov_b32_e32 v23, 0
	s_cbranch_vccnz .LBB226_85
; %bb.84:
	v_lshl_add_u64 v[46:47], v[40:41], 1, v[16:17]
	flat_load_ushort v23, v[46:47]
	s_waitcnt vmcnt(0) lgkmcnt(0)
	v_mul_f16_e32 v23, s15, v23
	v_cvt_f32_f16_e32 v23, v23
.LBB226_85:
	v_pk_add_f16 v46, v6, v18
	v_max_f16_e32 v47, v79, v79
	v_pk_add_f16 v49, v7, v19
	v_min_f16_e32 v47, v47, v46
	v_lshrrev_b32_e32 v48, 16, v79
	v_lshrrev_b32_e32 v46, 16, v46
	v_lshrrev_b32_e32 v50, 16, v49
	v_min3_f16 v46, v48, v46, v50
	v_min3_f16 v46, v47, v49, v46
	v_cvt_f32_f16_e32 v46, v46
	v_max_f32_e32 v23, v23, v23
	s_and_b64 vcc, exec, s[0:1]
	v_min_f32_e32 v23, v23, v46
	v_cvt_f16_f32_e32 v23, v23
	v_lshl_add_u64 v[46:47], v[40:41], 1, v[20:21]
	;; [unrolled: 50-line block ×3, first 2 shown]
	flat_store_short v[46:47], v23
	s_cbranch_vccnz .LBB226_91
; %bb.90:
	v_lshl_add_u64 v[16:17], v[44:45], 1, v[16:17]
	flat_load_ushort v16, v[16:17]
	s_waitcnt vmcnt(0) lgkmcnt(0)
	v_mul_f16_e32 v16, s15, v16
	v_cvt_f32_f16_e32 v22, v16
.LBB226_91:
	v_pk_add_f16 v16, v24, v18
	v_max_f16_e32 v17, v76, v76
	v_pk_add_f16 v19, v25, v19
	v_min_f16_e32 v17, v17, v16
	v_lshrrev_b32_e32 v18, 16, v76
	v_lshrrev_b32_e32 v16, 16, v16
	;; [unrolled: 1-line block ×3, first 2 shown]
	v_min3_f16 v16, v18, v16, v23
	v_min3_f16 v16, v17, v19, v16
	v_cvt_f32_f16_e32 v16, v16
	v_max_f32_e32 v17, v22, v22
	s_and_b64 vcc, exec, s[0:1]
	v_mov_b32_e32 v19, 0
	v_min_f32_e32 v16, v17, v16
	v_cvt_f16_f32_e32 v18, v16
	v_lshl_add_u64 v[16:17], v[44:45], 1, v[20:21]
	v_mov_b32_e32 v20, 0
	flat_store_short v[16:17], v18
	v_add_u32_e32 v18, 0xa0, v95
	v_mad_i64_i32 v[16:17], s[6:7], v18, s8, 0
	v_lshl_add_u64 v[16:17], v[16:17], 1, s[12:13]
	s_cbranch_vccnz .LBB226_93
; %bb.92:
	v_lshl_add_u64 v[22:23], v[28:29], 1, v[16:17]
	flat_load_ushort v19, v[22:23]
	s_waitcnt vmcnt(0) lgkmcnt(0)
	v_mul_f16_e32 v19, s15, v19
	v_cvt_f32_f16_e32 v19, v19
.LBB226_93:
	v_pk_add_f16 v21, v30, v12
	v_max_f16_e32 v22, v75, v75
	v_pk_add_f16 v46, v31, v13
	v_min_f16_e32 v22, v22, v21
	v_lshrrev_b32_e32 v23, 16, v75
	v_lshrrev_b32_e32 v21, 16, v21
	;; [unrolled: 1-line block ×3, first 2 shown]
	v_min3_f16 v21, v23, v21, v47
	v_min3_f16 v21, v22, v46, v21
	v_cvt_f32_f16_e32 v21, v21
	v_mad_i64_i32 v[22:23], s[6:7], v18, s9, 0
	v_max_f32_e32 v18, v19, v19
	v_min_f32_e32 v18, v18, v21
	v_cvt_f16_f32_e32 v21, v18
	v_lshl_add_u64 v[18:19], v[22:23], 1, s[2:3]
	v_lshl_add_u64 v[22:23], v[28:29], 1, v[18:19]
	s_and_b64 vcc, exec, s[0:1]
	flat_store_short v[22:23], v21
	s_cbranch_vccnz .LBB226_95
; %bb.94:
	v_lshl_add_u64 v[20:21], v[32:33], 1, v[16:17]
	flat_load_ushort v20, v[20:21]
	s_waitcnt vmcnt(0) lgkmcnt(0)
	v_mul_f16_e32 v20, s15, v20
	v_cvt_f32_f16_e32 v20, v20
.LBB226_95:
	v_pk_add_f16 v21, v8, v12
	v_max_f16_e32 v22, v74, v74
	v_pk_add_f16 v46, v9, v13
	v_min_f16_e32 v22, v22, v21
	v_lshrrev_b32_e32 v23, 16, v74
	v_lshrrev_b32_e32 v21, 16, v21
	v_lshrrev_b32_e32 v47, 16, v46
	v_min3_f16 v21, v23, v21, v47
	v_min3_f16 v21, v22, v46, v21
	v_cvt_f32_f16_e32 v21, v21
	v_max_f32_e32 v20, v20, v20
	s_and_b64 vcc, exec, s[0:1]
	v_min_f32_e32 v20, v20, v21
	v_cvt_f16_f32_e32 v22, v20
	v_lshl_add_u64 v[20:21], v[32:33], 1, v[18:19]
	flat_store_short v[20:21], v22
	v_mov_b32_e32 v20, 0
	v_mov_b32_e32 v21, 0
	s_cbranch_vccnz .LBB226_97
; %bb.96:
	v_lshl_add_u64 v[22:23], v[34:35], 1, v[16:17]
	flat_load_ushort v21, v[22:23]
	s_waitcnt vmcnt(0) lgkmcnt(0)
	v_mul_f16_e32 v21, s15, v21
	v_cvt_f32_f16_e32 v21, v21
.LBB226_97:
	v_pk_add_f16 v22, v10, v12
	v_max_f16_e32 v23, v73, v73
	v_pk_add_f16 v47, v11, v13
	v_min_f16_e32 v23, v23, v22
	v_lshrrev_b32_e32 v46, 16, v73
	v_lshrrev_b32_e32 v22, 16, v22
	v_lshrrev_b32_e32 v48, 16, v47
	v_min3_f16 v22, v46, v22, v48
	v_min3_f16 v22, v23, v47, v22
	v_cvt_f32_f16_e32 v22, v22
	v_max_f32_e32 v21, v21, v21
	s_and_b64 vcc, exec, s[0:1]
	v_min_f32_e32 v21, v21, v22
	v_cvt_f16_f32_e32 v21, v21
	v_lshl_add_u64 v[22:23], v[34:35], 1, v[18:19]
	flat_store_short v[22:23], v21
	s_cbranch_vccnz .LBB226_99
; %bb.98:
	v_lshl_add_u64 v[20:21], v[36:37], 1, v[16:17]
	flat_load_ushort v20, v[20:21]
	s_waitcnt vmcnt(0) lgkmcnt(0)
	v_mul_f16_e32 v20, s15, v20
	v_cvt_f32_f16_e32 v20, v20
.LBB226_99:
	v_pk_add_f16 v21, v4, v12
	v_max_f16_e32 v22, v72, v72
	v_pk_add_f16 v46, v5, v13
	v_min_f16_e32 v22, v22, v21
	v_lshrrev_b32_e32 v23, 16, v72
	v_lshrrev_b32_e32 v21, 16, v21
	v_lshrrev_b32_e32 v47, 16, v46
	v_min3_f16 v21, v23, v21, v47
	v_min3_f16 v21, v22, v46, v21
	v_cvt_f32_f16_e32 v21, v21
	v_max_f32_e32 v20, v20, v20
	s_and_b64 vcc, exec, s[0:1]
	v_min_f32_e32 v20, v20, v21
	v_cvt_f16_f32_e32 v22, v20
	v_lshl_add_u64 v[20:21], v[36:37], 1, v[18:19]
	flat_store_short v[20:21], v22
	v_mov_b32_e32 v20, 0
	v_mov_b32_e32 v21, 0
	s_cbranch_vccnz .LBB226_101
; %bb.100:
	v_lshl_add_u64 v[22:23], v[40:41], 1, v[16:17]
	flat_load_ushort v21, v[22:23]
	s_waitcnt vmcnt(0) lgkmcnt(0)
	v_mul_f16_e32 v21, s15, v21
	v_cvt_f32_f16_e32 v21, v21
.LBB226_101:
	v_pk_add_f16 v22, v6, v12
	v_max_f16_e32 v23, v71, v71
	v_pk_add_f16 v47, v7, v13
	v_min_f16_e32 v23, v23, v22
	v_lshrrev_b32_e32 v46, 16, v71
	v_lshrrev_b32_e32 v22, 16, v22
	v_lshrrev_b32_e32 v48, 16, v47
	v_min3_f16 v22, v46, v22, v48
	v_min3_f16 v22, v23, v47, v22
	v_cvt_f32_f16_e32 v22, v22
	v_max_f32_e32 v21, v21, v21
	s_and_b64 vcc, exec, s[0:1]
	v_min_f32_e32 v21, v21, v22
	v_cvt_f16_f32_e32 v21, v21
	v_lshl_add_u64 v[22:23], v[40:41], 1, v[18:19]
	;; [unrolled: 50-line block ×3, first 2 shown]
	flat_store_short v[22:23], v21
	s_cbranch_vccnz .LBB226_107
; %bb.106:
	v_lshl_add_u64 v[16:17], v[44:45], 1, v[16:17]
	flat_load_ushort v16, v[16:17]
	s_waitcnt vmcnt(0) lgkmcnt(0)
	v_mul_f16_e32 v16, s15, v16
	v_cvt_f32_f16_e32 v20, v16
.LBB226_107:
	v_pk_add_f16 v12, v24, v12
	v_max_f16_e32 v16, v68, v68
	v_pk_add_f16 v13, v25, v13
	v_min_f16_e32 v16, v16, v12
	v_lshrrev_b32_e32 v17, 16, v68
	v_lshrrev_b32_e32 v12, 16, v12
	;; [unrolled: 1-line block ×3, first 2 shown]
	v_min3_f16 v12, v17, v12, v21
	v_min3_f16 v12, v16, v13, v12
	v_cvt_f32_f16_e32 v12, v12
	v_max_f32_e32 v13, v20, v20
	s_and_b64 vcc, exec, s[0:1]
	v_mov_b32_e32 v17, 0
	v_min_f32_e32 v12, v13, v12
	v_cvt_f16_f32_e32 v16, v12
	v_lshl_add_u64 v[12:13], v[44:45], 1, v[18:19]
	v_mov_b32_e32 v18, 0
	flat_store_short v[12:13], v16
	v_add_u32_e32 v16, 0xc0, v95
	v_mad_i64_i32 v[12:13], s[6:7], v16, s8, 0
	v_lshl_add_u64 v[12:13], v[12:13], 1, s[12:13]
	s_cbranch_vccnz .LBB226_109
; %bb.108:
	v_lshl_add_u64 v[20:21], v[28:29], 1, v[12:13]
	flat_load_ushort v17, v[20:21]
	s_waitcnt vmcnt(0) lgkmcnt(0)
	v_mul_f16_e32 v17, s15, v17
	v_cvt_f32_f16_e32 v17, v17
.LBB226_109:
	v_pk_add_f16 v19, v30, v14
	v_max_f16_e32 v20, v67, v67
	v_pk_add_f16 v22, v31, v15
	v_min_f16_e32 v20, v20, v19
	v_lshrrev_b32_e32 v21, 16, v67
	v_lshrrev_b32_e32 v19, 16, v19
	;; [unrolled: 1-line block ×3, first 2 shown]
	v_min3_f16 v19, v21, v19, v23
	v_min3_f16 v19, v20, v22, v19
	v_cvt_f32_f16_e32 v19, v19
	v_mad_i64_i32 v[20:21], s[6:7], v16, s9, 0
	v_max_f32_e32 v16, v17, v17
	v_min_f32_e32 v16, v16, v19
	v_cvt_f16_f32_e32 v19, v16
	v_lshl_add_u64 v[16:17], v[20:21], 1, s[2:3]
	v_lshl_add_u64 v[20:21], v[28:29], 1, v[16:17]
	s_and_b64 vcc, exec, s[0:1]
	flat_store_short v[20:21], v19
	s_cbranch_vccnz .LBB226_111
; %bb.110:
	v_lshl_add_u64 v[18:19], v[32:33], 1, v[12:13]
	flat_load_ushort v18, v[18:19]
	s_waitcnt vmcnt(0) lgkmcnt(0)
	v_mul_f16_e32 v18, s15, v18
	v_cvt_f32_f16_e32 v18, v18
.LBB226_111:
	v_pk_add_f16 v19, v8, v14
	v_max_f16_e32 v20, v66, v66
	v_pk_add_f16 v22, v9, v15
	v_min_f16_e32 v20, v20, v19
	v_lshrrev_b32_e32 v21, 16, v66
	v_lshrrev_b32_e32 v19, 16, v19
	v_lshrrev_b32_e32 v23, 16, v22
	v_min3_f16 v19, v21, v19, v23
	v_min3_f16 v19, v20, v22, v19
	v_cvt_f32_f16_e32 v19, v19
	v_max_f32_e32 v18, v18, v18
	s_and_b64 vcc, exec, s[0:1]
	v_min_f32_e32 v18, v18, v19
	v_cvt_f16_f32_e32 v20, v18
	v_lshl_add_u64 v[18:19], v[32:33], 1, v[16:17]
	flat_store_short v[18:19], v20
	v_mov_b32_e32 v18, 0
	v_mov_b32_e32 v19, 0
	s_cbranch_vccnz .LBB226_113
; %bb.112:
	v_lshl_add_u64 v[20:21], v[34:35], 1, v[12:13]
	flat_load_ushort v19, v[20:21]
	s_waitcnt vmcnt(0) lgkmcnt(0)
	v_mul_f16_e32 v19, s15, v19
	v_cvt_f32_f16_e32 v19, v19
.LBB226_113:
	v_pk_add_f16 v20, v10, v14
	v_max_f16_e32 v21, v65, v65
	v_pk_add_f16 v23, v11, v15
	v_min_f16_e32 v21, v21, v20
	v_lshrrev_b32_e32 v22, 16, v65
	v_lshrrev_b32_e32 v20, 16, v20
	v_lshrrev_b32_e32 v46, 16, v23
	v_min3_f16 v20, v22, v20, v46
	v_min3_f16 v20, v21, v23, v20
	v_cvt_f32_f16_e32 v20, v20
	v_max_f32_e32 v19, v19, v19
	s_and_b64 vcc, exec, s[0:1]
	v_min_f32_e32 v19, v19, v20
	v_cvt_f16_f32_e32 v19, v19
	v_lshl_add_u64 v[20:21], v[34:35], 1, v[16:17]
	flat_store_short v[20:21], v19
	s_cbranch_vccnz .LBB226_115
; %bb.114:
	v_lshl_add_u64 v[18:19], v[36:37], 1, v[12:13]
	flat_load_ushort v18, v[18:19]
	s_waitcnt vmcnt(0) lgkmcnt(0)
	v_mul_f16_e32 v18, s15, v18
	v_cvt_f32_f16_e32 v18, v18
.LBB226_115:
	v_pk_add_f16 v19, v4, v14
	v_max_f16_e32 v20, v64, v64
	v_pk_add_f16 v22, v5, v15
	v_min_f16_e32 v20, v20, v19
	v_lshrrev_b32_e32 v21, 16, v64
	v_lshrrev_b32_e32 v19, 16, v19
	v_lshrrev_b32_e32 v23, 16, v22
	v_min3_f16 v19, v21, v19, v23
	v_min3_f16 v19, v20, v22, v19
	v_cvt_f32_f16_e32 v19, v19
	v_max_f32_e32 v18, v18, v18
	s_and_b64 vcc, exec, s[0:1]
	v_min_f32_e32 v18, v18, v19
	v_cvt_f16_f32_e32 v20, v18
	v_lshl_add_u64 v[18:19], v[36:37], 1, v[16:17]
	flat_store_short v[18:19], v20
	v_mov_b32_e32 v18, 0
	v_mov_b32_e32 v19, 0
	s_cbranch_vccnz .LBB226_117
; %bb.116:
	v_lshl_add_u64 v[20:21], v[40:41], 1, v[12:13]
	flat_load_ushort v19, v[20:21]
	s_waitcnt vmcnt(0) lgkmcnt(0)
	v_mul_f16_e32 v19, s15, v19
	v_cvt_f32_f16_e32 v19, v19
.LBB226_117:
	v_pk_add_f16 v20, v6, v14
	v_max_f16_e32 v21, v63, v63
	v_pk_add_f16 v23, v7, v15
	v_min_f16_e32 v21, v21, v20
	v_lshrrev_b32_e32 v22, 16, v63
	v_lshrrev_b32_e32 v20, 16, v20
	v_lshrrev_b32_e32 v46, 16, v23
	v_min3_f16 v20, v22, v20, v46
	v_min3_f16 v20, v21, v23, v20
	v_cvt_f32_f16_e32 v20, v20
	v_max_f32_e32 v19, v19, v19
	s_and_b64 vcc, exec, s[0:1]
	v_min_f32_e32 v19, v19, v20
	v_cvt_f16_f32_e32 v19, v19
	v_lshl_add_u64 v[20:21], v[40:41], 1, v[16:17]
	;; [unrolled: 50-line block ×3, first 2 shown]
	flat_store_short v[20:21], v19
	s_cbranch_vccnz .LBB226_123
; %bb.122:
	v_lshl_add_u64 v[12:13], v[44:45], 1, v[12:13]
	flat_load_ushort v12, v[12:13]
	s_waitcnt vmcnt(0) lgkmcnt(0)
	v_mul_f16_e32 v12, s15, v12
	v_cvt_f32_f16_e32 v18, v12
.LBB226_123:
	v_pk_add_f16 v12, v24, v14
	v_max_f16_e32 v13, v60, v60
	v_pk_add_f16 v15, v25, v15
	v_min_f16_e32 v13, v13, v12
	v_lshrrev_b32_e32 v14, 16, v60
	v_lshrrev_b32_e32 v12, 16, v12
	;; [unrolled: 1-line block ×3, first 2 shown]
	v_min3_f16 v12, v14, v12, v19
	v_min3_f16 v12, v13, v15, v12
	v_cvt_f32_f16_e32 v12, v12
	v_max_f32_e32 v13, v18, v18
	s_and_b64 vcc, exec, s[0:1]
	v_mov_b32_e32 v15, 0
	v_min_f32_e32 v12, v13, v12
	v_cvt_f16_f32_e32 v14, v12
	v_lshl_add_u64 v[12:13], v[44:45], 1, v[16:17]
	v_mov_b32_e32 v16, 0
	flat_store_short v[12:13], v14
	v_add_u32_e32 v14, 0xe0, v95
	v_mad_i64_i32 v[12:13], s[6:7], v14, s8, 0
	v_lshl_add_u64 v[12:13], v[12:13], 1, s[12:13]
	s_cbranch_vccnz .LBB226_125
; %bb.124:
	v_lshl_add_u64 v[18:19], v[28:29], 1, v[12:13]
	flat_load_ushort v15, v[18:19]
	s_waitcnt vmcnt(0) lgkmcnt(0)
	v_mul_f16_e32 v15, s15, v15
	v_cvt_f32_f16_e32 v15, v15
.LBB226_125:
	v_pk_add_f16 v17, v30, v26
	v_max_f16_e32 v18, v59, v59
	v_pk_add_f16 v20, v31, v27
	v_min_f16_e32 v18, v18, v17
	v_lshrrev_b32_e32 v19, 16, v59
	v_lshrrev_b32_e32 v17, 16, v17
	;; [unrolled: 1-line block ×3, first 2 shown]
	v_min3_f16 v17, v19, v17, v21
	v_min3_f16 v17, v18, v20, v17
	v_cvt_f32_f16_e32 v17, v17
	v_mad_i64_i32 v[18:19], s[6:7], v14, s9, 0
	v_max_f32_e32 v14, v15, v15
	v_min_f32_e32 v14, v14, v17
	v_cvt_f16_f32_e32 v17, v14
	v_lshl_add_u64 v[14:15], v[18:19], 1, s[2:3]
	v_lshl_add_u64 v[18:19], v[28:29], 1, v[14:15]
	s_and_b64 vcc, exec, s[0:1]
	flat_store_short v[18:19], v17
	s_cbranch_vccnz .LBB226_127
; %bb.126:
	v_lshl_add_u64 v[16:17], v[32:33], 1, v[12:13]
	flat_load_ushort v16, v[16:17]
	s_waitcnt vmcnt(0) lgkmcnt(0)
	v_mul_f16_e32 v16, s15, v16
	v_cvt_f32_f16_e32 v16, v16
.LBB226_127:
	v_pk_add_f16 v8, v8, v26
	v_max_f16_e32 v17, v58, v58
	v_pk_add_f16 v9, v9, v27
	v_min_f16_e32 v17, v17, v8
	v_lshrrev_b32_e32 v18, 16, v58
	v_lshrrev_b32_e32 v8, 16, v8
	;; [unrolled: 1-line block ×3, first 2 shown]
	v_min3_f16 v8, v18, v8, v19
	v_min3_f16 v8, v17, v9, v8
	v_cvt_f32_f16_e32 v8, v8
	v_max_f32_e32 v9, v16, v16
	s_and_b64 vcc, exec, s[0:1]
	v_min_f32_e32 v8, v9, v8
	v_cvt_f16_f32_e32 v16, v8
	v_lshl_add_u64 v[8:9], v[32:33], 1, v[14:15]
	flat_store_short v[8:9], v16
	v_mov_b32_e32 v8, 0
	v_mov_b32_e32 v9, 0
	s_cbranch_vccnz .LBB226_129
; %bb.128:
	v_lshl_add_u64 v[16:17], v[34:35], 1, v[12:13]
	flat_load_ushort v9, v[16:17]
	s_waitcnt vmcnt(0) lgkmcnt(0)
	v_mul_f16_e32 v9, s15, v9
	v_cvt_f32_f16_e32 v9, v9
.LBB226_129:
	v_pk_add_f16 v10, v10, v26
	v_max_f16_e32 v16, v57, v57
	v_pk_add_f16 v11, v11, v27
	v_min_f16_e32 v16, v16, v10
	v_lshrrev_b32_e32 v17, 16, v57
	v_lshrrev_b32_e32 v10, 16, v10
	;; [unrolled: 1-line block ×3, first 2 shown]
	v_min3_f16 v10, v17, v10, v18
	v_min3_f16 v10, v16, v11, v10
	v_cvt_f32_f16_e32 v10, v10
	v_max_f32_e32 v9, v9, v9
	s_and_b64 vcc, exec, s[0:1]
	v_min_f32_e32 v9, v9, v10
	v_cvt_f16_f32_e32 v9, v9
	v_lshl_add_u64 v[10:11], v[34:35], 1, v[14:15]
	flat_store_short v[10:11], v9
	s_cbranch_vccnz .LBB226_131
; %bb.130:
	v_lshl_add_u64 v[8:9], v[36:37], 1, v[12:13]
	flat_load_ushort v8, v[8:9]
	s_waitcnt vmcnt(0) lgkmcnt(0)
	v_mul_f16_e32 v8, s15, v8
	v_cvt_f32_f16_e32 v8, v8
.LBB226_131:
	v_pk_add_f16 v4, v4, v26
	v_max_f16_e32 v9, v56, v56
	v_pk_add_f16 v5, v5, v27
	v_min_f16_e32 v9, v9, v4
	v_lshrrev_b32_e32 v10, 16, v56
	v_lshrrev_b32_e32 v4, 16, v4
	;; [unrolled: 1-line block ×3, first 2 shown]
	v_min3_f16 v4, v10, v4, v11
	v_min3_f16 v4, v9, v5, v4
	v_cvt_f32_f16_e32 v4, v4
	v_max_f32_e32 v5, v8, v8
	s_and_b64 vcc, exec, s[0:1]
	v_min_f32_e32 v4, v5, v4
	v_cvt_f16_f32_e32 v8, v4
	v_lshl_add_u64 v[4:5], v[36:37], 1, v[14:15]
	flat_store_short v[4:5], v8
	v_mov_b32_e32 v4, 0
	v_mov_b32_e32 v5, 0
	s_cbranch_vccnz .LBB226_133
; %bb.132:
	v_lshl_add_u64 v[8:9], v[40:41], 1, v[12:13]
	flat_load_ushort v5, v[8:9]
	s_waitcnt vmcnt(0) lgkmcnt(0)
	v_mul_f16_e32 v5, s15, v5
	v_cvt_f32_f16_e32 v5, v5
.LBB226_133:
	v_pk_add_f16 v6, v6, v26
	v_max_f16_e32 v8, v55, v55
	v_pk_add_f16 v7, v7, v27
	v_min_f16_e32 v8, v8, v6
	v_lshrrev_b32_e32 v9, 16, v55
	v_lshrrev_b32_e32 v6, 16, v6
	v_lshrrev_b32_e32 v10, 16, v7
	v_min3_f16 v6, v9, v6, v10
	v_min3_f16 v6, v8, v7, v6
	v_cvt_f32_f16_e32 v6, v6
	v_max_f32_e32 v5, v5, v5
	s_and_b64 vcc, exec, s[0:1]
	v_min_f32_e32 v5, v5, v6
	v_cvt_f16_f32_e32 v5, v5
	v_lshl_add_u64 v[6:7], v[40:41], 1, v[14:15]
	flat_store_short v[6:7], v5
	s_cbranch_vccnz .LBB226_135
; %bb.134:
	v_lshl_add_u64 v[4:5], v[38:39], 1, v[12:13]
	flat_load_ushort v4, v[4:5]
	s_waitcnt vmcnt(0) lgkmcnt(0)
	v_mul_f16_e32 v4, s15, v4
	v_cvt_f32_f16_e32 v4, v4
.LBB226_135:
	v_pk_add_f16 v0, v0, v26
	v_max_f16_e32 v5, v54, v54
	v_pk_add_f16 v1, v1, v27
	v_min_f16_e32 v5, v5, v0
	v_lshrrev_b32_e32 v6, 16, v54
	v_lshrrev_b32_e32 v0, 16, v0
	;; [unrolled: 1-line block ×3, first 2 shown]
	v_min3_f16 v0, v6, v0, v7
	v_min3_f16 v0, v5, v1, v0
	v_cvt_f32_f16_e32 v0, v0
	v_max_f32_e32 v4, v4, v4
	v_pk_add_f16 v1, v2, v26
	v_max_f16_e32 v2, v52, v52
	v_min_f32_e32 v0, v4, v0
	v_cvt_f16_f32_e32 v4, v0
	v_pk_add_f16 v3, v3, v27
	v_min_f16_e32 v2, v2, v1
	v_lshrrev_b32_e32 v5, 16, v52
	v_lshrrev_b32_e32 v1, 16, v1
	v_lshrrev_b32_e32 v0, 16, v3
	v_min3_f16 v5, v5, v1, v0
	v_lshl_add_u64 v[0:1], v[38:39], 1, v[14:15]
	flat_store_short v[0:1], v4
	v_min3_f16 v0, v2, v3, v5
	s_mov_b64 s[0:1], -1
	s_mov_b64 vcc, s[4:5]
	s_cbranch_vccz .LBB226_137
; %bb.136:
	v_cvt_f32_f16_e32 v1, v0
	v_lshl_add_u64 v[2:3], v[42:43], 1, v[14:15]
	s_mov_b64 s[0:1], 0
	v_min_f32_e32 v1, 0, v1
	v_cvt_f16_f32_e32 v1, v1
	flat_store_short v[2:3], v1
.LBB226_137:
	s_andn2_b64 vcc, exec, s[0:1]
	v_mov_b32_e32 v1, 0
	s_cbranch_vccnz .LBB226_139
; %bb.138:
	v_lshlrev_b64 v[2:3], 1, v[42:43]
	v_lshl_add_u64 v[4:5], v[12:13], 0, v[2:3]
	flat_load_ushort v4, v[4:5]
	v_max_f16_e32 v5, v0, v0
	v_lshl_add_u64 v[0:1], v[14:15], 0, v[2:3]
	s_waitcnt vmcnt(0) lgkmcnt(0)
	v_mul_f16_e32 v2, s15, v4
	v_min_f16_e32 v2, v2, v5
	flat_store_short v[0:1], v2
	v_lshl_add_u64 v[0:1], v[44:45], 1, v[12:13]
	flat_load_ushort v0, v[0:1]
	s_waitcnt vmcnt(0) lgkmcnt(0)
	v_mul_f16_e32 v0, s15, v0
	v_cvt_f32_f16_e32 v1, v0
.LBB226_139:
	v_pk_add_f16 v0, v24, v26
	v_max_f16_e32 v2, v53, v53
	v_pk_add_f16 v3, v25, v27
	v_min_f16_e32 v2, v2, v0
	v_lshrrev_b32_e32 v4, 16, v53
	v_lshrrev_b32_e32 v0, 16, v0
	;; [unrolled: 1-line block ×3, first 2 shown]
	v_min3_f16 v0, v4, v0, v5
	v_min3_f16 v0, v2, v3, v0
	v_cvt_f32_f16_e32 v0, v0
	v_max_f32_e32 v1, v1, v1
	v_min_f32_e32 v0, v1, v0
	v_cvt_f16_f32_e32 v2, v0
	v_lshl_add_u64 v[0:1], v[44:45], 1, v[14:15]
	flat_store_short v[0:1], v2
	s_endpgm
	.section	.rodata,"a",@progbits
	.p2align	6, 0x0
	.amdhsa_kernel _ZN12_GLOBAL__N_120geam_min_plus_kernelIDF16_Dv2_DF16_S1_Li8ELi32ELi64ELi256ELi4ELi4ELi64ELi64ELi4ELc84ELc84ELb1ELb0ELb1EDF16_KPKDF16_KPDF16_EEviiiT16_PT17_ilS9_ilS7_S9_ilPT18_ili26rocblas_geam_ex_operation_
		.amdhsa_group_segment_fixed_size 5120
		.amdhsa_private_segment_fixed_size 0
		.amdhsa_kernarg_size 128
		.amdhsa_user_sgpr_count 2
		.amdhsa_user_sgpr_dispatch_ptr 0
		.amdhsa_user_sgpr_queue_ptr 0
		.amdhsa_user_sgpr_kernarg_segment_ptr 1
		.amdhsa_user_sgpr_dispatch_id 0
		.amdhsa_user_sgpr_kernarg_preload_length 0
		.amdhsa_user_sgpr_kernarg_preload_offset 0
		.amdhsa_user_sgpr_private_segment_size 0
		.amdhsa_uses_dynamic_stack 0
		.amdhsa_enable_private_segment 0
		.amdhsa_system_sgpr_workgroup_id_x 1
		.amdhsa_system_sgpr_workgroup_id_y 0
		.amdhsa_system_sgpr_workgroup_id_z 1
		.amdhsa_system_sgpr_workgroup_info 0
		.amdhsa_system_vgpr_workitem_id 1
		.amdhsa_next_free_vgpr 219
		.amdhsa_next_free_sgpr 22
		.amdhsa_accum_offset 220
		.amdhsa_reserve_vcc 1
		.amdhsa_float_round_mode_32 0
		.amdhsa_float_round_mode_16_64 0
		.amdhsa_float_denorm_mode_32 3
		.amdhsa_float_denorm_mode_16_64 3
		.amdhsa_dx10_clamp 1
		.amdhsa_ieee_mode 1
		.amdhsa_fp16_overflow 0
		.amdhsa_tg_split 0
		.amdhsa_exception_fp_ieee_invalid_op 0
		.amdhsa_exception_fp_denorm_src 0
		.amdhsa_exception_fp_ieee_div_zero 0
		.amdhsa_exception_fp_ieee_overflow 0
		.amdhsa_exception_fp_ieee_underflow 0
		.amdhsa_exception_fp_ieee_inexact 0
		.amdhsa_exception_int_div_zero 0
	.end_amdhsa_kernel
	.section	.text._ZN12_GLOBAL__N_120geam_min_plus_kernelIDF16_Dv2_DF16_S1_Li8ELi32ELi64ELi256ELi4ELi4ELi64ELi64ELi4ELc84ELc84ELb1ELb0ELb1EDF16_KPKDF16_KPDF16_EEviiiT16_PT17_ilS9_ilS7_S9_ilPT18_ili26rocblas_geam_ex_operation_,"axG",@progbits,_ZN12_GLOBAL__N_120geam_min_plus_kernelIDF16_Dv2_DF16_S1_Li8ELi32ELi64ELi256ELi4ELi4ELi64ELi64ELi4ELc84ELc84ELb1ELb0ELb1EDF16_KPKDF16_KPDF16_EEviiiT16_PT17_ilS9_ilS7_S9_ilPT18_ili26rocblas_geam_ex_operation_,comdat
.Lfunc_end226:
	.size	_ZN12_GLOBAL__N_120geam_min_plus_kernelIDF16_Dv2_DF16_S1_Li8ELi32ELi64ELi256ELi4ELi4ELi64ELi64ELi4ELc84ELc84ELb1ELb0ELb1EDF16_KPKDF16_KPDF16_EEviiiT16_PT17_ilS9_ilS7_S9_ilPT18_ili26rocblas_geam_ex_operation_, .Lfunc_end226-_ZN12_GLOBAL__N_120geam_min_plus_kernelIDF16_Dv2_DF16_S1_Li8ELi32ELi64ELi256ELi4ELi4ELi64ELi64ELi4ELc84ELc84ELb1ELb0ELb1EDF16_KPKDF16_KPDF16_EEviiiT16_PT17_ilS9_ilS7_S9_ilPT18_ili26rocblas_geam_ex_operation_
                                        ; -- End function
	.set _ZN12_GLOBAL__N_120geam_min_plus_kernelIDF16_Dv2_DF16_S1_Li8ELi32ELi64ELi256ELi4ELi4ELi64ELi64ELi4ELc84ELc84ELb1ELb0ELb1EDF16_KPKDF16_KPDF16_EEviiiT16_PT17_ilS9_ilS7_S9_ilPT18_ili26rocblas_geam_ex_operation_.num_vgpr, 219
	.set _ZN12_GLOBAL__N_120geam_min_plus_kernelIDF16_Dv2_DF16_S1_Li8ELi32ELi64ELi256ELi4ELi4ELi64ELi64ELi4ELc84ELc84ELb1ELb0ELb1EDF16_KPKDF16_KPDF16_EEviiiT16_PT17_ilS9_ilS7_S9_ilPT18_ili26rocblas_geam_ex_operation_.num_agpr, 0
	.set _ZN12_GLOBAL__N_120geam_min_plus_kernelIDF16_Dv2_DF16_S1_Li8ELi32ELi64ELi256ELi4ELi4ELi64ELi64ELi4ELc84ELc84ELb1ELb0ELb1EDF16_KPKDF16_KPDF16_EEviiiT16_PT17_ilS9_ilS7_S9_ilPT18_ili26rocblas_geam_ex_operation_.numbered_sgpr, 22
	.set _ZN12_GLOBAL__N_120geam_min_plus_kernelIDF16_Dv2_DF16_S1_Li8ELi32ELi64ELi256ELi4ELi4ELi64ELi64ELi4ELc84ELc84ELb1ELb0ELb1EDF16_KPKDF16_KPDF16_EEviiiT16_PT17_ilS9_ilS7_S9_ilPT18_ili26rocblas_geam_ex_operation_.num_named_barrier, 0
	.set _ZN12_GLOBAL__N_120geam_min_plus_kernelIDF16_Dv2_DF16_S1_Li8ELi32ELi64ELi256ELi4ELi4ELi64ELi64ELi4ELc84ELc84ELb1ELb0ELb1EDF16_KPKDF16_KPDF16_EEviiiT16_PT17_ilS9_ilS7_S9_ilPT18_ili26rocblas_geam_ex_operation_.private_seg_size, 0
	.set _ZN12_GLOBAL__N_120geam_min_plus_kernelIDF16_Dv2_DF16_S1_Li8ELi32ELi64ELi256ELi4ELi4ELi64ELi64ELi4ELc84ELc84ELb1ELb0ELb1EDF16_KPKDF16_KPDF16_EEviiiT16_PT17_ilS9_ilS7_S9_ilPT18_ili26rocblas_geam_ex_operation_.uses_vcc, 1
	.set _ZN12_GLOBAL__N_120geam_min_plus_kernelIDF16_Dv2_DF16_S1_Li8ELi32ELi64ELi256ELi4ELi4ELi64ELi64ELi4ELc84ELc84ELb1ELb0ELb1EDF16_KPKDF16_KPDF16_EEviiiT16_PT17_ilS9_ilS7_S9_ilPT18_ili26rocblas_geam_ex_operation_.uses_flat_scratch, 0
	.set _ZN12_GLOBAL__N_120geam_min_plus_kernelIDF16_Dv2_DF16_S1_Li8ELi32ELi64ELi256ELi4ELi4ELi64ELi64ELi4ELc84ELc84ELb1ELb0ELb1EDF16_KPKDF16_KPDF16_EEviiiT16_PT17_ilS9_ilS7_S9_ilPT18_ili26rocblas_geam_ex_operation_.has_dyn_sized_stack, 0
	.set _ZN12_GLOBAL__N_120geam_min_plus_kernelIDF16_Dv2_DF16_S1_Li8ELi32ELi64ELi256ELi4ELi4ELi64ELi64ELi4ELc84ELc84ELb1ELb0ELb1EDF16_KPKDF16_KPDF16_EEviiiT16_PT17_ilS9_ilS7_S9_ilPT18_ili26rocblas_geam_ex_operation_.has_recursion, 0
	.set _ZN12_GLOBAL__N_120geam_min_plus_kernelIDF16_Dv2_DF16_S1_Li8ELi32ELi64ELi256ELi4ELi4ELi64ELi64ELi4ELc84ELc84ELb1ELb0ELb1EDF16_KPKDF16_KPDF16_EEviiiT16_PT17_ilS9_ilS7_S9_ilPT18_ili26rocblas_geam_ex_operation_.has_indirect_call, 0
	.section	.AMDGPU.csdata,"",@progbits
; Kernel info:
; codeLenInByte = 16800
; TotalNumSgprs: 28
; NumVgprs: 219
; NumAgprs: 0
; TotalNumVgprs: 219
; ScratchSize: 0
; MemoryBound: 0
; FloatMode: 240
; IeeeMode: 1
; LDSByteSize: 5120 bytes/workgroup (compile time only)
; SGPRBlocks: 3
; VGPRBlocks: 27
; NumSGPRsForWavesPerEU: 28
; NumVGPRsForWavesPerEU: 219
; AccumOffset: 220
; Occupancy: 2
; WaveLimiterHint : 1
; COMPUTE_PGM_RSRC2:SCRATCH_EN: 0
; COMPUTE_PGM_RSRC2:USER_SGPR: 2
; COMPUTE_PGM_RSRC2:TRAP_HANDLER: 0
; COMPUTE_PGM_RSRC2:TGID_X_EN: 1
; COMPUTE_PGM_RSRC2:TGID_Y_EN: 0
; COMPUTE_PGM_RSRC2:TGID_Z_EN: 1
; COMPUTE_PGM_RSRC2:TIDIG_COMP_CNT: 1
; COMPUTE_PGM_RSRC3_GFX90A:ACCUM_OFFSET: 54
; COMPUTE_PGM_RSRC3_GFX90A:TG_SPLIT: 0
	.section	.text._ZN12_GLOBAL__N_120geam_min_plus_kernelIDF16_Dv2_DF16_S1_Li8ELi32ELi64ELi256ELi4ELi4ELi64ELi64ELi4ELc84ELc84ELb0ELb0ELb1EDF16_KPKDF16_KPDF16_EEviiiT16_PT17_ilS9_ilS7_S9_ilPT18_ili26rocblas_geam_ex_operation_,"axG",@progbits,_ZN12_GLOBAL__N_120geam_min_plus_kernelIDF16_Dv2_DF16_S1_Li8ELi32ELi64ELi256ELi4ELi4ELi64ELi64ELi4ELc84ELc84ELb0ELb0ELb1EDF16_KPKDF16_KPDF16_EEviiiT16_PT17_ilS9_ilS7_S9_ilPT18_ili26rocblas_geam_ex_operation_,comdat
	.globl	_ZN12_GLOBAL__N_120geam_min_plus_kernelIDF16_Dv2_DF16_S1_Li8ELi32ELi64ELi256ELi4ELi4ELi64ELi64ELi4ELc84ELc84ELb0ELb0ELb1EDF16_KPKDF16_KPDF16_EEviiiT16_PT17_ilS9_ilS7_S9_ilPT18_ili26rocblas_geam_ex_operation_ ; -- Begin function _ZN12_GLOBAL__N_120geam_min_plus_kernelIDF16_Dv2_DF16_S1_Li8ELi32ELi64ELi256ELi4ELi4ELi64ELi64ELi4ELc84ELc84ELb0ELb0ELb1EDF16_KPKDF16_KPDF16_EEviiiT16_PT17_ilS9_ilS7_S9_ilPT18_ili26rocblas_geam_ex_operation_
	.p2align	8
	.type	_ZN12_GLOBAL__N_120geam_min_plus_kernelIDF16_Dv2_DF16_S1_Li8ELi32ELi64ELi256ELi4ELi4ELi64ELi64ELi4ELc84ELc84ELb0ELb0ELb1EDF16_KPKDF16_KPDF16_EEviiiT16_PT17_ilS9_ilS7_S9_ilPT18_ili26rocblas_geam_ex_operation_,@function
_ZN12_GLOBAL__N_120geam_min_plus_kernelIDF16_Dv2_DF16_S1_Li8ELi32ELi64ELi256ELi4ELi4ELi64ELi64ELi4ELc84ELc84ELb0ELb0ELb1EDF16_KPKDF16_KPDF16_EEviiiT16_PT17_ilS9_ilS7_S9_ilPT18_ili26rocblas_geam_ex_operation_: ; @_ZN12_GLOBAL__N_120geam_min_plus_kernelIDF16_Dv2_DF16_S1_Li8ELi32ELi64ELi256ELi4ELi4ELi64ELi64ELi4ELc84ELc84ELb0ELb0ELb1EDF16_KPKDF16_KPDF16_EEviiiT16_PT17_ilS9_ilS7_S9_ilPT18_ili26rocblas_geam_ex_operation_
; %bb.0:
	s_load_dwordx2 s[18:19], s[0:1], 0x8
	s_load_dwordx4 s[8:11], s[0:1], 0x20
	s_mov_b32 s6, s3
	s_mov_b32 s7, 0
	s_waitcnt lgkmcnt(0)
	v_cmp_eq_f16_e64 s[12:13], s19, 0
	s_and_b64 s[4:5], exec, s[12:13]
	s_mov_b64 vcc, s[4:5]
	s_cbranch_vccnz .LBB227_3
; %bb.1:
	s_load_dwordx2 s[14:15], s[0:1], 0x10
	s_lshl_b64 s[16:17], s[6:7], 3
	s_waitcnt lgkmcnt(0)
	s_add_u32 s14, s14, s16
	s_addc_u32 s15, s15, s17
	s_load_dwordx2 s[14:15], s[14:15], 0x0
	s_lshl_b64 s[8:9], s[8:9], 1
	s_waitcnt lgkmcnt(0)
	s_add_u32 s20, s14, s8
	s_addc_u32 s21, s15, s9
	s_andn2_b64 vcc, exec, s[12:13]
	s_cbranch_vccnz .LBB227_4
.LBB227_2:
	s_mov_b32 s27, 0
	s_mov_b32 s26, s6
	s_mov_b64 s[16:17], 0
	s_mov_b64 s[22:23], 0
	s_cbranch_execz .LBB227_5
	s_branch .LBB227_6
.LBB227_3:
	s_mov_b64 s[20:21], 0
	s_andn2_b64 vcc, exec, s[12:13]
	s_cbranch_vccz .LBB227_2
.LBB227_4:
	s_mov_b64 s[26:27], s[6:7]
	s_mov_b64 s[16:17], 0
	s_mov_b64 s[22:23], 0
.LBB227_5:
	s_lshl_b64 s[6:7], s[6:7], 3
	s_add_u32 s6, s10, s6
	s_load_dwordx2 s[8:9], s[0:1], 0x38
	s_addc_u32 s7, s11, s7
	s_load_dwordx2 s[6:7], s[6:7], 0x0
	s_waitcnt lgkmcnt(0)
	s_lshl_b64 s[8:9], s[8:9], 1
	s_add_u32 s22, s6, s8
	s_addc_u32 s23, s7, s9
.LBB227_6:
	s_load_dword s28, s[0:1], 0x40
	s_load_dwordx4 s[12:15], s[0:1], 0x58
	v_cmp_neq_f16_e64 s[24:25], s19, 0
	s_waitcnt lgkmcnt(0)
	v_cmp_eq_f16_e64 s[6:7], s28, 0
	s_and_b64 s[8:9], exec, s[6:7]
	s_mov_b64 vcc, s[8:9]
	s_cbranch_vccnz .LBB227_8
; %bb.7:
	s_load_dwordx2 s[6:7], s[0:1], 0x48
	s_lshl_b64 s[10:11], s[26:27], 3
	s_waitcnt lgkmcnt(0)
	s_add_u32 s6, s6, s10
	s_addc_u32 s7, s7, s11
	s_load_dwordx2 s[6:7], s[6:7], 0x0
	s_lshl_b64 s[10:11], s[12:13], 1
	s_waitcnt lgkmcnt(0)
	s_add_u32 s16, s6, s10
	s_addc_u32 s17, s7, s11
.LBB227_8:
	s_load_dword s12, s[0:1], 0x0
	s_load_dword s3, s[0:1], 0x18
	s_lshl_b64 s[6:7], s[26:27], 3
	s_add_u32 s10, s14, s6
	s_addc_u32 s11, s15, s7
	s_waitcnt lgkmcnt(0)
	s_add_i32 s6, s12, -1
	s_ashr_i32 s7, s6, 31
	s_lshr_b32 s7, s7, 26
	s_add_i32 s6, s6, s7
	s_ashr_i32 s6, s6, 6
	s_add_i32 s7, s6, 1
	v_cvt_f32_u32_e32 v1, s7
	s_not_b32 s6, s6
	v_and_b32_e32 v50, 0x3ff, v0
	v_bfe_u32 v51, v0, 10, 10
	v_rcp_iflag_f32_e32 v1, v1
	v_lshl_add_u32 v2, v51, 3, v50
	v_and_b32_e32 v0, 3, v0
	v_lshrrev_b32_e32 v28, 2, v2
	v_mul_f32_e32 v1, 0x4f7ffffe, v1
	v_cvt_u32_f32_e32 v1, v1
	v_mov_b32_e32 v8, 0
	v_lshlrev_b32_e32 v0, 1, v0
	v_mov_b32_e32 v6, 0
	v_readfirstlane_b32 s12, v1
	s_mul_i32 s6, s6, s12
	s_mul_hi_u32 s6, s12, s6
	s_add_i32 s12, s12, s6
	s_mul_hi_u32 s6, s2, s12
	s_mul_i32 s12, s6, s7
	s_sub_i32 s12, s2, s12
	s_add_i32 s13, s6, 1
	s_sub_i32 s14, s12, s7
	s_cmp_ge_u32 s12, s7
	s_cselect_b32 s6, s13, s6
	s_cselect_b32 s12, s14, s12
	s_add_i32 s13, s6, 1
	s_cmp_ge_u32 s12, s7
	s_cselect_b32 s13, s13, s6
	s_mul_i32 s27, s13, s7
	s_sub_i32 s6, s2, s27
	s_lshl_b32 s26, s6, 6
	v_cndmask_b32_e64 v1, 0, 1, s[24:25]
	v_cmp_ne_u32_e64 s[6:7], 1, v1
	s_andn2_b64 vcc, exec, s[24:25]
	v_add_u32_e32 v7, s26, v28
	s_cbranch_vccnz .LBB227_10
; %bb.9:
	v_mad_i64_i32 v[4:5], s[14:15], v7, s3, 0
	v_lshl_add_u64 v[4:5], v[4:5], 1, s[20:21]
	v_mov_b32_e32 v1, 0
	v_lshl_add_u64 v[4:5], v[4:5], 0, v[0:1]
	flat_load_ushort v1, v[4:5]
	s_waitcnt vmcnt(0) lgkmcnt(0)
	v_mul_f16_e32 v6, s19, v1
.LBB227_10:
	s_load_dword s12, s[0:1], 0x30
	v_and_b32_e32 v30, 63, v2
	v_lshrrev_b32_e32 v29, 6, v2
	s_lshl_b32 s24, s13, 8
	v_or_b32_e32 v2, s24, v30
	s_waitcnt lgkmcnt(0)
	v_mad_i64_i32 v[4:5], s[14:15], s12, v29, 0
	v_lshl_add_u64 v[4:5], v[4:5], 1, s[22:23]
	s_and_b64 vcc, exec, s[6:7]
	v_ashrrev_i32_e32 v3, 31, v2
	s_cbranch_vccnz .LBB227_12
; %bb.11:
	v_lshl_add_u64 v[8:9], v[2:3], 1, v[4:5]
	flat_load_ushort v1, v[8:9]
	flat_load_ushort v10, v[8:9] offset:128
	s_waitcnt vmcnt(0) lgkmcnt(0)
	v_mul_f16_e32 v1, s19, v1
	v_mul_f16_e32 v8, s19, v10
	v_pack_b32_f16 v9, v1, 0
	s_branch .LBB227_13
.LBB227_12:
	v_mov_b32_e32 v9, 0
.LBB227_13:
	s_mov_b32 s14, 0x5040100
	v_mov_b32_e32 v1, 0
	s_ashr_i32 s13, s12, 31
	v_perm_b32 v32, v8, v9, s14
	s_mov_b64 vcc, s[4:5]
	s_cbranch_vccz .LBB227_15
; %bb.14:
	v_and_b32_e32 v33, 0xffff0000, v1
	v_mov_b32_e32 v34, 0
	v_mov_b32_e32 v31, 0
	s_cbranch_execz .LBB227_16
	s_branch .LBB227_17
.LBB227_15:
	v_mov_b32_e32 v34, 0
	v_mov_b32_e32 v31, 0
.LBB227_16:
	v_lshl_add_u64 v[4:5], v[2:3], 1, v[4:5]
	flat_load_ushort v8, v[4:5] offset:256
	flat_load_ushort v9, v[4:5] offset:384
	s_mov_b32 s14, 0xffff
	s_waitcnt vmcnt(0) lgkmcnt(0)
	v_mul_f16_e32 v4, s19, v8
	v_bfi_b32 v33, s14, v4, v1
	v_mul_f16_e32 v31, s19, v9
.LBB227_17:
	s_and_b64 vcc, exec, s[6:7]
	s_cbranch_vccnz .LBB227_19
; %bb.18:
	v_mad_i64_i32 v[4:5], s[14:15], v7, s3, 0
	v_lshl_add_u64 v[4:5], v[4:5], 1, s[20:21]
	v_mov_b32_e32 v1, 0
	v_lshl_add_u64 v[4:5], v[4:5], 0, v[0:1]
	flat_load_ushort v1, v[4:5] offset:8
	s_waitcnt vmcnt(0) lgkmcnt(0)
	v_mul_f16_e32 v34, s19, v1
.LBB227_19:
	v_add_u32_e32 v1, 4, v29
	v_mad_i64_i32 v[4:5], s[14:15], s12, v1, 0
	s_and_b64 vcc, exec, s[6:7]
	v_lshl_add_u64 v[4:5], v[4:5], 1, s[22:23]
	s_cbranch_vccnz .LBB227_21
; %bb.20:
	v_lshl_add_u64 v[8:9], v[2:3], 1, v[4:5]
	flat_load_ushort v1, v[8:9]
	flat_load_ushort v7, v[8:9] offset:128
	s_waitcnt vmcnt(0) lgkmcnt(0)
	v_mul_f16_e32 v1, s19, v1
	v_mul_f16_e32 v7, s19, v7
	v_pack_b32_f16 v8, v1, 0
	s_branch .LBB227_22
.LBB227_21:
	v_mov_b32_e32 v8, 0
	v_mov_b32_e32 v7, 0
.LBB227_22:
	s_mov_b32 s14, 0x5040100
	v_mov_b32_e32 v1, 0
	v_perm_b32 v44, v7, v8, s14
	s_mov_b64 vcc, s[4:5]
	s_cbranch_vccz .LBB227_24
; %bb.23:
	v_and_b32_e32 v45, 0xffff0000, v1
	v_mov_b32_e32 v35, 0
	s_cbranch_execz .LBB227_25
	s_branch .LBB227_26
.LBB227_24:
	v_mov_b32_e32 v35, 0
.LBB227_25:
	v_lshl_add_u64 v[2:3], v[2:3], 1, v[4:5]
	flat_load_ushort v4, v[2:3] offset:256
	flat_load_ushort v5, v[2:3] offset:384
	s_mov_b32 s14, 0xffff
	s_waitcnt vmcnt(0) lgkmcnt(0)
	v_mul_f16_e32 v2, s19, v4
	v_bfi_b32 v45, s14, v2, v1
	v_mul_f16_e32 v35, s19, v5
.LBB227_26:
	v_lshl_or_b32 v36, v28, 3, v0
	v_lshlrev_b32_e32 v0, 3, v30
	v_lshlrev_b32_e32 v56, 3, v50
	v_lshl_add_u32 v69, v29, 1, v0
	v_add_u32_e32 v70, 0x1000, v56
	s_load_dwordx2 s[10:11], s[10:11], 0x0
	ds_write_b16 v36, v6 offset:4096
	ds_write_b16 v69, v32
	ds_write_b16_d16_hi v69, v32 offset:512
	ds_write_b16 v69, v33 offset:1024
	ds_write_b16 v69, v31 offset:1536
	s_waitcnt lgkmcnt(0)
	s_barrier
	v_lshlrev_b32_e32 v54, 3, v51
	ds_read2_b64 v[16:19], v70 offset1:8
	ds_read2_b64 v[12:15], v70 offset0:16 offset1:24
	ds_read2_b64 v[4:7], v70 offset0:32 offset1:40
	ds_read2_b64 v[38:41], v54 offset1:32
	ds_read2_b64 v[0:3], v70 offset0:48 offset1:56
	ds_read2_b64 v[24:27], v54 offset0:64 offset1:96
	;; [unrolled: 1-line block ×4, first 2 shown]
	s_waitcnt lgkmcnt(4)
	v_pk_add_f16 v37, v16, v38
	s_movk_i32 s14, 0x7c00
	v_pk_add_f16 v42, v18, v38
	v_pk_add_f16 v43, v12, v38
	;; [unrolled: 1-line block ×5, first 2 shown]
	s_waitcnt lgkmcnt(3)
	v_pk_add_f16 v49, v0, v38
	v_pk_add_f16 v38, v2, v38
	v_pk_add_f16 v52, v16, v40
	v_pk_add_f16 v53, v18, v40
	v_pk_add_f16 v55, v12, v40
	v_pk_add_f16 v57, v14, v40
	v_pk_add_f16 v58, v4, v40
	v_pk_add_f16 v59, v6, v40
	v_pk_add_f16 v60, v0, v40
	v_pk_add_f16 v40, v2, v40
	s_waitcnt lgkmcnt(2)
	v_pk_add_f16 v61, v16, v24
	v_pk_add_f16 v62, v18, v24
	v_pk_add_f16 v63, v12, v24
	v_pk_add_f16 v64, v14, v24
	v_pk_add_f16 v65, v4, v24
	v_pk_add_f16 v66, v6, v24
	v_pk_add_f16 v67, v0, v24
	v_pk_add_f16 v24, v2, v24
	v_pk_add_f16 v68, v16, v26
	v_pk_add_f16 v71, v18, v26
	v_pk_add_f16 v72, v12, v26
	v_pk_add_f16 v73, v14, v26
	v_pk_add_f16 v74, v4, v26
	v_pk_add_f16 v75, v6, v26
	v_pk_add_f16 v76, v0, v26
	v_pk_add_f16 v26, v2, v26
	s_waitcnt lgkmcnt(1)
	v_pk_add_f16 v77, v16, v20
	v_pk_add_f16 v78, v18, v20
	v_pk_add_f16 v79, v12, v20
	v_pk_add_f16 v80, v14, v20
	v_pk_add_f16 v81, v4, v20
	v_pk_add_f16 v83, v6, v20
	;; [unrolled: 17-line block ×3, first 2 shown]
	v_pk_add_f16 v134, v0, v8
	v_pk_add_f16 v8, v2, v8
	v_pk_add_f16 v16, v16, v10
	v_pk_add_f16 v18, v18, v10
	v_pk_add_f16 v12, v12, v10
	v_pk_add_f16 v14, v14, v10
	v_pk_add_f16 v4, v4, v10
	v_pk_add_f16 v6, v6, v10
	v_pk_add_f16 v135, v0, v10
	v_pk_add_f16 v0, v2, v10
	v_pk_add_f16 v2, v17, v39
	v_pk_min_f16 v10, v37, s14 op_sel_hi:[1,0]
	v_pk_min_f16 v8, v8, s14 op_sel_hi:[1,0]
	v_pk_min_f16 v119, v10, v2
	v_pk_add_f16 v2, v19, v39
	v_pk_min_f16 v10, v42, s14 op_sel_hi:[1,0]
	v_pk_min_f16 v4, v4, s14 op_sel_hi:[1,0]
	v_pk_min_f16 v118, v10, v2
	v_pk_add_f16 v2, v13, v39
	;; [unrolled: 4-line block ×3, first 2 shown]
	v_pk_min_f16 v10, v46, s14 op_sel_hi:[1,0]
	s_cmp_lt_i32 s18, 9
	v_pk_min_f16 v116, v10, v2
	v_pk_add_f16 v2, v5, v39
	v_pk_min_f16 v10, v47, s14 op_sel_hi:[1,0]
	ds_write_b16 v36, v34 offset:4608
	ds_write_b16 v69, v44 offset:2048
	ds_write_b16_d16_hi v69, v44 offset:2560
	ds_write_b16 v69, v45 offset:3072
	ds_write_b16 v69, v35 offset:3584
	v_pk_min_f16 v115, v10, v2
	v_pk_add_f16 v2, v7, v39
	v_pk_min_f16 v10, v48, s14 op_sel_hi:[1,0]
	s_waitcnt lgkmcnt(0)
	v_pk_min_f16 v113, v10, v2
	v_pk_add_f16 v2, v1, v39
	v_pk_min_f16 v10, v49, s14 op_sel_hi:[1,0]
	s_barrier
	v_pk_min_f16 v114, v10, v2
	v_pk_add_f16 v2, v3, v39
	v_pk_min_f16 v10, v38, s14 op_sel_hi:[1,0]
	s_nop 0
	v_pk_min_f16 v112, v10, v2
	v_pk_add_f16 v2, v17, v41
	v_pk_min_f16 v10, v52, s14 op_sel_hi:[1,0]
	s_nop 0
	;; [unrolled: 4-line block ×47, first 2 shown]
	v_pk_min_f16 v64, v10, v2
	v_pk_add_f16 v2, v1, v9
	v_pk_min_f16 v10, v134, s14 op_sel_hi:[1,0]
	v_pk_add_f16 v1, v1, v11
	v_pk_min_f16 v63, v10, v2
	v_pk_add_f16 v2, v3, v9
	s_nop 0
	v_pk_min_f16 v62, v8, v2
	v_pk_add_f16 v2, v17, v11
	v_pk_min_f16 v8, v16, s14 op_sel_hi:[1,0]
	s_nop 0
	v_pk_min_f16 v61, v8, v2
	v_pk_add_f16 v2, v19, v11
	v_pk_min_f16 v8, v18, s14 op_sel_hi:[1,0]
	;; [unrolled: 4-line block ×4, first 2 shown]
	s_nop 0
	v_pk_min_f16 v57, v8, v2
	v_pk_add_f16 v2, v5, v11
	s_nop 0
	v_pk_min_f16 v55, v4, v2
	v_pk_add_f16 v2, v7, v11
	v_pk_min_f16 v4, v6, s14 op_sel_hi:[1,0]
	s_nop 0
	v_pk_min_f16 v52, v4, v2
	v_pk_min_f16 v2, v135, s14 op_sel_hi:[1,0]
	s_nop 0
	v_pk_min_f16 v53, v2, v1
	v_pk_add_f16 v1, v3, v11
	s_nop 0
	v_pk_min_f16 v59, v0, v1
	s_cbranch_scc1 .LBB227_49
; %bb.27:
	v_mov_b32_e32 v0, 0x1200
	v_lshl_add_u32 v123, v50, 3, v0
	v_mov_b32_e32 v0, 0x800
	v_lshl_add_u32 v124, v51, 3, v0
	v_lshl_add_u32 v0, s2, 6, v28
	s_lshl_b32 s2, s27, 6
	v_subrev_u32_e32 v0, s2, v0
	v_and_b32_e32 v2, 3, v50
	v_mad_i64_i32 v[0:1], s[2:3], s3, v0, 0
	v_lshlrev_b32_e32 v2, 1, v2
	v_mov_b32_e32 v3, 0
	v_lshl_add_u64 v[0:1], v[0:1], 1, v[2:3]
	s_mov_b32 s15, 0x5040100
	v_lshl_add_u64 v[0:1], s[20:21], 0, v[0:1]
	v_perm_b32 v45, v35, v45, s15
	v_lshl_add_u64 v[34:35], v[0:1], 0, 16
	v_add_u32_e32 v0, 8, v29
	v_mad_i64_i32 v[0:1], s[2:3], v0, s12, 0
	v_add_u32_e32 v120, 0x1000, v36
	v_add_u32_e32 v121, 0x1200, v36
	v_lshlrev_b64 v[36:37], 1, v[0:1]
	v_add_u32_e32 v0, s24, v30
	v_ashrrev_i32_e32 v1, 31, v0
	v_lshl_add_u64 v[38:39], v[0:1], 1, s[22:23]
	v_add_u32_e32 v0, 12, v29
	s_lshl_b64 s[2:3], s[12:13], 4
	v_mad_i64_i32 v[0:1], s[12:13], v0, s12, 0
	v_or_b32_e32 v122, 0x800, v69
	s_add_i32 s14, s18, -8
	v_perm_b32 v33, v31, v33, s15
	v_lshlrev_b64 v[40:41], 1, v[0:1]
	s_mov_b32 s18, 0
	s_mov_b32 s20, 0xffff
	s_and_b64 vcc, exec, s[6:7]
	v_mov_b32_e32 v42, 0
	s_cbranch_vccz .LBB227_29
	s_branch .LBB227_30
.LBB227_28:                             ;   in Loop: Header=BB227_30 Depth=1
	v_mov_b32_e32 v44, v42
	s_and_b64 vcc, exec, s[6:7]
	v_mov_b32_e32 v42, 0
	s_cbranch_vccnz .LBB227_30
.LBB227_29:
	flat_load_ushort v0, v[34:35]
	s_waitcnt vmcnt(0) lgkmcnt(0)
	v_mul_f16_e32 v42, s19, v0
.LBB227_30:                             ; =>This Inner Loop Header: Depth=1
	s_mov_b64 s[12:13], -1
	s_mov_b64 vcc, s[4:5]
                                        ; implicit-def: $vgpr0_vgpr1
	s_cbranch_vccz .LBB227_34
; %bb.31:                               ;   in Loop: Header=BB227_30 Depth=1
	v_and_b32_e32 v0, 0xffff0000, v32
	v_mov_b32_e32 v1, v33
	v_mov_b32_e32 v4, 0
	v_lshl_add_u64 v[2:3], v[38:39], 0, v[36:37]
	s_cbranch_execz .LBB227_35
.LBB227_32:                             ;   in Loop: Header=BB227_30 Depth=1
	v_perm_b32 v32, v4, v0, s15
	s_mov_b64 s[12:13], -1
	s_mov_b64 vcc, s[4:5]
	s_cbranch_vccz .LBB227_36
.LBB227_33:                             ;   in Loop: Header=BB227_30 Depth=1
	v_and_b32_e32 v33, 0xffff0000, v1
	v_mov_b32_e32 v125, 0
	v_mov_b32_e32 v127, 0
	s_cbranch_execz .LBB227_37
	s_branch .LBB227_38
.LBB227_34:                             ;   in Loop: Header=BB227_30 Depth=1
	v_mov_b32_e32 v4, 0
	s_andn2_b64 vcc, exec, s[12:13]
	v_lshl_add_u64 v[2:3], v[38:39], 0, v[36:37]
	s_cbranch_vccnz .LBB227_32
.LBB227_35:                             ;   in Loop: Header=BB227_30 Depth=1
	flat_load_ushort v0, v[2:3]
	flat_load_ushort v1, v[2:3] offset:128
	s_waitcnt vmcnt(0) lgkmcnt(0)
	v_mul_f16_e32 v0, s19, v0
	v_bfi_b32 v32, s20, v0, v32
	v_mul_f16_e32 v4, s19, v1
	v_mov_b64_e32 v[0:1], v[32:33]
	v_perm_b32 v32, v4, v0, s15
	s_mov_b64 s[12:13], -1
	s_mov_b64 vcc, s[4:5]
	s_cbranch_vccnz .LBB227_33
.LBB227_36:                             ;   in Loop: Header=BB227_30 Depth=1
	v_mov_b32_e32 v125, 0
	s_andn2_b64 vcc, exec, s[12:13]
	v_mov_b32_e32 v127, 0
	s_cbranch_vccnz .LBB227_38
.LBB227_37:                             ;   in Loop: Header=BB227_30 Depth=1
	flat_load_ushort v0, v[2:3] offset:256
	flat_load_ushort v4, v[2:3] offset:384
	s_waitcnt vmcnt(0) lgkmcnt(0)
	v_mul_f16_e32 v0, s19, v0
	v_bfi_b32 v33, s20, v0, v1
	v_mul_f16_e32 v127, s19, v4
.LBB227_38:                             ;   in Loop: Header=BB227_30 Depth=1
	ds_read2_b64 v[16:19], v123 offset1:8
	ds_read2_b64 v[12:15], v123 offset0:16 offset1:24
	ds_read2_b64 v[4:7], v123 offset0:32 offset1:40
	;; [unrolled: 1-line block ×3, first 2 shown]
	ds_read2_b64 v[28:31], v124 offset1:32
	ds_read2_b64 v[24:27], v124 offset0:64 offset1:96
	ds_read2_b64 v[20:23], v124 offset0:128 offset1:160
	ds_read2_b64 v[8:11], v124 offset0:192 offset1:224
	s_and_b64 vcc, exec, s[6:7]
	ds_write_b16 v120, v42
	ds_write_b16 v69, v32
	ds_write_b16_d16_hi v69, v32 offset:512
	ds_write_b16 v69, v33 offset:1024
	ds_write_b16 v69, v127 offset:1536
	s_waitcnt lgkmcnt(0)
	s_barrier
	s_cbranch_vccnz .LBB227_40
; %bb.39:                               ;   in Loop: Header=BB227_30 Depth=1
	flat_load_ushort v42, v[34:35] offset:8
	s_waitcnt vmcnt(0) lgkmcnt(0)
	v_mul_f16_e32 v125, s19, v42
.LBB227_40:                             ;   in Loop: Header=BB227_30 Depth=1
	s_mov_b64 s[12:13], -1
	s_mov_b64 vcc, s[4:5]
                                        ; implicit-def: $vgpr46_vgpr47
	s_cbranch_vccz .LBB227_42
; %bb.41:                               ;   in Loop: Header=BB227_30 Depth=1
	v_and_b32_e32 v46, 0xffff0000, v44
	v_mov_b32_e32 v47, v45
	v_mov_b32_e32 v42, 0
	v_lshl_add_u64 v[48:49], v[38:39], 0, v[40:41]
	s_cbranch_execnz .LBB227_44
	s_branch .LBB227_43
.LBB227_42:                             ;   in Loop: Header=BB227_30 Depth=1
	v_mov_b32_e32 v42, 0
	s_andn2_b64 vcc, exec, s[12:13]
	v_lshl_add_u64 v[48:49], v[38:39], 0, v[40:41]
	s_cbranch_vccnz .LBB227_44
.LBB227_43:                             ;   in Loop: Header=BB227_30 Depth=1
	flat_load_ushort v42, v[48:49]
	flat_load_ushort v43, v[48:49] offset:128
	s_waitcnt vmcnt(0) lgkmcnt(0)
	v_mul_f16_e32 v42, s19, v42
	v_bfi_b32 v44, s20, v42, v44
	v_mul_f16_e32 v42, s19, v43
	v_mov_b64_e32 v[46:47], v[44:45]
.LBB227_44:                             ;   in Loop: Header=BB227_30 Depth=1
	v_perm_b32 v42, v42, v46, s15
	s_mov_b64 s[12:13], -1
	s_mov_b64 vcc, s[4:5]
                                        ; implicit-def: $vgpr43
	s_cbranch_vccz .LBB227_46
; %bb.45:                               ;   in Loop: Header=BB227_30 Depth=1
	v_and_b32_e32 v43, 0xffff0000, v47
	v_mov_b32_e32 v46, 0
	s_cbranch_execz .LBB227_47
	s_branch .LBB227_48
.LBB227_46:                             ;   in Loop: Header=BB227_30 Depth=1
	s_andn2_b64 vcc, exec, s[12:13]
	v_mov_b32_e32 v46, 0
	s_cbranch_vccnz .LBB227_48
.LBB227_47:                             ;   in Loop: Header=BB227_30 Depth=1
	flat_load_ushort v43, v[48:49] offset:256
	flat_load_ushort v44, v[48:49] offset:384
	s_waitcnt vmcnt(0) lgkmcnt(0)
	v_mul_f16_e32 v43, s19, v43
	v_bfi_b32 v43, s20, v43, v47
	v_mul_f16_e32 v46, s19, v44
.LBB227_48:                             ;   in Loop: Header=BB227_30 Depth=1
	v_pk_add_f16 v44, v16, v28
	v_pk_max_f16 v45, v119, v119
	v_pk_max_f16 v47, v118, v118
	v_pk_min_f16 v44, v45, v44
	v_pk_add_f16 v45, v18, v28
	v_pk_max_f16 v48, v117, v117
	v_pk_min_f16 v45, v47, v45
	v_pk_add_f16 v47, v12, v28
	v_pk_max_f16 v49, v116, v116
	v_pk_min_f16 v47, v48, v47
	v_pk_add_f16 v48, v14, v28
	v_pk_max_f16 v115, v115, v115
	v_pk_min_f16 v48, v49, v48
	v_pk_add_f16 v49, v4, v28
	v_pk_max_f16 v113, v113, v113
	v_pk_min_f16 v49, v115, v49
	v_pk_add_f16 v115, v6, v28
	v_pk_max_f16 v112, v112, v112
	v_pk_min_f16 v113, v113, v115
	v_pk_add_f16 v115, v0, v28
	v_pk_add_f16 v28, v2, v28
	v_pk_max_f16 v109, v109, v109
	v_pk_min_f16 v28, v112, v28
	v_pk_add_f16 v112, v16, v30
	v_pk_max_f16 v107, v107, v107
	v_pk_min_f16 v109, v109, v112
	v_pk_add_f16 v112, v18, v30
	v_pk_max_f16 v105, v105, v105
	v_pk_min_f16 v107, v107, v112
	v_pk_add_f16 v112, v12, v30
	v_pk_max_f16 v103, v103, v103
	v_pk_min_f16 v105, v105, v112
	v_pk_add_f16 v112, v14, v30
	v_pk_max_f16 v101, v101, v101
	v_pk_min_f16 v103, v103, v112
	v_pk_add_f16 v112, v4, v30
	v_pk_max_f16 v99, v99, v99
	v_pk_min_f16 v101, v101, v112
	v_pk_add_f16 v112, v6, v30
	v_pk_max_f16 v93, v93, v93
	v_pk_min_f16 v99, v99, v112
	v_pk_add_f16 v112, v0, v30
	v_pk_add_f16 v30, v2, v30
	v_pk_max_f16 v92, v92, v92
	v_pk_min_f16 v30, v93, v30
	v_pk_add_f16 v93, v16, v24
	;; [unrolled: 22-line block ×4, first 2 shown]
	v_pk_max_f16 v91, v91, v91
	v_pk_min_f16 v94, v94, v95
	v_pk_add_f16 v95, v18, v20
	v_pk_max_f16 v89, v89, v89
	v_pk_min_f16 v91, v91, v95
	v_pk_add_f16 v95, v12, v20
	v_pk_max_f16 v87, v87, v87
	v_pk_min_f16 v89, v89, v95
	v_pk_add_f16 v95, v14, v20
	v_pk_max_f16 v85, v85, v85
	v_pk_min_f16 v87, v87, v95
	v_pk_add_f16 v95, v4, v20
	v_pk_max_f16 v97, v97, v97
	v_pk_min_f16 v95, v85, v95
	v_pk_add_f16 v85, v6, v20
	v_pk_max_f16 v83, v83, v83
	v_pk_min_f16 v97, v97, v110
	v_pk_min_f16 v110, v83, v85
	v_pk_add_f16 v83, v0, v20
	v_pk_add_f16 v20, v2, v20
	v_pk_max_f16 v80, v80, v80
	v_pk_max_f16 v96, v96, v96
	v_pk_min_f16 v20, v80, v20
	v_pk_add_f16 v80, v16, v22
	v_pk_max_f16 v79, v79, v79
	v_pk_max_f16 v114, v114, v114
	v_pk_min_f16 v96, v96, v112
	v_pk_min_f16 v112, v79, v80
	v_pk_add_f16 v79, v18, v22
	v_pk_max_f16 v78, v78, v78
	v_pk_min_f16 v114, v114, v115
	v_pk_min_f16 v115, v78, v79
	v_pk_add_f16 v78, v12, v22
	v_pk_max_f16 v77, v77, v77
	v_pk_max_f16 v76, v76, v76
	v_pk_min_f16 v116, v77, v78
	v_pk_add_f16 v77, v14, v22
	v_pk_max_f16 v75, v75, v75
	v_pk_min_f16 v117, v76, v77
	v_pk_add_f16 v76, v4, v22
	;; [unrolled: 3-line block ×4, first 2 shown]
	v_pk_add_f16 v22, v2, v22
	v_pk_min_f16 v126, v72, v73
	v_pk_max_f16 v72, v74, v74
	v_pk_max_f16 v71, v71, v71
	v_pk_min_f16 v22, v72, v22
	v_pk_add_f16 v72, v16, v8
	v_pk_max_f16 v68, v68, v68
	v_pk_min_f16 v128, v71, v72
	v_pk_add_f16 v71, v18, v8
	;; [unrolled: 3-line block ×6, first 2 shown]
	v_pk_add_f16 v16, v16, v10
	v_pk_min_f16 v133, v64, v65
	v_pk_add_f16 v64, v0, v8
	v_pk_add_f16 v8, v2, v8
	;; [unrolled: 1-line block ×9, first 2 shown]
	v_pk_max_f16 v10, v59, v59
	v_pk_max_f16 v111, v111, v111
	v_pk_min_f16 v2, v10, v2
	v_pk_add_f16 v10, v17, v29
	v_pk_min_f16 v93, v111, v93
	v_pk_min_f16 v135, v44, v10
	v_pk_add_f16 v10, v19, v29
	v_pk_max_f16 v81, v81, v81
	v_pk_min_f16 v136, v45, v10
	v_pk_add_f16 v10, v13, v29
	v_pk_min_f16 v111, v81, v83
	v_pk_min_f16 v137, v47, v10
	v_pk_add_f16 v10, v15, v29
	;; [unrolled: 6-line block ×11, first 2 shown]
	v_perm_b32 v33, v127, v33, s15
	v_pk_min_f16 v82, v82, v10
	v_pk_add_f16 v10, v1, v25
	s_add_i32 s18, s18, 8
	v_pk_min_f16 v85, v93, v10
	v_pk_add_f16 v10, v3, v25
	v_pk_max_f16 v85, v85, v85
	v_pk_min_f16 v83, v24, v10
	v_pk_add_f16 v10, v17, v27
	v_pk_max_f16 v83, v83, v83
	;; [unrolled: 3-line block ×10, first 2 shown]
	v_pk_min_f16 v75, v94, v10
	v_pk_add_f16 v10, v19, v21
	v_lshl_add_u64 v[34:35], v[34:35], 0, 16
	v_pk_min_f16 v74, v91, v10
	v_pk_add_f16 v10, v13, v21
	s_cmp_ge_i32 s18, s14
	v_pk_min_f16 v72, v89, v10
	v_pk_add_f16 v10, v15, v21
	v_lshl_add_u64 v[38:39], v[38:39], 0, s[2:3]
	v_pk_min_f16 v68, v87, v10
	v_pk_add_f16 v10, v5, v21
	v_pk_max_f16 v68, v68, v68
	v_pk_min_f16 v67, v95, v10
	v_pk_add_f16 v10, v7, v21
	v_pk_max_f16 v67, v67, v67
	;; [unrolled: 3-line block ×6, first 2 shown]
	v_pk_min_f16 v62, v115, v10
	v_pk_add_f16 v10, v13, v23
	s_nop 0
	v_pk_min_f16 v61, v116, v10
	v_pk_add_f16 v10, v15, v23
	s_nop 0
	;; [unrolled: 3-line block ×10, first 2 shown]
	v_pk_min_f16 v28, v131, v10
	v_pk_add_f16 v10, v5, v9
	v_pk_add_f16 v5, v5, v11
	v_pk_min_f16 v27, v132, v10
	v_pk_add_f16 v10, v7, v9
	v_pk_min_f16 v53, v4, v5
	v_pk_min_f16 v26, v133, v10
	v_pk_add_f16 v10, v1, v9
	v_pk_add_f16 v9, v3, v9
	;; [unrolled: 1-line block ×3, first 2 shown]
	v_pk_min_f16 v24, v8, v9
	v_pk_add_f16 v8, v17, v11
	v_pk_add_f16 v4, v7, v11
	v_pk_min_f16 v44, v16, v8
	v_pk_add_f16 v8, v19, v11
	v_pk_min_f16 v126, v0, v1
	v_pk_min_f16 v30, v18, v8
	v_pk_add_f16 v8, v13, v11
	v_pk_add_f16 v0, v3, v11
	v_pk_min_f16 v49, v12, v8
	v_pk_add_f16 v8, v15, v11
	v_pk_min_f16 v25, v134, v10
	v_pk_min_f16 v48, v14, v8
	;; [unrolled: 1-line block ×4, first 2 shown]
	ds_read2_b64 v[8:11], v70 offset1:8
	ds_read2_b64 v[16:19], v54 offset1:32
	ds_read2_b64 v[12:15], v70 offset0:16 offset1:24
	ds_read2_b64 v[4:7], v70 offset0:32 offset1:40
	;; [unrolled: 1-line block ×4, first 2 shown]
	s_waitcnt lgkmcnt(4)
	v_pk_add_f16 v87, v8, v16
	v_pk_add_f16 v100, v8, v18
	;; [unrolled: 1-line block ×3, first 2 shown]
	s_waitcnt lgkmcnt(1)
	v_pk_add_f16 v97, v0, v16
	v_pk_add_f16 v104, v12, v18
	;; [unrolled: 1-line block ×7, first 2 shown]
	v_pk_max_f16 v18, v135, v135
	v_pk_add_f16 v89, v10, v16
	v_pk_add_f16 v91, v12, v16
	;; [unrolled: 1-line block ×7, first 2 shown]
	v_pk_min_f16 v18, v18, v87
	v_pk_add_f16 v87, v1, v17
	v_pk_min_f16 v97, v112, v97
	v_pk_min_f16 v119, v18, v16
	v_pk_max_f16 v18, v136, v136
	v_pk_min_f16 v114, v97, v87
	v_pk_max_f16 v97, v140, v140
	v_pk_add_f16 v16, v11, v17
	v_pk_min_f16 v18, v18, v89
	v_pk_add_f16 v89, v3, v17
	v_pk_min_f16 v97, v97, v98
	v_pk_min_f16 v118, v18, v16
	v_pk_max_f16 v18, v137, v137
	v_pk_min_f16 v112, v97, v89
	v_pk_max_f16 v97, v109, v109
	v_pk_add_f16 v16, v13, v17
	;; [unrolled: 8-line block ×3, first 2 shown]
	v_pk_min_f16 v18, v18, v93
	v_pk_add_f16 v93, v11, v19
	v_pk_min_f16 v97, v97, v102
	v_pk_min_f16 v116, v18, v16
	v_pk_max_f16 v18, v139, v139
	s_waitcnt lgkmcnt(0)
	v_pk_add_f16 v132, v8, v20
	v_pk_add_f16 v87, v10, v20
	;; [unrolled: 1-line block ×7, first 2 shown]
	v_pk_min_f16 v107, v97, v93
	v_pk_add_f16 v97, v2, v20
	v_pk_max_f16 v20, v105, v105
	v_pk_add_f16 v16, v5, v17
	v_pk_min_f16 v18, v18, v94
	v_pk_add_f16 v94, v13, v19
	v_pk_min_f16 v20, v20, v104
	v_pk_min_f16 v115, v18, v16
	v_pk_max_f16 v18, v113, v113
	v_pk_min_f16 v105, v20, v94
	v_pk_max_f16 v20, v103, v103
	v_pk_min_f16 v18, v18, v95
	v_pk_add_f16 v95, v15, v19
	v_pk_min_f16 v20, v20, v106
	v_pk_add_f16 v128, v5, v19
	v_pk_min_f16 v103, v20, v95
	v_pk_max_f16 v20, v101, v101
	v_pk_add_f16 v129, v7, v19
	v_pk_min_f16 v20, v20, v108
	v_pk_add_f16 v130, v1, v19
	v_pk_min_f16 v101, v20, v128
	v_pk_max_f16 v20, v99, v99
	;; [unrolled: 5-line block ×4, first 2 shown]
	v_pk_add_f16 v95, v14, v22
	v_pk_add_f16 v134, v4, v22
	;; [unrolled: 1-line block ×5, first 2 shown]
	v_pk_min_f16 v20, v20, v127
	v_pk_max_f16 v22, v92, v92
	v_pk_min_f16 v93, v20, v131
	v_pk_add_f16 v20, v9, v21
	v_pk_min_f16 v22, v22, v132
	v_pk_add_f16 v16, v7, v17
	v_pk_min_f16 v92, v22, v20
	v_pk_max_f16 v22, v90, v90
	v_pk_min_f16 v113, v18, v16
	ds_read2_b64 v[16:19], v54 offset0:128 offset1:160
	v_pk_add_f16 v20, v11, v21
	v_pk_min_f16 v22, v22, v87
	v_pk_add_f16 v136, v3, v23
	v_pk_min_f16 v90, v22, v20
	v_pk_max_f16 v22, v88, v88
	v_pk_add_f16 v20, v13, v21
	v_pk_min_f16 v22, v22, v98
	v_pk_min_f16 v71, v71, v129
	;; [unrolled: 1-line block ×3, first 2 shown]
	v_pk_max_f16 v22, v86, v86
	v_pk_add_f16 v20, v15, v21
	v_pk_min_f16 v22, v22, v89
	v_pk_add_f16 v132, v1, v23
	v_pk_min_f16 v86, v22, v20
	v_pk_max_f16 v22, v84, v84
	s_waitcnt lgkmcnt(0)
	v_pk_add_f16 v137, v8, v16
	v_pk_min_f16 v78, v78, v95
	v_pk_min_f16 v73, v73, v135
	;; [unrolled: 1-line block ×3, first 2 shown]
	v_pk_max_f16 v71, v75, v75
	v_pk_add_f16 v20, v5, v21
	v_pk_min_f16 v22, v22, v100
	v_pk_add_f16 v87, v1, v21
	v_pk_min_f16 v85, v85, v102
	v_pk_min_f16 v83, v83, v97
	;; [unrolled: 1-line block ×4, first 2 shown]
	v_pk_add_f16 v73, v9, v17
	v_pk_min_f16 v84, v22, v20
	v_pk_max_f16 v22, v82, v82
	v_pk_min_f16 v111, v85, v87
	v_pk_add_f16 v85, v10, v16
	v_pk_min_f16 v80, v80, v94
	v_pk_min_f16 v94, v71, v73
	v_pk_max_f16 v71, v74, v74
	v_pk_min_f16 v22, v22, v91
	v_pk_add_f16 v91, v9, v23
	v_pk_min_f16 v81, v81, v104
	v_pk_min_f16 v71, v71, v85
	v_pk_add_f16 v73, v11, v17
	v_pk_add_f16 v89, v3, v21
	;; [unrolled: 1-line block ×3, first 2 shown]
	v_pk_min_f16 v108, v81, v91
	v_pk_min_f16 v91, v71, v73
	v_pk_max_f16 v71, v72, v72
	v_pk_min_f16 v110, v83, v89
	v_pk_add_f16 v83, v14, v16
	v_pk_min_f16 v71, v71, v87
	v_pk_add_f16 v72, v13, v17
	v_pk_add_f16 v138, v4, v16
	v_pk_min_f16 v89, v71, v72
	v_pk_min_f16 v68, v68, v83
	v_pk_add_f16 v71, v15, v17
	v_pk_add_f16 v81, v6, v16
	v_pk_min_f16 v87, v68, v71
	v_pk_min_f16 v67, v67, v138
	v_pk_add_f16 v68, v5, v17
	v_pk_add_f16 v139, v0, v16
	;; [unrolled: 1-line block ×3, first 2 shown]
	v_pk_min_f16 v85, v67, v68
	v_pk_min_f16 v66, v66, v81
	v_pk_add_f16 v67, v7, v17
	v_pk_add_f16 v98, v11, v23
	v_pk_min_f16 v83, v66, v67
	v_pk_add_f16 v66, v1, v17
	v_pk_min_f16 v16, v64, v16
	;; [unrolled: 2-line block ×3, first 2 shown]
	v_pk_min_f16 v79, v79, v133
	v_pk_add_f16 v133, v8, v18
	v_pk_min_f16 v80, v16, v17
	v_pk_max_f16 v16, v63, v63
	v_pk_add_f16 v100, v13, v23
	v_pk_min_f16 v16, v16, v133
	v_pk_add_f16 v17, v9, v19
	v_pk_min_f16 v104, v79, v100
	;; [unrolled: 2-line block ×3, first 2 shown]
	v_pk_max_f16 v16, v62, v62
	v_pk_add_f16 v127, v15, v23
	v_pk_min_f16 v16, v16, v140
	v_pk_add_f16 v17, v11, v19
	v_pk_add_f16 v141, v12, v18
	v_pk_min_f16 v102, v78, v127
	v_pk_min_f16 v78, v16, v17
	v_pk_max_f16 v16, v61, v61
	v_pk_add_f16 v130, v5, v23
	v_pk_min_f16 v77, v77, v134
	v_pk_min_f16 v16, v16, v141
	v_pk_add_f16 v17, v13, v19
	v_pk_add_f16 v127, v14, v18
	v_pk_min_f16 v100, v77, v130
	v_pk_min_f16 v77, v16, v17
	v_pk_max_f16 v16, v60, v60
	v_pk_add_f16 v131, v7, v23
	v_pk_min_f16 v76, v76, v128
	;; [unrolled: 8-line block ×3, first 2 shown]
	v_pk_add_f16 v20, v7, v21
	v_pk_add_f16 v130, v6, v18
	v_pk_min_f16 v75, v16, v17
	v_pk_max_f16 v17, v57, v57
	v_pk_min_f16 v82, v22, v20
	ds_read2_b64 v[20:23], v54 offset0:192 offset1:224
	v_pk_add_f16 v16, v7, v19
	v_pk_min_f16 v17, v17, v130
	v_pk_add_f16 v128, v0, v18
	v_pk_min_f16 v73, v17, v16
	v_pk_max_f16 v17, v55, v55
	v_pk_add_f16 v16, v1, v19
	v_pk_min_f16 v17, v17, v128
	v_pk_add_f16 v18, v2, v18
	v_pk_min_f16 v72, v17, v16
	v_pk_max_f16 v17, v31, v31
	v_pk_add_f16 v16, v3, v19
	v_pk_min_f16 v17, v17, v18
	s_waitcnt lgkmcnt(0)
	v_pk_add_f16 v131, v8, v20
	v_pk_min_f16 v74, v17, v16
	v_pk_max_f16 v17, v47, v47
	v_pk_add_f16 v16, v9, v21
	v_pk_min_f16 v17, v17, v131
	v_pk_add_f16 v132, v10, v20
	v_pk_min_f16 v71, v17, v16
	v_pk_max_f16 v17, v45, v45
	v_pk_add_f16 v16, v11, v21
	v_pk_min_f16 v17, v17, v132
	;; [unrolled: 5-line block ×3, first 2 shown]
	v_pk_add_f16 v135, v14, v20
	v_pk_min_f16 v67, v17, v16
	v_pk_max_f16 v17, v28, v28
	v_pk_min_f16 v65, v65, v139
	v_pk_add_f16 v16, v15, v21
	v_pk_min_f16 v17, v17, v135
	v_pk_add_f16 v136, v4, v20
	v_pk_min_f16 v81, v65, v66
	v_pk_min_f16 v66, v17, v16
	v_pk_max_f16 v17, v27, v27
	v_pk_add_f16 v16, v5, v21
	v_pk_min_f16 v17, v17, v136
	v_pk_add_f16 v137, v6, v20
	v_pk_min_f16 v65, v17, v16
	v_pk_max_f16 v17, v26, v26
	v_pk_add_f16 v16, v7, v21
	v_pk_min_f16 v17, v17, v137
	v_pk_add_f16 v142, v0, v20
	;; [unrolled: 5-line block ×11, first 2 shown]
	v_pk_min_f16 v53, v0, v1
	v_pk_max_f16 v1, v59, v59
	v_pk_add_f16 v0, v3, v23
	v_pk_min_f16 v1, v1, v2
	v_perm_b32 v45, v46, v43, s15
	v_pk_min_f16 v59, v1, v0
	ds_write_b16 v121, v125
	ds_write_b16 v122, v42
	ds_write_b16_d16_hi v122, v42 offset:512
	ds_write_b16 v122, v43 offset:1024
	ds_write_b16 v122, v46 offset:1536
	s_waitcnt lgkmcnt(0)
	s_barrier
	s_cbranch_scc0 .LBB227_28
.LBB227_49:
	s_load_dword s6, s[0:1], 0x50
	ds_read_b64 v[30:31], v56 offset:4608
	ds_read_b64 v[46:47], v54 offset:2048
	v_add_u32_e32 v69, s24, v51
	v_cmp_neq_f16_e64 s[4:5], s28, 0
	v_add_u32_e32 v28, s26, v50
	s_waitcnt lgkmcnt(0)
	v_mad_i64_i32 v[0:1], s[2:3], v69, s6, 0
	v_ashrrev_i32_e32 v29, 31, v28
	v_lshl_add_u64 v[48:49], v[0:1], 1, s[16:17]
	v_mov_b32_e32 v34, 0
	s_and_b64 vcc, exec, s[4:5]
	v_mov_b32_e32 v35, 0
	s_cbranch_vccz .LBB227_51
; %bb.50:
	v_lshl_add_u64 v[0:1], v[28:29], 1, v[48:49]
	flat_load_ushort v0, v[0:1]
	s_waitcnt vmcnt(0) lgkmcnt(0)
	v_mul_f16_e32 v0, s28, v0
	v_cvt_f32_f16_e32 v35, v0
.LBB227_51:
	v_pk_add_f16 v32, v30, v46
	v_max_f16_e32 v33, v119, v119
	v_pk_add_f16 v37, v31, v47
	v_min_f16_e32 v36, v33, v32
	v_lshrrev_b32_e32 v33, 16, v119
	v_lshrrev_b32_e32 v32, 16, v32
	;; [unrolled: 1-line block ×3, first 2 shown]
	v_add_u32_e32 v0, 0x1000, v56
	v_min3_f16 v38, v33, v32, v38
	ds_read2_b64 v[8:11], v0 offset0:72 offset1:80
	ds_read2_b64 v[4:7], v0 offset0:88 offset1:96
	;; [unrolled: 1-line block ×3, first 2 shown]
	ds_read_b64 v[24:25], v56 offset:5056
	s_load_dword s7, s[0:1], 0x68
	s_load_dwordx2 s[2:3], s[0:1], 0x70
	v_min3_f16 v36, v36, v37, v38
	v_cvt_f32_f16_e32 v38, v36
	v_add_u32_e32 v12, 0x800, v54
	ds_read2_b64 v[20:23], v12 offset0:32 offset1:64
	ds_read2_b64 v[16:19], v12 offset0:96 offset1:128
	;; [unrolled: 1-line block ×3, first 2 shown]
	ds_read_b64 v[26:27], v54 offset:3840
	v_max_f32_e32 v35, v35, v35
	s_waitcnt lgkmcnt(0)
	s_lshl_b64 s[0:1], s[2:3], 1
	v_min_f32_e32 v35, v35, v38
	s_add_u32 s2, s10, s0
	v_cvt_f16_f32_e32 v35, v35
	s_addc_u32 s3, s11, s1
	v_mad_i64_i32 v[36:37], s[0:1], v69, s7, 0
	v_add_u32_e32 v32, 8, v28
	v_lshl_add_u64 v[50:51], v[36:37], 1, s[2:3]
	v_cndmask_b32_e64 v38, 0, 1, s[4:5]
	v_ashrrev_i32_e32 v33, 31, v32
	v_lshl_add_u64 v[36:37], v[28:29], 1, v[50:51]
	v_cmp_ne_u32_e64 s[0:1], 1, v38
	s_andn2_b64 vcc, exec, s[4:5]
	flat_store_short v[36:37], v35
	s_cbranch_vccnz .LBB227_53
; %bb.52:
	v_lshl_add_u64 v[34:35], v[32:33], 1, v[48:49]
	flat_load_ushort v34, v[34:35]
	s_waitcnt vmcnt(0) lgkmcnt(0)
	v_mul_f16_e32 v34, s28, v34
	v_cvt_f32_f16_e32 v34, v34
.LBB227_53:
	v_pk_add_f16 v35, v8, v46
	v_max_f16_e32 v36, v118, v118
	v_pk_add_f16 v38, v9, v47
	v_min_f16_e32 v36, v36, v35
	v_lshrrev_b32_e32 v37, 16, v118
	v_lshrrev_b32_e32 v35, 16, v35
	;; [unrolled: 1-line block ×3, first 2 shown]
	v_min3_f16 v35, v37, v35, v39
	v_min3_f16 v35, v36, v38, v35
	v_cvt_f32_f16_e32 v35, v35
	v_max_f32_e32 v34, v34, v34
	v_lshl_add_u64 v[36:37], v[32:33], 1, v[50:51]
	s_and_b64 vcc, exec, s[0:1]
	v_min_f32_e32 v34, v34, v35
	v_cvt_f16_f32_e32 v38, v34
	v_add_u32_e32 v34, 16, v28
	v_ashrrev_i32_e32 v35, 31, v34
	flat_store_short v[36:37], v38
	v_mov_b32_e32 v38, 0
	v_mov_b32_e32 v37, 0
	s_cbranch_vccnz .LBB227_55
; %bb.54:
	v_lshl_add_u64 v[36:37], v[34:35], 1, v[48:49]
	flat_load_ushort v36, v[36:37]
	s_waitcnt vmcnt(0) lgkmcnt(0)
	v_mul_f16_e32 v36, s28, v36
	v_cvt_f32_f16_e32 v37, v36
.LBB227_55:
	v_pk_add_f16 v36, v10, v46
	v_max_f16_e32 v39, v117, v117
	v_pk_add_f16 v41, v11, v47
	v_min_f16_e32 v39, v39, v36
	v_lshrrev_b32_e32 v40, 16, v117
	v_lshrrev_b32_e32 v36, 16, v36
	;; [unrolled: 1-line block ×3, first 2 shown]
	v_min3_f16 v36, v40, v36, v42
	v_min3_f16 v36, v39, v41, v36
	v_cvt_f32_f16_e32 v39, v36
	v_max_f32_e32 v37, v37, v37
	v_add_u32_e32 v36, 24, v28
	v_lshl_add_u64 v[40:41], v[34:35], 1, v[50:51]
	v_min_f32_e32 v37, v37, v39
	v_cvt_f16_f32_e32 v39, v37
	v_ashrrev_i32_e32 v37, 31, v36
	s_and_b64 vcc, exec, s[0:1]
	flat_store_short v[40:41], v39
	s_cbranch_vccnz .LBB227_57
; %bb.56:
	v_lshl_add_u64 v[38:39], v[36:37], 1, v[48:49]
	flat_load_ushort v38, v[38:39]
	s_waitcnt vmcnt(0) lgkmcnt(0)
	v_mul_f16_e32 v38, s28, v38
	v_cvt_f32_f16_e32 v38, v38
.LBB227_57:
	v_pk_add_f16 v39, v4, v46
	v_max_f16_e32 v40, v116, v116
	v_pk_add_f16 v42, v5, v47
	v_min_f16_e32 v40, v40, v39
	v_lshrrev_b32_e32 v41, 16, v116
	v_lshrrev_b32_e32 v39, 16, v39
	;; [unrolled: 1-line block ×3, first 2 shown]
	v_min3_f16 v39, v41, v39, v43
	v_min3_f16 v39, v40, v42, v39
	v_cvt_f32_f16_e32 v39, v39
	v_max_f32_e32 v38, v38, v38
	v_add_u32_e32 v40, 32, v28
	v_ashrrev_i32_e32 v41, 31, v40
	v_min_f32_e32 v38, v38, v39
	v_cvt_f16_f32_e32 v42, v38
	v_lshl_add_u64 v[38:39], v[36:37], 1, v[50:51]
	s_and_b64 vcc, exec, s[0:1]
	flat_store_short v[38:39], v42
	v_mov_b32_e32 v42, 0
	v_mov_b32_e32 v39, 0
	s_cbranch_vccnz .LBB227_59
; %bb.58:
	v_lshl_add_u64 v[38:39], v[40:41], 1, v[48:49]
	flat_load_ushort v38, v[38:39]
	s_waitcnt vmcnt(0) lgkmcnt(0)
	v_mul_f16_e32 v38, s28, v38
	v_cvt_f32_f16_e32 v39, v38
.LBB227_59:
	v_pk_add_f16 v38, v6, v46
	v_max_f16_e32 v43, v115, v115
	v_pk_add_f16 v45, v7, v47
	v_min_f16_e32 v43, v43, v38
	v_lshrrev_b32_e32 v44, 16, v115
	v_lshrrev_b32_e32 v38, 16, v38
	;; [unrolled: 1-line block ×3, first 2 shown]
	v_min3_f16 v38, v44, v38, v54
	v_min3_f16 v38, v43, v45, v38
	v_cvt_f32_f16_e32 v43, v38
	v_max_f32_e32 v39, v39, v39
	v_add_u32_e32 v38, 40, v28
	v_lshl_add_u64 v[44:45], v[40:41], 1, v[50:51]
	v_min_f32_e32 v39, v39, v43
	v_cvt_f16_f32_e32 v43, v39
	v_ashrrev_i32_e32 v39, 31, v38
	s_and_b64 vcc, exec, s[0:1]
	flat_store_short v[44:45], v43
	s_cbranch_vccnz .LBB227_61
; %bb.60:
	v_lshl_add_u64 v[42:43], v[38:39], 1, v[48:49]
	flat_load_ushort v42, v[42:43]
	s_waitcnt vmcnt(0) lgkmcnt(0)
	v_mul_f16_e32 v42, s28, v42
	v_cvt_f32_f16_e32 v42, v42
.LBB227_61:
	v_pk_add_f16 v43, v0, v46
	v_max_f16_e32 v44, v113, v113
	v_pk_add_f16 v54, v1, v47
	v_min_f16_e32 v44, v44, v43
	v_lshrrev_b32_e32 v45, 16, v113
	v_lshrrev_b32_e32 v43, 16, v43
	;; [unrolled: 1-line block ×3, first 2 shown]
	v_min3_f16 v43, v45, v43, v56
	v_min3_f16 v43, v44, v54, v43
	v_cvt_f32_f16_e32 v43, v43
	v_max_f32_e32 v42, v42, v42
	v_lshl_add_u64 v[44:45], v[38:39], 1, v[50:51]
	s_and_b64 vcc, exec, s[0:1]
	v_min_f32_e32 v42, v42, v43
	v_cvt_f16_f32_e32 v54, v42
	v_add_u32_e32 v42, 48, v28
	v_ashrrev_i32_e32 v43, 31, v42
	flat_store_short v[44:45], v54
	v_mov_b32_e32 v54, 0
	v_mov_b32_e32 v45, 0
	s_cbranch_vccnz .LBB227_63
; %bb.62:
	v_lshl_add_u64 v[44:45], v[42:43], 1, v[48:49]
	flat_load_ushort v44, v[44:45]
	s_waitcnt vmcnt(0) lgkmcnt(0)
	v_mul_f16_e32 v44, s28, v44
	v_cvt_f32_f16_e32 v45, v44
.LBB227_63:
	v_pk_add_f16 v44, v2, v46
	v_max_f16_e32 v56, v114, v114
	v_pk_add_f16 v113, v3, v47
	v_min_f16_e32 v56, v56, v44
	v_lshrrev_b32_e32 v70, 16, v114
	v_lshrrev_b32_e32 v44, 16, v44
	v_lshrrev_b32_e32 v114, 16, v113
	v_min3_f16 v44, v70, v44, v114
	v_min3_f16 v44, v56, v113, v44
	v_cvt_f32_f16_e32 v56, v44
	v_max_f32_e32 v45, v45, v45
	v_add_u32_e32 v44, 56, v28
	v_lshl_add_u64 v[114:115], v[42:43], 1, v[50:51]
	v_min_f32_e32 v45, v45, v56
	v_cvt_f16_f32_e32 v56, v45
	v_ashrrev_i32_e32 v45, 31, v44
	s_and_b64 vcc, exec, s[0:1]
	flat_store_short v[114:115], v56
	s_cbranch_vccnz .LBB227_65
; %bb.64:
	v_lshl_add_u64 v[48:49], v[44:45], 1, v[48:49]
	flat_load_ushort v48, v[48:49]
	s_waitcnt vmcnt(0) lgkmcnt(0)
	v_mul_f16_e32 v48, s28, v48
	v_cvt_f32_f16_e32 v54, v48
.LBB227_65:
	v_pk_add_f16 v46, v24, v46
	v_max_f16_e32 v48, v112, v112
	v_pk_add_f16 v47, v25, v47
	v_min_f16_e32 v48, v48, v46
	v_lshrrev_b32_e32 v49, 16, v112
	v_lshrrev_b32_e32 v46, 16, v46
	;; [unrolled: 1-line block ×3, first 2 shown]
	v_min3_f16 v46, v49, v46, v56
	v_min3_f16 v46, v48, v47, v46
	v_cvt_f32_f16_e32 v46, v46
	v_max_f32_e32 v47, v54, v54
	s_and_b64 vcc, exec, s[0:1]
	v_mov_b32_e32 v49, 0
	v_min_f32_e32 v46, v47, v46
	v_cvt_f16_f32_e32 v48, v46
	v_lshl_add_u64 v[46:47], v[44:45], 1, v[50:51]
	v_mov_b32_e32 v50, 0
	flat_store_short v[46:47], v48
	v_add_u32_e32 v48, 32, v69
	v_mad_i64_i32 v[46:47], s[4:5], v48, s6, 0
	v_lshl_add_u64 v[46:47], v[46:47], 1, s[16:17]
	s_cbranch_vccnz .LBB227_67
; %bb.66:
	v_lshl_add_u64 v[112:113], v[28:29], 1, v[46:47]
	flat_load_ushort v49, v[112:113]
	s_waitcnt vmcnt(0) lgkmcnt(0)
	v_mul_f16_e32 v49, s28, v49
	v_cvt_f32_f16_e32 v49, v49
.LBB227_67:
	v_pk_add_f16 v51, v30, v20
	v_max_f16_e32 v54, v109, v109
	v_pk_add_f16 v70, v31, v21
	v_min_f16_e32 v54, v54, v51
	v_lshrrev_b32_e32 v56, 16, v109
	v_lshrrev_b32_e32 v51, 16, v51
	;; [unrolled: 1-line block ×3, first 2 shown]
	v_min3_f16 v51, v56, v51, v109
	v_min3_f16 v51, v54, v70, v51
	v_cvt_f32_f16_e32 v51, v51
	v_mad_i64_i32 v[112:113], s[4:5], v48, s7, 0
	v_max_f32_e32 v48, v49, v49
	v_min_f32_e32 v48, v48, v51
	v_cvt_f16_f32_e32 v51, v48
	v_lshl_add_u64 v[48:49], v[112:113], 1, s[2:3]
	v_lshl_add_u64 v[112:113], v[28:29], 1, v[48:49]
	s_and_b64 vcc, exec, s[0:1]
	flat_store_short v[112:113], v51
	s_cbranch_vccnz .LBB227_69
; %bb.68:
	v_lshl_add_u64 v[50:51], v[32:33], 1, v[46:47]
	flat_load_ushort v50, v[50:51]
	s_waitcnt vmcnt(0) lgkmcnt(0)
	v_mul_f16_e32 v50, s28, v50
	v_cvt_f32_f16_e32 v50, v50
.LBB227_69:
	v_pk_add_f16 v51, v8, v20
	v_max_f16_e32 v54, v107, v107
	v_pk_add_f16 v70, v9, v21
	v_min_f16_e32 v54, v54, v51
	v_lshrrev_b32_e32 v56, 16, v107
	v_lshrrev_b32_e32 v51, 16, v51
	v_lshrrev_b32_e32 v107, 16, v70
	v_min3_f16 v51, v56, v51, v107
	v_min3_f16 v51, v54, v70, v51
	v_cvt_f32_f16_e32 v51, v51
	v_max_f32_e32 v50, v50, v50
	s_and_b64 vcc, exec, s[0:1]
	v_min_f32_e32 v50, v50, v51
	v_cvt_f16_f32_e32 v54, v50
	v_lshl_add_u64 v[50:51], v[32:33], 1, v[48:49]
	flat_store_short v[50:51], v54
	v_mov_b32_e32 v50, 0
	v_mov_b32_e32 v51, 0
	s_cbranch_vccnz .LBB227_71
; %bb.70:
	v_lshl_add_u64 v[112:113], v[34:35], 1, v[46:47]
	flat_load_ushort v51, v[112:113]
	s_waitcnt vmcnt(0) lgkmcnt(0)
	v_mul_f16_e32 v51, s28, v51
	v_cvt_f32_f16_e32 v51, v51
.LBB227_71:
	v_pk_add_f16 v54, v10, v20
	v_max_f16_e32 v56, v105, v105
	v_lshrrev_b32_e32 v70, 16, v105
	v_pk_add_f16 v105, v11, v21
	v_min_f16_e32 v56, v56, v54
	v_lshrrev_b32_e32 v54, 16, v54
	v_lshrrev_b32_e32 v107, 16, v105
	v_min3_f16 v54, v70, v54, v107
	v_min3_f16 v54, v56, v105, v54
	v_cvt_f32_f16_e32 v54, v54
	v_max_f32_e32 v51, v51, v51
	v_lshl_add_u64 v[112:113], v[34:35], 1, v[48:49]
	s_and_b64 vcc, exec, s[0:1]
	v_min_f32_e32 v51, v51, v54
	v_cvt_f16_f32_e32 v51, v51
	flat_store_short v[112:113], v51
	s_cbranch_vccnz .LBB227_73
; %bb.72:
	v_lshl_add_u64 v[50:51], v[36:37], 1, v[46:47]
	flat_load_ushort v50, v[50:51]
	s_waitcnt vmcnt(0) lgkmcnt(0)
	v_mul_f16_e32 v50, s28, v50
	v_cvt_f32_f16_e32 v50, v50
.LBB227_73:
	v_pk_add_f16 v51, v4, v20
	v_max_f16_e32 v54, v103, v103
	v_pk_add_f16 v70, v5, v21
	v_min_f16_e32 v54, v54, v51
	v_lshrrev_b32_e32 v56, 16, v103
	v_lshrrev_b32_e32 v51, 16, v51
	v_lshrrev_b32_e32 v103, 16, v70
	v_min3_f16 v51, v56, v51, v103
	v_min3_f16 v51, v54, v70, v51
	v_cvt_f32_f16_e32 v51, v51
	v_max_f32_e32 v50, v50, v50
	s_and_b64 vcc, exec, s[0:1]
	v_min_f32_e32 v50, v50, v51
	v_cvt_f16_f32_e32 v54, v50
	v_lshl_add_u64 v[50:51], v[36:37], 1, v[48:49]
	flat_store_short v[50:51], v54
	v_mov_b32_e32 v50, 0
	v_mov_b32_e32 v51, 0
	s_cbranch_vccnz .LBB227_75
; %bb.74:
	v_lshl_add_u64 v[112:113], v[40:41], 1, v[46:47]
	flat_load_ushort v51, v[112:113]
	s_waitcnt vmcnt(0) lgkmcnt(0)
	v_mul_f16_e32 v51, s28, v51
	v_cvt_f32_f16_e32 v51, v51
.LBB227_75:
	v_pk_add_f16 v54, v6, v20
	v_max_f16_e32 v56, v101, v101
	v_lshrrev_b32_e32 v70, 16, v101
	v_pk_add_f16 v101, v7, v21
	v_min_f16_e32 v56, v56, v54
	v_lshrrev_b32_e32 v54, 16, v54
	v_lshrrev_b32_e32 v103, 16, v101
	v_min3_f16 v54, v70, v54, v103
	v_min3_f16 v54, v56, v101, v54
	v_cvt_f32_f16_e32 v54, v54
	v_max_f32_e32 v51, v51, v51
	v_lshl_add_u64 v[112:113], v[40:41], 1, v[48:49]
	s_and_b64 vcc, exec, s[0:1]
	v_min_f32_e32 v51, v51, v54
	v_cvt_f16_f32_e32 v51, v51
	;; [unrolled: 50-line block ×3, first 2 shown]
	flat_store_short v[112:113], v51
	s_cbranch_vccnz .LBB227_81
; %bb.80:
	v_lshl_add_u64 v[46:47], v[44:45], 1, v[46:47]
	flat_load_ushort v46, v[46:47]
	s_waitcnt vmcnt(0) lgkmcnt(0)
	v_mul_f16_e32 v46, s28, v46
	v_cvt_f32_f16_e32 v50, v46
.LBB227_81:
	v_pk_add_f16 v20, v24, v20
	v_max_f16_e32 v46, v93, v93
	v_pk_add_f16 v21, v25, v21
	v_min_f16_e32 v46, v46, v20
	v_lshrrev_b32_e32 v47, 16, v93
	v_lshrrev_b32_e32 v20, 16, v20
	;; [unrolled: 1-line block ×3, first 2 shown]
	v_min3_f16 v20, v47, v20, v51
	v_min3_f16 v20, v46, v21, v20
	v_cvt_f32_f16_e32 v20, v20
	v_max_f32_e32 v21, v50, v50
	s_and_b64 vcc, exec, s[0:1]
	v_mov_b32_e32 v47, 0
	v_min_f32_e32 v20, v21, v20
	v_cvt_f16_f32_e32 v46, v20
	v_lshl_add_u64 v[20:21], v[44:45], 1, v[48:49]
	v_mov_b32_e32 v48, 0
	flat_store_short v[20:21], v46
	v_add_u32_e32 v46, 64, v69
	v_mad_i64_i32 v[20:21], s[4:5], v46, s6, 0
	v_lshl_add_u64 v[20:21], v[20:21], 1, s[16:17]
	s_cbranch_vccnz .LBB227_83
; %bb.82:
	v_lshl_add_u64 v[50:51], v[28:29], 1, v[20:21]
	flat_load_ushort v47, v[50:51]
	s_waitcnt vmcnt(0) lgkmcnt(0)
	v_mul_f16_e32 v47, s28, v47
	v_cvt_f32_f16_e32 v47, v47
.LBB227_83:
	v_pk_add_f16 v49, v30, v22
	v_max_f16_e32 v50, v92, v92
	v_pk_add_f16 v54, v31, v23
	v_min_f16_e32 v50, v50, v49
	v_lshrrev_b32_e32 v51, 16, v92
	v_lshrrev_b32_e32 v49, 16, v49
	;; [unrolled: 1-line block ×3, first 2 shown]
	v_min3_f16 v49, v51, v49, v56
	v_min3_f16 v49, v50, v54, v49
	v_cvt_f32_f16_e32 v49, v49
	v_mad_i64_i32 v[50:51], s[4:5], v46, s7, 0
	v_max_f32_e32 v46, v47, v47
	v_min_f32_e32 v46, v46, v49
	v_cvt_f16_f32_e32 v49, v46
	v_lshl_add_u64 v[46:47], v[50:51], 1, s[2:3]
	v_lshl_add_u64 v[50:51], v[28:29], 1, v[46:47]
	s_and_b64 vcc, exec, s[0:1]
	flat_store_short v[50:51], v49
	s_cbranch_vccnz .LBB227_85
; %bb.84:
	v_lshl_add_u64 v[48:49], v[32:33], 1, v[20:21]
	flat_load_ushort v48, v[48:49]
	s_waitcnt vmcnt(0) lgkmcnt(0)
	v_mul_f16_e32 v48, s28, v48
	v_cvt_f32_f16_e32 v48, v48
.LBB227_85:
	v_pk_add_f16 v49, v8, v22
	v_max_f16_e32 v50, v90, v90
	v_pk_add_f16 v54, v9, v23
	v_min_f16_e32 v50, v50, v49
	v_lshrrev_b32_e32 v51, 16, v90
	v_lshrrev_b32_e32 v49, 16, v49
	v_lshrrev_b32_e32 v56, 16, v54
	v_min3_f16 v49, v51, v49, v56
	v_min3_f16 v49, v50, v54, v49
	v_cvt_f32_f16_e32 v49, v49
	v_max_f32_e32 v48, v48, v48
	s_and_b64 vcc, exec, s[0:1]
	v_min_f32_e32 v48, v48, v49
	v_cvt_f16_f32_e32 v50, v48
	v_lshl_add_u64 v[48:49], v[32:33], 1, v[46:47]
	flat_store_short v[48:49], v50
	v_mov_b32_e32 v48, 0
	v_mov_b32_e32 v49, 0
	s_cbranch_vccnz .LBB227_87
; %bb.86:
	v_lshl_add_u64 v[50:51], v[34:35], 1, v[20:21]
	flat_load_ushort v49, v[50:51]
	s_waitcnt vmcnt(0) lgkmcnt(0)
	v_mul_f16_e32 v49, s28, v49
	v_cvt_f32_f16_e32 v49, v49
.LBB227_87:
	v_pk_add_f16 v50, v10, v22
	v_max_f16_e32 v51, v88, v88
	v_pk_add_f16 v56, v11, v23
	v_min_f16_e32 v51, v51, v50
	v_lshrrev_b32_e32 v54, 16, v88
	v_lshrrev_b32_e32 v50, 16, v50
	v_lshrrev_b32_e32 v70, 16, v56
	v_min3_f16 v50, v54, v50, v70
	v_min3_f16 v50, v51, v56, v50
	v_cvt_f32_f16_e32 v50, v50
	v_max_f32_e32 v49, v49, v49
	s_and_b64 vcc, exec, s[0:1]
	v_min_f32_e32 v49, v49, v50
	v_cvt_f16_f32_e32 v49, v49
	v_lshl_add_u64 v[50:51], v[34:35], 1, v[46:47]
	flat_store_short v[50:51], v49
	s_cbranch_vccnz .LBB227_89
; %bb.88:
	v_lshl_add_u64 v[48:49], v[36:37], 1, v[20:21]
	flat_load_ushort v48, v[48:49]
	s_waitcnt vmcnt(0) lgkmcnt(0)
	v_mul_f16_e32 v48, s28, v48
	v_cvt_f32_f16_e32 v48, v48
.LBB227_89:
	v_pk_add_f16 v49, v4, v22
	v_max_f16_e32 v50, v86, v86
	v_pk_add_f16 v54, v5, v23
	v_min_f16_e32 v50, v50, v49
	v_lshrrev_b32_e32 v51, 16, v86
	v_lshrrev_b32_e32 v49, 16, v49
	v_lshrrev_b32_e32 v56, 16, v54
	v_min3_f16 v49, v51, v49, v56
	v_min3_f16 v49, v50, v54, v49
	v_cvt_f32_f16_e32 v49, v49
	v_max_f32_e32 v48, v48, v48
	s_and_b64 vcc, exec, s[0:1]
	v_min_f32_e32 v48, v48, v49
	v_cvt_f16_f32_e32 v50, v48
	v_lshl_add_u64 v[48:49], v[36:37], 1, v[46:47]
	flat_store_short v[48:49], v50
	v_mov_b32_e32 v48, 0
	v_mov_b32_e32 v49, 0
	s_cbranch_vccnz .LBB227_91
; %bb.90:
	v_lshl_add_u64 v[50:51], v[40:41], 1, v[20:21]
	flat_load_ushort v49, v[50:51]
	s_waitcnt vmcnt(0) lgkmcnt(0)
	v_mul_f16_e32 v49, s28, v49
	v_cvt_f32_f16_e32 v49, v49
.LBB227_91:
	v_pk_add_f16 v50, v6, v22
	v_max_f16_e32 v51, v84, v84
	v_pk_add_f16 v56, v7, v23
	v_min_f16_e32 v51, v51, v50
	v_lshrrev_b32_e32 v54, 16, v84
	v_lshrrev_b32_e32 v50, 16, v50
	v_lshrrev_b32_e32 v70, 16, v56
	v_min3_f16 v50, v54, v50, v70
	v_min3_f16 v50, v51, v56, v50
	v_cvt_f32_f16_e32 v50, v50
	v_max_f32_e32 v49, v49, v49
	s_and_b64 vcc, exec, s[0:1]
	v_min_f32_e32 v49, v49, v50
	v_cvt_f16_f32_e32 v49, v49
	v_lshl_add_u64 v[50:51], v[40:41], 1, v[46:47]
	;; [unrolled: 50-line block ×3, first 2 shown]
	flat_store_short v[50:51], v49
	s_cbranch_vccnz .LBB227_97
; %bb.96:
	v_lshl_add_u64 v[20:21], v[44:45], 1, v[20:21]
	flat_load_ushort v20, v[20:21]
	s_waitcnt vmcnt(0) lgkmcnt(0)
	v_mul_f16_e32 v20, s28, v20
	v_cvt_f32_f16_e32 v48, v20
.LBB227_97:
	v_pk_add_f16 v20, v24, v22
	v_max_f16_e32 v21, v110, v110
	v_pk_add_f16 v23, v25, v23
	v_min_f16_e32 v21, v21, v20
	v_lshrrev_b32_e32 v22, 16, v110
	v_lshrrev_b32_e32 v20, 16, v20
	;; [unrolled: 1-line block ×3, first 2 shown]
	v_min3_f16 v20, v22, v20, v49
	v_min3_f16 v20, v21, v23, v20
	v_cvt_f32_f16_e32 v20, v20
	v_max_f32_e32 v21, v48, v48
	s_and_b64 vcc, exec, s[0:1]
	v_mov_b32_e32 v23, 0
	v_min_f32_e32 v20, v21, v20
	v_cvt_f16_f32_e32 v22, v20
	v_lshl_add_u64 v[20:21], v[44:45], 1, v[46:47]
	v_mov_b32_e32 v46, 0
	flat_store_short v[20:21], v22
	v_add_u32_e32 v22, 0x60, v69
	v_mad_i64_i32 v[20:21], s[4:5], v22, s6, 0
	v_lshl_add_u64 v[20:21], v[20:21], 1, s[16:17]
	s_cbranch_vccnz .LBB227_99
; %bb.98:
	v_lshl_add_u64 v[48:49], v[28:29], 1, v[20:21]
	flat_load_ushort v23, v[48:49]
	s_waitcnt vmcnt(0) lgkmcnt(0)
	v_mul_f16_e32 v23, s28, v23
	v_cvt_f32_f16_e32 v23, v23
.LBB227_99:
	v_pk_add_f16 v47, v30, v16
	v_max_f16_e32 v48, v108, v108
	v_pk_add_f16 v50, v31, v17
	v_min_f16_e32 v48, v48, v47
	v_lshrrev_b32_e32 v49, 16, v108
	v_lshrrev_b32_e32 v47, 16, v47
	;; [unrolled: 1-line block ×3, first 2 shown]
	v_min3_f16 v47, v49, v47, v51
	v_min3_f16 v47, v48, v50, v47
	v_cvt_f32_f16_e32 v47, v47
	v_mad_i64_i32 v[48:49], s[4:5], v22, s7, 0
	v_max_f32_e32 v22, v23, v23
	v_min_f32_e32 v22, v22, v47
	v_cvt_f16_f32_e32 v47, v22
	v_lshl_add_u64 v[22:23], v[48:49], 1, s[2:3]
	v_lshl_add_u64 v[48:49], v[28:29], 1, v[22:23]
	s_and_b64 vcc, exec, s[0:1]
	flat_store_short v[48:49], v47
	s_cbranch_vccnz .LBB227_101
; %bb.100:
	v_lshl_add_u64 v[46:47], v[32:33], 1, v[20:21]
	flat_load_ushort v46, v[46:47]
	s_waitcnt vmcnt(0) lgkmcnt(0)
	v_mul_f16_e32 v46, s28, v46
	v_cvt_f32_f16_e32 v46, v46
.LBB227_101:
	v_pk_add_f16 v47, v8, v16
	v_max_f16_e32 v48, v106, v106
	v_pk_add_f16 v50, v9, v17
	v_min_f16_e32 v48, v48, v47
	v_lshrrev_b32_e32 v49, 16, v106
	v_lshrrev_b32_e32 v47, 16, v47
	v_lshrrev_b32_e32 v51, 16, v50
	v_min3_f16 v47, v49, v47, v51
	v_min3_f16 v47, v48, v50, v47
	v_cvt_f32_f16_e32 v47, v47
	v_max_f32_e32 v46, v46, v46
	s_and_b64 vcc, exec, s[0:1]
	v_min_f32_e32 v46, v46, v47
	v_cvt_f16_f32_e32 v48, v46
	v_lshl_add_u64 v[46:47], v[32:33], 1, v[22:23]
	flat_store_short v[46:47], v48
	v_mov_b32_e32 v46, 0
	v_mov_b32_e32 v47, 0
	s_cbranch_vccnz .LBB227_103
; %bb.102:
	v_lshl_add_u64 v[48:49], v[34:35], 1, v[20:21]
	flat_load_ushort v47, v[48:49]
	s_waitcnt vmcnt(0) lgkmcnt(0)
	v_mul_f16_e32 v47, s28, v47
	v_cvt_f32_f16_e32 v47, v47
.LBB227_103:
	v_pk_add_f16 v48, v10, v16
	v_max_f16_e32 v49, v104, v104
	v_pk_add_f16 v51, v11, v17
	v_min_f16_e32 v49, v49, v48
	v_lshrrev_b32_e32 v50, 16, v104
	v_lshrrev_b32_e32 v48, 16, v48
	v_lshrrev_b32_e32 v54, 16, v51
	v_min3_f16 v48, v50, v48, v54
	v_min3_f16 v48, v49, v51, v48
	v_cvt_f32_f16_e32 v48, v48
	v_max_f32_e32 v47, v47, v47
	s_and_b64 vcc, exec, s[0:1]
	v_min_f32_e32 v47, v47, v48
	v_cvt_f16_f32_e32 v47, v47
	v_lshl_add_u64 v[48:49], v[34:35], 1, v[22:23]
	flat_store_short v[48:49], v47
	s_cbranch_vccnz .LBB227_105
; %bb.104:
	v_lshl_add_u64 v[46:47], v[36:37], 1, v[20:21]
	flat_load_ushort v46, v[46:47]
	s_waitcnt vmcnt(0) lgkmcnt(0)
	v_mul_f16_e32 v46, s28, v46
	v_cvt_f32_f16_e32 v46, v46
.LBB227_105:
	v_pk_add_f16 v47, v4, v16
	v_max_f16_e32 v48, v102, v102
	v_pk_add_f16 v50, v5, v17
	v_min_f16_e32 v48, v48, v47
	v_lshrrev_b32_e32 v49, 16, v102
	v_lshrrev_b32_e32 v47, 16, v47
	v_lshrrev_b32_e32 v51, 16, v50
	v_min3_f16 v47, v49, v47, v51
	v_min3_f16 v47, v48, v50, v47
	v_cvt_f32_f16_e32 v47, v47
	v_max_f32_e32 v46, v46, v46
	s_and_b64 vcc, exec, s[0:1]
	v_min_f32_e32 v46, v46, v47
	v_cvt_f16_f32_e32 v48, v46
	v_lshl_add_u64 v[46:47], v[36:37], 1, v[22:23]
	flat_store_short v[46:47], v48
	v_mov_b32_e32 v46, 0
	v_mov_b32_e32 v47, 0
	s_cbranch_vccnz .LBB227_107
; %bb.106:
	v_lshl_add_u64 v[48:49], v[40:41], 1, v[20:21]
	flat_load_ushort v47, v[48:49]
	s_waitcnt vmcnt(0) lgkmcnt(0)
	v_mul_f16_e32 v47, s28, v47
	v_cvt_f32_f16_e32 v47, v47
.LBB227_107:
	v_pk_add_f16 v48, v6, v16
	v_max_f16_e32 v49, v100, v100
	v_pk_add_f16 v51, v7, v17
	v_min_f16_e32 v49, v49, v48
	v_lshrrev_b32_e32 v50, 16, v100
	v_lshrrev_b32_e32 v48, 16, v48
	v_lshrrev_b32_e32 v54, 16, v51
	v_min3_f16 v48, v50, v48, v54
	v_min3_f16 v48, v49, v51, v48
	v_cvt_f32_f16_e32 v48, v48
	v_max_f32_e32 v47, v47, v47
	s_and_b64 vcc, exec, s[0:1]
	v_min_f32_e32 v47, v47, v48
	v_cvt_f16_f32_e32 v47, v47
	v_lshl_add_u64 v[48:49], v[40:41], 1, v[22:23]
	;; [unrolled: 50-line block ×3, first 2 shown]
	flat_store_short v[48:49], v47
	s_cbranch_vccnz .LBB227_113
; %bb.112:
	v_lshl_add_u64 v[20:21], v[44:45], 1, v[20:21]
	flat_load_ushort v20, v[20:21]
	s_waitcnt vmcnt(0) lgkmcnt(0)
	v_mul_f16_e32 v20, s28, v20
	v_cvt_f32_f16_e32 v46, v20
.LBB227_113:
	v_pk_add_f16 v16, v24, v16
	v_max_f16_e32 v20, v95, v95
	v_pk_add_f16 v17, v25, v17
	v_min_f16_e32 v20, v20, v16
	v_lshrrev_b32_e32 v21, 16, v95
	v_lshrrev_b32_e32 v16, 16, v16
	;; [unrolled: 1-line block ×3, first 2 shown]
	v_min3_f16 v16, v21, v16, v47
	v_min3_f16 v16, v20, v17, v16
	v_cvt_f32_f16_e32 v16, v16
	v_max_f32_e32 v17, v46, v46
	s_and_b64 vcc, exec, s[0:1]
	v_mov_b32_e32 v21, 0
	v_min_f32_e32 v16, v17, v16
	v_cvt_f16_f32_e32 v20, v16
	v_lshl_add_u64 v[16:17], v[44:45], 1, v[22:23]
	v_mov_b32_e32 v22, 0
	flat_store_short v[16:17], v20
	v_add_u32_e32 v20, 0x80, v69
	v_mad_i64_i32 v[16:17], s[4:5], v20, s6, 0
	v_lshl_add_u64 v[16:17], v[16:17], 1, s[16:17]
	s_cbranch_vccnz .LBB227_115
; %bb.114:
	v_lshl_add_u64 v[46:47], v[28:29], 1, v[16:17]
	flat_load_ushort v21, v[46:47]
	s_waitcnt vmcnt(0) lgkmcnt(0)
	v_mul_f16_e32 v21, s28, v21
	v_cvt_f32_f16_e32 v21, v21
.LBB227_115:
	v_pk_add_f16 v23, v30, v18
	v_max_f16_e32 v46, v94, v94
	v_pk_add_f16 v48, v31, v19
	v_min_f16_e32 v46, v46, v23
	v_lshrrev_b32_e32 v47, 16, v94
	v_lshrrev_b32_e32 v23, 16, v23
	;; [unrolled: 1-line block ×3, first 2 shown]
	v_min3_f16 v23, v47, v23, v49
	v_min3_f16 v23, v46, v48, v23
	v_cvt_f32_f16_e32 v23, v23
	v_mad_i64_i32 v[46:47], s[4:5], v20, s7, 0
	v_max_f32_e32 v20, v21, v21
	v_min_f32_e32 v20, v20, v23
	v_cvt_f16_f32_e32 v23, v20
	v_lshl_add_u64 v[20:21], v[46:47], 1, s[2:3]
	v_lshl_add_u64 v[46:47], v[28:29], 1, v[20:21]
	s_and_b64 vcc, exec, s[0:1]
	flat_store_short v[46:47], v23
	s_cbranch_vccnz .LBB227_117
; %bb.116:
	v_lshl_add_u64 v[22:23], v[32:33], 1, v[16:17]
	flat_load_ushort v22, v[22:23]
	s_waitcnt vmcnt(0) lgkmcnt(0)
	v_mul_f16_e32 v22, s28, v22
	v_cvt_f32_f16_e32 v22, v22
.LBB227_117:
	v_pk_add_f16 v23, v8, v18
	v_max_f16_e32 v46, v91, v91
	v_pk_add_f16 v48, v9, v19
	v_min_f16_e32 v46, v46, v23
	v_lshrrev_b32_e32 v47, 16, v91
	v_lshrrev_b32_e32 v23, 16, v23
	v_lshrrev_b32_e32 v49, 16, v48
	v_min3_f16 v23, v47, v23, v49
	v_min3_f16 v23, v46, v48, v23
	v_cvt_f32_f16_e32 v23, v23
	v_max_f32_e32 v22, v22, v22
	s_and_b64 vcc, exec, s[0:1]
	v_min_f32_e32 v22, v22, v23
	v_cvt_f16_f32_e32 v46, v22
	v_lshl_add_u64 v[22:23], v[32:33], 1, v[20:21]
	flat_store_short v[22:23], v46
	v_mov_b32_e32 v22, 0
	v_mov_b32_e32 v23, 0
	s_cbranch_vccnz .LBB227_119
; %bb.118:
	v_lshl_add_u64 v[46:47], v[34:35], 1, v[16:17]
	flat_load_ushort v23, v[46:47]
	s_waitcnt vmcnt(0) lgkmcnt(0)
	v_mul_f16_e32 v23, s28, v23
	v_cvt_f32_f16_e32 v23, v23
.LBB227_119:
	v_pk_add_f16 v46, v10, v18
	v_max_f16_e32 v47, v89, v89
	v_pk_add_f16 v49, v11, v19
	v_min_f16_e32 v47, v47, v46
	v_lshrrev_b32_e32 v48, 16, v89
	v_lshrrev_b32_e32 v46, 16, v46
	v_lshrrev_b32_e32 v50, 16, v49
	v_min3_f16 v46, v48, v46, v50
	v_min3_f16 v46, v47, v49, v46
	v_cvt_f32_f16_e32 v46, v46
	v_max_f32_e32 v23, v23, v23
	s_and_b64 vcc, exec, s[0:1]
	v_min_f32_e32 v23, v23, v46
	v_cvt_f16_f32_e32 v23, v23
	v_lshl_add_u64 v[46:47], v[34:35], 1, v[20:21]
	flat_store_short v[46:47], v23
	s_cbranch_vccnz .LBB227_121
; %bb.120:
	v_lshl_add_u64 v[22:23], v[36:37], 1, v[16:17]
	flat_load_ushort v22, v[22:23]
	s_waitcnt vmcnt(0) lgkmcnt(0)
	v_mul_f16_e32 v22, s28, v22
	v_cvt_f32_f16_e32 v22, v22
.LBB227_121:
	v_pk_add_f16 v23, v4, v18
	v_max_f16_e32 v46, v87, v87
	v_pk_add_f16 v48, v5, v19
	v_min_f16_e32 v46, v46, v23
	v_lshrrev_b32_e32 v47, 16, v87
	v_lshrrev_b32_e32 v23, 16, v23
	v_lshrrev_b32_e32 v49, 16, v48
	v_min3_f16 v23, v47, v23, v49
	v_min3_f16 v23, v46, v48, v23
	v_cvt_f32_f16_e32 v23, v23
	v_max_f32_e32 v22, v22, v22
	s_and_b64 vcc, exec, s[0:1]
	v_min_f32_e32 v22, v22, v23
	v_cvt_f16_f32_e32 v46, v22
	v_lshl_add_u64 v[22:23], v[36:37], 1, v[20:21]
	flat_store_short v[22:23], v46
	v_mov_b32_e32 v22, 0
	v_mov_b32_e32 v23, 0
	s_cbranch_vccnz .LBB227_123
; %bb.122:
	v_lshl_add_u64 v[46:47], v[40:41], 1, v[16:17]
	flat_load_ushort v23, v[46:47]
	s_waitcnt vmcnt(0) lgkmcnt(0)
	v_mul_f16_e32 v23, s28, v23
	v_cvt_f32_f16_e32 v23, v23
.LBB227_123:
	v_pk_add_f16 v46, v6, v18
	v_max_f16_e32 v47, v85, v85
	v_pk_add_f16 v49, v7, v19
	v_min_f16_e32 v47, v47, v46
	v_lshrrev_b32_e32 v48, 16, v85
	v_lshrrev_b32_e32 v46, 16, v46
	v_lshrrev_b32_e32 v50, 16, v49
	v_min3_f16 v46, v48, v46, v50
	v_min3_f16 v46, v47, v49, v46
	v_cvt_f32_f16_e32 v46, v46
	v_max_f32_e32 v23, v23, v23
	s_and_b64 vcc, exec, s[0:1]
	v_min_f32_e32 v23, v23, v46
	v_cvt_f16_f32_e32 v23, v23
	v_lshl_add_u64 v[46:47], v[40:41], 1, v[20:21]
	;; [unrolled: 50-line block ×3, first 2 shown]
	flat_store_short v[46:47], v23
	s_cbranch_vccnz .LBB227_129
; %bb.128:
	v_lshl_add_u64 v[16:17], v[44:45], 1, v[16:17]
	flat_load_ushort v16, v[16:17]
	s_waitcnt vmcnt(0) lgkmcnt(0)
	v_mul_f16_e32 v16, s28, v16
	v_cvt_f32_f16_e32 v22, v16
.LBB227_129:
	v_pk_add_f16 v16, v24, v18
	v_max_f16_e32 v17, v80, v80
	v_pk_add_f16 v19, v25, v19
	v_min_f16_e32 v17, v17, v16
	v_lshrrev_b32_e32 v18, 16, v80
	v_lshrrev_b32_e32 v16, 16, v16
	;; [unrolled: 1-line block ×3, first 2 shown]
	v_min3_f16 v16, v18, v16, v23
	v_min3_f16 v16, v17, v19, v16
	v_cvt_f32_f16_e32 v16, v16
	v_max_f32_e32 v17, v22, v22
	s_and_b64 vcc, exec, s[0:1]
	v_mov_b32_e32 v19, 0
	v_min_f32_e32 v16, v17, v16
	v_cvt_f16_f32_e32 v18, v16
	v_lshl_add_u64 v[16:17], v[44:45], 1, v[20:21]
	v_mov_b32_e32 v20, 0
	flat_store_short v[16:17], v18
	v_add_u32_e32 v18, 0xa0, v69
	v_mad_i64_i32 v[16:17], s[4:5], v18, s6, 0
	v_lshl_add_u64 v[16:17], v[16:17], 1, s[16:17]
	s_cbranch_vccnz .LBB227_131
; %bb.130:
	v_lshl_add_u64 v[22:23], v[28:29], 1, v[16:17]
	flat_load_ushort v19, v[22:23]
	s_waitcnt vmcnt(0) lgkmcnt(0)
	v_mul_f16_e32 v19, s28, v19
	v_cvt_f32_f16_e32 v19, v19
.LBB227_131:
	v_pk_add_f16 v21, v30, v12
	v_max_f16_e32 v22, v79, v79
	v_pk_add_f16 v46, v31, v13
	v_min_f16_e32 v22, v22, v21
	v_lshrrev_b32_e32 v23, 16, v79
	v_lshrrev_b32_e32 v21, 16, v21
	;; [unrolled: 1-line block ×3, first 2 shown]
	v_min3_f16 v21, v23, v21, v47
	v_min3_f16 v21, v22, v46, v21
	v_cvt_f32_f16_e32 v21, v21
	v_mad_i64_i32 v[22:23], s[4:5], v18, s7, 0
	v_max_f32_e32 v18, v19, v19
	v_min_f32_e32 v18, v18, v21
	v_cvt_f16_f32_e32 v21, v18
	v_lshl_add_u64 v[18:19], v[22:23], 1, s[2:3]
	v_lshl_add_u64 v[22:23], v[28:29], 1, v[18:19]
	s_and_b64 vcc, exec, s[0:1]
	flat_store_short v[22:23], v21
	s_cbranch_vccnz .LBB227_133
; %bb.132:
	v_lshl_add_u64 v[20:21], v[32:33], 1, v[16:17]
	flat_load_ushort v20, v[20:21]
	s_waitcnt vmcnt(0) lgkmcnt(0)
	v_mul_f16_e32 v20, s28, v20
	v_cvt_f32_f16_e32 v20, v20
.LBB227_133:
	v_pk_add_f16 v21, v8, v12
	v_max_f16_e32 v22, v78, v78
	v_pk_add_f16 v46, v9, v13
	v_min_f16_e32 v22, v22, v21
	v_lshrrev_b32_e32 v23, 16, v78
	v_lshrrev_b32_e32 v21, 16, v21
	v_lshrrev_b32_e32 v47, 16, v46
	v_min3_f16 v21, v23, v21, v47
	v_min3_f16 v21, v22, v46, v21
	v_cvt_f32_f16_e32 v21, v21
	v_max_f32_e32 v20, v20, v20
	s_and_b64 vcc, exec, s[0:1]
	v_min_f32_e32 v20, v20, v21
	v_cvt_f16_f32_e32 v22, v20
	v_lshl_add_u64 v[20:21], v[32:33], 1, v[18:19]
	flat_store_short v[20:21], v22
	v_mov_b32_e32 v20, 0
	v_mov_b32_e32 v21, 0
	s_cbranch_vccnz .LBB227_135
; %bb.134:
	v_lshl_add_u64 v[22:23], v[34:35], 1, v[16:17]
	flat_load_ushort v21, v[22:23]
	s_waitcnt vmcnt(0) lgkmcnt(0)
	v_mul_f16_e32 v21, s28, v21
	v_cvt_f32_f16_e32 v21, v21
.LBB227_135:
	v_pk_add_f16 v22, v10, v12
	v_max_f16_e32 v23, v77, v77
	v_pk_add_f16 v47, v11, v13
	v_min_f16_e32 v23, v23, v22
	v_lshrrev_b32_e32 v46, 16, v77
	v_lshrrev_b32_e32 v22, 16, v22
	v_lshrrev_b32_e32 v48, 16, v47
	v_min3_f16 v22, v46, v22, v48
	v_min3_f16 v22, v23, v47, v22
	v_cvt_f32_f16_e32 v22, v22
	v_max_f32_e32 v21, v21, v21
	s_and_b64 vcc, exec, s[0:1]
	v_min_f32_e32 v21, v21, v22
	v_cvt_f16_f32_e32 v21, v21
	v_lshl_add_u64 v[22:23], v[34:35], 1, v[18:19]
	flat_store_short v[22:23], v21
	s_cbranch_vccnz .LBB227_137
; %bb.136:
	v_lshl_add_u64 v[20:21], v[36:37], 1, v[16:17]
	flat_load_ushort v20, v[20:21]
	s_waitcnt vmcnt(0) lgkmcnt(0)
	v_mul_f16_e32 v20, s28, v20
	v_cvt_f32_f16_e32 v20, v20
.LBB227_137:
	v_pk_add_f16 v21, v4, v12
	v_max_f16_e32 v22, v76, v76
	v_pk_add_f16 v46, v5, v13
	v_min_f16_e32 v22, v22, v21
	v_lshrrev_b32_e32 v23, 16, v76
	v_lshrrev_b32_e32 v21, 16, v21
	v_lshrrev_b32_e32 v47, 16, v46
	v_min3_f16 v21, v23, v21, v47
	v_min3_f16 v21, v22, v46, v21
	v_cvt_f32_f16_e32 v21, v21
	v_max_f32_e32 v20, v20, v20
	s_and_b64 vcc, exec, s[0:1]
	v_min_f32_e32 v20, v20, v21
	v_cvt_f16_f32_e32 v22, v20
	v_lshl_add_u64 v[20:21], v[36:37], 1, v[18:19]
	flat_store_short v[20:21], v22
	v_mov_b32_e32 v20, 0
	v_mov_b32_e32 v21, 0
	s_cbranch_vccnz .LBB227_139
; %bb.138:
	v_lshl_add_u64 v[22:23], v[40:41], 1, v[16:17]
	flat_load_ushort v21, v[22:23]
	s_waitcnt vmcnt(0) lgkmcnt(0)
	v_mul_f16_e32 v21, s28, v21
	v_cvt_f32_f16_e32 v21, v21
.LBB227_139:
	v_pk_add_f16 v22, v6, v12
	v_max_f16_e32 v23, v75, v75
	v_pk_add_f16 v47, v7, v13
	v_min_f16_e32 v23, v23, v22
	v_lshrrev_b32_e32 v46, 16, v75
	v_lshrrev_b32_e32 v22, 16, v22
	v_lshrrev_b32_e32 v48, 16, v47
	v_min3_f16 v22, v46, v22, v48
	v_min3_f16 v22, v23, v47, v22
	v_cvt_f32_f16_e32 v22, v22
	v_max_f32_e32 v21, v21, v21
	s_and_b64 vcc, exec, s[0:1]
	v_min_f32_e32 v21, v21, v22
	v_cvt_f16_f32_e32 v21, v21
	v_lshl_add_u64 v[22:23], v[40:41], 1, v[18:19]
	;; [unrolled: 50-line block ×3, first 2 shown]
	flat_store_short v[22:23], v21
	s_cbranch_vccnz .LBB227_145
; %bb.144:
	v_lshl_add_u64 v[16:17], v[44:45], 1, v[16:17]
	flat_load_ushort v16, v[16:17]
	s_waitcnt vmcnt(0) lgkmcnt(0)
	v_mul_f16_e32 v16, s28, v16
	v_cvt_f32_f16_e32 v20, v16
.LBB227_145:
	v_pk_add_f16 v12, v24, v12
	v_max_f16_e32 v16, v74, v74
	v_pk_add_f16 v13, v25, v13
	v_min_f16_e32 v16, v16, v12
	v_lshrrev_b32_e32 v17, 16, v74
	v_lshrrev_b32_e32 v12, 16, v12
	;; [unrolled: 1-line block ×3, first 2 shown]
	v_min3_f16 v12, v17, v12, v21
	v_min3_f16 v12, v16, v13, v12
	v_cvt_f32_f16_e32 v12, v12
	v_max_f32_e32 v13, v20, v20
	s_and_b64 vcc, exec, s[0:1]
	v_mov_b32_e32 v17, 0
	v_min_f32_e32 v12, v13, v12
	v_cvt_f16_f32_e32 v16, v12
	v_lshl_add_u64 v[12:13], v[44:45], 1, v[18:19]
	v_mov_b32_e32 v18, 0
	flat_store_short v[12:13], v16
	v_add_u32_e32 v16, 0xc0, v69
	v_mad_i64_i32 v[12:13], s[4:5], v16, s6, 0
	v_lshl_add_u64 v[12:13], v[12:13], 1, s[16:17]
	s_cbranch_vccnz .LBB227_147
; %bb.146:
	v_lshl_add_u64 v[20:21], v[28:29], 1, v[12:13]
	flat_load_ushort v17, v[20:21]
	s_waitcnt vmcnt(0) lgkmcnt(0)
	v_mul_f16_e32 v17, s28, v17
	v_cvt_f32_f16_e32 v17, v17
.LBB227_147:
	v_pk_add_f16 v19, v30, v14
	v_max_f16_e32 v20, v71, v71
	v_pk_add_f16 v22, v31, v15
	v_min_f16_e32 v20, v20, v19
	v_lshrrev_b32_e32 v21, 16, v71
	v_lshrrev_b32_e32 v19, 16, v19
	;; [unrolled: 1-line block ×3, first 2 shown]
	v_min3_f16 v19, v21, v19, v23
	v_min3_f16 v19, v20, v22, v19
	v_cvt_f32_f16_e32 v19, v19
	v_mad_i64_i32 v[20:21], s[4:5], v16, s7, 0
	v_max_f32_e32 v16, v17, v17
	v_min_f32_e32 v16, v16, v19
	v_cvt_f16_f32_e32 v19, v16
	v_lshl_add_u64 v[16:17], v[20:21], 1, s[2:3]
	v_lshl_add_u64 v[20:21], v[28:29], 1, v[16:17]
	s_and_b64 vcc, exec, s[0:1]
	flat_store_short v[20:21], v19
	s_cbranch_vccnz .LBB227_149
; %bb.148:
	v_lshl_add_u64 v[18:19], v[32:33], 1, v[12:13]
	flat_load_ushort v18, v[18:19]
	s_waitcnt vmcnt(0) lgkmcnt(0)
	v_mul_f16_e32 v18, s28, v18
	v_cvt_f32_f16_e32 v18, v18
.LBB227_149:
	v_pk_add_f16 v19, v8, v14
	v_max_f16_e32 v20, v68, v68
	v_pk_add_f16 v22, v9, v15
	v_min_f16_e32 v20, v20, v19
	v_lshrrev_b32_e32 v21, 16, v68
	v_lshrrev_b32_e32 v19, 16, v19
	v_lshrrev_b32_e32 v23, 16, v22
	v_min3_f16 v19, v21, v19, v23
	v_min3_f16 v19, v20, v22, v19
	v_cvt_f32_f16_e32 v19, v19
	v_max_f32_e32 v18, v18, v18
	s_and_b64 vcc, exec, s[0:1]
	v_min_f32_e32 v18, v18, v19
	v_cvt_f16_f32_e32 v20, v18
	v_lshl_add_u64 v[18:19], v[32:33], 1, v[16:17]
	flat_store_short v[18:19], v20
	v_mov_b32_e32 v18, 0
	v_mov_b32_e32 v19, 0
	s_cbranch_vccnz .LBB227_151
; %bb.150:
	v_lshl_add_u64 v[20:21], v[34:35], 1, v[12:13]
	flat_load_ushort v19, v[20:21]
	s_waitcnt vmcnt(0) lgkmcnt(0)
	v_mul_f16_e32 v19, s28, v19
	v_cvt_f32_f16_e32 v19, v19
.LBB227_151:
	v_pk_add_f16 v20, v10, v14
	v_max_f16_e32 v21, v67, v67
	v_pk_add_f16 v23, v11, v15
	v_min_f16_e32 v21, v21, v20
	v_lshrrev_b32_e32 v22, 16, v67
	v_lshrrev_b32_e32 v20, 16, v20
	v_lshrrev_b32_e32 v46, 16, v23
	v_min3_f16 v20, v22, v20, v46
	v_min3_f16 v20, v21, v23, v20
	v_cvt_f32_f16_e32 v20, v20
	v_max_f32_e32 v19, v19, v19
	s_and_b64 vcc, exec, s[0:1]
	v_min_f32_e32 v19, v19, v20
	v_cvt_f16_f32_e32 v19, v19
	v_lshl_add_u64 v[20:21], v[34:35], 1, v[16:17]
	flat_store_short v[20:21], v19
	s_cbranch_vccnz .LBB227_153
; %bb.152:
	v_lshl_add_u64 v[18:19], v[36:37], 1, v[12:13]
	flat_load_ushort v18, v[18:19]
	s_waitcnt vmcnt(0) lgkmcnt(0)
	v_mul_f16_e32 v18, s28, v18
	v_cvt_f32_f16_e32 v18, v18
.LBB227_153:
	v_pk_add_f16 v19, v4, v14
	v_max_f16_e32 v20, v66, v66
	v_pk_add_f16 v22, v5, v15
	v_min_f16_e32 v20, v20, v19
	v_lshrrev_b32_e32 v21, 16, v66
	v_lshrrev_b32_e32 v19, 16, v19
	v_lshrrev_b32_e32 v23, 16, v22
	v_min3_f16 v19, v21, v19, v23
	v_min3_f16 v19, v20, v22, v19
	v_cvt_f32_f16_e32 v19, v19
	v_max_f32_e32 v18, v18, v18
	s_and_b64 vcc, exec, s[0:1]
	v_min_f32_e32 v18, v18, v19
	v_cvt_f16_f32_e32 v20, v18
	v_lshl_add_u64 v[18:19], v[36:37], 1, v[16:17]
	flat_store_short v[18:19], v20
	v_mov_b32_e32 v18, 0
	v_mov_b32_e32 v19, 0
	s_cbranch_vccnz .LBB227_155
; %bb.154:
	v_lshl_add_u64 v[20:21], v[40:41], 1, v[12:13]
	flat_load_ushort v19, v[20:21]
	s_waitcnt vmcnt(0) lgkmcnt(0)
	v_mul_f16_e32 v19, s28, v19
	v_cvt_f32_f16_e32 v19, v19
.LBB227_155:
	v_pk_add_f16 v20, v6, v14
	v_max_f16_e32 v21, v65, v65
	v_pk_add_f16 v23, v7, v15
	v_min_f16_e32 v21, v21, v20
	v_lshrrev_b32_e32 v22, 16, v65
	v_lshrrev_b32_e32 v20, 16, v20
	v_lshrrev_b32_e32 v46, 16, v23
	v_min3_f16 v20, v22, v20, v46
	v_min3_f16 v20, v21, v23, v20
	v_cvt_f32_f16_e32 v20, v20
	v_max_f32_e32 v19, v19, v19
	s_and_b64 vcc, exec, s[0:1]
	v_min_f32_e32 v19, v19, v20
	v_cvt_f16_f32_e32 v19, v19
	v_lshl_add_u64 v[20:21], v[40:41], 1, v[16:17]
	;; [unrolled: 50-line block ×3, first 2 shown]
	flat_store_short v[20:21], v19
	s_cbranch_vccnz .LBB227_161
; %bb.160:
	v_lshl_add_u64 v[12:13], v[44:45], 1, v[12:13]
	flat_load_ushort v12, v[12:13]
	s_waitcnt vmcnt(0) lgkmcnt(0)
	v_mul_f16_e32 v12, s28, v12
	v_cvt_f32_f16_e32 v18, v12
.LBB227_161:
	v_pk_add_f16 v12, v24, v14
	v_max_f16_e32 v13, v62, v62
	v_pk_add_f16 v15, v25, v15
	v_min_f16_e32 v13, v13, v12
	v_lshrrev_b32_e32 v14, 16, v62
	v_lshrrev_b32_e32 v12, 16, v12
	;; [unrolled: 1-line block ×3, first 2 shown]
	v_min3_f16 v12, v14, v12, v19
	v_min3_f16 v12, v13, v15, v12
	v_cvt_f32_f16_e32 v12, v12
	v_max_f32_e32 v13, v18, v18
	s_and_b64 vcc, exec, s[0:1]
	v_mov_b32_e32 v15, 0
	v_min_f32_e32 v12, v13, v12
	v_cvt_f16_f32_e32 v14, v12
	v_lshl_add_u64 v[12:13], v[44:45], 1, v[16:17]
	v_mov_b32_e32 v16, 0
	flat_store_short v[12:13], v14
	v_add_u32_e32 v14, 0xe0, v69
	v_mad_i64_i32 v[12:13], s[4:5], v14, s6, 0
	v_lshl_add_u64 v[12:13], v[12:13], 1, s[16:17]
	s_cbranch_vccnz .LBB227_163
; %bb.162:
	v_lshl_add_u64 v[18:19], v[28:29], 1, v[12:13]
	flat_load_ushort v15, v[18:19]
	s_waitcnt vmcnt(0) lgkmcnt(0)
	v_mul_f16_e32 v15, s28, v15
	v_cvt_f32_f16_e32 v15, v15
.LBB227_163:
	v_pk_add_f16 v17, v30, v26
	v_max_f16_e32 v18, v61, v61
	v_pk_add_f16 v20, v31, v27
	v_min_f16_e32 v18, v18, v17
	v_lshrrev_b32_e32 v19, 16, v61
	v_lshrrev_b32_e32 v17, 16, v17
	;; [unrolled: 1-line block ×3, first 2 shown]
	v_min3_f16 v17, v19, v17, v21
	v_min3_f16 v17, v18, v20, v17
	v_cvt_f32_f16_e32 v17, v17
	v_mad_i64_i32 v[18:19], s[4:5], v14, s7, 0
	v_max_f32_e32 v14, v15, v15
	v_min_f32_e32 v14, v14, v17
	v_cvt_f16_f32_e32 v17, v14
	v_lshl_add_u64 v[14:15], v[18:19], 1, s[2:3]
	v_lshl_add_u64 v[18:19], v[28:29], 1, v[14:15]
	s_and_b64 vcc, exec, s[0:1]
	flat_store_short v[18:19], v17
	s_cbranch_vccnz .LBB227_165
; %bb.164:
	v_lshl_add_u64 v[16:17], v[32:33], 1, v[12:13]
	flat_load_ushort v16, v[16:17]
	s_waitcnt vmcnt(0) lgkmcnt(0)
	v_mul_f16_e32 v16, s28, v16
	v_cvt_f32_f16_e32 v16, v16
.LBB227_165:
	v_pk_add_f16 v8, v8, v26
	v_max_f16_e32 v17, v60, v60
	v_pk_add_f16 v9, v9, v27
	v_min_f16_e32 v17, v17, v8
	v_lshrrev_b32_e32 v18, 16, v60
	v_lshrrev_b32_e32 v8, 16, v8
	;; [unrolled: 1-line block ×3, first 2 shown]
	v_min3_f16 v8, v18, v8, v19
	v_min3_f16 v8, v17, v9, v8
	v_cvt_f32_f16_e32 v8, v8
	v_max_f32_e32 v9, v16, v16
	s_and_b64 vcc, exec, s[0:1]
	v_min_f32_e32 v8, v9, v8
	v_cvt_f16_f32_e32 v16, v8
	v_lshl_add_u64 v[8:9], v[32:33], 1, v[14:15]
	flat_store_short v[8:9], v16
	v_mov_b32_e32 v8, 0
	v_mov_b32_e32 v9, 0
	s_cbranch_vccnz .LBB227_167
; %bb.166:
	v_lshl_add_u64 v[16:17], v[34:35], 1, v[12:13]
	flat_load_ushort v9, v[16:17]
	s_waitcnt vmcnt(0) lgkmcnt(0)
	v_mul_f16_e32 v9, s28, v9
	v_cvt_f32_f16_e32 v9, v9
.LBB227_167:
	v_pk_add_f16 v10, v10, v26
	v_max_f16_e32 v16, v58, v58
	v_pk_add_f16 v11, v11, v27
	v_min_f16_e32 v16, v16, v10
	v_lshrrev_b32_e32 v17, 16, v58
	v_lshrrev_b32_e32 v10, 16, v10
	;; [unrolled: 1-line block ×3, first 2 shown]
	v_min3_f16 v10, v17, v10, v18
	v_min3_f16 v10, v16, v11, v10
	v_cvt_f32_f16_e32 v10, v10
	v_max_f32_e32 v9, v9, v9
	s_and_b64 vcc, exec, s[0:1]
	v_min_f32_e32 v9, v9, v10
	v_cvt_f16_f32_e32 v9, v9
	v_lshl_add_u64 v[10:11], v[34:35], 1, v[14:15]
	flat_store_short v[10:11], v9
	s_cbranch_vccnz .LBB227_169
; %bb.168:
	v_lshl_add_u64 v[8:9], v[36:37], 1, v[12:13]
	flat_load_ushort v8, v[8:9]
	s_waitcnt vmcnt(0) lgkmcnt(0)
	v_mul_f16_e32 v8, s28, v8
	v_cvt_f32_f16_e32 v8, v8
.LBB227_169:
	v_pk_add_f16 v4, v4, v26
	v_max_f16_e32 v9, v57, v57
	v_pk_add_f16 v5, v5, v27
	v_min_f16_e32 v9, v9, v4
	v_lshrrev_b32_e32 v10, 16, v57
	v_lshrrev_b32_e32 v4, 16, v4
	;; [unrolled: 1-line block ×3, first 2 shown]
	v_min3_f16 v4, v10, v4, v11
	v_min3_f16 v4, v9, v5, v4
	v_cvt_f32_f16_e32 v4, v4
	v_max_f32_e32 v5, v8, v8
	s_and_b64 vcc, exec, s[0:1]
	v_min_f32_e32 v4, v5, v4
	v_cvt_f16_f32_e32 v8, v4
	v_lshl_add_u64 v[4:5], v[36:37], 1, v[14:15]
	flat_store_short v[4:5], v8
	v_mov_b32_e32 v4, 0
	v_mov_b32_e32 v5, 0
	s_cbranch_vccnz .LBB227_171
; %bb.170:
	v_lshl_add_u64 v[8:9], v[40:41], 1, v[12:13]
	flat_load_ushort v5, v[8:9]
	s_waitcnt vmcnt(0) lgkmcnt(0)
	v_mul_f16_e32 v5, s28, v5
	v_cvt_f32_f16_e32 v5, v5
.LBB227_171:
	v_pk_add_f16 v6, v6, v26
	v_max_f16_e32 v8, v55, v55
	v_pk_add_f16 v7, v7, v27
	v_min_f16_e32 v8, v8, v6
	v_lshrrev_b32_e32 v9, 16, v55
	v_lshrrev_b32_e32 v6, 16, v6
	;; [unrolled: 1-line block ×3, first 2 shown]
	v_min3_f16 v6, v9, v6, v10
	v_min3_f16 v6, v8, v7, v6
	v_cvt_f32_f16_e32 v6, v6
	v_max_f32_e32 v5, v5, v5
	s_and_b64 vcc, exec, s[0:1]
	v_min_f32_e32 v5, v5, v6
	v_cvt_f16_f32_e32 v5, v5
	v_lshl_add_u64 v[6:7], v[40:41], 1, v[14:15]
	flat_store_short v[6:7], v5
	s_cbranch_vccnz .LBB227_173
; %bb.172:
	v_lshl_add_u64 v[4:5], v[38:39], 1, v[12:13]
	flat_load_ushort v4, v[4:5]
	s_waitcnt vmcnt(0) lgkmcnt(0)
	v_mul_f16_e32 v4, s28, v4
	v_cvt_f32_f16_e32 v4, v4
.LBB227_173:
	v_pk_add_f16 v0, v0, v26
	v_max_f16_e32 v5, v52, v52
	v_pk_add_f16 v1, v1, v27
	v_min_f16_e32 v5, v5, v0
	v_lshrrev_b32_e32 v6, 16, v52
	v_lshrrev_b32_e32 v0, 16, v0
	;; [unrolled: 1-line block ×3, first 2 shown]
	v_min3_f16 v0, v6, v0, v7
	v_min3_f16 v0, v5, v1, v0
	v_cvt_f32_f16_e32 v0, v0
	v_max_f32_e32 v4, v4, v4
	v_pk_add_f16 v1, v2, v26
	v_max_f16_e32 v2, v53, v53
	v_min_f32_e32 v0, v4, v0
	v_cvt_f16_f32_e32 v4, v0
	v_pk_add_f16 v3, v3, v27
	v_min_f16_e32 v2, v2, v1
	v_lshrrev_b32_e32 v5, 16, v53
	v_lshrrev_b32_e32 v1, 16, v1
	;; [unrolled: 1-line block ×3, first 2 shown]
	v_min3_f16 v5, v5, v1, v0
	v_lshl_add_u64 v[0:1], v[38:39], 1, v[14:15]
	flat_store_short v[0:1], v4
	v_min3_f16 v0, v2, v3, v5
	s_mov_b64 s[0:1], -1
	s_mov_b64 vcc, s[8:9]
	s_cbranch_vccz .LBB227_175
; %bb.174:
	v_cvt_f32_f16_e32 v1, v0
	v_lshl_add_u64 v[2:3], v[42:43], 1, v[14:15]
	s_mov_b64 s[0:1], 0
	v_min_f32_e32 v1, 0, v1
	v_cvt_f16_f32_e32 v1, v1
	flat_store_short v[2:3], v1
.LBB227_175:
	s_andn2_b64 vcc, exec, s[0:1]
	v_mov_b32_e32 v1, 0
	s_cbranch_vccnz .LBB227_177
; %bb.176:
	v_lshlrev_b64 v[2:3], 1, v[42:43]
	v_lshl_add_u64 v[4:5], v[12:13], 0, v[2:3]
	flat_load_ushort v4, v[4:5]
	v_max_f16_e32 v5, v0, v0
	v_lshl_add_u64 v[0:1], v[14:15], 0, v[2:3]
	s_waitcnt vmcnt(0) lgkmcnt(0)
	v_mul_f16_e32 v2, s28, v4
	v_min_f16_e32 v2, v2, v5
	flat_store_short v[0:1], v2
	v_lshl_add_u64 v[0:1], v[44:45], 1, v[12:13]
	flat_load_ushort v0, v[0:1]
	s_waitcnt vmcnt(0) lgkmcnt(0)
	v_mul_f16_e32 v0, s28, v0
	v_cvt_f32_f16_e32 v1, v0
.LBB227_177:
	v_pk_add_f16 v0, v24, v26
	v_max_f16_e32 v2, v59, v59
	v_pk_add_f16 v3, v25, v27
	v_min_f16_e32 v2, v2, v0
	v_lshrrev_b32_e32 v4, 16, v59
	v_lshrrev_b32_e32 v0, 16, v0
	;; [unrolled: 1-line block ×3, first 2 shown]
	v_min3_f16 v0, v4, v0, v5
	v_min3_f16 v0, v2, v3, v0
	v_cvt_f32_f16_e32 v0, v0
	v_max_f32_e32 v1, v1, v1
	v_min_f32_e32 v0, v1, v0
	v_cvt_f16_f32_e32 v2, v0
	v_lshl_add_u64 v[0:1], v[44:45], 1, v[14:15]
	flat_store_short v[0:1], v2
	s_endpgm
	.section	.rodata,"a",@progbits
	.p2align	6, 0x0
	.amdhsa_kernel _ZN12_GLOBAL__N_120geam_min_plus_kernelIDF16_Dv2_DF16_S1_Li8ELi32ELi64ELi256ELi4ELi4ELi64ELi64ELi4ELc84ELc84ELb0ELb0ELb1EDF16_KPKDF16_KPDF16_EEviiiT16_PT17_ilS9_ilS7_S9_ilPT18_ili26rocblas_geam_ex_operation_
		.amdhsa_group_segment_fixed_size 5120
		.amdhsa_private_segment_fixed_size 0
		.amdhsa_kernarg_size 128
		.amdhsa_user_sgpr_count 2
		.amdhsa_user_sgpr_dispatch_ptr 0
		.amdhsa_user_sgpr_queue_ptr 0
		.amdhsa_user_sgpr_kernarg_segment_ptr 1
		.amdhsa_user_sgpr_dispatch_id 0
		.amdhsa_user_sgpr_kernarg_preload_length 0
		.amdhsa_user_sgpr_kernarg_preload_offset 0
		.amdhsa_user_sgpr_private_segment_size 0
		.amdhsa_uses_dynamic_stack 0
		.amdhsa_enable_private_segment 0
		.amdhsa_system_sgpr_workgroup_id_x 1
		.amdhsa_system_sgpr_workgroup_id_y 0
		.amdhsa_system_sgpr_workgroup_id_z 1
		.amdhsa_system_sgpr_workgroup_info 0
		.amdhsa_system_vgpr_workitem_id 1
		.amdhsa_next_free_vgpr 143
		.amdhsa_next_free_sgpr 29
		.amdhsa_accum_offset 144
		.amdhsa_reserve_vcc 1
		.amdhsa_float_round_mode_32 0
		.amdhsa_float_round_mode_16_64 0
		.amdhsa_float_denorm_mode_32 3
		.amdhsa_float_denorm_mode_16_64 3
		.amdhsa_dx10_clamp 1
		.amdhsa_ieee_mode 1
		.amdhsa_fp16_overflow 0
		.amdhsa_tg_split 0
		.amdhsa_exception_fp_ieee_invalid_op 0
		.amdhsa_exception_fp_denorm_src 0
		.amdhsa_exception_fp_ieee_div_zero 0
		.amdhsa_exception_fp_ieee_overflow 0
		.amdhsa_exception_fp_ieee_underflow 0
		.amdhsa_exception_fp_ieee_inexact 0
		.amdhsa_exception_int_div_zero 0
	.end_amdhsa_kernel
	.section	.text._ZN12_GLOBAL__N_120geam_min_plus_kernelIDF16_Dv2_DF16_S1_Li8ELi32ELi64ELi256ELi4ELi4ELi64ELi64ELi4ELc84ELc84ELb0ELb0ELb1EDF16_KPKDF16_KPDF16_EEviiiT16_PT17_ilS9_ilS7_S9_ilPT18_ili26rocblas_geam_ex_operation_,"axG",@progbits,_ZN12_GLOBAL__N_120geam_min_plus_kernelIDF16_Dv2_DF16_S1_Li8ELi32ELi64ELi256ELi4ELi4ELi64ELi64ELi4ELc84ELc84ELb0ELb0ELb1EDF16_KPKDF16_KPDF16_EEviiiT16_PT17_ilS9_ilS7_S9_ilPT18_ili26rocblas_geam_ex_operation_,comdat
.Lfunc_end227:
	.size	_ZN12_GLOBAL__N_120geam_min_plus_kernelIDF16_Dv2_DF16_S1_Li8ELi32ELi64ELi256ELi4ELi4ELi64ELi64ELi4ELc84ELc84ELb0ELb0ELb1EDF16_KPKDF16_KPDF16_EEviiiT16_PT17_ilS9_ilS7_S9_ilPT18_ili26rocblas_geam_ex_operation_, .Lfunc_end227-_ZN12_GLOBAL__N_120geam_min_plus_kernelIDF16_Dv2_DF16_S1_Li8ELi32ELi64ELi256ELi4ELi4ELi64ELi64ELi4ELc84ELc84ELb0ELb0ELb1EDF16_KPKDF16_KPDF16_EEviiiT16_PT17_ilS9_ilS7_S9_ilPT18_ili26rocblas_geam_ex_operation_
                                        ; -- End function
	.set _ZN12_GLOBAL__N_120geam_min_plus_kernelIDF16_Dv2_DF16_S1_Li8ELi32ELi64ELi256ELi4ELi4ELi64ELi64ELi4ELc84ELc84ELb0ELb0ELb1EDF16_KPKDF16_KPDF16_EEviiiT16_PT17_ilS9_ilS7_S9_ilPT18_ili26rocblas_geam_ex_operation_.num_vgpr, 143
	.set _ZN12_GLOBAL__N_120geam_min_plus_kernelIDF16_Dv2_DF16_S1_Li8ELi32ELi64ELi256ELi4ELi4ELi64ELi64ELi4ELc84ELc84ELb0ELb0ELb1EDF16_KPKDF16_KPDF16_EEviiiT16_PT17_ilS9_ilS7_S9_ilPT18_ili26rocblas_geam_ex_operation_.num_agpr, 0
	.set _ZN12_GLOBAL__N_120geam_min_plus_kernelIDF16_Dv2_DF16_S1_Li8ELi32ELi64ELi256ELi4ELi4ELi64ELi64ELi4ELc84ELc84ELb0ELb0ELb1EDF16_KPKDF16_KPDF16_EEviiiT16_PT17_ilS9_ilS7_S9_ilPT18_ili26rocblas_geam_ex_operation_.numbered_sgpr, 29
	.set _ZN12_GLOBAL__N_120geam_min_plus_kernelIDF16_Dv2_DF16_S1_Li8ELi32ELi64ELi256ELi4ELi4ELi64ELi64ELi4ELc84ELc84ELb0ELb0ELb1EDF16_KPKDF16_KPDF16_EEviiiT16_PT17_ilS9_ilS7_S9_ilPT18_ili26rocblas_geam_ex_operation_.num_named_barrier, 0
	.set _ZN12_GLOBAL__N_120geam_min_plus_kernelIDF16_Dv2_DF16_S1_Li8ELi32ELi64ELi256ELi4ELi4ELi64ELi64ELi4ELc84ELc84ELb0ELb0ELb1EDF16_KPKDF16_KPDF16_EEviiiT16_PT17_ilS9_ilS7_S9_ilPT18_ili26rocblas_geam_ex_operation_.private_seg_size, 0
	.set _ZN12_GLOBAL__N_120geam_min_plus_kernelIDF16_Dv2_DF16_S1_Li8ELi32ELi64ELi256ELi4ELi4ELi64ELi64ELi4ELc84ELc84ELb0ELb0ELb1EDF16_KPKDF16_KPDF16_EEviiiT16_PT17_ilS9_ilS7_S9_ilPT18_ili26rocblas_geam_ex_operation_.uses_vcc, 1
	.set _ZN12_GLOBAL__N_120geam_min_plus_kernelIDF16_Dv2_DF16_S1_Li8ELi32ELi64ELi256ELi4ELi4ELi64ELi64ELi4ELc84ELc84ELb0ELb0ELb1EDF16_KPKDF16_KPDF16_EEviiiT16_PT17_ilS9_ilS7_S9_ilPT18_ili26rocblas_geam_ex_operation_.uses_flat_scratch, 0
	.set _ZN12_GLOBAL__N_120geam_min_plus_kernelIDF16_Dv2_DF16_S1_Li8ELi32ELi64ELi256ELi4ELi4ELi64ELi64ELi4ELc84ELc84ELb0ELb0ELb1EDF16_KPKDF16_KPDF16_EEviiiT16_PT17_ilS9_ilS7_S9_ilPT18_ili26rocblas_geam_ex_operation_.has_dyn_sized_stack, 0
	.set _ZN12_GLOBAL__N_120geam_min_plus_kernelIDF16_Dv2_DF16_S1_Li8ELi32ELi64ELi256ELi4ELi4ELi64ELi64ELi4ELc84ELc84ELb0ELb0ELb1EDF16_KPKDF16_KPDF16_EEviiiT16_PT17_ilS9_ilS7_S9_ilPT18_ili26rocblas_geam_ex_operation_.has_recursion, 0
	.set _ZN12_GLOBAL__N_120geam_min_plus_kernelIDF16_Dv2_DF16_S1_Li8ELi32ELi64ELi256ELi4ELi4ELi64ELi64ELi4ELc84ELc84ELb0ELb0ELb1EDF16_KPKDF16_KPDF16_EEviiiT16_PT17_ilS9_ilS7_S9_ilPT18_ili26rocblas_geam_ex_operation_.has_indirect_call, 0
	.section	.AMDGPU.csdata,"",@progbits
; Kernel info:
; codeLenInByte = 18180
; TotalNumSgprs: 35
; NumVgprs: 143
; NumAgprs: 0
; TotalNumVgprs: 143
; ScratchSize: 0
; MemoryBound: 0
; FloatMode: 240
; IeeeMode: 1
; LDSByteSize: 5120 bytes/workgroup (compile time only)
; SGPRBlocks: 4
; VGPRBlocks: 17
; NumSGPRsForWavesPerEU: 35
; NumVGPRsForWavesPerEU: 143
; AccumOffset: 144
; Occupancy: 3
; WaveLimiterHint : 1
; COMPUTE_PGM_RSRC2:SCRATCH_EN: 0
; COMPUTE_PGM_RSRC2:USER_SGPR: 2
; COMPUTE_PGM_RSRC2:TRAP_HANDLER: 0
; COMPUTE_PGM_RSRC2:TGID_X_EN: 1
; COMPUTE_PGM_RSRC2:TGID_Y_EN: 0
; COMPUTE_PGM_RSRC2:TGID_Z_EN: 1
; COMPUTE_PGM_RSRC2:TIDIG_COMP_CNT: 1
; COMPUTE_PGM_RSRC3_GFX90A:ACCUM_OFFSET: 35
; COMPUTE_PGM_RSRC3_GFX90A:TG_SPLIT: 0
	.section	.text._ZN12_GLOBAL__N_120geam_min_plus_kernelIDF16_Dv2_DF16_S1_Li8ELi32ELi64ELi256ELi4ELi4ELi64ELi64ELi4ELc84ELc84ELb0ELb1ELb1EPKDF16_KS3_KPDF16_EEviiiT16_PT17_ilS9_ilS7_S9_ilPT18_ili26rocblas_geam_ex_operation_,"axG",@progbits,_ZN12_GLOBAL__N_120geam_min_plus_kernelIDF16_Dv2_DF16_S1_Li8ELi32ELi64ELi256ELi4ELi4ELi64ELi64ELi4ELc84ELc84ELb0ELb1ELb1EPKDF16_KS3_KPDF16_EEviiiT16_PT17_ilS9_ilS7_S9_ilPT18_ili26rocblas_geam_ex_operation_,comdat
	.globl	_ZN12_GLOBAL__N_120geam_min_plus_kernelIDF16_Dv2_DF16_S1_Li8ELi32ELi64ELi256ELi4ELi4ELi64ELi64ELi4ELc84ELc84ELb0ELb1ELb1EPKDF16_KS3_KPDF16_EEviiiT16_PT17_ilS9_ilS7_S9_ilPT18_ili26rocblas_geam_ex_operation_ ; -- Begin function _ZN12_GLOBAL__N_120geam_min_plus_kernelIDF16_Dv2_DF16_S1_Li8ELi32ELi64ELi256ELi4ELi4ELi64ELi64ELi4ELc84ELc84ELb0ELb1ELb1EPKDF16_KS3_KPDF16_EEviiiT16_PT17_ilS9_ilS7_S9_ilPT18_ili26rocblas_geam_ex_operation_
	.p2align	8
	.type	_ZN12_GLOBAL__N_120geam_min_plus_kernelIDF16_Dv2_DF16_S1_Li8ELi32ELi64ELi256ELi4ELi4ELi64ELi64ELi4ELc84ELc84ELb0ELb1ELb1EPKDF16_KS3_KPDF16_EEviiiT16_PT17_ilS9_ilS7_S9_ilPT18_ili26rocblas_geam_ex_operation_,@function
_ZN12_GLOBAL__N_120geam_min_plus_kernelIDF16_Dv2_DF16_S1_Li8ELi32ELi64ELi256ELi4ELi4ELi64ELi64ELi4ELc84ELc84ELb0ELb1ELb1EPKDF16_KS3_KPDF16_EEviiiT16_PT17_ilS9_ilS7_S9_ilPT18_ili26rocblas_geam_ex_operation_: ; @_ZN12_GLOBAL__N_120geam_min_plus_kernelIDF16_Dv2_DF16_S1_Li8ELi32ELi64ELi256ELi4ELi4ELi64ELi64ELi4ELc84ELc84ELb0ELb1ELb1EPKDF16_KS3_KPDF16_EEviiiT16_PT17_ilS9_ilS7_S9_ilPT18_ili26rocblas_geam_ex_operation_
; %bb.0:
	s_load_dwordx4 s[4:7], s[0:1], 0x10
	s_load_dwordx4 s[12:15], s[0:1], 0x28
	s_load_dwordx4 s[8:11], s[0:1], 0x40
	s_mov_b32 s26, s3
	s_mov_b32 s27, 0
	s_lshl_b64 s[16:17], s[26:27], 1
	s_waitcnt lgkmcnt(0)
	s_add_u32 s4, s4, s16
	s_addc_u32 s5, s5, s17
	v_mov_b32_e32 v1, 0
	global_load_ushort v46, v1, s[4:5]
	s_add_u32 s4, s10, s16
	s_addc_u32 s5, s11, s17
	global_load_ushort v52, v1, s[4:5]
	s_load_dwordx2 s[20:21], s[0:1], 0x50
	s_mov_b64 s[18:19], 0
	s_mov_b64 s[28:29], 0
	s_waitcnt vmcnt(1)
	v_cmp_eq_f16_e32 vcc, 0, v46
	v_cmp_neq_f16_e64 s[4:5], 0, v46
	s_cbranch_vccnz .LBB228_2
; %bb.1:
	s_lshl_b64 s[10:11], s[26:27], 3
	s_add_u32 s6, s6, s10
	s_addc_u32 s7, s7, s11
	s_load_dwordx2 s[6:7], s[6:7], 0x0
	s_lshl_b64 s[10:11], s[12:13], 1
	s_waitcnt lgkmcnt(0)
	s_add_u32 s28, s6, s10
	s_addc_u32 s29, s7, s11
.LBB228_2:
	s_andn2_b64 vcc, exec, s[4:5]
	s_cbranch_vccnz .LBB228_4
; %bb.3:
	s_lshl_b64 s[4:5], s[26:27], 3
	s_add_u32 s4, s14, s4
	s_addc_u32 s5, s15, s5
	s_load_dwordx2 s[4:5], s[4:5], 0x0
	s_lshl_b64 s[6:7], s[8:9], 1
	s_waitcnt lgkmcnt(0)
	s_add_u32 s18, s4, s6
	s_addc_u32 s19, s5, s7
.LBB228_4:
	s_load_dwordx4 s[4:7], s[0:1], 0x60
	s_waitcnt vmcnt(0)
	v_cmp_eq_f16_e32 vcc, 0, v52
	v_cmp_neq_f16_e64 s[16:17], 0, v52
	s_cbranch_vccnz .LBB228_6
; %bb.5:
	s_lshl_b64 s[8:9], s[26:27], 3
	s_waitcnt lgkmcnt(0)
	s_add_u32 s8, s20, s8
	s_addc_u32 s9, s21, s9
	s_load_dwordx2 s[8:9], s[8:9], 0x0
	s_lshl_b64 s[4:5], s[4:5], 1
	s_waitcnt lgkmcnt(0)
	s_add_u32 s24, s8, s4
	s_addc_u32 s25, s9, s5
	s_branch .LBB228_7
.LBB228_6:
	s_mov_b64 s[24:25], 0
.LBB228_7:
	s_waitcnt lgkmcnt(0)
	s_load_dwordx4 s[20:23], s[0:1], 0x0
	s_load_dword s35, s[0:1], 0x20
	s_lshl_b64 s[4:5], s[26:27], 3
	s_add_u32 s26, s6, s4
	s_addc_u32 s27, s7, s5
	s_waitcnt lgkmcnt(0)
	s_add_i32 s3, s20, -1
	s_ashr_i32 s4, s3, 31
	s_lshr_b32 s4, s4, 26
	s_add_i32 s3, s3, s4
	s_ashr_i32 s3, s3, 6
	s_add_i32 s6, s3, 1
	v_cvt_f32_u32_e32 v1, s6
	s_not_b32 s3, s3
	v_and_b32_e32 v44, 0x3ff, v0
	v_bfe_u32 v45, v0, 10, 10
	v_rcp_iflag_f32_e32 v1, v1
	v_and_b32_e32 v47, 3, v0
	v_lshl_add_u32 v0, v45, 3, v44
	v_lshrrev_b32_e32 v2, 2, v0
	v_mul_f32_e32 v1, 0x4f7ffffe, v1
	v_cvt_u32_f32_e32 v1, v1
	v_cmp_le_i32_e64 s[4:5], s22, v47
                                        ; implicit-def: $vgpr3
	v_readfirstlane_b32 s7, v1
	s_mul_i32 s3, s3, s7
	s_mul_hi_u32 s3, s7, s3
	s_add_i32 s7, s7, s3
	s_mul_hi_u32 s3, s2, s7
	s_mul_i32 s7, s3, s6
	s_sub_i32 s7, s2, s7
	s_add_i32 s8, s3, 1
	s_sub_i32 s9, s7, s6
	s_cmp_ge_u32 s7, s6
	s_cselect_b32 s3, s8, s3
	s_cselect_b32 s7, s9, s7
	s_add_i32 s8, s3, 1
	s_cmp_ge_u32 s7, s6
	s_cselect_b32 s8, s8, s3
	s_mul_i32 s3, s8, s6
	s_sub_i32 s2, s2, s3
	s_lshl_b32 s30, s2, 6
	v_add_u32_e32 v28, s30, v2
	v_cmp_le_i32_e32 vcc, s20, v28
	s_or_b64 s[6:7], s[4:5], vcc
	v_cmp_eq_f16_e64 s[4:5], 0, v46
	s_nor_b64 s[2:3], s[4:5], s[6:7]
                                        ; implicit-def: $sgpr9
	s_and_saveexec_b64 s[10:11], s[2:3]
	s_xor_b64 s[2:3], exec, s[10:11]
	s_cbranch_execz .LBB228_9
; %bb.8:
	s_add_i32 s9, s22, -1
	v_mad_i64_i32 v[4:5], s[10:11], v28, s35, 0
	v_min_u32_e32 v1, s9, v47
	v_lshl_add_u64 v[4:5], v[4:5], 1, s[28:29]
	v_lshlrev_b32_e32 v6, 1, v1
	v_mov_b32_e32 v7, 0
	v_lshl_add_u64 v[4:5], v[4:5], 0, v[6:7]
	flat_load_ushort v1, v[4:5]
	s_waitcnt vmcnt(0) lgkmcnt(0)
	v_mul_f16_e32 v3, v46, v1
.LBB228_9:
	s_or_saveexec_b64 s[2:3], s[2:3]
	v_mov_b32_e32 v1, s9
	s_xor_b64 exec, exec, s[2:3]
; %bb.10:
	v_mov_b32_e32 v1, 0x7c00
	v_cndmask_b32_e64 v3, 0, v1, s[6:7]
	s_add_i32 s6, s22, -1
	v_mov_b32_e32 v1, s6
; %bb.11:
	s_or_b64 exec, exec, s[2:3]
	s_load_dword s23, s[0:1], 0x38
	v_and_b32_e32 v4, 63, v0
	v_lshrrev_b32_e32 v48, 6, v0
	s_lshl_b32 s31, s8, 8
	v_or_b32_e32 v32, s31, v4
	v_min_i32_e32 v0, v48, v1
	v_cmp_le_i32_e64 s[14:15], s22, v48
	s_waitcnt lgkmcnt(0)
	v_mad_i64_i32 v[0:1], s[2:3], v0, s23, 0
	v_cmp_le_i32_e64 s[6:7], s21, v32
	v_mov_b32_e32 v6, 0x7c00
	s_or_b64 s[2:3], s[6:7], s[14:15]
	v_lshl_add_u64 v[0:1], v[0:1], 1, s[18:19]
	v_cndmask_b32_e64 v5, 0, v6, s[2:3]
	s_nor_b64 s[8:9], s[4:5], s[2:3]
	v_ashrrev_i32_e32 v33, 31, v32
	s_and_saveexec_b64 s[2:3], s[8:9]
	s_cbranch_execz .LBB228_13
; %bb.12:
	v_lshl_add_u64 v[8:9], v[32:33], 1, v[0:1]
	flat_load_ushort v5, v[8:9]
	s_waitcnt vmcnt(0) lgkmcnt(0)
	v_mul_f16_e32 v5, v46, v5
.LBB228_13:
	s_or_b64 exec, exec, s[2:3]
	v_or_b32_e32 v7, 64, v32
	s_add_i32 s33, s21, -1
	v_cmp_le_i32_e64 s[8:9], s21, v7
	v_min_i32_e32 v34, s33, v7
	s_or_b64 s[2:3], s[8:9], s[14:15]
	v_cndmask_b32_e64 v6, 0, v6, s[2:3]
	s_nor_b64 s[10:11], s[2:3], s[4:5]
	v_ashrrev_i32_e32 v35, 31, v34
	s_and_saveexec_b64 s[2:3], s[10:11]
	s_cbranch_execz .LBB228_15
; %bb.14:
	v_lshl_add_u64 v[6:7], v[34:35], 1, v[0:1]
	flat_load_ushort v6, v[6:7]
	s_waitcnt vmcnt(0) lgkmcnt(0)
	v_mul_f16_e32 v6, v46, v6
.LBB228_15:
	s_or_b64 exec, exec, s[2:3]
	v_or_b32_e32 v7, 0x80, v32
	v_cmp_le_i32_e64 s[10:11], s21, v7
	v_min_i32_e32 v36, s33, v7
	v_mov_b32_e32 v8, 0x7c00
	s_or_b64 s[2:3], s[10:11], s[14:15]
	v_cndmask_b32_e64 v7, 0, v8, s[2:3]
	s_nor_b64 s[12:13], s[2:3], s[4:5]
	v_ashrrev_i32_e32 v37, 31, v36
	s_and_saveexec_b64 s[2:3], s[12:13]
	s_cbranch_execz .LBB228_17
; %bb.16:
	v_lshl_add_u64 v[10:11], v[36:37], 1, v[0:1]
	flat_load_ushort v7, v[10:11]
	s_waitcnt vmcnt(0) lgkmcnt(0)
	v_mul_f16_e32 v7, v46, v7
.LBB228_17:
	s_or_b64 exec, exec, s[2:3]
	v_or_b32_e32 v9, 0xc0, v32
	v_cmp_le_i32_e64 s[12:13], s21, v9
	v_min_i32_e32 v38, s33, v9
	s_or_b64 s[2:3], s[12:13], s[14:15]
	v_cndmask_b32_e64 v8, 0, v8, s[2:3]
	s_nor_b64 s[14:15], s[2:3], s[4:5]
	v_ashrrev_i32_e32 v39, 31, v38
	s_and_saveexec_b64 s[2:3], s[14:15]
	s_cbranch_execz .LBB228_19
; %bb.18:
	v_lshl_add_u64 v[0:1], v[38:39], 1, v[0:1]
	flat_load_ushort v0, v[0:1]
	s_waitcnt vmcnt(0) lgkmcnt(0)
	v_mul_f16_e32 v8, v46, v0
.LBB228_19:
	s_or_b64 exec, exec, s[2:3]
	v_or_b32_e32 v0, 4, v47
	v_cmp_le_i32_e64 s[2:3], s22, v0
	s_or_b64 s[14:15], s[2:3], vcc
	s_nor_b64 s[2:3], s[4:5], s[14:15]
                                        ; implicit-def: $vgpr29
                                        ; implicit-def: $sgpr33
	s_and_saveexec_b64 s[36:37], s[2:3]
	s_xor_b64 s[2:3], exec, s[36:37]
	s_cbranch_execz .LBB228_21
; %bb.20:
	s_add_i32 s33, s22, -1
	v_mad_i64_i32 v[10:11], s[36:37], v28, s35, 0
	v_min_u32_e32 v0, s33, v0
	v_lshl_add_u64 v[10:11], v[10:11], 1, s[28:29]
	v_lshlrev_b32_e32 v0, 1, v0
	v_mov_b32_e32 v1, 0
	v_lshl_add_u64 v[0:1], v[10:11], 0, v[0:1]
	flat_load_ushort v0, v[0:1]
	s_waitcnt vmcnt(0) lgkmcnt(0)
	v_mul_f16_e32 v29, v46, v0
.LBB228_21:
	s_or_saveexec_b64 s[2:3], s[2:3]
	v_mov_b32_e32 v0, s33
	s_xor_b64 exec, exec, s[2:3]
; %bb.22:
	v_mov_b32_e32 v0, 0x7c00
	v_cndmask_b32_e64 v29, 0, v0, s[14:15]
	s_add_i32 s14, s22, -1
	v_mov_b32_e32 v0, s14
; %bb.23:
	s_or_b64 exec, exec, s[2:3]
	v_add_u32_e32 v1, 4, v48
	v_min_i32_e32 v0, v1, v0
	v_cmp_le_i32_e64 s[14:15], s22, v1
	v_mad_i64_i32 v[0:1], s[2:3], v0, s23, 0
	v_mov_b32_e32 v9, 0x7c00
	s_or_b64 s[2:3], s[6:7], s[14:15]
	v_lshl_add_u64 v[0:1], v[0:1], 1, s[18:19]
	v_cndmask_b32_e64 v30, 0, v9, s[2:3]
	s_nor_b64 s[36:37], s[4:5], s[2:3]
	s_and_saveexec_b64 s[2:3], s[36:37]
	s_cbranch_execz .LBB228_25
; %bb.24:
	v_lshl_add_u64 v[10:11], v[32:33], 1, v[0:1]
	flat_load_ushort v10, v[10:11]
	s_waitcnt vmcnt(0) lgkmcnt(0)
	v_mul_f16_e32 v30, v46, v10
.LBB228_25:
	s_or_b64 exec, exec, s[2:3]
	s_or_b64 s[2:3], s[8:9], s[14:15]
	v_cndmask_b32_e64 v31, 0, v9, s[2:3]
	s_nor_b64 s[36:37], s[2:3], s[4:5]
	s_and_saveexec_b64 s[2:3], s[36:37]
	s_cbranch_execz .LBB228_27
; %bb.26:
	v_lshl_add_u64 v[10:11], v[34:35], 1, v[0:1]
	flat_load_ushort v9, v[10:11]
	s_waitcnt vmcnt(0) lgkmcnt(0)
	v_mul_f16_e32 v31, v46, v9
.LBB228_27:
	s_or_b64 exec, exec, s[2:3]
	v_mov_b32_e32 v9, 0x7c00
	s_or_b64 s[2:3], s[10:11], s[14:15]
	v_cndmask_b32_e64 v40, 0, v9, s[2:3]
	s_nor_b64 s[36:37], s[2:3], s[4:5]
	s_and_saveexec_b64 s[2:3], s[36:37]
	s_cbranch_execz .LBB228_29
; %bb.28:
	v_lshl_add_u64 v[10:11], v[36:37], 1, v[0:1]
	flat_load_ushort v10, v[10:11]
	s_waitcnt vmcnt(0) lgkmcnt(0)
	v_mul_f16_e32 v40, v46, v10
.LBB228_29:
	s_or_b64 exec, exec, s[2:3]
	s_or_b64 s[2:3], s[12:13], s[14:15]
	v_cndmask_b32_e64 v41, 0, v9, s[2:3]
	s_nor_b64 s[36:37], s[2:3], s[4:5]
	s_movk_i32 s14, 0x7c00
	s_and_saveexec_b64 s[2:3], s[36:37]
	s_cbranch_execz .LBB228_31
; %bb.30:
	v_lshl_add_u64 v[0:1], v[38:39], 1, v[0:1]
	flat_load_ushort v0, v[0:1]
	s_waitcnt vmcnt(0) lgkmcnt(0)
	v_mul_f16_e32 v41, v46, v0
.LBB228_31:
	s_or_b64 exec, exec, s[2:3]
	v_lshlrev_b32_e32 v0, 1, v47
	v_lshl_or_b32 v42, v2, 3, v0
	v_lshlrev_b32_e32 v0, 3, v4
	v_lshlrev_b32_e32 v50, 3, v44
	v_lshl_add_u32 v51, v48, 1, v0
	v_add_u32_e32 v93, 0x1000, v50
	s_load_dwordx2 s[26:27], s[26:27], 0x0
	ds_write_b16 v42, v3 offset:4096
	ds_write_b16 v51, v5
	ds_write_b16 v51, v6 offset:512
	ds_write_b16 v51, v7 offset:1024
	;; [unrolled: 1-line block ×3, first 2 shown]
	s_waitcnt lgkmcnt(0)
	s_barrier
	v_lshlrev_b32_e32 v49, 3, v45
	ds_read2_b64 v[16:19], v93 offset1:8
	ds_read2_b64 v[12:15], v93 offset0:16 offset1:24
	ds_read2_b64 v[4:7], v93 offset0:32 offset1:40
	ds_read2_b64 v[54:57], v49 offset1:32
	ds_read2_b64 v[0:3], v93 offset0:48 offset1:56
	ds_read2_b64 v[24:27], v49 offset0:64 offset1:96
	;; [unrolled: 1-line block ×4, first 2 shown]
	s_waitcnt lgkmcnt(4)
	v_pk_add_f16 v43, v16, v54
	v_pk_add_f16 v53, v18, v54
	;; [unrolled: 1-line block ×6, first 2 shown]
	s_waitcnt lgkmcnt(3)
	v_pk_add_f16 v62, v0, v54
	v_pk_add_f16 v54, v2, v54
	v_pk_add_f16 v63, v16, v56
	v_pk_add_f16 v64, v18, v56
	v_pk_add_f16 v65, v12, v56
	v_pk_add_f16 v66, v14, v56
	v_pk_add_f16 v67, v4, v56
	v_pk_add_f16 v68, v6, v56
	v_pk_add_f16 v69, v0, v56
	v_pk_add_f16 v56, v2, v56
	s_waitcnt lgkmcnt(2)
	v_pk_add_f16 v70, v16, v24
	v_pk_add_f16 v71, v18, v24
	v_pk_add_f16 v72, v12, v24
	v_pk_add_f16 v73, v14, v24
	v_pk_add_f16 v74, v4, v24
	v_pk_add_f16 v75, v6, v24
	v_pk_add_f16 v76, v0, v24
	v_pk_add_f16 v24, v2, v24
	v_pk_add_f16 v77, v16, v26
	v_pk_add_f16 v78, v18, v26
	v_pk_add_f16 v79, v12, v26
	v_pk_add_f16 v80, v14, v26
	v_pk_add_f16 v81, v4, v26
	v_pk_add_f16 v82, v6, v26
	v_pk_add_f16 v83, v0, v26
	v_pk_add_f16 v26, v2, v26
	s_waitcnt lgkmcnt(1)
	v_pk_add_f16 v84, v16, v20
	v_pk_add_f16 v118, v18, v20
	v_pk_add_f16 v119, v12, v20
	v_pk_add_f16 v120, v14, v20
	v_pk_add_f16 v121, v4, v20
	v_pk_add_f16 v122, v6, v20
	;; [unrolled: 17-line block ×3, first 2 shown]
	v_pk_add_f16 v137, v0, v8
	v_pk_add_f16 v8, v2, v8
	;; [unrolled: 1-line block ×11, first 2 shown]
	v_pk_min_f16 v10, v43, s14 op_sel_hi:[1,0]
	v_pk_min_f16 v8, v8, s14 op_sel_hi:[1,0]
	v_pk_min_f16 v117, v10, v2
	v_pk_add_f16 v2, v19, v55
	v_pk_min_f16 v10, v53, s14 op_sel_hi:[1,0]
	v_pk_min_f16 v4, v4, s14 op_sel_hi:[1,0]
	v_pk_min_f16 v116, v10, v2
	v_pk_add_f16 v2, v13, v55
	;; [unrolled: 4-line block ×3, first 2 shown]
	v_pk_min_f16 v10, v59, s14 op_sel_hi:[1,0]
	s_cmp_lt_i32 s22, 9
	v_pk_min_f16 v114, v10, v2
	v_pk_add_f16 v2, v5, v55
	v_pk_min_f16 v10, v60, s14 op_sel_hi:[1,0]
	ds_write_b16 v42, v29 offset:4608
	ds_write_b16 v51, v30 offset:2048
	;; [unrolled: 1-line block ×5, first 2 shown]
	v_pk_min_f16 v113, v10, v2
	v_pk_add_f16 v2, v7, v55
	v_pk_min_f16 v10, v61, s14 op_sel_hi:[1,0]
	s_waitcnt lgkmcnt(0)
	v_pk_min_f16 v112, v10, v2
	v_pk_add_f16 v2, v1, v55
	v_pk_min_f16 v10, v62, s14 op_sel_hi:[1,0]
	s_barrier
	v_pk_min_f16 v111, v10, v2
	v_pk_add_f16 v2, v3, v55
	v_pk_min_f16 v10, v54, s14 op_sel_hi:[1,0]
	s_nop 0
	v_pk_min_f16 v110, v10, v2
	v_pk_add_f16 v2, v17, v57
	v_pk_min_f16 v10, v63, s14 op_sel_hi:[1,0]
	s_nop 0
	v_pk_min_f16 v109, v10, v2
	v_pk_add_f16 v2, v19, v57
	v_pk_min_f16 v10, v64, s14 op_sel_hi:[1,0]
	s_nop 0
	v_pk_min_f16 v108, v10, v2
	v_pk_add_f16 v2, v13, v57
	v_pk_min_f16 v10, v65, s14 op_sel_hi:[1,0]
	s_nop 0
	v_pk_min_f16 v107, v10, v2
	v_pk_add_f16 v2, v15, v57
	v_pk_min_f16 v10, v66, s14 op_sel_hi:[1,0]
	s_nop 0
	v_pk_min_f16 v106, v10, v2
	v_pk_add_f16 v2, v5, v57
	v_pk_min_f16 v10, v67, s14 op_sel_hi:[1,0]
	s_nop 0
	v_pk_min_f16 v105, v10, v2
	v_pk_add_f16 v2, v7, v57
	v_pk_min_f16 v10, v68, s14 op_sel_hi:[1,0]
	s_nop 0
	v_pk_min_f16 v104, v10, v2
	v_pk_add_f16 v2, v1, v57
	v_pk_min_f16 v10, v69, s14 op_sel_hi:[1,0]
	s_nop 0
	v_pk_min_f16 v103, v10, v2
	v_pk_add_f16 v2, v3, v57
	v_pk_min_f16 v10, v56, s14 op_sel_hi:[1,0]
	s_nop 0
	v_pk_min_f16 v102, v10, v2
	v_pk_add_f16 v2, v17, v25
	v_pk_min_f16 v10, v70, s14 op_sel_hi:[1,0]
	s_nop 0
	v_pk_min_f16 v101, v10, v2
	v_pk_add_f16 v2, v19, v25
	v_pk_min_f16 v10, v71, s14 op_sel_hi:[1,0]
	s_nop 0
	v_pk_min_f16 v100, v10, v2
	v_pk_add_f16 v2, v13, v25
	v_pk_min_f16 v10, v72, s14 op_sel_hi:[1,0]
	s_nop 0
	v_pk_min_f16 v99, v10, v2
	v_pk_add_f16 v2, v15, v25
	v_pk_min_f16 v10, v73, s14 op_sel_hi:[1,0]
	s_nop 0
	v_pk_min_f16 v98, v10, v2
	v_pk_add_f16 v2, v5, v25
	v_pk_min_f16 v10, v74, s14 op_sel_hi:[1,0]
	s_nop 0
	v_pk_min_f16 v97, v10, v2
	v_pk_add_f16 v2, v7, v25
	v_pk_min_f16 v10, v75, s14 op_sel_hi:[1,0]
	s_nop 0
	v_pk_min_f16 v96, v10, v2
	v_pk_add_f16 v2, v1, v25
	v_pk_min_f16 v10, v76, s14 op_sel_hi:[1,0]
	s_nop 0
	v_pk_min_f16 v95, v10, v2
	v_pk_add_f16 v2, v3, v25
	v_pk_min_f16 v10, v24, s14 op_sel_hi:[1,0]
	s_nop 0
	v_pk_min_f16 v94, v10, v2
	v_pk_add_f16 v2, v17, v27
	v_pk_min_f16 v10, v77, s14 op_sel_hi:[1,0]
	s_nop 0
	v_pk_min_f16 v92, v10, v2
	v_pk_add_f16 v2, v19, v27
	v_pk_min_f16 v10, v78, s14 op_sel_hi:[1,0]
	s_nop 0
	v_pk_min_f16 v91, v10, v2
	v_pk_add_f16 v2, v13, v27
	v_pk_min_f16 v10, v79, s14 op_sel_hi:[1,0]
	s_nop 0
	v_pk_min_f16 v90, v10, v2
	v_pk_add_f16 v2, v15, v27
	v_pk_min_f16 v10, v80, s14 op_sel_hi:[1,0]
	s_nop 0
	v_pk_min_f16 v89, v10, v2
	v_pk_add_f16 v2, v5, v27
	v_pk_min_f16 v10, v81, s14 op_sel_hi:[1,0]
	s_nop 0
	v_pk_min_f16 v88, v10, v2
	v_pk_add_f16 v2, v7, v27
	v_pk_min_f16 v10, v82, s14 op_sel_hi:[1,0]
	s_nop 0
	v_pk_min_f16 v87, v10, v2
	v_pk_add_f16 v2, v1, v27
	v_pk_min_f16 v10, v83, s14 op_sel_hi:[1,0]
	s_nop 0
	v_pk_min_f16 v86, v10, v2
	v_pk_add_f16 v2, v3, v27
	v_pk_min_f16 v10, v26, s14 op_sel_hi:[1,0]
	s_nop 0
	v_pk_min_f16 v85, v10, v2
	v_pk_add_f16 v2, v17, v21
	v_pk_min_f16 v10, v84, s14 op_sel_hi:[1,0]
	s_nop 0
	v_pk_min_f16 v84, v10, v2
	v_pk_add_f16 v2, v19, v21
	v_pk_min_f16 v10, v118, s14 op_sel_hi:[1,0]
	s_nop 0
	v_pk_min_f16 v83, v10, v2
	v_pk_add_f16 v2, v13, v21
	v_pk_min_f16 v10, v119, s14 op_sel_hi:[1,0]
	s_nop 0
	v_pk_min_f16 v82, v10, v2
	v_pk_add_f16 v2, v15, v21
	v_pk_min_f16 v10, v120, s14 op_sel_hi:[1,0]
	s_nop 0
	v_pk_min_f16 v81, v10, v2
	v_pk_add_f16 v2, v5, v21
	v_pk_min_f16 v10, v121, s14 op_sel_hi:[1,0]
	s_nop 0
	v_pk_min_f16 v80, v10, v2
	v_pk_add_f16 v2, v7, v21
	v_pk_min_f16 v10, v122, s14 op_sel_hi:[1,0]
	s_nop 0
	v_pk_min_f16 v79, v10, v2
	v_pk_add_f16 v2, v1, v21
	v_pk_min_f16 v10, v123, s14 op_sel_hi:[1,0]
	s_nop 0
	v_pk_min_f16 v78, v10, v2
	v_pk_add_f16 v2, v3, v21
	v_pk_min_f16 v10, v20, s14 op_sel_hi:[1,0]
	s_nop 0
	v_pk_min_f16 v77, v10, v2
	v_pk_add_f16 v2, v17, v23
	v_pk_min_f16 v10, v124, s14 op_sel_hi:[1,0]
	s_nop 0
	v_pk_min_f16 v76, v10, v2
	v_pk_add_f16 v2, v19, v23
	v_pk_min_f16 v10, v125, s14 op_sel_hi:[1,0]
	s_nop 0
	v_pk_min_f16 v75, v10, v2
	v_pk_add_f16 v2, v13, v23
	v_pk_min_f16 v10, v126, s14 op_sel_hi:[1,0]
	s_nop 0
	v_pk_min_f16 v74, v10, v2
	v_pk_add_f16 v2, v15, v23
	v_pk_min_f16 v10, v127, s14 op_sel_hi:[1,0]
	s_nop 0
	v_pk_min_f16 v73, v10, v2
	v_pk_add_f16 v2, v5, v23
	v_pk_min_f16 v10, v128, s14 op_sel_hi:[1,0]
	s_nop 0
	v_pk_min_f16 v72, v10, v2
	v_pk_add_f16 v2, v7, v23
	v_pk_min_f16 v10, v129, s14 op_sel_hi:[1,0]
	s_nop 0
	v_pk_min_f16 v71, v10, v2
	v_pk_add_f16 v2, v1, v23
	v_pk_min_f16 v10, v130, s14 op_sel_hi:[1,0]
	s_nop 0
	v_pk_min_f16 v70, v10, v2
	v_pk_add_f16 v2, v3, v23
	v_pk_min_f16 v10, v22, s14 op_sel_hi:[1,0]
	s_nop 0
	v_pk_min_f16 v69, v10, v2
	v_pk_add_f16 v2, v17, v9
	v_pk_min_f16 v10, v131, s14 op_sel_hi:[1,0]
	s_nop 0
	v_pk_min_f16 v68, v10, v2
	v_pk_add_f16 v2, v19, v9
	v_pk_min_f16 v10, v132, s14 op_sel_hi:[1,0]
	s_nop 0
	v_pk_min_f16 v67, v10, v2
	v_pk_add_f16 v2, v13, v9
	v_pk_min_f16 v10, v133, s14 op_sel_hi:[1,0]
	s_nop 0
	v_pk_min_f16 v66, v10, v2
	v_pk_add_f16 v2, v15, v9
	v_pk_min_f16 v10, v134, s14 op_sel_hi:[1,0]
	s_nop 0
	v_pk_min_f16 v65, v10, v2
	v_pk_add_f16 v2, v5, v9
	v_pk_min_f16 v10, v135, s14 op_sel_hi:[1,0]
	s_nop 0
	v_pk_min_f16 v64, v10, v2
	v_pk_add_f16 v2, v7, v9
	v_pk_min_f16 v10, v136, s14 op_sel_hi:[1,0]
	s_nop 0
	v_pk_min_f16 v63, v10, v2
	v_pk_add_f16 v2, v1, v9
	v_pk_min_f16 v10, v137, s14 op_sel_hi:[1,0]
	v_pk_add_f16 v1, v1, v11
	v_pk_min_f16 v62, v10, v2
	v_pk_add_f16 v2, v3, v9
	s_nop 0
	v_pk_min_f16 v61, v8, v2
	v_pk_add_f16 v2, v17, v11
	v_pk_min_f16 v8, v16, s14 op_sel_hi:[1,0]
	s_nop 0
	v_pk_min_f16 v60, v8, v2
	v_pk_add_f16 v2, v19, v11
	v_pk_min_f16 v8, v18, s14 op_sel_hi:[1,0]
	;; [unrolled: 4-line block ×4, first 2 shown]
	s_nop 0
	v_pk_min_f16 v57, v8, v2
	v_pk_add_f16 v2, v5, v11
	s_nop 0
	v_pk_min_f16 v55, v4, v2
	v_pk_add_f16 v2, v7, v11
	v_pk_min_f16 v4, v6, s14 op_sel_hi:[1,0]
	s_nop 0
	v_pk_min_f16 v54, v4, v2
	v_pk_min_f16 v2, v138, s14 op_sel_hi:[1,0]
	s_nop 0
	v_pk_min_f16 v53, v2, v1
	v_pk_add_f16 v1, v3, v11
	s_nop 0
	v_pk_min_f16 v56, v0, v1
	s_cbranch_scc1 .LBB228_58
; %bb.32:
	v_mov_b32_e32 v0, 0x1200
	v_lshl_add_u32 v121, v44, 3, v0
	v_mov_b32_e32 v0, 0x800
	v_and_b32_e32 v2, 3, v44
	v_lshl_add_u32 v122, v45, 3, v0
	v_mad_i64_i32 v[0:1], s[2:3], s35, v28, 0
	v_lshlrev_b32_e32 v2, 1, v2
	v_mov_b32_e32 v3, 0
	v_lshl_add_u64 v[0:1], v[0:1], 1, v[2:3]
	v_lshl_add_u64 v[0:1], s[28:29], 0, v[0:1]
	v_add_u32_e32 v118, 0x1000, v42
	v_add_u32_e32 v119, 0x1200, v42
	;; [unrolled: 1-line block ×3, first 2 shown]
	s_add_i32 s33, s22, -8
	s_add_i32 s34, s22, -1
	v_lshl_add_u64 v[40:41], v[0:1], 0, 24
	s_mov_b32 s35, 0
	v_mov_b32_e32 v123, 0x7c00
	s_branch .LBB228_34
.LBB228_33:                             ;   in Loop: Header=BB228_34 Depth=1
	s_or_b64 exec, exec, s[2:3]
	v_pk_add_f16 v42, v12, v28
	v_pk_max_f16 v43, v117, v117
	v_pk_max_f16 v116, v116, v116
	v_pk_min_f16 v42, v43, v42
	v_pk_add_f16 v43, v14, v28
	v_pk_max_f16 v115, v115, v115
	v_pk_min_f16 v43, v116, v43
	v_pk_add_f16 v116, v8, v28
	v_pk_max_f16 v114, v114, v114
	v_pk_min_f16 v115, v115, v116
	v_pk_add_f16 v116, v10, v28
	v_pk_max_f16 v113, v113, v113
	v_pk_min_f16 v114, v114, v116
	v_pk_add_f16 v116, v4, v28
	v_pk_max_f16 v112, v112, v112
	v_pk_min_f16 v113, v113, v116
	v_pk_add_f16 v116, v6, v28
	v_pk_max_f16 v110, v110, v110
	v_pk_min_f16 v112, v112, v116
	v_pk_add_f16 v116, v0, v28
	v_pk_add_f16 v28, v2, v28
	v_pk_max_f16 v109, v109, v109
	v_pk_min_f16 v28, v110, v28
	v_pk_add_f16 v110, v12, v30
	v_pk_max_f16 v108, v108, v108
	v_pk_min_f16 v109, v109, v110
	v_pk_add_f16 v110, v14, v30
	v_pk_max_f16 v107, v107, v107
	v_pk_min_f16 v108, v108, v110
	v_pk_add_f16 v110, v8, v30
	v_pk_max_f16 v106, v106, v106
	v_pk_min_f16 v107, v107, v110
	v_pk_add_f16 v110, v10, v30
	v_pk_max_f16 v105, v105, v105
	v_pk_min_f16 v106, v106, v110
	v_pk_add_f16 v110, v4, v30
	v_pk_max_f16 v104, v104, v104
	v_pk_min_f16 v105, v105, v110
	v_pk_add_f16 v110, v6, v30
	v_pk_max_f16 v102, v102, v102
	v_pk_min_f16 v104, v104, v110
	v_pk_add_f16 v110, v0, v30
	v_pk_add_f16 v30, v2, v30
	v_pk_max_f16 v101, v101, v101
	v_pk_min_f16 v30, v102, v30
	v_pk_add_f16 v102, v12, v24
	;; [unrolled: 22-line block ×6, first 2 shown]
	v_pk_max_f16 v67, v67, v67
	v_pk_min_f16 v68, v68, v69
	v_pk_add_f16 v69, v14, v16
	v_pk_max_f16 v66, v66, v66
	v_pk_min_f16 v67, v67, v69
	v_pk_add_f16 v69, v8, v16
	;; [unrolled: 3-line block ×5, first 2 shown]
	v_pk_add_f16 v12, v12, v18
	v_pk_min_f16 v63, v63, v69
	v_pk_add_f16 v69, v0, v16
	v_pk_add_f16 v16, v2, v16
	;; [unrolled: 1-line block ×9, first 2 shown]
	v_pk_max_f16 v18, v56, v56
	v_pk_max_f16 v53, v53, v53
	v_pk_min_f16 v2, v18, v2
	v_pk_add_f16 v18, v13, v29
	v_pk_max_f16 v54, v54, v54
	v_pk_min_f16 v42, v42, v18
	v_pk_add_f16 v18, v15, v29
	v_pk_min_f16 v0, v53, v0
	v_pk_min_f16 v43, v43, v18
	v_pk_add_f16 v18, v9, v29
	v_pk_max_f16 v55, v55, v55
	v_pk_min_f16 v53, v115, v18
	v_pk_add_f16 v18, v11, v29
	v_pk_min_f16 v6, v54, v6
	v_pk_min_f16 v54, v114, v18
	v_pk_add_f16 v18, v5, v29
	v_pk_max_f16 v111, v111, v111
	v_pk_min_f16 v4, v55, v4
	v_pk_min_f16 v55, v113, v18
	v_pk_add_f16 v18, v7, v29
	v_pk_min_f16 v111, v111, v116
	v_pk_max_f16 v57, v57, v57
	v_pk_min_f16 v56, v112, v18
	v_pk_add_f16 v18, v1, v29
	v_pk_max_f16 v58, v58, v58
	v_pk_min_f16 v10, v57, v10
	v_pk_min_f16 v57, v111, v18
	v_pk_add_f16 v18, v3, v29
	v_pk_max_f16 v59, v59, v59
	v_pk_min_f16 v8, v58, v8
	;; [unrolled: 4-line block ×6, first 2 shown]
	v_pk_min_f16 v69, v106, v18
	v_pk_add_f16 v18, v5, v31
	v_pk_max_f16 v103, v103, v103
	v_pk_max_f16 v78, v78, v78
	v_pk_min_f16 v70, v70, v77
	v_pk_min_f16 v77, v105, v18
	v_pk_add_f16 v18, v7, v31
	v_pk_min_f16 v103, v103, v110
	v_pk_max_f16 v86, v86, v86
	v_pk_min_f16 v78, v78, v85
	v_pk_min_f16 v85, v104, v18
	v_pk_add_f16 v18, v1, v31
	v_pk_max_f16 v95, v95, v95
	v_pk_min_f16 v86, v86, v94
	v_pk_min_f16 v94, v103, v18
	v_pk_add_f16 v18, v3, v31
	v_pk_min_f16 v95, v95, v102
	v_pk_min_f16 v102, v30, v18
	v_pk_add_f16 v18, v13, v25
	v_pk_max_f16 v42, v42, v42
	v_pk_min_f16 v101, v101, v18
	v_pk_add_f16 v18, v15, v25
	v_pk_max_f16 v43, v43, v43
	;; [unrolled: 3-line block ×6, first 2 shown]
	v_pk_min_f16 v96, v96, v18
	v_pk_add_f16 v18, v1, v25
	s_add_i32 s35, s35, 8
	v_pk_min_f16 v95, v95, v18
	v_pk_add_f16 v18, v3, v25
	s_cmp_ge_i32 s35, s33
	v_pk_min_f16 v129, v24, v18
	v_pk_add_f16 v18, v13, v27
	v_lshl_add_u64 v[40:41], v[40:41], 0, 16
	v_pk_min_f16 v92, v92, v18
	v_pk_add_f16 v18, v15, v27
	s_nop 0
	v_pk_min_f16 v91, v91, v18
	v_pk_add_f16 v18, v9, v27
	s_nop 0
	v_pk_min_f16 v90, v90, v18
	v_pk_add_f16 v18, v11, v27
	s_nop 0
	v_pk_min_f16 v89, v89, v18
	v_pk_add_f16 v18, v5, v27
	s_nop 0
	v_pk_min_f16 v88, v88, v18
	v_pk_add_f16 v18, v7, v27
	s_nop 0
	v_pk_min_f16 v87, v87, v18
	v_pk_add_f16 v18, v1, v27
	s_nop 0
	v_pk_min_f16 v86, v86, v18
	v_pk_add_f16 v18, v3, v27
	s_nop 0
	v_pk_min_f16 v130, v26, v18
	v_pk_add_f16 v18, v13, v21
	s_nop 0
	v_pk_min_f16 v84, v84, v18
	v_pk_add_f16 v18, v15, v21
	s_nop 0
	v_pk_min_f16 v83, v83, v18
	v_pk_add_f16 v18, v9, v21
	s_nop 0
	v_pk_min_f16 v82, v82, v18
	v_pk_add_f16 v18, v11, v21
	s_nop 0
	v_pk_min_f16 v81, v81, v18
	v_pk_add_f16 v18, v5, v21
	s_nop 0
	v_pk_min_f16 v80, v80, v18
	v_pk_add_f16 v18, v7, v21
	s_nop 0
	v_pk_min_f16 v79, v79, v18
	v_pk_add_f16 v18, v1, v21
	s_nop 0
	v_pk_min_f16 v78, v78, v18
	v_pk_add_f16 v18, v3, v21
	s_nop 0
	v_pk_min_f16 v131, v20, v18
	v_pk_add_f16 v18, v13, v23
	s_nop 0
	v_pk_min_f16 v76, v76, v18
	v_pk_add_f16 v18, v15, v23
	s_nop 0
	v_pk_min_f16 v75, v75, v18
	v_pk_add_f16 v18, v9, v23
	s_nop 0
	v_pk_min_f16 v74, v74, v18
	v_pk_add_f16 v18, v11, v23
	s_nop 0
	v_pk_min_f16 v73, v73, v18
	v_pk_add_f16 v18, v5, v23
	s_nop 0
	v_pk_min_f16 v72, v72, v18
	v_pk_add_f16 v18, v7, v23
	s_nop 0
	v_pk_min_f16 v71, v71, v18
	v_pk_add_f16 v18, v1, v23
	s_nop 0
	v_pk_min_f16 v70, v70, v18
	v_pk_add_f16 v18, v3, v23
	s_nop 0
	v_pk_min_f16 v132, v22, v18
	v_pk_add_f16 v18, v13, v17
	v_pk_add_f16 v13, v13, v19
	v_pk_min_f16 v68, v68, v18
	v_pk_add_f16 v18, v15, v17
	v_pk_min_f16 v134, v12, v13
	v_pk_min_f16 v67, v67, v18
	v_pk_add_f16 v18, v9, v17
	v_pk_add_f16 v9, v9, v19
	v_pk_min_f16 v66, v66, v18
	v_pk_add_f16 v18, v11, v17
	v_pk_add_f16 v12, v15, v19
	;; [unrolled: 3-line block ×3, first 2 shown]
	v_pk_min_f16 v64, v64, v18
	v_pk_add_f16 v18, v7, v17
	v_pk_min_f16 v136, v8, v9
	v_pk_min_f16 v63, v63, v18
	v_pk_add_f16 v18, v1, v17
	v_pk_add_f16 v1, v1, v19
	;; [unrolled: 1-line block ×4, first 2 shown]
	v_pk_min_f16 v138, v4, v5
	v_pk_add_f16 v4, v7, v19
	v_pk_min_f16 v140, v0, v1
	v_pk_add_f16 v0, v3, v19
	v_pk_min_f16 v62, v62, v18
	v_pk_min_f16 v133, v16, v17
	;; [unrolled: 1-line block ×6, first 2 shown]
	ds_read2_b64 v[16:19], v93 offset1:8
	ds_read2_b64 v[8:11], v93 offset0:16 offset1:24
	ds_read2_b64 v[4:7], v93 offset0:32 offset1:40
	ds_read2_b64 v[24:27], v49 offset1:32
	ds_read2_b64 v[0:3], v93 offset0:48 offset1:56
	ds_read2_b64 v[28:31], v49 offset0:64 offset1:96
	;; [unrolled: 1-line block ×4, first 2 shown]
	s_waitcnt lgkmcnt(4)
	v_pk_add_f16 v103, v16, v24
	v_pk_add_f16 v104, v18, v24
	v_pk_min_f16 v42, v42, v103
	v_pk_add_f16 v103, v17, v25
	v_pk_add_f16 v105, v8, v24
	v_pk_min_f16 v117, v42, v103
	v_pk_min_f16 v43, v43, v104
	v_pk_add_f16 v103, v19, v25
	v_pk_add_f16 v106, v10, v24
	v_pk_min_f16 v116, v43, v103
	;; [unrolled: 4-line block ×4, first 2 shown]
	v_pk_min_f16 v55, v55, v107
	v_pk_add_f16 v103, v5, v25
	v_pk_min_f16 v56, v56, v108
	v_pk_min_f16 v113, v55, v103
	v_pk_add_f16 v103, v7, v25
	s_waitcnt lgkmcnt(3)
	v_pk_add_f16 v109, v0, v24
	v_pk_min_f16 v112, v56, v103
	v_pk_max_f16 v56, v57, v57
	v_pk_add_f16 v57, v1, v25
	v_pk_min_f16 v56, v56, v109
	v_pk_add_f16 v24, v2, v24
	v_pk_min_f16 v111, v56, v57
	v_pk_max_f16 v56, v58, v58
	v_pk_add_f16 v25, v3, v25
	v_pk_min_f16 v24, v56, v24
	;; [unrolled: 5-line block ×7, first 2 shown]
	v_pk_add_f16 v147, v6, v26
	v_pk_min_f16 v105, v24, v25
	v_pk_max_f16 v24, v85, v85
	v_pk_add_f16 v148, v0, v26
	v_pk_add_f16 v26, v2, v26
	s_waitcnt lgkmcnt(2)
	v_pk_add_f16 v149, v16, v28
	v_pk_add_f16 v150, v18, v28
	v_pk_add_f16 v151, v8, v28
	v_pk_add_f16 v152, v10, v28
	v_pk_add_f16 v153, v4, v28
	v_pk_add_f16 v154, v6, v28
	v_pk_add_f16 v155, v0, v28
	v_pk_add_f16 v28, v2, v28
	v_pk_add_f16 v156, v16, v30
	v_pk_add_f16 v157, v18, v30
	v_pk_add_f16 v158, v8, v30
	v_pk_add_f16 v159, v10, v30
	v_pk_add_f16 v160, v4, v30
	v_pk_add_f16 v161, v6, v30
	v_pk_add_f16 v162, v0, v30
	v_pk_add_f16 v30, v2, v30
	s_waitcnt lgkmcnt(1)
	v_pk_add_f16 v163, v16, v20
	v_pk_add_f16 v164, v18, v20
	v_pk_add_f16 v165, v8, v20
	v_pk_add_f16 v166, v10, v20
	v_pk_add_f16 v167, v4, v20
	v_pk_add_f16 v168, v6, v20
	v_pk_add_f16 v169, v0, v20
	v_pk_add_f16 v20, v2, v20
	v_pk_add_f16 v170, v16, v22
	v_pk_add_f16 v171, v18, v22
	v_pk_add_f16 v172, v8, v22
	v_pk_add_f16 v173, v10, v22
	v_pk_add_f16 v174, v4, v22
	v_pk_add_f16 v175, v6, v22
	v_pk_add_f16 v176, v0, v22
	v_pk_add_f16 v22, v2, v22
	s_waitcnt lgkmcnt(0)
	v_pk_add_f16 v177, v16, v12
	v_pk_add_f16 v178, v18, v12
	v_pk_add_f16 v42, v8, v12
	v_pk_add_f16 v43, v10, v12
	v_pk_add_f16 v53, v4, v12
	v_pk_add_f16 v54, v6, v12
	v_pk_add_f16 v55, v0, v12
	v_pk_add_f16 v12, v2, v12
	v_pk_add_f16 v16, v16, v14
	v_pk_add_f16 v18, v18, v14
	v_pk_add_f16 v8, v8, v14
	v_pk_add_f16 v10, v10, v14
	v_pk_add_f16 v4, v4, v14
	v_pk_add_f16 v6, v6, v14
	v_pk_add_f16 v0, v0, v14
	v_pk_min_f16 v24, v24, v147
	v_pk_add_f16 v25, v7, v27
	v_pk_add_f16 v2, v2, v14
	v_pk_max_f16 v14, v94, v94
	v_pk_min_f16 v104, v24, v25
	v_pk_min_f16 v14, v14, v148
	v_pk_add_f16 v24, v1, v27
	ds_write_b16 v119, v124
	ds_write_b16 v120, v125
	ds_write_b16 v120, v126 offset:512
	ds_write_b16 v120, v127 offset:1024
	ds_write_b16 v120, v128 offset:1536
	v_pk_min_f16 v103, v14, v24
	v_pk_max_f16 v24, v102, v102
	v_pk_add_f16 v14, v3, v27
	v_pk_min_f16 v24, v24, v26
	s_waitcnt lgkmcnt(0)
	v_pk_min_f16 v102, v24, v14
	v_pk_max_f16 v24, v101, v101
	v_pk_add_f16 v14, v17, v29
	v_pk_min_f16 v24, v24, v149
	s_barrier
	v_pk_min_f16 v101, v24, v14
	v_pk_max_f16 v24, v100, v100
	v_pk_add_f16 v14, v19, v29
	v_pk_min_f16 v24, v24, v150
	s_nop 0
	v_pk_min_f16 v100, v24, v14
	v_pk_max_f16 v24, v99, v99
	v_pk_add_f16 v14, v9, v29
	v_pk_min_f16 v24, v24, v151
	s_nop 0
	;; [unrolled: 5-line block ×22, first 2 shown]
	v_pk_min_f16 v78, v24, v14
	v_pk_add_f16 v14, v3, v21
	v_pk_max_f16 v21, v131, v131
	s_nop 0
	v_pk_min_f16 v20, v21, v20
	s_nop 0
	v_pk_min_f16 v77, v20, v14
	v_pk_max_f16 v20, v76, v76
	v_pk_add_f16 v14, v17, v23
	v_pk_min_f16 v20, v20, v170
	s_nop 0
	v_pk_min_f16 v76, v20, v14
	v_pk_max_f16 v20, v75, v75
	v_pk_add_f16 v14, v19, v23
	;; [unrolled: 5-line block ×11, first 2 shown]
	v_pk_min_f16 v20, v20, v42
	v_pk_add_f16 v9, v9, v15
	v_pk_min_f16 v66, v20, v14
	v_pk_max_f16 v20, v65, v65
	v_pk_add_f16 v14, v11, v13
	v_pk_min_f16 v20, v20, v43
	s_nop 0
	v_pk_min_f16 v65, v20, v14
	v_pk_max_f16 v20, v64, v64
	v_pk_add_f16 v14, v5, v13
	v_pk_min_f16 v20, v20, v53
	v_pk_add_f16 v5, v5, v15
	v_pk_min_f16 v64, v20, v14
	v_pk_max_f16 v20, v63, v63
	v_pk_add_f16 v14, v7, v13
	v_pk_min_f16 v20, v20, v54
	s_nop 0
	v_pk_min_f16 v63, v20, v14
	v_pk_max_f16 v20, v62, v62
	v_pk_add_f16 v14, v1, v13
	;; [unrolled: 10-line block ×3, first 2 shown]
	v_pk_min_f16 v13, v13, v16
	s_nop 0
	v_pk_min_f16 v60, v13, v12
	v_pk_max_f16 v13, v135, v135
	v_pk_add_f16 v12, v19, v15
	v_pk_min_f16 v13, v13, v18
	s_nop 0
	v_pk_min_f16 v59, v13, v12
	v_pk_max_f16 v12, v136, v136
	s_nop 0
	v_pk_min_f16 v8, v12, v8
	s_nop 0
	v_pk_min_f16 v58, v8, v9
	v_pk_max_f16 v9, v137, v137
	v_pk_add_f16 v8, v11, v15
	v_pk_min_f16 v9, v9, v10
	s_nop 0
	v_pk_min_f16 v57, v9, v8
	v_pk_max_f16 v8, v138, v138
	s_nop 0
	;; [unrolled: 10-line block ×3, first 2 shown]
	v_pk_min_f16 v0, v4, v0
	s_nop 0
	v_pk_min_f16 v53, v0, v1
	v_pk_max_f16 v1, v141, v141
	v_pk_add_f16 v0, v3, v15
	v_pk_min_f16 v1, v1, v2
	s_nop 0
	v_pk_min_f16 v56, v1, v0
	s_cbranch_scc1 .LBB228_58
.LBB228_34:                             ; =>This Inner Loop Header: Depth=1
	v_add_u32_e32 v42, s35, v47
	v_add_u32_e32 v0, 8, v42
	v_cmp_le_i32_e64 s[2:3], s22, v0
	s_or_b64 s[14:15], s[2:3], vcc
	s_nor_b64 s[2:3], s[4:5], s[14:15]
                                        ; implicit-def: $vgpr124
	s_and_saveexec_b64 s[28:29], s[2:3]
	s_xor_b64 s[28:29], exec, s[28:29]
	s_cbranch_execz .LBB228_36
; %bb.35:                               ;   in Loop: Header=BB228_34 Depth=1
	v_add_co_u32_e64 v0, s[2:3], -8, v40
	s_nop 1
	v_addc_co_u32_e64 v1, s[2:3], -1, v41, s[2:3]
	flat_load_ushort v0, v[0:1]
	s_waitcnt vmcnt(0) lgkmcnt(0)
	v_mul_f16_e32 v124, v46, v0
.LBB228_36:                             ;   in Loop: Header=BB228_34 Depth=1
	s_andn2_saveexec_b64 s[2:3], s[28:29]
; %bb.37:                               ;   in Loop: Header=BB228_34 Depth=1
	v_cndmask_b32_e64 v124, 0, v123, s[14:15]
; %bb.38:                               ;   in Loop: Header=BB228_34 Depth=1
	s_or_b64 exec, exec, s[2:3]
	v_add_u32_e32 v43, s35, v48
	v_add_u32_e32 v0, 8, v43
	v_cmp_le_i32_e64 s[14:15], s22, v0
	v_min_i32_e32 v0, s34, v0
	v_mad_i64_i32 v[0:1], s[2:3], v0, s23, 0
	s_or_b64 s[2:3], s[6:7], s[14:15]
	v_lshl_add_u64 v[0:1], v[0:1], 1, s[18:19]
	v_cndmask_b32_e64 v125, 0, v123, s[2:3]
	s_nor_b64 s[28:29], s[4:5], s[2:3]
	s_and_saveexec_b64 s[2:3], s[28:29]
	s_cbranch_execz .LBB228_40
; %bb.39:                               ;   in Loop: Header=BB228_34 Depth=1
	v_lshl_add_u64 v[2:3], v[32:33], 1, v[0:1]
	flat_load_ushort v2, v[2:3]
	s_waitcnt vmcnt(0) lgkmcnt(0)
	v_mul_f16_e32 v125, v46, v2
.LBB228_40:                             ;   in Loop: Header=BB228_34 Depth=1
	s_or_b64 exec, exec, s[2:3]
	s_or_b64 s[2:3], s[8:9], s[14:15]
	v_cndmask_b32_e64 v126, 0, v123, s[2:3]
	s_nor_b64 s[28:29], s[2:3], s[4:5]
	s_and_saveexec_b64 s[2:3], s[28:29]
	s_cbranch_execz .LBB228_42
; %bb.41:                               ;   in Loop: Header=BB228_34 Depth=1
	v_lshl_add_u64 v[2:3], v[34:35], 1, v[0:1]
	flat_load_ushort v2, v[2:3]
	s_waitcnt vmcnt(0) lgkmcnt(0)
	v_mul_f16_e32 v126, v46, v2
.LBB228_42:                             ;   in Loop: Header=BB228_34 Depth=1
	s_or_b64 exec, exec, s[2:3]
	s_or_b64 s[2:3], s[10:11], s[14:15]
	v_cndmask_b32_e64 v127, 0, v123, s[2:3]
	s_nor_b64 s[28:29], s[2:3], s[4:5]
	s_and_saveexec_b64 s[2:3], s[28:29]
	s_cbranch_execz .LBB228_44
; %bb.43:                               ;   in Loop: Header=BB228_34 Depth=1
	v_lshl_add_u64 v[2:3], v[36:37], 1, v[0:1]
	flat_load_ushort v2, v[2:3]
	s_waitcnt vmcnt(0) lgkmcnt(0)
	v_mul_f16_e32 v127, v46, v2
.LBB228_44:                             ;   in Loop: Header=BB228_34 Depth=1
	s_or_b64 exec, exec, s[2:3]
	s_or_b64 s[2:3], s[12:13], s[14:15]
	v_cndmask_b32_e64 v128, 0, v123, s[2:3]
	s_nor_b64 s[14:15], s[2:3], s[4:5]
	s_and_saveexec_b64 s[2:3], s[14:15]
	s_cbranch_execz .LBB228_46
; %bb.45:                               ;   in Loop: Header=BB228_34 Depth=1
	v_lshl_add_u64 v[0:1], v[38:39], 1, v[0:1]
	flat_load_ushort v0, v[0:1]
	s_waitcnt vmcnt(0) lgkmcnt(0)
	v_mul_f16_e32 v128, v46, v0
.LBB228_46:                             ;   in Loop: Header=BB228_34 Depth=1
	s_or_b64 exec, exec, s[2:3]
	ds_read2_b64 v[12:15], v121 offset1:8
	ds_read2_b64 v[8:11], v121 offset0:16 offset1:24
	ds_read2_b64 v[4:7], v121 offset0:32 offset1:40
	;; [unrolled: 1-line block ×3, first 2 shown]
	ds_read2_b64 v[28:31], v122 offset1:32
	ds_read2_b64 v[24:27], v122 offset0:64 offset1:96
	ds_read2_b64 v[20:23], v122 offset0:128 offset1:160
	;; [unrolled: 1-line block ×3, first 2 shown]
	v_add_u32_e32 v42, 12, v42
	v_cmp_le_i32_e64 s[2:3], s22, v42
	s_or_b64 s[14:15], s[2:3], vcc
	s_nor_b64 s[2:3], s[4:5], s[14:15]
	ds_write_b16 v118, v124
	ds_write_b16 v51, v125
	ds_write_b16 v51, v126 offset:512
	ds_write_b16 v51, v127 offset:1024
	;; [unrolled: 1-line block ×3, first 2 shown]
	s_waitcnt lgkmcnt(0)
	s_barrier
                                        ; implicit-def: $vgpr124
	s_and_saveexec_b64 s[28:29], s[2:3]
	s_xor_b64 s[2:3], exec, s[28:29]
	s_cbranch_execz .LBB228_48
; %bb.47:                               ;   in Loop: Header=BB228_34 Depth=1
	flat_load_ushort v42, v[40:41]
	s_waitcnt vmcnt(0) lgkmcnt(0)
	v_mul_f16_e32 v124, v46, v42
.LBB228_48:                             ;   in Loop: Header=BB228_34 Depth=1
	s_andn2_saveexec_b64 s[2:3], s[2:3]
; %bb.49:                               ;   in Loop: Header=BB228_34 Depth=1
	v_cndmask_b32_e64 v124, 0, v123, s[14:15]
; %bb.50:                               ;   in Loop: Header=BB228_34 Depth=1
	s_or_b64 exec, exec, s[2:3]
	v_add_u32_e32 v42, 12, v43
	v_cmp_le_i32_e64 s[14:15], s22, v42
	v_min_i32_e32 v42, s34, v42
	v_mad_i64_i32 v[42:43], s[2:3], v42, s23, 0
	s_or_b64 s[2:3], s[6:7], s[14:15]
	v_lshl_add_u64 v[42:43], v[42:43], 1, s[18:19]
	v_cndmask_b32_e64 v125, 0, v123, s[2:3]
	s_nor_b64 s[28:29], s[4:5], s[2:3]
	s_and_saveexec_b64 s[2:3], s[28:29]
	s_cbranch_execz .LBB228_52
; %bb.51:                               ;   in Loop: Header=BB228_34 Depth=1
	v_lshl_add_u64 v[126:127], v[32:33], 1, v[42:43]
	flat_load_ushort v125, v[126:127]
	s_waitcnt vmcnt(0) lgkmcnt(0)
	v_mul_f16_e32 v125, v46, v125
.LBB228_52:                             ;   in Loop: Header=BB228_34 Depth=1
	s_or_b64 exec, exec, s[2:3]
	s_or_b64 s[2:3], s[8:9], s[14:15]
	v_cndmask_b32_e64 v126, 0, v123, s[2:3]
	s_nor_b64 s[28:29], s[2:3], s[4:5]
	s_and_saveexec_b64 s[2:3], s[28:29]
	s_cbranch_execz .LBB228_54
; %bb.53:                               ;   in Loop: Header=BB228_34 Depth=1
	v_lshl_add_u64 v[126:127], v[34:35], 1, v[42:43]
	flat_load_ushort v126, v[126:127]
	s_waitcnt vmcnt(0) lgkmcnt(0)
	v_mul_f16_e32 v126, v46, v126
.LBB228_54:                             ;   in Loop: Header=BB228_34 Depth=1
	s_or_b64 exec, exec, s[2:3]
	s_or_b64 s[2:3], s[10:11], s[14:15]
	;; [unrolled: 12-line block ×3, first 2 shown]
	v_cndmask_b32_e64 v128, 0, v123, s[2:3]
	s_nor_b64 s[14:15], s[2:3], s[4:5]
	s_and_saveexec_b64 s[2:3], s[14:15]
	s_cbranch_execz .LBB228_33
; %bb.57:                               ;   in Loop: Header=BB228_34 Depth=1
	v_lshl_add_u64 v[42:43], v[38:39], 1, v[42:43]
	flat_load_ushort v42, v[42:43]
	s_waitcnt vmcnt(0) lgkmcnt(0)
	v_mul_f16_e32 v128, v46, v42
	s_branch .LBB228_33
.LBB228_58:
	s_load_dwordx2 s[2:3], s[0:1], 0x78
	s_load_dword s29, s[0:1], 0x58
	s_load_dword s28, s[0:1], 0x70
	v_add_u32_e32 v0, 0x1000, v50
	v_add_u32_e32 v4, 0x800, v49
	ds_read2_b64 v[16:19], v0 offset0:64 offset1:72
	ds_read2_b64 v[12:15], v0 offset0:80 offset1:88
	ds_read2_b64 v[8:11], v0 offset0:96 offset1:104
	ds_read2_b64 v[0:3], v0 offset0:112 offset1:120
	ds_read2_b64 v[28:31], v4 offset1:32
	ds_read2_b64 v[24:27], v4 offset0:64 offset1:96
	ds_read2_b64 v[20:23], v4 offset0:128 offset1:160
	;; [unrolled: 1-line block ×3, first 2 shown]
	s_waitcnt lgkmcnt(0)
	s_lshl_b64 s[0:1], s[2:3], 1
	s_add_u32 s22, s26, s0
	v_add_u32_e32 v93, s31, v45
	s_addc_u32 s23, s27, s1
	v_mad_i64_i32 v[34:35], s[0:1], v93, s29, 0
	v_add_u32_e32 v32, s30, v44
	v_lshl_add_u64 v[50:51], v[34:35], 1, s[24:25]
	v_mad_i64_i32 v[34:35], s[0:1], v93, s28, 0
	v_cmp_gt_i32_e64 s[4:5], s20, v32
	v_cmp_gt_i32_e64 s[18:19], s21, v93
	v_lshl_add_u64 v[48:49], v[34:35], 1, s[22:23]
	v_cndmask_b32_e64 v34, 0, 1, s[16:17]
	v_ashrrev_i32_e32 v33, 31, v32
	s_and_b64 s[6:7], s[4:5], s[18:19]
	v_cmp_ne_u32_e64 s[0:1], 1, v34
	s_and_saveexec_b64 s[2:3], s[6:7]
	s_cbranch_execz .LBB228_63
; %bb.59:
	s_and_b64 vcc, exec, s[0:1]
	s_cbranch_vccnz .LBB228_61
; %bb.60:
	v_lshl_add_u64 v[34:35], v[32:33], 1, v[50:51]
	flat_load_ushort v34, v[34:35]
	s_waitcnt vmcnt(0) lgkmcnt(0)
	v_mul_f16_e32 v34, v52, v34
	v_cvt_f32_f16_e32 v34, v34
	s_branch .LBB228_62
.LBB228_61:
	v_mov_b32_e32 v34, 0
.LBB228_62:
	v_pk_add_f16 v35, v16, v28
	v_max_f16_e32 v36, v117, v117
	v_pk_add_f16 v38, v17, v29
	v_min_f16_e32 v36, v36, v35
	v_lshrrev_b32_e32 v37, 16, v117
	v_lshrrev_b32_e32 v35, 16, v35
	v_lshrrev_b32_e32 v39, 16, v38
	v_min3_f16 v35, v37, v35, v39
	v_min3_f16 v35, v36, v38, v35
	v_cvt_f32_f16_e32 v35, v35
	v_max_f32_e32 v34, v34, v34
	v_min_f32_e32 v34, v34, v35
	v_cvt_f16_f32_e32 v36, v34
	v_lshl_add_u64 v[34:35], v[32:33], 1, v[48:49]
	flat_store_short v[34:35], v36
.LBB228_63:
	s_or_b64 exec, exec, s[2:3]
	v_add_u32_e32 v34, 8, v32
	v_cmp_gt_i32_e64 s[2:3], s20, v34
	v_ashrrev_i32_e32 v35, 31, v34
	s_and_b64 s[8:9], s[2:3], s[18:19]
	s_and_saveexec_b64 s[6:7], s[8:9]
	s_cbranch_execz .LBB228_68
; %bb.64:
	s_and_b64 vcc, exec, s[0:1]
	s_cbranch_vccnz .LBB228_66
; %bb.65:
	v_lshl_add_u64 v[36:37], v[34:35], 1, v[50:51]
	flat_load_ushort v36, v[36:37]
	s_waitcnt vmcnt(0) lgkmcnt(0)
	v_mul_f16_e32 v36, v52, v36
	v_cvt_f32_f16_e32 v36, v36
	s_branch .LBB228_67
.LBB228_66:
	v_mov_b32_e32 v36, 0
.LBB228_67:
	v_pk_add_f16 v37, v18, v28
	v_max_f16_e32 v38, v116, v116
	v_pk_add_f16 v40, v19, v29
	v_min_f16_e32 v38, v38, v37
	v_lshrrev_b32_e32 v39, 16, v116
	v_lshrrev_b32_e32 v37, 16, v37
	v_lshrrev_b32_e32 v41, 16, v40
	v_min3_f16 v37, v39, v37, v41
	v_min3_f16 v37, v38, v40, v37
	v_cvt_f32_f16_e32 v37, v37
	v_max_f32_e32 v36, v36, v36
	v_min_f32_e32 v36, v36, v37
	v_cvt_f16_f32_e32 v38, v36
	v_lshl_add_u64 v[36:37], v[34:35], 1, v[48:49]
	flat_store_short v[36:37], v38
.LBB228_68:
	s_or_b64 exec, exec, s[6:7]
	v_add_u32_e32 v36, 16, v32
	v_cmp_gt_i32_e64 s[6:7], s20, v36
	v_ashrrev_i32_e32 v37, 31, v36
	s_and_b64 s[10:11], s[6:7], s[18:19]
	;; [unrolled: 36-line block ×5, first 2 shown]
	s_and_saveexec_b64 s[14:15], s[16:17]
	s_cbranch_execz .LBB228_88
; %bb.84:
	s_and_b64 vcc, exec, s[0:1]
	s_cbranch_vccnz .LBB228_86
; %bb.85:
	v_lshl_add_u64 v[44:45], v[42:43], 1, v[50:51]
	flat_load_ushort v44, v[44:45]
	s_waitcnt vmcnt(0) lgkmcnt(0)
	v_mul_f16_e32 v44, v52, v44
	v_cvt_f32_f16_e32 v44, v44
	s_branch .LBB228_87
.LBB228_86:
	v_mov_b32_e32 v44, 0
.LBB228_87:
	v_pk_add_f16 v45, v10, v28
	v_max_f16_e32 v46, v112, v112
	v_lshrrev_b32_e32 v47, 16, v112
	v_pk_add_f16 v112, v11, v29
	v_min_f16_e32 v46, v46, v45
	v_lshrrev_b32_e32 v45, 16, v45
	v_lshrrev_b32_e32 v113, 16, v112
	v_min3_f16 v45, v47, v45, v113
	v_min3_f16 v45, v46, v112, v45
	v_cvt_f32_f16_e32 v45, v45
	v_max_f32_e32 v44, v44, v44
	v_min_f32_e32 v44, v44, v45
	v_cvt_f16_f32_e32 v46, v44
	v_lshl_add_u64 v[44:45], v[42:43], 1, v[48:49]
	flat_store_short v[44:45], v46
.LBB228_88:
	s_or_b64 exec, exec, s[14:15]
	v_add_u32_e32 v44, 48, v32
	v_cmp_gt_i32_e64 s[14:15], s20, v44
	v_ashrrev_i32_e32 v45, 31, v44
	s_and_b64 s[26:27], s[14:15], s[18:19]
	s_and_saveexec_b64 s[16:17], s[26:27]
	s_cbranch_execz .LBB228_93
; %bb.89:
	s_and_b64 vcc, exec, s[0:1]
	s_cbranch_vccnz .LBB228_91
; %bb.90:
	v_lshl_add_u64 v[46:47], v[44:45], 1, v[50:51]
	flat_load_ushort v46, v[46:47]
	s_waitcnt vmcnt(0) lgkmcnt(0)
	v_mul_f16_e32 v46, v52, v46
	v_cvt_f32_f16_e32 v46, v46
	s_branch .LBB228_92
.LBB228_91:
	v_mov_b32_e32 v46, 0
.LBB228_92:
	v_pk_add_f16 v47, v0, v28
	v_max_f16_e32 v112, v111, v111
	v_pk_add_f16 v113, v1, v29
	v_min_f16_e32 v112, v112, v47
	v_lshrrev_b32_e32 v111, 16, v111
	v_lshrrev_b32_e32 v47, 16, v47
	;; [unrolled: 1-line block ×3, first 2 shown]
	v_min3_f16 v47, v111, v47, v114
	v_min3_f16 v47, v112, v113, v47
	v_cvt_f32_f16_e32 v47, v47
	v_max_f32_e32 v46, v46, v46
	v_min_f32_e32 v46, v46, v47
	v_cvt_f16_f32_e32 v111, v46
	v_lshl_add_u64 v[46:47], v[44:45], 1, v[48:49]
	flat_store_short v[46:47], v111
.LBB228_93:
	s_or_b64 exec, exec, s[16:17]
	v_add_u32_e32 v46, 56, v32
	v_cmp_gt_i32_e64 s[16:17], s20, v46
	v_ashrrev_i32_e32 v47, 31, v46
	s_and_b64 s[26:27], s[16:17], s[18:19]
	s_and_saveexec_b64 s[18:19], s[26:27]
	s_cbranch_execz .LBB228_98
; %bb.94:
	s_and_b64 vcc, exec, s[0:1]
	s_cbranch_vccnz .LBB228_96
; %bb.95:
	v_lshl_add_u64 v[50:51], v[46:47], 1, v[50:51]
	flat_load_ushort v50, v[50:51]
	s_waitcnt vmcnt(0) lgkmcnt(0)
	v_mul_f16_e32 v50, v52, v50
	v_cvt_f32_f16_e32 v50, v50
	s_branch .LBB228_97
.LBB228_96:
	v_mov_b32_e32 v50, 0
.LBB228_97:
	v_pk_add_f16 v28, v2, v28
	v_max_f16_e32 v51, v110, v110
	v_pk_add_f16 v29, v3, v29
	v_min_f16_e32 v51, v51, v28
	v_lshrrev_b32_e32 v110, 16, v110
	v_lshrrev_b32_e32 v28, 16, v28
	;; [unrolled: 1-line block ×3, first 2 shown]
	v_min3_f16 v28, v110, v28, v111
	v_min3_f16 v28, v51, v29, v28
	v_cvt_f32_f16_e32 v28, v28
	v_max_f32_e32 v29, v50, v50
	v_min_f32_e32 v28, v29, v28
	v_cvt_f16_f32_e32 v50, v28
	v_lshl_add_u64 v[28:29], v[46:47], 1, v[48:49]
	flat_store_short v[28:29], v50
.LBB228_98:
	s_or_b64 exec, exec, s[18:19]
	v_add_u32_e32 v50, 32, v93
	v_mad_i64_i32 v[28:29], s[26:27], v50, s29, 0
	v_cmp_gt_i32_e64 s[18:19], s21, v50
	v_lshl_add_u64 v[48:49], v[28:29], 1, s[24:25]
	v_mad_i64_i32 v[28:29], s[26:27], v50, s28, 0
	v_lshl_add_u64 v[28:29], v[28:29], 1, s[22:23]
	s_and_b64 s[30:31], s[4:5], s[18:19]
	s_and_saveexec_b64 s[26:27], s[30:31]
	s_cbranch_execnz .LBB228_106
; %bb.99:
	s_or_b64 exec, exec, s[26:27]
	s_and_b64 s[30:31], s[2:3], s[18:19]
	s_and_saveexec_b64 s[26:27], s[30:31]
	s_cbranch_execnz .LBB228_110
.LBB228_100:
	s_or_b64 exec, exec, s[26:27]
	s_and_b64 s[30:31], s[6:7], s[18:19]
	s_and_saveexec_b64 s[26:27], s[30:31]
	s_cbranch_execnz .LBB228_114
.LBB228_101:
	s_or_b64 exec, exec, s[26:27]
	s_and_b64 s[30:31], s[8:9], s[18:19]
	s_and_saveexec_b64 s[26:27], s[30:31]
	s_cbranch_execnz .LBB228_118
.LBB228_102:
	s_or_b64 exec, exec, s[26:27]
	s_and_b64 s[30:31], s[10:11], s[18:19]
	s_and_saveexec_b64 s[26:27], s[30:31]
	s_cbranch_execnz .LBB228_122
.LBB228_103:
	s_or_b64 exec, exec, s[26:27]
	s_and_b64 s[30:31], s[12:13], s[18:19]
	s_and_saveexec_b64 s[26:27], s[30:31]
	s_cbranch_execnz .LBB228_126
.LBB228_104:
	s_or_b64 exec, exec, s[26:27]
	s_and_b64 s[30:31], s[14:15], s[18:19]
	s_and_saveexec_b64 s[26:27], s[30:31]
	s_cbranch_execnz .LBB228_130
.LBB228_105:
	s_or_b64 exec, exec, s[26:27]
	s_and_b64 s[26:27], s[16:17], s[18:19]
	s_and_saveexec_b64 s[18:19], s[26:27]
	s_cbranch_execnz .LBB228_134
	s_branch .LBB228_138
.LBB228_106:
	s_and_b64 vcc, exec, s[0:1]
	s_cbranch_vccnz .LBB228_108
; %bb.107:
	v_lshl_add_u64 v[50:51], v[32:33], 1, v[48:49]
	flat_load_ushort v50, v[50:51]
	s_waitcnt vmcnt(0) lgkmcnt(0)
	v_mul_f16_e32 v50, v52, v50
	v_cvt_f32_f16_e32 v50, v50
	s_branch .LBB228_109
.LBB228_108:
	v_mov_b32_e32 v50, 0
.LBB228_109:
	v_pk_add_f16 v51, v16, v30
	v_max_f16_e32 v110, v109, v109
	v_pk_add_f16 v111, v17, v31
	v_min_f16_e32 v110, v110, v51
	v_lshrrev_b32_e32 v109, 16, v109
	v_lshrrev_b32_e32 v51, 16, v51
	;; [unrolled: 1-line block ×3, first 2 shown]
	v_min3_f16 v51, v109, v51, v112
	v_min3_f16 v51, v110, v111, v51
	v_cvt_f32_f16_e32 v51, v51
	v_max_f32_e32 v50, v50, v50
	v_min_f32_e32 v50, v50, v51
	v_cvt_f16_f32_e32 v109, v50
	v_lshl_add_u64 v[50:51], v[32:33], 1, v[28:29]
	flat_store_short v[50:51], v109
	s_or_b64 exec, exec, s[26:27]
	s_and_b64 s[30:31], s[2:3], s[18:19]
	s_and_saveexec_b64 s[26:27], s[30:31]
	s_cbranch_execz .LBB228_100
.LBB228_110:
	s_and_b64 vcc, exec, s[0:1]
	s_cbranch_vccnz .LBB228_112
; %bb.111:
	v_lshl_add_u64 v[50:51], v[34:35], 1, v[48:49]
	flat_load_ushort v50, v[50:51]
	s_waitcnt vmcnt(0) lgkmcnt(0)
	v_mul_f16_e32 v50, v52, v50
	v_cvt_f32_f16_e32 v50, v50
	s_branch .LBB228_113
.LBB228_112:
	v_mov_b32_e32 v50, 0
.LBB228_113:
	v_pk_add_f16 v51, v18, v30
	v_max_f16_e32 v109, v108, v108
	v_pk_add_f16 v110, v19, v31
	v_min_f16_e32 v109, v109, v51
	v_lshrrev_b32_e32 v108, 16, v108
	v_lshrrev_b32_e32 v51, 16, v51
	;; [unrolled: 1-line block ×3, first 2 shown]
	v_min3_f16 v51, v108, v51, v111
	v_min3_f16 v51, v109, v110, v51
	v_cvt_f32_f16_e32 v51, v51
	v_max_f32_e32 v50, v50, v50
	v_min_f32_e32 v50, v50, v51
	v_cvt_f16_f32_e32 v108, v50
	v_lshl_add_u64 v[50:51], v[34:35], 1, v[28:29]
	flat_store_short v[50:51], v108
	s_or_b64 exec, exec, s[26:27]
	s_and_b64 s[30:31], s[6:7], s[18:19]
	s_and_saveexec_b64 s[26:27], s[30:31]
	s_cbranch_execz .LBB228_101
.LBB228_114:
	s_and_b64 vcc, exec, s[0:1]
	s_cbranch_vccnz .LBB228_116
; %bb.115:
	v_lshl_add_u64 v[50:51], v[36:37], 1, v[48:49]
	flat_load_ushort v50, v[50:51]
	s_waitcnt vmcnt(0) lgkmcnt(0)
	v_mul_f16_e32 v50, v52, v50
	v_cvt_f32_f16_e32 v50, v50
	s_branch .LBB228_117
.LBB228_116:
	v_mov_b32_e32 v50, 0
.LBB228_117:
	v_pk_add_f16 v51, v12, v30
	v_max_f16_e32 v108, v107, v107
	v_pk_add_f16 v109, v13, v31
	v_min_f16_e32 v108, v108, v51
	v_lshrrev_b32_e32 v107, 16, v107
	v_lshrrev_b32_e32 v51, 16, v51
	;; [unrolled: 1-line block ×3, first 2 shown]
	v_min3_f16 v51, v107, v51, v110
	v_min3_f16 v51, v108, v109, v51
	v_cvt_f32_f16_e32 v51, v51
	v_max_f32_e32 v50, v50, v50
	v_min_f32_e32 v50, v50, v51
	v_cvt_f16_f32_e32 v107, v50
	v_lshl_add_u64 v[50:51], v[36:37], 1, v[28:29]
	flat_store_short v[50:51], v107
	s_or_b64 exec, exec, s[26:27]
	s_and_b64 s[30:31], s[8:9], s[18:19]
	s_and_saveexec_b64 s[26:27], s[30:31]
	s_cbranch_execz .LBB228_102
.LBB228_118:
	s_and_b64 vcc, exec, s[0:1]
	s_cbranch_vccnz .LBB228_120
; %bb.119:
	v_lshl_add_u64 v[50:51], v[38:39], 1, v[48:49]
	flat_load_ushort v50, v[50:51]
	s_waitcnt vmcnt(0) lgkmcnt(0)
	v_mul_f16_e32 v50, v52, v50
	v_cvt_f32_f16_e32 v50, v50
	s_branch .LBB228_121
.LBB228_120:
	v_mov_b32_e32 v50, 0
.LBB228_121:
	v_pk_add_f16 v51, v14, v30
	v_max_f16_e32 v107, v106, v106
	v_pk_add_f16 v108, v15, v31
	v_min_f16_e32 v107, v107, v51
	v_lshrrev_b32_e32 v106, 16, v106
	v_lshrrev_b32_e32 v51, 16, v51
	;; [unrolled: 1-line block ×3, first 2 shown]
	v_min3_f16 v51, v106, v51, v109
	v_min3_f16 v51, v107, v108, v51
	v_cvt_f32_f16_e32 v51, v51
	v_max_f32_e32 v50, v50, v50
	v_min_f32_e32 v50, v50, v51
	v_cvt_f16_f32_e32 v106, v50
	v_lshl_add_u64 v[50:51], v[38:39], 1, v[28:29]
	flat_store_short v[50:51], v106
	s_or_b64 exec, exec, s[26:27]
	s_and_b64 s[30:31], s[10:11], s[18:19]
	s_and_saveexec_b64 s[26:27], s[30:31]
	s_cbranch_execz .LBB228_103
.LBB228_122:
	s_and_b64 vcc, exec, s[0:1]
	s_cbranch_vccnz .LBB228_124
; %bb.123:
	v_lshl_add_u64 v[50:51], v[40:41], 1, v[48:49]
	flat_load_ushort v50, v[50:51]
	s_waitcnt vmcnt(0) lgkmcnt(0)
	v_mul_f16_e32 v50, v52, v50
	v_cvt_f32_f16_e32 v50, v50
	s_branch .LBB228_125
.LBB228_124:
	v_mov_b32_e32 v50, 0
.LBB228_125:
	v_pk_add_f16 v51, v8, v30
	v_max_f16_e32 v106, v105, v105
	v_pk_add_f16 v107, v9, v31
	v_min_f16_e32 v106, v106, v51
	v_lshrrev_b32_e32 v105, 16, v105
	v_lshrrev_b32_e32 v51, 16, v51
	;; [unrolled: 1-line block ×3, first 2 shown]
	v_min3_f16 v51, v105, v51, v108
	v_min3_f16 v51, v106, v107, v51
	v_cvt_f32_f16_e32 v51, v51
	v_max_f32_e32 v50, v50, v50
	v_min_f32_e32 v50, v50, v51
	v_cvt_f16_f32_e32 v105, v50
	v_lshl_add_u64 v[50:51], v[40:41], 1, v[28:29]
	flat_store_short v[50:51], v105
	s_or_b64 exec, exec, s[26:27]
	s_and_b64 s[30:31], s[12:13], s[18:19]
	s_and_saveexec_b64 s[26:27], s[30:31]
	s_cbranch_execz .LBB228_104
.LBB228_126:
	s_and_b64 vcc, exec, s[0:1]
	s_cbranch_vccnz .LBB228_128
; %bb.127:
	v_lshl_add_u64 v[50:51], v[42:43], 1, v[48:49]
	flat_load_ushort v50, v[50:51]
	s_waitcnt vmcnt(0) lgkmcnt(0)
	v_mul_f16_e32 v50, v52, v50
	v_cvt_f32_f16_e32 v50, v50
	s_branch .LBB228_129
.LBB228_128:
	v_mov_b32_e32 v50, 0
.LBB228_129:
	v_pk_add_f16 v51, v10, v30
	v_max_f16_e32 v105, v104, v104
	v_pk_add_f16 v106, v11, v31
	v_min_f16_e32 v105, v105, v51
	v_lshrrev_b32_e32 v104, 16, v104
	v_lshrrev_b32_e32 v51, 16, v51
	;; [unrolled: 1-line block ×3, first 2 shown]
	v_min3_f16 v51, v104, v51, v107
	v_min3_f16 v51, v105, v106, v51
	v_cvt_f32_f16_e32 v51, v51
	v_max_f32_e32 v50, v50, v50
	v_min_f32_e32 v50, v50, v51
	v_cvt_f16_f32_e32 v104, v50
	v_lshl_add_u64 v[50:51], v[42:43], 1, v[28:29]
	flat_store_short v[50:51], v104
	s_or_b64 exec, exec, s[26:27]
	s_and_b64 s[30:31], s[14:15], s[18:19]
	s_and_saveexec_b64 s[26:27], s[30:31]
	s_cbranch_execz .LBB228_105
.LBB228_130:
	s_and_b64 vcc, exec, s[0:1]
	s_cbranch_vccnz .LBB228_132
; %bb.131:
	v_lshl_add_u64 v[50:51], v[44:45], 1, v[48:49]
	flat_load_ushort v50, v[50:51]
	s_waitcnt vmcnt(0) lgkmcnt(0)
	v_mul_f16_e32 v50, v52, v50
	v_cvt_f32_f16_e32 v50, v50
	s_branch .LBB228_133
.LBB228_132:
	v_mov_b32_e32 v50, 0
.LBB228_133:
	v_pk_add_f16 v51, v0, v30
	v_max_f16_e32 v104, v103, v103
	v_pk_add_f16 v105, v1, v31
	v_min_f16_e32 v104, v104, v51
	v_lshrrev_b32_e32 v103, 16, v103
	v_lshrrev_b32_e32 v51, 16, v51
	;; [unrolled: 1-line block ×3, first 2 shown]
	v_min3_f16 v51, v103, v51, v106
	v_min3_f16 v51, v104, v105, v51
	v_cvt_f32_f16_e32 v51, v51
	v_max_f32_e32 v50, v50, v50
	v_min_f32_e32 v50, v50, v51
	v_cvt_f16_f32_e32 v103, v50
	v_lshl_add_u64 v[50:51], v[44:45], 1, v[28:29]
	flat_store_short v[50:51], v103
	s_or_b64 exec, exec, s[26:27]
	s_and_b64 s[26:27], s[16:17], s[18:19]
	s_and_saveexec_b64 s[18:19], s[26:27]
	s_cbranch_execz .LBB228_138
.LBB228_134:
	s_and_b64 vcc, exec, s[0:1]
	s_cbranch_vccnz .LBB228_136
; %bb.135:
	v_lshl_add_u64 v[48:49], v[46:47], 1, v[48:49]
	flat_load_ushort v48, v[48:49]
	s_waitcnt vmcnt(0) lgkmcnt(0)
	v_mul_f16_e32 v48, v52, v48
	v_cvt_f32_f16_e32 v48, v48
	s_branch .LBB228_137
.LBB228_136:
	v_mov_b32_e32 v48, 0
.LBB228_137:
	v_pk_add_f16 v30, v2, v30
	v_max_f16_e32 v49, v102, v102
	v_pk_add_f16 v31, v3, v31
	v_min_f16_e32 v49, v49, v30
	v_lshrrev_b32_e32 v50, 16, v102
	v_lshrrev_b32_e32 v30, 16, v30
	;; [unrolled: 1-line block ×3, first 2 shown]
	v_min3_f16 v30, v50, v30, v51
	v_min3_f16 v30, v49, v31, v30
	v_cvt_f32_f16_e32 v30, v30
	v_max_f32_e32 v31, v48, v48
	v_lshl_add_u64 v[28:29], v[46:47], 1, v[28:29]
	v_min_f32_e32 v30, v31, v30
	v_cvt_f16_f32_e32 v30, v30
	flat_store_short v[28:29], v30
.LBB228_138:
	s_or_b64 exec, exec, s[18:19]
	v_add_u32_e32 v48, 64, v93
	v_mad_i64_i32 v[28:29], s[26:27], v48, s29, 0
	v_cmp_gt_i32_e64 s[18:19], s21, v48
	v_lshl_add_u64 v[30:31], v[28:29], 1, s[24:25]
	v_mad_i64_i32 v[28:29], s[26:27], v48, s28, 0
	v_lshl_add_u64 v[28:29], v[28:29], 1, s[22:23]
	s_and_b64 s[30:31], s[4:5], s[18:19]
	s_and_saveexec_b64 s[26:27], s[30:31]
	s_cbranch_execnz .LBB228_146
; %bb.139:
	s_or_b64 exec, exec, s[26:27]
	s_and_b64 s[30:31], s[2:3], s[18:19]
	s_and_saveexec_b64 s[26:27], s[30:31]
	s_cbranch_execnz .LBB228_150
.LBB228_140:
	s_or_b64 exec, exec, s[26:27]
	s_and_b64 s[30:31], s[6:7], s[18:19]
	s_and_saveexec_b64 s[26:27], s[30:31]
	s_cbranch_execnz .LBB228_154
.LBB228_141:
	s_or_b64 exec, exec, s[26:27]
	s_and_b64 s[30:31], s[8:9], s[18:19]
	s_and_saveexec_b64 s[26:27], s[30:31]
	s_cbranch_execnz .LBB228_158
.LBB228_142:
	s_or_b64 exec, exec, s[26:27]
	s_and_b64 s[30:31], s[10:11], s[18:19]
	s_and_saveexec_b64 s[26:27], s[30:31]
	s_cbranch_execnz .LBB228_162
.LBB228_143:
	s_or_b64 exec, exec, s[26:27]
	s_and_b64 s[30:31], s[12:13], s[18:19]
	s_and_saveexec_b64 s[26:27], s[30:31]
	s_cbranch_execnz .LBB228_166
.LBB228_144:
	s_or_b64 exec, exec, s[26:27]
	s_and_b64 s[30:31], s[14:15], s[18:19]
	s_and_saveexec_b64 s[26:27], s[30:31]
	s_cbranch_execnz .LBB228_170
.LBB228_145:
	s_or_b64 exec, exec, s[26:27]
	s_and_b64 s[26:27], s[16:17], s[18:19]
	s_and_saveexec_b64 s[18:19], s[26:27]
	s_cbranch_execnz .LBB228_174
	s_branch .LBB228_178
.LBB228_146:
	s_and_b64 vcc, exec, s[0:1]
	s_cbranch_vccnz .LBB228_148
; %bb.147:
	v_lshl_add_u64 v[48:49], v[32:33], 1, v[30:31]
	flat_load_ushort v48, v[48:49]
	s_waitcnt vmcnt(0) lgkmcnt(0)
	v_mul_f16_e32 v48, v52, v48
	v_cvt_f32_f16_e32 v48, v48
	s_branch .LBB228_149
.LBB228_148:
	v_mov_b32_e32 v48, 0
.LBB228_149:
	v_pk_add_f16 v49, v16, v24
	v_max_f16_e32 v50, v101, v101
	v_lshrrev_b32_e32 v51, 16, v101
	v_pk_add_f16 v101, v17, v25
	v_min_f16_e32 v50, v50, v49
	v_lshrrev_b32_e32 v49, 16, v49
	v_lshrrev_b32_e32 v102, 16, v101
	v_min3_f16 v49, v51, v49, v102
	v_min3_f16 v49, v50, v101, v49
	v_cvt_f32_f16_e32 v49, v49
	v_max_f32_e32 v48, v48, v48
	v_min_f32_e32 v48, v48, v49
	v_cvt_f16_f32_e32 v50, v48
	v_lshl_add_u64 v[48:49], v[32:33], 1, v[28:29]
	flat_store_short v[48:49], v50
	s_or_b64 exec, exec, s[26:27]
	s_and_b64 s[30:31], s[2:3], s[18:19]
	s_and_saveexec_b64 s[26:27], s[30:31]
	s_cbranch_execz .LBB228_140
.LBB228_150:
	s_and_b64 vcc, exec, s[0:1]
	s_cbranch_vccnz .LBB228_152
; %bb.151:
	v_lshl_add_u64 v[48:49], v[34:35], 1, v[30:31]
	flat_load_ushort v48, v[48:49]
	s_waitcnt vmcnt(0) lgkmcnt(0)
	v_mul_f16_e32 v48, v52, v48
	v_cvt_f32_f16_e32 v48, v48
	s_branch .LBB228_153
.LBB228_152:
	v_mov_b32_e32 v48, 0
.LBB228_153:
	v_pk_add_f16 v49, v18, v24
	v_max_f16_e32 v50, v100, v100
	v_lshrrev_b32_e32 v51, 16, v100
	v_pk_add_f16 v100, v19, v25
	v_min_f16_e32 v50, v50, v49
	v_lshrrev_b32_e32 v49, 16, v49
	v_lshrrev_b32_e32 v101, 16, v100
	v_min3_f16 v49, v51, v49, v101
	v_min3_f16 v49, v50, v100, v49
	v_cvt_f32_f16_e32 v49, v49
	v_max_f32_e32 v48, v48, v48
	v_min_f32_e32 v48, v48, v49
	v_cvt_f16_f32_e32 v50, v48
	v_lshl_add_u64 v[48:49], v[34:35], 1, v[28:29]
	flat_store_short v[48:49], v50
	s_or_b64 exec, exec, s[26:27]
	s_and_b64 s[30:31], s[6:7], s[18:19]
	s_and_saveexec_b64 s[26:27], s[30:31]
	s_cbranch_execz .LBB228_141
.LBB228_154:
	s_and_b64 vcc, exec, s[0:1]
	s_cbranch_vccnz .LBB228_156
; %bb.155:
	v_lshl_add_u64 v[48:49], v[36:37], 1, v[30:31]
	flat_load_ushort v48, v[48:49]
	s_waitcnt vmcnt(0) lgkmcnt(0)
	v_mul_f16_e32 v48, v52, v48
	v_cvt_f32_f16_e32 v48, v48
	s_branch .LBB228_157
.LBB228_156:
	v_mov_b32_e32 v48, 0
.LBB228_157:
	v_pk_add_f16 v49, v12, v24
	v_max_f16_e32 v50, v99, v99
	v_lshrrev_b32_e32 v51, 16, v99
	v_pk_add_f16 v99, v13, v25
	v_min_f16_e32 v50, v50, v49
	v_lshrrev_b32_e32 v49, 16, v49
	v_lshrrev_b32_e32 v100, 16, v99
	v_min3_f16 v49, v51, v49, v100
	v_min3_f16 v49, v50, v99, v49
	v_cvt_f32_f16_e32 v49, v49
	v_max_f32_e32 v48, v48, v48
	v_min_f32_e32 v48, v48, v49
	v_cvt_f16_f32_e32 v50, v48
	v_lshl_add_u64 v[48:49], v[36:37], 1, v[28:29]
	flat_store_short v[48:49], v50
	s_or_b64 exec, exec, s[26:27]
	s_and_b64 s[30:31], s[8:9], s[18:19]
	s_and_saveexec_b64 s[26:27], s[30:31]
	s_cbranch_execz .LBB228_142
.LBB228_158:
	s_and_b64 vcc, exec, s[0:1]
	s_cbranch_vccnz .LBB228_160
; %bb.159:
	v_lshl_add_u64 v[48:49], v[38:39], 1, v[30:31]
	flat_load_ushort v48, v[48:49]
	s_waitcnt vmcnt(0) lgkmcnt(0)
	v_mul_f16_e32 v48, v52, v48
	v_cvt_f32_f16_e32 v48, v48
	s_branch .LBB228_161
.LBB228_160:
	v_mov_b32_e32 v48, 0
.LBB228_161:
	v_pk_add_f16 v49, v14, v24
	v_max_f16_e32 v50, v98, v98
	v_lshrrev_b32_e32 v51, 16, v98
	v_pk_add_f16 v98, v15, v25
	v_min_f16_e32 v50, v50, v49
	v_lshrrev_b32_e32 v49, 16, v49
	v_lshrrev_b32_e32 v99, 16, v98
	v_min3_f16 v49, v51, v49, v99
	v_min3_f16 v49, v50, v98, v49
	v_cvt_f32_f16_e32 v49, v49
	v_max_f32_e32 v48, v48, v48
	v_min_f32_e32 v48, v48, v49
	v_cvt_f16_f32_e32 v50, v48
	v_lshl_add_u64 v[48:49], v[38:39], 1, v[28:29]
	flat_store_short v[48:49], v50
	s_or_b64 exec, exec, s[26:27]
	s_and_b64 s[30:31], s[10:11], s[18:19]
	s_and_saveexec_b64 s[26:27], s[30:31]
	s_cbranch_execz .LBB228_143
.LBB228_162:
	s_and_b64 vcc, exec, s[0:1]
	s_cbranch_vccnz .LBB228_164
; %bb.163:
	v_lshl_add_u64 v[48:49], v[40:41], 1, v[30:31]
	flat_load_ushort v48, v[48:49]
	s_waitcnt vmcnt(0) lgkmcnt(0)
	v_mul_f16_e32 v48, v52, v48
	v_cvt_f32_f16_e32 v48, v48
	s_branch .LBB228_165
.LBB228_164:
	v_mov_b32_e32 v48, 0
.LBB228_165:
	v_pk_add_f16 v49, v8, v24
	v_max_f16_e32 v50, v97, v97
	v_lshrrev_b32_e32 v51, 16, v97
	v_pk_add_f16 v97, v9, v25
	v_min_f16_e32 v50, v50, v49
	v_lshrrev_b32_e32 v49, 16, v49
	v_lshrrev_b32_e32 v98, 16, v97
	v_min3_f16 v49, v51, v49, v98
	v_min3_f16 v49, v50, v97, v49
	v_cvt_f32_f16_e32 v49, v49
	v_max_f32_e32 v48, v48, v48
	v_min_f32_e32 v48, v48, v49
	v_cvt_f16_f32_e32 v50, v48
	v_lshl_add_u64 v[48:49], v[40:41], 1, v[28:29]
	flat_store_short v[48:49], v50
	s_or_b64 exec, exec, s[26:27]
	s_and_b64 s[30:31], s[12:13], s[18:19]
	s_and_saveexec_b64 s[26:27], s[30:31]
	s_cbranch_execz .LBB228_144
.LBB228_166:
	s_and_b64 vcc, exec, s[0:1]
	s_cbranch_vccnz .LBB228_168
; %bb.167:
	v_lshl_add_u64 v[48:49], v[42:43], 1, v[30:31]
	flat_load_ushort v48, v[48:49]
	s_waitcnt vmcnt(0) lgkmcnt(0)
	v_mul_f16_e32 v48, v52, v48
	v_cvt_f32_f16_e32 v48, v48
	s_branch .LBB228_169
.LBB228_168:
	v_mov_b32_e32 v48, 0
.LBB228_169:
	v_pk_add_f16 v49, v10, v24
	v_max_f16_e32 v50, v96, v96
	v_lshrrev_b32_e32 v51, 16, v96
	v_pk_add_f16 v96, v11, v25
	v_min_f16_e32 v50, v50, v49
	v_lshrrev_b32_e32 v49, 16, v49
	v_lshrrev_b32_e32 v97, 16, v96
	v_min3_f16 v49, v51, v49, v97
	v_min3_f16 v49, v50, v96, v49
	v_cvt_f32_f16_e32 v49, v49
	v_max_f32_e32 v48, v48, v48
	v_min_f32_e32 v48, v48, v49
	v_cvt_f16_f32_e32 v50, v48
	v_lshl_add_u64 v[48:49], v[42:43], 1, v[28:29]
	flat_store_short v[48:49], v50
	s_or_b64 exec, exec, s[26:27]
	s_and_b64 s[30:31], s[14:15], s[18:19]
	s_and_saveexec_b64 s[26:27], s[30:31]
	s_cbranch_execz .LBB228_145
.LBB228_170:
	s_and_b64 vcc, exec, s[0:1]
	s_cbranch_vccnz .LBB228_172
; %bb.171:
	v_lshl_add_u64 v[48:49], v[44:45], 1, v[30:31]
	flat_load_ushort v48, v[48:49]
	s_waitcnt vmcnt(0) lgkmcnt(0)
	v_mul_f16_e32 v48, v52, v48
	v_cvt_f32_f16_e32 v48, v48
	s_branch .LBB228_173
.LBB228_172:
	v_mov_b32_e32 v48, 0
.LBB228_173:
	v_pk_add_f16 v49, v0, v24
	v_max_f16_e32 v50, v95, v95
	v_lshrrev_b32_e32 v51, 16, v95
	v_pk_add_f16 v95, v1, v25
	v_min_f16_e32 v50, v50, v49
	v_lshrrev_b32_e32 v49, 16, v49
	v_lshrrev_b32_e32 v96, 16, v95
	v_min3_f16 v49, v51, v49, v96
	v_min3_f16 v49, v50, v95, v49
	v_cvt_f32_f16_e32 v49, v49
	v_max_f32_e32 v48, v48, v48
	v_min_f32_e32 v48, v48, v49
	v_cvt_f16_f32_e32 v50, v48
	v_lshl_add_u64 v[48:49], v[44:45], 1, v[28:29]
	flat_store_short v[48:49], v50
	s_or_b64 exec, exec, s[26:27]
	s_and_b64 s[26:27], s[16:17], s[18:19]
	s_and_saveexec_b64 s[18:19], s[26:27]
	s_cbranch_execz .LBB228_178
.LBB228_174:
	s_and_b64 vcc, exec, s[0:1]
	s_cbranch_vccnz .LBB228_176
; %bb.175:
	v_lshl_add_u64 v[30:31], v[46:47], 1, v[30:31]
	flat_load_ushort v30, v[30:31]
	s_waitcnt vmcnt(0) lgkmcnt(0)
	v_mul_f16_e32 v30, v52, v30
	v_cvt_f32_f16_e32 v30, v30
	s_branch .LBB228_177
.LBB228_176:
	v_mov_b32_e32 v30, 0
.LBB228_177:
	v_pk_add_f16 v24, v2, v24
	v_max_f16_e32 v31, v94, v94
	v_pk_add_f16 v25, v3, v25
	v_min_f16_e32 v31, v31, v24
	v_lshrrev_b32_e32 v48, 16, v94
	v_lshrrev_b32_e32 v24, 16, v24
	;; [unrolled: 1-line block ×3, first 2 shown]
	v_min3_f16 v24, v48, v24, v49
	v_min3_f16 v24, v31, v25, v24
	v_cvt_f32_f16_e32 v24, v24
	v_max_f32_e32 v25, v30, v30
	v_min_f32_e32 v24, v25, v24
	v_cvt_f16_f32_e32 v30, v24
	v_lshl_add_u64 v[24:25], v[46:47], 1, v[28:29]
	flat_store_short v[24:25], v30
.LBB228_178:
	s_or_b64 exec, exec, s[18:19]
	v_add_u32_e32 v30, 0x60, v93
	v_mad_i64_i32 v[24:25], s[26:27], v30, s29, 0
	v_cmp_gt_i32_e64 s[18:19], s21, v30
	v_lshl_add_u64 v[28:29], v[24:25], 1, s[24:25]
	v_mad_i64_i32 v[24:25], s[26:27], v30, s28, 0
	v_lshl_add_u64 v[24:25], v[24:25], 1, s[22:23]
	s_and_b64 s[30:31], s[4:5], s[18:19]
	s_and_saveexec_b64 s[26:27], s[30:31]
	s_cbranch_execnz .LBB228_186
; %bb.179:
	s_or_b64 exec, exec, s[26:27]
	s_and_b64 s[30:31], s[2:3], s[18:19]
	s_and_saveexec_b64 s[26:27], s[30:31]
	s_cbranch_execnz .LBB228_190
.LBB228_180:
	s_or_b64 exec, exec, s[26:27]
	s_and_b64 s[30:31], s[6:7], s[18:19]
	s_and_saveexec_b64 s[26:27], s[30:31]
	s_cbranch_execnz .LBB228_194
.LBB228_181:
	s_or_b64 exec, exec, s[26:27]
	s_and_b64 s[30:31], s[8:9], s[18:19]
	s_and_saveexec_b64 s[26:27], s[30:31]
	s_cbranch_execnz .LBB228_198
.LBB228_182:
	s_or_b64 exec, exec, s[26:27]
	s_and_b64 s[30:31], s[10:11], s[18:19]
	s_and_saveexec_b64 s[26:27], s[30:31]
	s_cbranch_execnz .LBB228_202
.LBB228_183:
	s_or_b64 exec, exec, s[26:27]
	s_and_b64 s[30:31], s[12:13], s[18:19]
	s_and_saveexec_b64 s[26:27], s[30:31]
	s_cbranch_execnz .LBB228_206
.LBB228_184:
	s_or_b64 exec, exec, s[26:27]
	s_and_b64 s[30:31], s[14:15], s[18:19]
	s_and_saveexec_b64 s[26:27], s[30:31]
	s_cbranch_execnz .LBB228_210
.LBB228_185:
	s_or_b64 exec, exec, s[26:27]
	s_and_b64 s[26:27], s[16:17], s[18:19]
	s_and_saveexec_b64 s[18:19], s[26:27]
	s_cbranch_execnz .LBB228_214
	s_branch .LBB228_218
.LBB228_186:
	s_and_b64 vcc, exec, s[0:1]
	s_cbranch_vccnz .LBB228_188
; %bb.187:
	v_lshl_add_u64 v[30:31], v[32:33], 1, v[28:29]
	flat_load_ushort v30, v[30:31]
	s_waitcnt vmcnt(0) lgkmcnt(0)
	v_mul_f16_e32 v30, v52, v30
	v_cvt_f32_f16_e32 v30, v30
	s_branch .LBB228_189
.LBB228_188:
	v_mov_b32_e32 v30, 0
.LBB228_189:
	v_pk_add_f16 v31, v16, v26
	v_max_f16_e32 v48, v92, v92
	v_pk_add_f16 v50, v17, v27
	v_min_f16_e32 v48, v48, v31
	v_lshrrev_b32_e32 v49, 16, v92
	v_lshrrev_b32_e32 v31, 16, v31
	;; [unrolled: 1-line block ×3, first 2 shown]
	v_min3_f16 v31, v49, v31, v51
	v_min3_f16 v31, v48, v50, v31
	v_cvt_f32_f16_e32 v31, v31
	v_max_f32_e32 v30, v30, v30
	v_min_f32_e32 v30, v30, v31
	v_cvt_f16_f32_e32 v48, v30
	v_lshl_add_u64 v[30:31], v[32:33], 1, v[24:25]
	flat_store_short v[30:31], v48
	s_or_b64 exec, exec, s[26:27]
	s_and_b64 s[30:31], s[2:3], s[18:19]
	s_and_saveexec_b64 s[26:27], s[30:31]
	s_cbranch_execz .LBB228_180
.LBB228_190:
	s_and_b64 vcc, exec, s[0:1]
	s_cbranch_vccnz .LBB228_192
; %bb.191:
	v_lshl_add_u64 v[30:31], v[34:35], 1, v[28:29]
	flat_load_ushort v30, v[30:31]
	s_waitcnt vmcnt(0) lgkmcnt(0)
	v_mul_f16_e32 v30, v52, v30
	v_cvt_f32_f16_e32 v30, v30
	s_branch .LBB228_193
.LBB228_192:
	v_mov_b32_e32 v30, 0
.LBB228_193:
	v_pk_add_f16 v31, v18, v26
	v_max_f16_e32 v48, v91, v91
	v_pk_add_f16 v50, v19, v27
	v_min_f16_e32 v48, v48, v31
	v_lshrrev_b32_e32 v49, 16, v91
	v_lshrrev_b32_e32 v31, 16, v31
	;; [unrolled: 1-line block ×3, first 2 shown]
	v_min3_f16 v31, v49, v31, v51
	v_min3_f16 v31, v48, v50, v31
	v_cvt_f32_f16_e32 v31, v31
	v_max_f32_e32 v30, v30, v30
	v_min_f32_e32 v30, v30, v31
	v_cvt_f16_f32_e32 v48, v30
	v_lshl_add_u64 v[30:31], v[34:35], 1, v[24:25]
	flat_store_short v[30:31], v48
	s_or_b64 exec, exec, s[26:27]
	s_and_b64 s[30:31], s[6:7], s[18:19]
	s_and_saveexec_b64 s[26:27], s[30:31]
	s_cbranch_execz .LBB228_181
.LBB228_194:
	s_and_b64 vcc, exec, s[0:1]
	s_cbranch_vccnz .LBB228_196
; %bb.195:
	v_lshl_add_u64 v[30:31], v[36:37], 1, v[28:29]
	flat_load_ushort v30, v[30:31]
	s_waitcnt vmcnt(0) lgkmcnt(0)
	v_mul_f16_e32 v30, v52, v30
	v_cvt_f32_f16_e32 v30, v30
	s_branch .LBB228_197
.LBB228_196:
	v_mov_b32_e32 v30, 0
.LBB228_197:
	v_pk_add_f16 v31, v12, v26
	v_max_f16_e32 v48, v90, v90
	v_pk_add_f16 v50, v13, v27
	v_min_f16_e32 v48, v48, v31
	v_lshrrev_b32_e32 v49, 16, v90
	v_lshrrev_b32_e32 v31, 16, v31
	;; [unrolled: 1-line block ×3, first 2 shown]
	v_min3_f16 v31, v49, v31, v51
	v_min3_f16 v31, v48, v50, v31
	v_cvt_f32_f16_e32 v31, v31
	v_max_f32_e32 v30, v30, v30
	v_min_f32_e32 v30, v30, v31
	v_cvt_f16_f32_e32 v48, v30
	v_lshl_add_u64 v[30:31], v[36:37], 1, v[24:25]
	flat_store_short v[30:31], v48
	s_or_b64 exec, exec, s[26:27]
	s_and_b64 s[30:31], s[8:9], s[18:19]
	s_and_saveexec_b64 s[26:27], s[30:31]
	s_cbranch_execz .LBB228_182
.LBB228_198:
	s_and_b64 vcc, exec, s[0:1]
	s_cbranch_vccnz .LBB228_200
; %bb.199:
	v_lshl_add_u64 v[30:31], v[38:39], 1, v[28:29]
	flat_load_ushort v30, v[30:31]
	s_waitcnt vmcnt(0) lgkmcnt(0)
	v_mul_f16_e32 v30, v52, v30
	v_cvt_f32_f16_e32 v30, v30
	s_branch .LBB228_201
.LBB228_200:
	v_mov_b32_e32 v30, 0
.LBB228_201:
	v_pk_add_f16 v31, v14, v26
	v_max_f16_e32 v48, v89, v89
	v_pk_add_f16 v50, v15, v27
	v_min_f16_e32 v48, v48, v31
	v_lshrrev_b32_e32 v49, 16, v89
	v_lshrrev_b32_e32 v31, 16, v31
	;; [unrolled: 1-line block ×3, first 2 shown]
	v_min3_f16 v31, v49, v31, v51
	v_min3_f16 v31, v48, v50, v31
	v_cvt_f32_f16_e32 v31, v31
	v_max_f32_e32 v30, v30, v30
	v_min_f32_e32 v30, v30, v31
	v_cvt_f16_f32_e32 v48, v30
	v_lshl_add_u64 v[30:31], v[38:39], 1, v[24:25]
	flat_store_short v[30:31], v48
	s_or_b64 exec, exec, s[26:27]
	s_and_b64 s[30:31], s[10:11], s[18:19]
	s_and_saveexec_b64 s[26:27], s[30:31]
	s_cbranch_execz .LBB228_183
.LBB228_202:
	s_and_b64 vcc, exec, s[0:1]
	s_cbranch_vccnz .LBB228_204
; %bb.203:
	v_lshl_add_u64 v[30:31], v[40:41], 1, v[28:29]
	flat_load_ushort v30, v[30:31]
	s_waitcnt vmcnt(0) lgkmcnt(0)
	v_mul_f16_e32 v30, v52, v30
	v_cvt_f32_f16_e32 v30, v30
	s_branch .LBB228_205
.LBB228_204:
	v_mov_b32_e32 v30, 0
.LBB228_205:
	v_pk_add_f16 v31, v8, v26
	v_max_f16_e32 v48, v88, v88
	v_pk_add_f16 v50, v9, v27
	v_min_f16_e32 v48, v48, v31
	v_lshrrev_b32_e32 v49, 16, v88
	v_lshrrev_b32_e32 v31, 16, v31
	;; [unrolled: 1-line block ×3, first 2 shown]
	v_min3_f16 v31, v49, v31, v51
	v_min3_f16 v31, v48, v50, v31
	v_cvt_f32_f16_e32 v31, v31
	v_max_f32_e32 v30, v30, v30
	v_min_f32_e32 v30, v30, v31
	v_cvt_f16_f32_e32 v48, v30
	v_lshl_add_u64 v[30:31], v[40:41], 1, v[24:25]
	flat_store_short v[30:31], v48
	s_or_b64 exec, exec, s[26:27]
	s_and_b64 s[30:31], s[12:13], s[18:19]
	s_and_saveexec_b64 s[26:27], s[30:31]
	s_cbranch_execz .LBB228_184
.LBB228_206:
	s_and_b64 vcc, exec, s[0:1]
	s_cbranch_vccnz .LBB228_208
; %bb.207:
	v_lshl_add_u64 v[30:31], v[42:43], 1, v[28:29]
	flat_load_ushort v30, v[30:31]
	s_waitcnt vmcnt(0) lgkmcnt(0)
	v_mul_f16_e32 v30, v52, v30
	v_cvt_f32_f16_e32 v30, v30
	s_branch .LBB228_209
.LBB228_208:
	v_mov_b32_e32 v30, 0
.LBB228_209:
	v_pk_add_f16 v31, v10, v26
	v_max_f16_e32 v48, v87, v87
	v_pk_add_f16 v50, v11, v27
	v_min_f16_e32 v48, v48, v31
	v_lshrrev_b32_e32 v49, 16, v87
	v_lshrrev_b32_e32 v31, 16, v31
	v_lshrrev_b32_e32 v51, 16, v50
	v_min3_f16 v31, v49, v31, v51
	v_min3_f16 v31, v48, v50, v31
	v_cvt_f32_f16_e32 v31, v31
	v_max_f32_e32 v30, v30, v30
	v_min_f32_e32 v30, v30, v31
	v_cvt_f16_f32_e32 v48, v30
	v_lshl_add_u64 v[30:31], v[42:43], 1, v[24:25]
	flat_store_short v[30:31], v48
	s_or_b64 exec, exec, s[26:27]
	s_and_b64 s[30:31], s[14:15], s[18:19]
	s_and_saveexec_b64 s[26:27], s[30:31]
	s_cbranch_execz .LBB228_185
.LBB228_210:
	s_and_b64 vcc, exec, s[0:1]
	s_cbranch_vccnz .LBB228_212
; %bb.211:
	v_lshl_add_u64 v[30:31], v[44:45], 1, v[28:29]
	flat_load_ushort v30, v[30:31]
	s_waitcnt vmcnt(0) lgkmcnt(0)
	v_mul_f16_e32 v30, v52, v30
	v_cvt_f32_f16_e32 v30, v30
	s_branch .LBB228_213
.LBB228_212:
	v_mov_b32_e32 v30, 0
.LBB228_213:
	v_pk_add_f16 v31, v0, v26
	v_max_f16_e32 v48, v86, v86
	v_pk_add_f16 v50, v1, v27
	v_min_f16_e32 v48, v48, v31
	v_lshrrev_b32_e32 v49, 16, v86
	v_lshrrev_b32_e32 v31, 16, v31
	;; [unrolled: 1-line block ×3, first 2 shown]
	v_min3_f16 v31, v49, v31, v51
	v_min3_f16 v31, v48, v50, v31
	v_cvt_f32_f16_e32 v31, v31
	v_max_f32_e32 v30, v30, v30
	v_min_f32_e32 v30, v30, v31
	v_cvt_f16_f32_e32 v48, v30
	v_lshl_add_u64 v[30:31], v[44:45], 1, v[24:25]
	flat_store_short v[30:31], v48
	s_or_b64 exec, exec, s[26:27]
	s_and_b64 s[26:27], s[16:17], s[18:19]
	s_and_saveexec_b64 s[18:19], s[26:27]
	s_cbranch_execz .LBB228_218
.LBB228_214:
	s_and_b64 vcc, exec, s[0:1]
	s_cbranch_vccnz .LBB228_216
; %bb.215:
	v_lshl_add_u64 v[28:29], v[46:47], 1, v[28:29]
	flat_load_ushort v28, v[28:29]
	s_waitcnt vmcnt(0) lgkmcnt(0)
	v_mul_f16_e32 v28, v52, v28
	v_cvt_f32_f16_e32 v28, v28
	s_branch .LBB228_217
.LBB228_216:
	v_mov_b32_e32 v28, 0
.LBB228_217:
	v_pk_add_f16 v26, v2, v26
	v_max_f16_e32 v29, v85, v85
	v_pk_add_f16 v27, v3, v27
	v_min_f16_e32 v29, v29, v26
	v_lshrrev_b32_e32 v30, 16, v85
	v_lshrrev_b32_e32 v26, 16, v26
	;; [unrolled: 1-line block ×3, first 2 shown]
	v_min3_f16 v26, v30, v26, v31
	v_min3_f16 v26, v29, v27, v26
	v_cvt_f32_f16_e32 v26, v26
	v_max_f32_e32 v27, v28, v28
	v_lshl_add_u64 v[24:25], v[46:47], 1, v[24:25]
	v_min_f32_e32 v26, v27, v26
	v_cvt_f16_f32_e32 v26, v26
	flat_store_short v[24:25], v26
.LBB228_218:
	s_or_b64 exec, exec, s[18:19]
	v_add_u32_e32 v28, 0x80, v93
	v_mad_i64_i32 v[24:25], s[26:27], v28, s29, 0
	v_cmp_gt_i32_e64 s[18:19], s21, v28
	v_lshl_add_u64 v[26:27], v[24:25], 1, s[24:25]
	v_mad_i64_i32 v[24:25], s[26:27], v28, s28, 0
	v_lshl_add_u64 v[24:25], v[24:25], 1, s[22:23]
	s_and_b64 s[30:31], s[4:5], s[18:19]
	s_and_saveexec_b64 s[26:27], s[30:31]
	s_cbranch_execnz .LBB228_226
; %bb.219:
	s_or_b64 exec, exec, s[26:27]
	s_and_b64 s[30:31], s[2:3], s[18:19]
	s_and_saveexec_b64 s[26:27], s[30:31]
	s_cbranch_execnz .LBB228_230
.LBB228_220:
	s_or_b64 exec, exec, s[26:27]
	s_and_b64 s[30:31], s[6:7], s[18:19]
	s_and_saveexec_b64 s[26:27], s[30:31]
	s_cbranch_execnz .LBB228_234
.LBB228_221:
	s_or_b64 exec, exec, s[26:27]
	s_and_b64 s[30:31], s[8:9], s[18:19]
	s_and_saveexec_b64 s[26:27], s[30:31]
	s_cbranch_execnz .LBB228_238
.LBB228_222:
	s_or_b64 exec, exec, s[26:27]
	s_and_b64 s[30:31], s[10:11], s[18:19]
	s_and_saveexec_b64 s[26:27], s[30:31]
	s_cbranch_execnz .LBB228_242
.LBB228_223:
	s_or_b64 exec, exec, s[26:27]
	s_and_b64 s[30:31], s[12:13], s[18:19]
	s_and_saveexec_b64 s[26:27], s[30:31]
	s_cbranch_execnz .LBB228_246
.LBB228_224:
	s_or_b64 exec, exec, s[26:27]
	s_and_b64 s[30:31], s[14:15], s[18:19]
	s_and_saveexec_b64 s[26:27], s[30:31]
	s_cbranch_execnz .LBB228_250
.LBB228_225:
	s_or_b64 exec, exec, s[26:27]
	s_and_b64 s[26:27], s[16:17], s[18:19]
	s_and_saveexec_b64 s[18:19], s[26:27]
	s_cbranch_execnz .LBB228_254
	s_branch .LBB228_258
.LBB228_226:
	s_and_b64 vcc, exec, s[0:1]
	s_cbranch_vccnz .LBB228_228
; %bb.227:
	v_lshl_add_u64 v[28:29], v[32:33], 1, v[26:27]
	flat_load_ushort v28, v[28:29]
	s_waitcnt vmcnt(0) lgkmcnt(0)
	v_mul_f16_e32 v28, v52, v28
	v_cvt_f32_f16_e32 v28, v28
	s_branch .LBB228_229
.LBB228_228:
	v_mov_b32_e32 v28, 0
.LBB228_229:
	v_pk_add_f16 v29, v16, v20
	v_max_f16_e32 v30, v84, v84
	v_pk_add_f16 v48, v17, v21
	v_min_f16_e32 v30, v30, v29
	v_lshrrev_b32_e32 v31, 16, v84
	v_lshrrev_b32_e32 v29, 16, v29
	;; [unrolled: 1-line block ×3, first 2 shown]
	v_min3_f16 v29, v31, v29, v49
	v_min3_f16 v29, v30, v48, v29
	v_cvt_f32_f16_e32 v29, v29
	v_max_f32_e32 v28, v28, v28
	v_min_f32_e32 v28, v28, v29
	v_cvt_f16_f32_e32 v30, v28
	v_lshl_add_u64 v[28:29], v[32:33], 1, v[24:25]
	flat_store_short v[28:29], v30
	s_or_b64 exec, exec, s[26:27]
	s_and_b64 s[30:31], s[2:3], s[18:19]
	s_and_saveexec_b64 s[26:27], s[30:31]
	s_cbranch_execz .LBB228_220
.LBB228_230:
	s_and_b64 vcc, exec, s[0:1]
	s_cbranch_vccnz .LBB228_232
; %bb.231:
	v_lshl_add_u64 v[28:29], v[34:35], 1, v[26:27]
	flat_load_ushort v28, v[28:29]
	s_waitcnt vmcnt(0) lgkmcnt(0)
	v_mul_f16_e32 v28, v52, v28
	v_cvt_f32_f16_e32 v28, v28
	s_branch .LBB228_233
.LBB228_232:
	v_mov_b32_e32 v28, 0
.LBB228_233:
	v_pk_add_f16 v29, v18, v20
	v_max_f16_e32 v30, v83, v83
	v_pk_add_f16 v48, v19, v21
	v_min_f16_e32 v30, v30, v29
	v_lshrrev_b32_e32 v31, 16, v83
	v_lshrrev_b32_e32 v29, 16, v29
	;; [unrolled: 1-line block ×3, first 2 shown]
	v_min3_f16 v29, v31, v29, v49
	v_min3_f16 v29, v30, v48, v29
	v_cvt_f32_f16_e32 v29, v29
	v_max_f32_e32 v28, v28, v28
	v_min_f32_e32 v28, v28, v29
	v_cvt_f16_f32_e32 v30, v28
	v_lshl_add_u64 v[28:29], v[34:35], 1, v[24:25]
	flat_store_short v[28:29], v30
	s_or_b64 exec, exec, s[26:27]
	s_and_b64 s[30:31], s[6:7], s[18:19]
	s_and_saveexec_b64 s[26:27], s[30:31]
	s_cbranch_execz .LBB228_221
.LBB228_234:
	s_and_b64 vcc, exec, s[0:1]
	s_cbranch_vccnz .LBB228_236
; %bb.235:
	v_lshl_add_u64 v[28:29], v[36:37], 1, v[26:27]
	flat_load_ushort v28, v[28:29]
	s_waitcnt vmcnt(0) lgkmcnt(0)
	v_mul_f16_e32 v28, v52, v28
	v_cvt_f32_f16_e32 v28, v28
	s_branch .LBB228_237
.LBB228_236:
	v_mov_b32_e32 v28, 0
.LBB228_237:
	v_pk_add_f16 v29, v12, v20
	v_max_f16_e32 v30, v82, v82
	v_pk_add_f16 v48, v13, v21
	v_min_f16_e32 v30, v30, v29
	v_lshrrev_b32_e32 v31, 16, v82
	v_lshrrev_b32_e32 v29, 16, v29
	;; [unrolled: 1-line block ×3, first 2 shown]
	v_min3_f16 v29, v31, v29, v49
	v_min3_f16 v29, v30, v48, v29
	v_cvt_f32_f16_e32 v29, v29
	v_max_f32_e32 v28, v28, v28
	v_min_f32_e32 v28, v28, v29
	v_cvt_f16_f32_e32 v30, v28
	v_lshl_add_u64 v[28:29], v[36:37], 1, v[24:25]
	flat_store_short v[28:29], v30
	s_or_b64 exec, exec, s[26:27]
	s_and_b64 s[30:31], s[8:9], s[18:19]
	s_and_saveexec_b64 s[26:27], s[30:31]
	s_cbranch_execz .LBB228_222
.LBB228_238:
	s_and_b64 vcc, exec, s[0:1]
	s_cbranch_vccnz .LBB228_240
; %bb.239:
	v_lshl_add_u64 v[28:29], v[38:39], 1, v[26:27]
	flat_load_ushort v28, v[28:29]
	s_waitcnt vmcnt(0) lgkmcnt(0)
	v_mul_f16_e32 v28, v52, v28
	v_cvt_f32_f16_e32 v28, v28
	s_branch .LBB228_241
.LBB228_240:
	v_mov_b32_e32 v28, 0
.LBB228_241:
	v_pk_add_f16 v29, v14, v20
	v_max_f16_e32 v30, v81, v81
	v_pk_add_f16 v48, v15, v21
	v_min_f16_e32 v30, v30, v29
	v_lshrrev_b32_e32 v31, 16, v81
	v_lshrrev_b32_e32 v29, 16, v29
	;; [unrolled: 1-line block ×3, first 2 shown]
	v_min3_f16 v29, v31, v29, v49
	v_min3_f16 v29, v30, v48, v29
	v_cvt_f32_f16_e32 v29, v29
	v_max_f32_e32 v28, v28, v28
	v_min_f32_e32 v28, v28, v29
	v_cvt_f16_f32_e32 v30, v28
	v_lshl_add_u64 v[28:29], v[38:39], 1, v[24:25]
	flat_store_short v[28:29], v30
	s_or_b64 exec, exec, s[26:27]
	s_and_b64 s[30:31], s[10:11], s[18:19]
	s_and_saveexec_b64 s[26:27], s[30:31]
	s_cbranch_execz .LBB228_223
.LBB228_242:
	s_and_b64 vcc, exec, s[0:1]
	s_cbranch_vccnz .LBB228_244
; %bb.243:
	v_lshl_add_u64 v[28:29], v[40:41], 1, v[26:27]
	flat_load_ushort v28, v[28:29]
	s_waitcnt vmcnt(0) lgkmcnt(0)
	v_mul_f16_e32 v28, v52, v28
	v_cvt_f32_f16_e32 v28, v28
	s_branch .LBB228_245
.LBB228_244:
	v_mov_b32_e32 v28, 0
.LBB228_245:
	v_pk_add_f16 v29, v8, v20
	v_max_f16_e32 v30, v80, v80
	v_pk_add_f16 v48, v9, v21
	v_min_f16_e32 v30, v30, v29
	v_lshrrev_b32_e32 v31, 16, v80
	v_lshrrev_b32_e32 v29, 16, v29
	;; [unrolled: 1-line block ×3, first 2 shown]
	v_min3_f16 v29, v31, v29, v49
	v_min3_f16 v29, v30, v48, v29
	v_cvt_f32_f16_e32 v29, v29
	v_max_f32_e32 v28, v28, v28
	v_min_f32_e32 v28, v28, v29
	v_cvt_f16_f32_e32 v30, v28
	v_lshl_add_u64 v[28:29], v[40:41], 1, v[24:25]
	flat_store_short v[28:29], v30
	s_or_b64 exec, exec, s[26:27]
	s_and_b64 s[30:31], s[12:13], s[18:19]
	s_and_saveexec_b64 s[26:27], s[30:31]
	s_cbranch_execz .LBB228_224
.LBB228_246:
	s_and_b64 vcc, exec, s[0:1]
	s_cbranch_vccnz .LBB228_248
; %bb.247:
	v_lshl_add_u64 v[28:29], v[42:43], 1, v[26:27]
	flat_load_ushort v28, v[28:29]
	s_waitcnt vmcnt(0) lgkmcnt(0)
	v_mul_f16_e32 v28, v52, v28
	v_cvt_f32_f16_e32 v28, v28
	s_branch .LBB228_249
.LBB228_248:
	v_mov_b32_e32 v28, 0
.LBB228_249:
	v_pk_add_f16 v29, v10, v20
	v_max_f16_e32 v30, v79, v79
	v_pk_add_f16 v48, v11, v21
	v_min_f16_e32 v30, v30, v29
	v_lshrrev_b32_e32 v31, 16, v79
	v_lshrrev_b32_e32 v29, 16, v29
	;; [unrolled: 1-line block ×3, first 2 shown]
	v_min3_f16 v29, v31, v29, v49
	v_min3_f16 v29, v30, v48, v29
	v_cvt_f32_f16_e32 v29, v29
	v_max_f32_e32 v28, v28, v28
	v_min_f32_e32 v28, v28, v29
	v_cvt_f16_f32_e32 v30, v28
	v_lshl_add_u64 v[28:29], v[42:43], 1, v[24:25]
	flat_store_short v[28:29], v30
	s_or_b64 exec, exec, s[26:27]
	s_and_b64 s[30:31], s[14:15], s[18:19]
	s_and_saveexec_b64 s[26:27], s[30:31]
	s_cbranch_execz .LBB228_225
.LBB228_250:
	s_and_b64 vcc, exec, s[0:1]
	s_cbranch_vccnz .LBB228_252
; %bb.251:
	v_lshl_add_u64 v[28:29], v[44:45], 1, v[26:27]
	flat_load_ushort v28, v[28:29]
	s_waitcnt vmcnt(0) lgkmcnt(0)
	v_mul_f16_e32 v28, v52, v28
	v_cvt_f32_f16_e32 v28, v28
	s_branch .LBB228_253
.LBB228_252:
	v_mov_b32_e32 v28, 0
.LBB228_253:
	v_pk_add_f16 v29, v0, v20
	v_max_f16_e32 v30, v78, v78
	v_pk_add_f16 v48, v1, v21
	v_min_f16_e32 v30, v30, v29
	v_lshrrev_b32_e32 v31, 16, v78
	v_lshrrev_b32_e32 v29, 16, v29
	v_lshrrev_b32_e32 v49, 16, v48
	v_min3_f16 v29, v31, v29, v49
	v_min3_f16 v29, v30, v48, v29
	v_cvt_f32_f16_e32 v29, v29
	v_max_f32_e32 v28, v28, v28
	v_min_f32_e32 v28, v28, v29
	v_cvt_f16_f32_e32 v30, v28
	v_lshl_add_u64 v[28:29], v[44:45], 1, v[24:25]
	flat_store_short v[28:29], v30
	s_or_b64 exec, exec, s[26:27]
	s_and_b64 s[26:27], s[16:17], s[18:19]
	s_and_saveexec_b64 s[18:19], s[26:27]
	s_cbranch_execz .LBB228_258
.LBB228_254:
	s_and_b64 vcc, exec, s[0:1]
	s_cbranch_vccnz .LBB228_256
; %bb.255:
	v_lshl_add_u64 v[26:27], v[46:47], 1, v[26:27]
	flat_load_ushort v26, v[26:27]
	s_waitcnt vmcnt(0) lgkmcnt(0)
	v_mul_f16_e32 v26, v52, v26
	v_cvt_f32_f16_e32 v26, v26
	s_branch .LBB228_257
.LBB228_256:
	v_mov_b32_e32 v26, 0
.LBB228_257:
	v_pk_add_f16 v20, v2, v20
	v_max_f16_e32 v27, v77, v77
	v_pk_add_f16 v21, v3, v21
	v_min_f16_e32 v27, v27, v20
	v_lshrrev_b32_e32 v28, 16, v77
	v_lshrrev_b32_e32 v20, 16, v20
	v_lshrrev_b32_e32 v29, 16, v21
	v_min3_f16 v20, v28, v20, v29
	v_min3_f16 v20, v27, v21, v20
	v_cvt_f32_f16_e32 v20, v20
	v_max_f32_e32 v21, v26, v26
	v_min_f32_e32 v20, v21, v20
	v_cvt_f16_f32_e32 v26, v20
	v_lshl_add_u64 v[20:21], v[46:47], 1, v[24:25]
	flat_store_short v[20:21], v26
.LBB228_258:
	s_or_b64 exec, exec, s[18:19]
	v_add_u32_e32 v26, 0xa0, v93
	v_mad_i64_i32 v[20:21], s[26:27], v26, s29, 0
	v_cmp_gt_i32_e64 s[18:19], s21, v26
	v_lshl_add_u64 v[24:25], v[20:21], 1, s[24:25]
	v_mad_i64_i32 v[20:21], s[26:27], v26, s28, 0
	v_lshl_add_u64 v[20:21], v[20:21], 1, s[22:23]
	s_and_b64 s[30:31], s[4:5], s[18:19]
	s_and_saveexec_b64 s[26:27], s[30:31]
	s_cbranch_execnz .LBB228_266
; %bb.259:
	s_or_b64 exec, exec, s[26:27]
	s_and_b64 s[30:31], s[2:3], s[18:19]
	s_and_saveexec_b64 s[26:27], s[30:31]
	s_cbranch_execnz .LBB228_270
.LBB228_260:
	s_or_b64 exec, exec, s[26:27]
	s_and_b64 s[30:31], s[6:7], s[18:19]
	s_and_saveexec_b64 s[26:27], s[30:31]
	s_cbranch_execnz .LBB228_274
.LBB228_261:
	s_or_b64 exec, exec, s[26:27]
	s_and_b64 s[30:31], s[8:9], s[18:19]
	s_and_saveexec_b64 s[26:27], s[30:31]
	s_cbranch_execnz .LBB228_278
.LBB228_262:
	s_or_b64 exec, exec, s[26:27]
	s_and_b64 s[30:31], s[10:11], s[18:19]
	s_and_saveexec_b64 s[26:27], s[30:31]
	s_cbranch_execnz .LBB228_282
.LBB228_263:
	s_or_b64 exec, exec, s[26:27]
	s_and_b64 s[30:31], s[12:13], s[18:19]
	s_and_saveexec_b64 s[26:27], s[30:31]
	s_cbranch_execnz .LBB228_286
.LBB228_264:
	s_or_b64 exec, exec, s[26:27]
	s_and_b64 s[30:31], s[14:15], s[18:19]
	s_and_saveexec_b64 s[26:27], s[30:31]
	s_cbranch_execnz .LBB228_290
.LBB228_265:
	s_or_b64 exec, exec, s[26:27]
	s_and_b64 s[26:27], s[16:17], s[18:19]
	s_and_saveexec_b64 s[18:19], s[26:27]
	s_cbranch_execnz .LBB228_294
	s_branch .LBB228_298
.LBB228_266:
	s_and_b64 vcc, exec, s[0:1]
	s_cbranch_vccnz .LBB228_268
; %bb.267:
	v_lshl_add_u64 v[26:27], v[32:33], 1, v[24:25]
	flat_load_ushort v26, v[26:27]
	s_waitcnt vmcnt(0) lgkmcnt(0)
	v_mul_f16_e32 v26, v52, v26
	v_cvt_f32_f16_e32 v26, v26
	s_branch .LBB228_269
.LBB228_268:
	v_mov_b32_e32 v26, 0
.LBB228_269:
	v_pk_add_f16 v27, v16, v22
	v_max_f16_e32 v28, v76, v76
	v_pk_add_f16 v30, v17, v23
	v_min_f16_e32 v28, v28, v27
	v_lshrrev_b32_e32 v29, 16, v76
	v_lshrrev_b32_e32 v27, 16, v27
	;; [unrolled: 1-line block ×3, first 2 shown]
	v_min3_f16 v27, v29, v27, v31
	v_min3_f16 v27, v28, v30, v27
	v_cvt_f32_f16_e32 v27, v27
	v_max_f32_e32 v26, v26, v26
	v_min_f32_e32 v26, v26, v27
	v_cvt_f16_f32_e32 v28, v26
	v_lshl_add_u64 v[26:27], v[32:33], 1, v[20:21]
	flat_store_short v[26:27], v28
	s_or_b64 exec, exec, s[26:27]
	s_and_b64 s[30:31], s[2:3], s[18:19]
	s_and_saveexec_b64 s[26:27], s[30:31]
	s_cbranch_execz .LBB228_260
.LBB228_270:
	s_and_b64 vcc, exec, s[0:1]
	s_cbranch_vccnz .LBB228_272
; %bb.271:
	v_lshl_add_u64 v[26:27], v[34:35], 1, v[24:25]
	flat_load_ushort v26, v[26:27]
	s_waitcnt vmcnt(0) lgkmcnt(0)
	v_mul_f16_e32 v26, v52, v26
	v_cvt_f32_f16_e32 v26, v26
	s_branch .LBB228_273
.LBB228_272:
	v_mov_b32_e32 v26, 0
.LBB228_273:
	v_pk_add_f16 v27, v18, v22
	v_max_f16_e32 v28, v75, v75
	v_pk_add_f16 v30, v19, v23
	v_min_f16_e32 v28, v28, v27
	v_lshrrev_b32_e32 v29, 16, v75
	v_lshrrev_b32_e32 v27, 16, v27
	;; [unrolled: 1-line block ×3, first 2 shown]
	v_min3_f16 v27, v29, v27, v31
	v_min3_f16 v27, v28, v30, v27
	v_cvt_f32_f16_e32 v27, v27
	v_max_f32_e32 v26, v26, v26
	v_min_f32_e32 v26, v26, v27
	v_cvt_f16_f32_e32 v28, v26
	v_lshl_add_u64 v[26:27], v[34:35], 1, v[20:21]
	flat_store_short v[26:27], v28
	s_or_b64 exec, exec, s[26:27]
	s_and_b64 s[30:31], s[6:7], s[18:19]
	s_and_saveexec_b64 s[26:27], s[30:31]
	s_cbranch_execz .LBB228_261
.LBB228_274:
	s_and_b64 vcc, exec, s[0:1]
	s_cbranch_vccnz .LBB228_276
; %bb.275:
	v_lshl_add_u64 v[26:27], v[36:37], 1, v[24:25]
	flat_load_ushort v26, v[26:27]
	s_waitcnt vmcnt(0) lgkmcnt(0)
	v_mul_f16_e32 v26, v52, v26
	v_cvt_f32_f16_e32 v26, v26
	s_branch .LBB228_277
.LBB228_276:
	v_mov_b32_e32 v26, 0
.LBB228_277:
	v_pk_add_f16 v27, v12, v22
	v_max_f16_e32 v28, v74, v74
	v_pk_add_f16 v30, v13, v23
	v_min_f16_e32 v28, v28, v27
	v_lshrrev_b32_e32 v29, 16, v74
	v_lshrrev_b32_e32 v27, 16, v27
	;; [unrolled: 1-line block ×3, first 2 shown]
	v_min3_f16 v27, v29, v27, v31
	v_min3_f16 v27, v28, v30, v27
	v_cvt_f32_f16_e32 v27, v27
	v_max_f32_e32 v26, v26, v26
	v_min_f32_e32 v26, v26, v27
	v_cvt_f16_f32_e32 v28, v26
	v_lshl_add_u64 v[26:27], v[36:37], 1, v[20:21]
	flat_store_short v[26:27], v28
	s_or_b64 exec, exec, s[26:27]
	s_and_b64 s[30:31], s[8:9], s[18:19]
	s_and_saveexec_b64 s[26:27], s[30:31]
	s_cbranch_execz .LBB228_262
.LBB228_278:
	s_and_b64 vcc, exec, s[0:1]
	s_cbranch_vccnz .LBB228_280
; %bb.279:
	v_lshl_add_u64 v[26:27], v[38:39], 1, v[24:25]
	flat_load_ushort v26, v[26:27]
	s_waitcnt vmcnt(0) lgkmcnt(0)
	v_mul_f16_e32 v26, v52, v26
	v_cvt_f32_f16_e32 v26, v26
	s_branch .LBB228_281
.LBB228_280:
	v_mov_b32_e32 v26, 0
.LBB228_281:
	v_pk_add_f16 v27, v14, v22
	v_max_f16_e32 v28, v73, v73
	v_pk_add_f16 v30, v15, v23
	v_min_f16_e32 v28, v28, v27
	v_lshrrev_b32_e32 v29, 16, v73
	v_lshrrev_b32_e32 v27, 16, v27
	;; [unrolled: 1-line block ×3, first 2 shown]
	v_min3_f16 v27, v29, v27, v31
	v_min3_f16 v27, v28, v30, v27
	v_cvt_f32_f16_e32 v27, v27
	v_max_f32_e32 v26, v26, v26
	v_min_f32_e32 v26, v26, v27
	v_cvt_f16_f32_e32 v28, v26
	v_lshl_add_u64 v[26:27], v[38:39], 1, v[20:21]
	flat_store_short v[26:27], v28
	s_or_b64 exec, exec, s[26:27]
	s_and_b64 s[30:31], s[10:11], s[18:19]
	s_and_saveexec_b64 s[26:27], s[30:31]
	s_cbranch_execz .LBB228_263
.LBB228_282:
	s_and_b64 vcc, exec, s[0:1]
	s_cbranch_vccnz .LBB228_284
; %bb.283:
	v_lshl_add_u64 v[26:27], v[40:41], 1, v[24:25]
	flat_load_ushort v26, v[26:27]
	s_waitcnt vmcnt(0) lgkmcnt(0)
	v_mul_f16_e32 v26, v52, v26
	v_cvt_f32_f16_e32 v26, v26
	s_branch .LBB228_285
.LBB228_284:
	v_mov_b32_e32 v26, 0
.LBB228_285:
	v_pk_add_f16 v27, v8, v22
	v_max_f16_e32 v28, v72, v72
	v_pk_add_f16 v30, v9, v23
	v_min_f16_e32 v28, v28, v27
	v_lshrrev_b32_e32 v29, 16, v72
	v_lshrrev_b32_e32 v27, 16, v27
	;; [unrolled: 1-line block ×3, first 2 shown]
	v_min3_f16 v27, v29, v27, v31
	v_min3_f16 v27, v28, v30, v27
	v_cvt_f32_f16_e32 v27, v27
	v_max_f32_e32 v26, v26, v26
	v_min_f32_e32 v26, v26, v27
	v_cvt_f16_f32_e32 v28, v26
	v_lshl_add_u64 v[26:27], v[40:41], 1, v[20:21]
	flat_store_short v[26:27], v28
	s_or_b64 exec, exec, s[26:27]
	s_and_b64 s[30:31], s[12:13], s[18:19]
	s_and_saveexec_b64 s[26:27], s[30:31]
	s_cbranch_execz .LBB228_264
.LBB228_286:
	s_and_b64 vcc, exec, s[0:1]
	s_cbranch_vccnz .LBB228_288
; %bb.287:
	v_lshl_add_u64 v[26:27], v[42:43], 1, v[24:25]
	flat_load_ushort v26, v[26:27]
	s_waitcnt vmcnt(0) lgkmcnt(0)
	v_mul_f16_e32 v26, v52, v26
	v_cvt_f32_f16_e32 v26, v26
	s_branch .LBB228_289
.LBB228_288:
	v_mov_b32_e32 v26, 0
.LBB228_289:
	v_pk_add_f16 v27, v10, v22
	v_max_f16_e32 v28, v71, v71
	v_pk_add_f16 v30, v11, v23
	v_min_f16_e32 v28, v28, v27
	v_lshrrev_b32_e32 v29, 16, v71
	v_lshrrev_b32_e32 v27, 16, v27
	;; [unrolled: 1-line block ×3, first 2 shown]
	v_min3_f16 v27, v29, v27, v31
	v_min3_f16 v27, v28, v30, v27
	v_cvt_f32_f16_e32 v27, v27
	v_max_f32_e32 v26, v26, v26
	v_min_f32_e32 v26, v26, v27
	v_cvt_f16_f32_e32 v28, v26
	v_lshl_add_u64 v[26:27], v[42:43], 1, v[20:21]
	flat_store_short v[26:27], v28
	s_or_b64 exec, exec, s[26:27]
	s_and_b64 s[30:31], s[14:15], s[18:19]
	s_and_saveexec_b64 s[26:27], s[30:31]
	s_cbranch_execz .LBB228_265
.LBB228_290:
	s_and_b64 vcc, exec, s[0:1]
	s_cbranch_vccnz .LBB228_292
; %bb.291:
	v_lshl_add_u64 v[26:27], v[44:45], 1, v[24:25]
	flat_load_ushort v26, v[26:27]
	s_waitcnt vmcnt(0) lgkmcnt(0)
	v_mul_f16_e32 v26, v52, v26
	v_cvt_f32_f16_e32 v26, v26
	s_branch .LBB228_293
.LBB228_292:
	v_mov_b32_e32 v26, 0
.LBB228_293:
	v_pk_add_f16 v27, v0, v22
	v_max_f16_e32 v28, v70, v70
	v_pk_add_f16 v30, v1, v23
	v_min_f16_e32 v28, v28, v27
	v_lshrrev_b32_e32 v29, 16, v70
	v_lshrrev_b32_e32 v27, 16, v27
	;; [unrolled: 1-line block ×3, first 2 shown]
	v_min3_f16 v27, v29, v27, v31
	v_min3_f16 v27, v28, v30, v27
	v_cvt_f32_f16_e32 v27, v27
	v_max_f32_e32 v26, v26, v26
	v_min_f32_e32 v26, v26, v27
	v_cvt_f16_f32_e32 v28, v26
	v_lshl_add_u64 v[26:27], v[44:45], 1, v[20:21]
	flat_store_short v[26:27], v28
	s_or_b64 exec, exec, s[26:27]
	s_and_b64 s[26:27], s[16:17], s[18:19]
	s_and_saveexec_b64 s[18:19], s[26:27]
	s_cbranch_execz .LBB228_298
.LBB228_294:
	s_and_b64 vcc, exec, s[0:1]
	s_cbranch_vccnz .LBB228_296
; %bb.295:
	v_lshl_add_u64 v[24:25], v[46:47], 1, v[24:25]
	flat_load_ushort v24, v[24:25]
	s_waitcnt vmcnt(0) lgkmcnt(0)
	v_mul_f16_e32 v24, v52, v24
	v_cvt_f32_f16_e32 v24, v24
	s_branch .LBB228_297
.LBB228_296:
	v_mov_b32_e32 v24, 0
.LBB228_297:
	v_pk_add_f16 v22, v2, v22
	v_max_f16_e32 v25, v69, v69
	v_pk_add_f16 v23, v3, v23
	v_min_f16_e32 v25, v25, v22
	v_lshrrev_b32_e32 v26, 16, v69
	v_lshrrev_b32_e32 v22, 16, v22
	;; [unrolled: 1-line block ×3, first 2 shown]
	v_min3_f16 v22, v26, v22, v27
	v_min3_f16 v22, v25, v23, v22
	v_cvt_f32_f16_e32 v22, v22
	v_max_f32_e32 v23, v24, v24
	v_lshl_add_u64 v[20:21], v[46:47], 1, v[20:21]
	v_min_f32_e32 v22, v23, v22
	v_cvt_f16_f32_e32 v22, v22
	flat_store_short v[20:21], v22
.LBB228_298:
	s_or_b64 exec, exec, s[18:19]
	v_add_u32_e32 v24, 0xc0, v93
	v_mad_i64_i32 v[20:21], s[26:27], v24, s29, 0
	v_cmp_gt_i32_e64 s[18:19], s21, v24
	v_lshl_add_u64 v[22:23], v[20:21], 1, s[24:25]
	v_mad_i64_i32 v[20:21], s[26:27], v24, s28, 0
	v_lshl_add_u64 v[20:21], v[20:21], 1, s[22:23]
	s_and_b64 s[30:31], s[4:5], s[18:19]
	s_and_saveexec_b64 s[26:27], s[30:31]
	s_cbranch_execnz .LBB228_306
; %bb.299:
	s_or_b64 exec, exec, s[26:27]
	s_and_b64 s[30:31], s[2:3], s[18:19]
	s_and_saveexec_b64 s[26:27], s[30:31]
	s_cbranch_execnz .LBB228_310
.LBB228_300:
	s_or_b64 exec, exec, s[26:27]
	s_and_b64 s[30:31], s[6:7], s[18:19]
	s_and_saveexec_b64 s[26:27], s[30:31]
	s_cbranch_execnz .LBB228_314
.LBB228_301:
	s_or_b64 exec, exec, s[26:27]
	s_and_b64 s[30:31], s[8:9], s[18:19]
	s_and_saveexec_b64 s[26:27], s[30:31]
	s_cbranch_execnz .LBB228_318
.LBB228_302:
	s_or_b64 exec, exec, s[26:27]
	s_and_b64 s[30:31], s[10:11], s[18:19]
	s_and_saveexec_b64 s[26:27], s[30:31]
	s_cbranch_execnz .LBB228_322
.LBB228_303:
	s_or_b64 exec, exec, s[26:27]
	s_and_b64 s[30:31], s[12:13], s[18:19]
	s_and_saveexec_b64 s[26:27], s[30:31]
	s_cbranch_execnz .LBB228_326
.LBB228_304:
	s_or_b64 exec, exec, s[26:27]
	s_and_b64 s[30:31], s[14:15], s[18:19]
	s_and_saveexec_b64 s[26:27], s[30:31]
	s_cbranch_execnz .LBB228_330
.LBB228_305:
	s_or_b64 exec, exec, s[26:27]
	s_and_b64 s[26:27], s[16:17], s[18:19]
	s_and_saveexec_b64 s[18:19], s[26:27]
	s_cbranch_execnz .LBB228_334
	s_branch .LBB228_338
.LBB228_306:
	s_and_b64 vcc, exec, s[0:1]
	s_cbranch_vccnz .LBB228_308
; %bb.307:
	v_lshl_add_u64 v[24:25], v[32:33], 1, v[22:23]
	flat_load_ushort v24, v[24:25]
	s_waitcnt vmcnt(0) lgkmcnt(0)
	v_mul_f16_e32 v24, v52, v24
	v_cvt_f32_f16_e32 v24, v24
	s_branch .LBB228_309
.LBB228_308:
	v_mov_b32_e32 v24, 0
.LBB228_309:
	v_pk_add_f16 v25, v16, v4
	v_max_f16_e32 v26, v68, v68
	v_pk_add_f16 v28, v17, v5
	v_min_f16_e32 v26, v26, v25
	v_lshrrev_b32_e32 v27, 16, v68
	v_lshrrev_b32_e32 v25, 16, v25
	;; [unrolled: 1-line block ×3, first 2 shown]
	v_min3_f16 v25, v27, v25, v29
	v_min3_f16 v25, v26, v28, v25
	v_cvt_f32_f16_e32 v25, v25
	v_max_f32_e32 v24, v24, v24
	v_min_f32_e32 v24, v24, v25
	v_cvt_f16_f32_e32 v26, v24
	v_lshl_add_u64 v[24:25], v[32:33], 1, v[20:21]
	flat_store_short v[24:25], v26
	s_or_b64 exec, exec, s[26:27]
	s_and_b64 s[30:31], s[2:3], s[18:19]
	s_and_saveexec_b64 s[26:27], s[30:31]
	s_cbranch_execz .LBB228_300
.LBB228_310:
	s_and_b64 vcc, exec, s[0:1]
	s_cbranch_vccnz .LBB228_312
; %bb.311:
	v_lshl_add_u64 v[24:25], v[34:35], 1, v[22:23]
	flat_load_ushort v24, v[24:25]
	s_waitcnt vmcnt(0) lgkmcnt(0)
	v_mul_f16_e32 v24, v52, v24
	v_cvt_f32_f16_e32 v24, v24
	s_branch .LBB228_313
.LBB228_312:
	v_mov_b32_e32 v24, 0
.LBB228_313:
	v_pk_add_f16 v25, v18, v4
	v_max_f16_e32 v26, v67, v67
	v_pk_add_f16 v28, v19, v5
	v_min_f16_e32 v26, v26, v25
	v_lshrrev_b32_e32 v27, 16, v67
	v_lshrrev_b32_e32 v25, 16, v25
	;; [unrolled: 1-line block ×3, first 2 shown]
	v_min3_f16 v25, v27, v25, v29
	v_min3_f16 v25, v26, v28, v25
	v_cvt_f32_f16_e32 v25, v25
	v_max_f32_e32 v24, v24, v24
	v_min_f32_e32 v24, v24, v25
	v_cvt_f16_f32_e32 v26, v24
	v_lshl_add_u64 v[24:25], v[34:35], 1, v[20:21]
	flat_store_short v[24:25], v26
	s_or_b64 exec, exec, s[26:27]
	s_and_b64 s[30:31], s[6:7], s[18:19]
	s_and_saveexec_b64 s[26:27], s[30:31]
	s_cbranch_execz .LBB228_301
.LBB228_314:
	s_and_b64 vcc, exec, s[0:1]
	s_cbranch_vccnz .LBB228_316
; %bb.315:
	v_lshl_add_u64 v[24:25], v[36:37], 1, v[22:23]
	flat_load_ushort v24, v[24:25]
	s_waitcnt vmcnt(0) lgkmcnt(0)
	v_mul_f16_e32 v24, v52, v24
	v_cvt_f32_f16_e32 v24, v24
	s_branch .LBB228_317
.LBB228_316:
	v_mov_b32_e32 v24, 0
.LBB228_317:
	v_pk_add_f16 v25, v12, v4
	v_max_f16_e32 v26, v66, v66
	v_pk_add_f16 v28, v13, v5
	v_min_f16_e32 v26, v26, v25
	v_lshrrev_b32_e32 v27, 16, v66
	v_lshrrev_b32_e32 v25, 16, v25
	;; [unrolled: 1-line block ×3, first 2 shown]
	v_min3_f16 v25, v27, v25, v29
	v_min3_f16 v25, v26, v28, v25
	v_cvt_f32_f16_e32 v25, v25
	v_max_f32_e32 v24, v24, v24
	v_min_f32_e32 v24, v24, v25
	v_cvt_f16_f32_e32 v26, v24
	v_lshl_add_u64 v[24:25], v[36:37], 1, v[20:21]
	flat_store_short v[24:25], v26
	s_or_b64 exec, exec, s[26:27]
	s_and_b64 s[30:31], s[8:9], s[18:19]
	s_and_saveexec_b64 s[26:27], s[30:31]
	s_cbranch_execz .LBB228_302
.LBB228_318:
	s_and_b64 vcc, exec, s[0:1]
	s_cbranch_vccnz .LBB228_320
; %bb.319:
	v_lshl_add_u64 v[24:25], v[38:39], 1, v[22:23]
	flat_load_ushort v24, v[24:25]
	s_waitcnt vmcnt(0) lgkmcnt(0)
	v_mul_f16_e32 v24, v52, v24
	v_cvt_f32_f16_e32 v24, v24
	s_branch .LBB228_321
.LBB228_320:
	v_mov_b32_e32 v24, 0
.LBB228_321:
	v_pk_add_f16 v25, v14, v4
	v_max_f16_e32 v26, v65, v65
	v_pk_add_f16 v28, v15, v5
	v_min_f16_e32 v26, v26, v25
	v_lshrrev_b32_e32 v27, 16, v65
	v_lshrrev_b32_e32 v25, 16, v25
	;; [unrolled: 1-line block ×3, first 2 shown]
	v_min3_f16 v25, v27, v25, v29
	v_min3_f16 v25, v26, v28, v25
	v_cvt_f32_f16_e32 v25, v25
	v_max_f32_e32 v24, v24, v24
	v_min_f32_e32 v24, v24, v25
	v_cvt_f16_f32_e32 v26, v24
	v_lshl_add_u64 v[24:25], v[38:39], 1, v[20:21]
	flat_store_short v[24:25], v26
	s_or_b64 exec, exec, s[26:27]
	s_and_b64 s[30:31], s[10:11], s[18:19]
	s_and_saveexec_b64 s[26:27], s[30:31]
	s_cbranch_execz .LBB228_303
.LBB228_322:
	s_and_b64 vcc, exec, s[0:1]
	s_cbranch_vccnz .LBB228_324
; %bb.323:
	v_lshl_add_u64 v[24:25], v[40:41], 1, v[22:23]
	flat_load_ushort v24, v[24:25]
	s_waitcnt vmcnt(0) lgkmcnt(0)
	v_mul_f16_e32 v24, v52, v24
	v_cvt_f32_f16_e32 v24, v24
	s_branch .LBB228_325
.LBB228_324:
	v_mov_b32_e32 v24, 0
.LBB228_325:
	v_pk_add_f16 v25, v8, v4
	v_max_f16_e32 v26, v64, v64
	v_pk_add_f16 v28, v9, v5
	v_min_f16_e32 v26, v26, v25
	v_lshrrev_b32_e32 v27, 16, v64
	v_lshrrev_b32_e32 v25, 16, v25
	v_lshrrev_b32_e32 v29, 16, v28
	v_min3_f16 v25, v27, v25, v29
	v_min3_f16 v25, v26, v28, v25
	v_cvt_f32_f16_e32 v25, v25
	v_max_f32_e32 v24, v24, v24
	v_min_f32_e32 v24, v24, v25
	v_cvt_f16_f32_e32 v26, v24
	v_lshl_add_u64 v[24:25], v[40:41], 1, v[20:21]
	flat_store_short v[24:25], v26
	s_or_b64 exec, exec, s[26:27]
	s_and_b64 s[30:31], s[12:13], s[18:19]
	s_and_saveexec_b64 s[26:27], s[30:31]
	s_cbranch_execz .LBB228_304
.LBB228_326:
	s_and_b64 vcc, exec, s[0:1]
	s_cbranch_vccnz .LBB228_328
; %bb.327:
	v_lshl_add_u64 v[24:25], v[42:43], 1, v[22:23]
	flat_load_ushort v24, v[24:25]
	s_waitcnt vmcnt(0) lgkmcnt(0)
	v_mul_f16_e32 v24, v52, v24
	v_cvt_f32_f16_e32 v24, v24
	s_branch .LBB228_329
.LBB228_328:
	v_mov_b32_e32 v24, 0
.LBB228_329:
	v_pk_add_f16 v25, v10, v4
	v_max_f16_e32 v26, v63, v63
	v_pk_add_f16 v28, v11, v5
	v_min_f16_e32 v26, v26, v25
	v_lshrrev_b32_e32 v27, 16, v63
	v_lshrrev_b32_e32 v25, 16, v25
	;; [unrolled: 1-line block ×3, first 2 shown]
	v_min3_f16 v25, v27, v25, v29
	v_min3_f16 v25, v26, v28, v25
	v_cvt_f32_f16_e32 v25, v25
	v_max_f32_e32 v24, v24, v24
	v_min_f32_e32 v24, v24, v25
	v_cvt_f16_f32_e32 v26, v24
	v_lshl_add_u64 v[24:25], v[42:43], 1, v[20:21]
	flat_store_short v[24:25], v26
	s_or_b64 exec, exec, s[26:27]
	s_and_b64 s[30:31], s[14:15], s[18:19]
	s_and_saveexec_b64 s[26:27], s[30:31]
	s_cbranch_execz .LBB228_305
.LBB228_330:
	s_and_b64 vcc, exec, s[0:1]
	s_cbranch_vccnz .LBB228_332
; %bb.331:
	v_lshl_add_u64 v[24:25], v[44:45], 1, v[22:23]
	flat_load_ushort v24, v[24:25]
	s_waitcnt vmcnt(0) lgkmcnt(0)
	v_mul_f16_e32 v24, v52, v24
	v_cvt_f32_f16_e32 v24, v24
	s_branch .LBB228_333
.LBB228_332:
	v_mov_b32_e32 v24, 0
.LBB228_333:
	v_pk_add_f16 v25, v0, v4
	v_max_f16_e32 v26, v62, v62
	v_pk_add_f16 v28, v1, v5
	v_min_f16_e32 v26, v26, v25
	v_lshrrev_b32_e32 v27, 16, v62
	v_lshrrev_b32_e32 v25, 16, v25
	;; [unrolled: 1-line block ×3, first 2 shown]
	v_min3_f16 v25, v27, v25, v29
	v_min3_f16 v25, v26, v28, v25
	v_cvt_f32_f16_e32 v25, v25
	v_max_f32_e32 v24, v24, v24
	v_min_f32_e32 v24, v24, v25
	v_cvt_f16_f32_e32 v26, v24
	v_lshl_add_u64 v[24:25], v[44:45], 1, v[20:21]
	flat_store_short v[24:25], v26
	s_or_b64 exec, exec, s[26:27]
	s_and_b64 s[26:27], s[16:17], s[18:19]
	s_and_saveexec_b64 s[18:19], s[26:27]
	s_cbranch_execz .LBB228_338
.LBB228_334:
	s_and_b64 vcc, exec, s[0:1]
	s_cbranch_vccnz .LBB228_336
; %bb.335:
	v_lshl_add_u64 v[22:23], v[46:47], 1, v[22:23]
	flat_load_ushort v22, v[22:23]
	s_waitcnt vmcnt(0) lgkmcnt(0)
	v_mul_f16_e32 v22, v52, v22
	v_cvt_f32_f16_e32 v22, v22
	s_branch .LBB228_337
.LBB228_336:
	v_mov_b32_e32 v22, 0
.LBB228_337:
	v_pk_add_f16 v4, v2, v4
	v_max_f16_e32 v23, v61, v61
	v_pk_add_f16 v5, v3, v5
	v_min_f16_e32 v23, v23, v4
	v_lshrrev_b32_e32 v24, 16, v61
	v_lshrrev_b32_e32 v4, 16, v4
	;; [unrolled: 1-line block ×3, first 2 shown]
	v_min3_f16 v4, v24, v4, v25
	v_min3_f16 v4, v23, v5, v4
	v_cvt_f32_f16_e32 v4, v4
	v_max_f32_e32 v5, v22, v22
	v_min_f32_e32 v4, v5, v4
	v_cvt_f16_f32_e32 v22, v4
	v_lshl_add_u64 v[4:5], v[46:47], 1, v[20:21]
	flat_store_short v[4:5], v22
.LBB228_338:
	s_or_b64 exec, exec, s[18:19]
	v_add_u32_e32 v22, 0xe0, v93
	v_cmp_gt_i32_e64 s[18:19], s21, v22
	v_mad_i64_i32 v[4:5], s[20:21], v22, s29, 0
	v_lshl_add_u64 v[20:21], v[4:5], 1, s[24:25]
	v_mad_i64_i32 v[4:5], s[20:21], v22, s28, 0
	v_lshl_add_u64 v[4:5], v[4:5], 1, s[22:23]
	s_and_b64 s[20:21], s[4:5], s[18:19]
	s_and_saveexec_b64 s[4:5], s[20:21]
	s_cbranch_execnz .LBB228_347
; %bb.339:
	s_or_b64 exec, exec, s[4:5]
	s_and_b64 s[4:5], s[2:3], s[18:19]
	s_and_saveexec_b64 s[2:3], s[4:5]
	s_cbranch_execnz .LBB228_351
.LBB228_340:
	s_or_b64 exec, exec, s[2:3]
	s_and_b64 s[4:5], s[6:7], s[18:19]
	s_and_saveexec_b64 s[2:3], s[4:5]
	s_cbranch_execnz .LBB228_355
.LBB228_341:
	s_or_b64 exec, exec, s[2:3]
	s_and_b64 s[4:5], s[8:9], s[18:19]
	s_and_saveexec_b64 s[2:3], s[4:5]
	s_cbranch_execnz .LBB228_359
.LBB228_342:
	s_or_b64 exec, exec, s[2:3]
	s_and_b64 s[4:5], s[10:11], s[18:19]
	s_and_saveexec_b64 s[2:3], s[4:5]
	s_cbranch_execnz .LBB228_363
.LBB228_343:
	s_or_b64 exec, exec, s[2:3]
	s_and_b64 s[4:5], s[12:13], s[18:19]
	s_and_saveexec_b64 s[2:3], s[4:5]
	s_cbranch_execnz .LBB228_367
.LBB228_344:
	s_or_b64 exec, exec, s[2:3]
	s_and_b64 s[4:5], s[14:15], s[18:19]
	s_and_saveexec_b64 s[2:3], s[4:5]
	s_cbranch_execnz .LBB228_371
.LBB228_345:
	s_or_b64 exec, exec, s[2:3]
	s_and_b64 s[2:3], s[16:17], s[18:19]
	s_and_saveexec_b64 s[4:5], s[2:3]
	s_cbranch_execnz .LBB228_375
.LBB228_346:
	s_endpgm
.LBB228_347:
	s_and_b64 vcc, exec, s[0:1]
	s_cbranch_vccnz .LBB228_349
; %bb.348:
	v_lshl_add_u64 v[22:23], v[32:33], 1, v[20:21]
	flat_load_ushort v22, v[22:23]
	s_waitcnt vmcnt(0) lgkmcnt(0)
	v_mul_f16_e32 v22, v52, v22
	v_cvt_f32_f16_e32 v22, v22
	s_branch .LBB228_350
.LBB228_349:
	v_mov_b32_e32 v22, 0
.LBB228_350:
	v_pk_add_f16 v16, v16, v6
	v_max_f16_e32 v23, v60, v60
	v_pk_add_f16 v17, v17, v7
	v_min_f16_e32 v23, v23, v16
	v_lshrrev_b32_e32 v24, 16, v60
	v_lshrrev_b32_e32 v16, 16, v16
	;; [unrolled: 1-line block ×3, first 2 shown]
	v_min3_f16 v16, v24, v16, v25
	v_min3_f16 v16, v23, v17, v16
	v_cvt_f32_f16_e32 v16, v16
	v_max_f32_e32 v17, v22, v22
	v_min_f32_e32 v16, v17, v16
	v_cvt_f16_f32_e32 v22, v16
	v_lshl_add_u64 v[16:17], v[32:33], 1, v[4:5]
	flat_store_short v[16:17], v22
	s_or_b64 exec, exec, s[4:5]
	s_and_b64 s[4:5], s[2:3], s[18:19]
	s_and_saveexec_b64 s[2:3], s[4:5]
	s_cbranch_execz .LBB228_340
.LBB228_351:
	s_and_b64 vcc, exec, s[0:1]
	s_cbranch_vccnz .LBB228_353
; %bb.352:
	v_lshl_add_u64 v[16:17], v[34:35], 1, v[20:21]
	flat_load_ushort v16, v[16:17]
	s_waitcnt vmcnt(0) lgkmcnt(0)
	v_mul_f16_e32 v16, v52, v16
	v_cvt_f32_f16_e32 v16, v16
	s_branch .LBB228_354
.LBB228_353:
	v_mov_b32_e32 v16, 0
.LBB228_354:
	v_pk_add_f16 v17, v18, v6
	v_max_f16_e32 v18, v59, v59
	v_pk_add_f16 v19, v19, v7
	v_min_f16_e32 v18, v18, v17
	v_lshrrev_b32_e32 v22, 16, v59
	v_lshrrev_b32_e32 v17, 16, v17
	;; [unrolled: 1-line block ×3, first 2 shown]
	v_min3_f16 v17, v22, v17, v23
	v_min3_f16 v17, v18, v19, v17
	v_cvt_f32_f16_e32 v17, v17
	v_max_f32_e32 v16, v16, v16
	v_min_f32_e32 v16, v16, v17
	v_cvt_f16_f32_e32 v18, v16
	v_lshl_add_u64 v[16:17], v[34:35], 1, v[4:5]
	flat_store_short v[16:17], v18
	s_or_b64 exec, exec, s[2:3]
	s_and_b64 s[4:5], s[6:7], s[18:19]
	s_and_saveexec_b64 s[2:3], s[4:5]
	s_cbranch_execz .LBB228_341
.LBB228_355:
	s_and_b64 vcc, exec, s[0:1]
	s_cbranch_vccnz .LBB228_357
; %bb.356:
	v_lshl_add_u64 v[16:17], v[36:37], 1, v[20:21]
	flat_load_ushort v16, v[16:17]
	s_waitcnt vmcnt(0) lgkmcnt(0)
	v_mul_f16_e32 v16, v52, v16
	v_cvt_f32_f16_e32 v16, v16
	s_branch .LBB228_358
.LBB228_357:
	v_mov_b32_e32 v16, 0
.LBB228_358:
	v_pk_add_f16 v12, v12, v6
	v_max_f16_e32 v17, v58, v58
	v_pk_add_f16 v13, v13, v7
	v_min_f16_e32 v17, v17, v12
	v_lshrrev_b32_e32 v18, 16, v58
	v_lshrrev_b32_e32 v12, 16, v12
	;; [unrolled: 1-line block ×3, first 2 shown]
	v_min3_f16 v12, v18, v12, v19
	v_min3_f16 v12, v17, v13, v12
	v_cvt_f32_f16_e32 v12, v12
	v_max_f32_e32 v13, v16, v16
	v_min_f32_e32 v12, v13, v12
	v_cvt_f16_f32_e32 v16, v12
	v_lshl_add_u64 v[12:13], v[36:37], 1, v[4:5]
	flat_store_short v[12:13], v16
	s_or_b64 exec, exec, s[2:3]
	s_and_b64 s[4:5], s[8:9], s[18:19]
	s_and_saveexec_b64 s[2:3], s[4:5]
	s_cbranch_execz .LBB228_342
.LBB228_359:
	s_and_b64 vcc, exec, s[0:1]
	s_cbranch_vccnz .LBB228_361
; %bb.360:
	v_lshl_add_u64 v[12:13], v[38:39], 1, v[20:21]
	flat_load_ushort v12, v[12:13]
	s_waitcnt vmcnt(0) lgkmcnt(0)
	v_mul_f16_e32 v12, v52, v12
	v_cvt_f32_f16_e32 v12, v12
	s_branch .LBB228_362
.LBB228_361:
	v_mov_b32_e32 v12, 0
.LBB228_362:
	v_pk_add_f16 v13, v14, v6
	v_max_f16_e32 v14, v57, v57
	v_pk_add_f16 v15, v15, v7
	v_min_f16_e32 v14, v14, v13
	v_lshrrev_b32_e32 v16, 16, v57
	v_lshrrev_b32_e32 v13, 16, v13
	;; [unrolled: 1-line block ×3, first 2 shown]
	v_min3_f16 v13, v16, v13, v17
	v_min3_f16 v13, v14, v15, v13
	v_cvt_f32_f16_e32 v13, v13
	v_max_f32_e32 v12, v12, v12
	v_min_f32_e32 v12, v12, v13
	v_cvt_f16_f32_e32 v14, v12
	v_lshl_add_u64 v[12:13], v[38:39], 1, v[4:5]
	flat_store_short v[12:13], v14
	s_or_b64 exec, exec, s[2:3]
	s_and_b64 s[4:5], s[10:11], s[18:19]
	s_and_saveexec_b64 s[2:3], s[4:5]
	s_cbranch_execz .LBB228_343
.LBB228_363:
	s_and_b64 vcc, exec, s[0:1]
	s_cbranch_vccnz .LBB228_365
; %bb.364:
	v_lshl_add_u64 v[12:13], v[40:41], 1, v[20:21]
	flat_load_ushort v12, v[12:13]
	s_waitcnt vmcnt(0) lgkmcnt(0)
	v_mul_f16_e32 v12, v52, v12
	v_cvt_f32_f16_e32 v12, v12
	s_branch .LBB228_366
.LBB228_365:
	v_mov_b32_e32 v12, 0
.LBB228_366:
	v_pk_add_f16 v8, v8, v6
	v_max_f16_e32 v13, v55, v55
	v_pk_add_f16 v9, v9, v7
	v_min_f16_e32 v13, v13, v8
	v_lshrrev_b32_e32 v14, 16, v55
	v_lshrrev_b32_e32 v8, 16, v8
	;; [unrolled: 1-line block ×3, first 2 shown]
	v_min3_f16 v8, v14, v8, v15
	v_min3_f16 v8, v13, v9, v8
	v_cvt_f32_f16_e32 v8, v8
	v_max_f32_e32 v9, v12, v12
	v_min_f32_e32 v8, v9, v8
	v_cvt_f16_f32_e32 v12, v8
	v_lshl_add_u64 v[8:9], v[40:41], 1, v[4:5]
	flat_store_short v[8:9], v12
	s_or_b64 exec, exec, s[2:3]
	s_and_b64 s[4:5], s[12:13], s[18:19]
	s_and_saveexec_b64 s[2:3], s[4:5]
	s_cbranch_execz .LBB228_344
.LBB228_367:
	s_and_b64 vcc, exec, s[0:1]
	s_cbranch_vccnz .LBB228_369
; %bb.368:
	v_lshl_add_u64 v[8:9], v[42:43], 1, v[20:21]
	flat_load_ushort v8, v[8:9]
	s_waitcnt vmcnt(0) lgkmcnt(0)
	v_mul_f16_e32 v8, v52, v8
	v_cvt_f32_f16_e32 v8, v8
	s_branch .LBB228_370
.LBB228_369:
	v_mov_b32_e32 v8, 0
.LBB228_370:
	v_pk_add_f16 v9, v10, v6
	v_max_f16_e32 v10, v54, v54
	v_pk_add_f16 v11, v11, v7
	v_min_f16_e32 v10, v10, v9
	v_lshrrev_b32_e32 v12, 16, v54
	v_lshrrev_b32_e32 v9, 16, v9
	;; [unrolled: 1-line block ×3, first 2 shown]
	v_min3_f16 v9, v12, v9, v13
	v_min3_f16 v9, v10, v11, v9
	v_cvt_f32_f16_e32 v9, v9
	v_max_f32_e32 v8, v8, v8
	v_min_f32_e32 v8, v8, v9
	v_cvt_f16_f32_e32 v10, v8
	v_lshl_add_u64 v[8:9], v[42:43], 1, v[4:5]
	flat_store_short v[8:9], v10
	s_or_b64 exec, exec, s[2:3]
	s_and_b64 s[4:5], s[14:15], s[18:19]
	s_and_saveexec_b64 s[2:3], s[4:5]
	s_cbranch_execz .LBB228_345
.LBB228_371:
	s_and_b64 vcc, exec, s[0:1]
	s_cbranch_vccnz .LBB228_373
; %bb.372:
	v_lshl_add_u64 v[8:9], v[44:45], 1, v[20:21]
	flat_load_ushort v8, v[8:9]
	s_waitcnt vmcnt(0) lgkmcnt(0)
	v_mul_f16_e32 v8, v52, v8
	v_cvt_f32_f16_e32 v8, v8
	s_branch .LBB228_374
.LBB228_373:
	v_mov_b32_e32 v8, 0
.LBB228_374:
	v_pk_add_f16 v0, v0, v6
	v_max_f16_e32 v9, v53, v53
	v_pk_add_f16 v1, v1, v7
	v_min_f16_e32 v9, v9, v0
	v_lshrrev_b32_e32 v10, 16, v53
	v_lshrrev_b32_e32 v0, 16, v0
	;; [unrolled: 1-line block ×3, first 2 shown]
	v_min3_f16 v0, v10, v0, v11
	v_min3_f16 v0, v9, v1, v0
	v_cvt_f32_f16_e32 v0, v0
	v_max_f32_e32 v1, v8, v8
	v_min_f32_e32 v0, v1, v0
	v_cvt_f16_f32_e32 v8, v0
	v_lshl_add_u64 v[0:1], v[44:45], 1, v[4:5]
	flat_store_short v[0:1], v8
	s_or_b64 exec, exec, s[2:3]
	s_and_b64 s[2:3], s[16:17], s[18:19]
	s_and_saveexec_b64 s[4:5], s[2:3]
	s_cbranch_execz .LBB228_346
.LBB228_375:
	s_and_b64 vcc, exec, s[0:1]
	s_cbranch_vccnz .LBB228_377
; %bb.376:
	v_lshl_add_u64 v[0:1], v[46:47], 1, v[20:21]
	flat_load_ushort v0, v[0:1]
	s_waitcnt vmcnt(0) lgkmcnt(0)
	v_mul_f16_e32 v0, v52, v0
	v_cvt_f32_f16_e32 v0, v0
	s_branch .LBB228_378
.LBB228_377:
	v_mov_b32_e32 v0, 0
.LBB228_378:
	v_pk_add_f16 v1, v2, v6
	v_max_f16_e32 v2, v56, v56
	v_pk_add_f16 v3, v3, v7
	v_min_f16_e32 v2, v2, v1
	v_lshrrev_b32_e32 v6, 16, v56
	v_lshrrev_b32_e32 v1, 16, v1
	;; [unrolled: 1-line block ×3, first 2 shown]
	v_min3_f16 v1, v6, v1, v7
	v_min3_f16 v1, v2, v3, v1
	v_cvt_f32_f16_e32 v1, v1
	v_max_f32_e32 v0, v0, v0
	v_min_f32_e32 v0, v0, v1
	v_cvt_f16_f32_e32 v2, v0
	v_lshl_add_u64 v[0:1], v[46:47], 1, v[4:5]
	flat_store_short v[0:1], v2
	s_endpgm
	.section	.rodata,"a",@progbits
	.p2align	6, 0x0
	.amdhsa_kernel _ZN12_GLOBAL__N_120geam_min_plus_kernelIDF16_Dv2_DF16_S1_Li8ELi32ELi64ELi256ELi4ELi4ELi64ELi64ELi4ELc84ELc84ELb0ELb1ELb1EPKDF16_KS3_KPDF16_EEviiiT16_PT17_ilS9_ilS7_S9_ilPT18_ili26rocblas_geam_ex_operation_
		.amdhsa_group_segment_fixed_size 5120
		.amdhsa_private_segment_fixed_size 0
		.amdhsa_kernarg_size 136
		.amdhsa_user_sgpr_count 2
		.amdhsa_user_sgpr_dispatch_ptr 0
		.amdhsa_user_sgpr_queue_ptr 0
		.amdhsa_user_sgpr_kernarg_segment_ptr 1
		.amdhsa_user_sgpr_dispatch_id 0
		.amdhsa_user_sgpr_kernarg_preload_length 0
		.amdhsa_user_sgpr_kernarg_preload_offset 0
		.amdhsa_user_sgpr_private_segment_size 0
		.amdhsa_uses_dynamic_stack 0
		.amdhsa_enable_private_segment 0
		.amdhsa_system_sgpr_workgroup_id_x 1
		.amdhsa_system_sgpr_workgroup_id_y 0
		.amdhsa_system_sgpr_workgroup_id_z 1
		.amdhsa_system_sgpr_workgroup_info 0
		.amdhsa_system_vgpr_workitem_id 1
		.amdhsa_next_free_vgpr 179
		.amdhsa_next_free_sgpr 38
		.amdhsa_accum_offset 180
		.amdhsa_reserve_vcc 1
		.amdhsa_float_round_mode_32 0
		.amdhsa_float_round_mode_16_64 0
		.amdhsa_float_denorm_mode_32 3
		.amdhsa_float_denorm_mode_16_64 3
		.amdhsa_dx10_clamp 1
		.amdhsa_ieee_mode 1
		.amdhsa_fp16_overflow 0
		.amdhsa_tg_split 0
		.amdhsa_exception_fp_ieee_invalid_op 0
		.amdhsa_exception_fp_denorm_src 0
		.amdhsa_exception_fp_ieee_div_zero 0
		.amdhsa_exception_fp_ieee_overflow 0
		.amdhsa_exception_fp_ieee_underflow 0
		.amdhsa_exception_fp_ieee_inexact 0
		.amdhsa_exception_int_div_zero 0
	.end_amdhsa_kernel
	.section	.text._ZN12_GLOBAL__N_120geam_min_plus_kernelIDF16_Dv2_DF16_S1_Li8ELi32ELi64ELi256ELi4ELi4ELi64ELi64ELi4ELc84ELc84ELb0ELb1ELb1EPKDF16_KS3_KPDF16_EEviiiT16_PT17_ilS9_ilS7_S9_ilPT18_ili26rocblas_geam_ex_operation_,"axG",@progbits,_ZN12_GLOBAL__N_120geam_min_plus_kernelIDF16_Dv2_DF16_S1_Li8ELi32ELi64ELi256ELi4ELi4ELi64ELi64ELi4ELc84ELc84ELb0ELb1ELb1EPKDF16_KS3_KPDF16_EEviiiT16_PT17_ilS9_ilS7_S9_ilPT18_ili26rocblas_geam_ex_operation_,comdat
.Lfunc_end228:
	.size	_ZN12_GLOBAL__N_120geam_min_plus_kernelIDF16_Dv2_DF16_S1_Li8ELi32ELi64ELi256ELi4ELi4ELi64ELi64ELi4ELc84ELc84ELb0ELb1ELb1EPKDF16_KS3_KPDF16_EEviiiT16_PT17_ilS9_ilS7_S9_ilPT18_ili26rocblas_geam_ex_operation_, .Lfunc_end228-_ZN12_GLOBAL__N_120geam_min_plus_kernelIDF16_Dv2_DF16_S1_Li8ELi32ELi64ELi256ELi4ELi4ELi64ELi64ELi4ELc84ELc84ELb0ELb1ELb1EPKDF16_KS3_KPDF16_EEviiiT16_PT17_ilS9_ilS7_S9_ilPT18_ili26rocblas_geam_ex_operation_
                                        ; -- End function
	.set _ZN12_GLOBAL__N_120geam_min_plus_kernelIDF16_Dv2_DF16_S1_Li8ELi32ELi64ELi256ELi4ELi4ELi64ELi64ELi4ELc84ELc84ELb0ELb1ELb1EPKDF16_KS3_KPDF16_EEviiiT16_PT17_ilS9_ilS7_S9_ilPT18_ili26rocblas_geam_ex_operation_.num_vgpr, 179
	.set _ZN12_GLOBAL__N_120geam_min_plus_kernelIDF16_Dv2_DF16_S1_Li8ELi32ELi64ELi256ELi4ELi4ELi64ELi64ELi4ELc84ELc84ELb0ELb1ELb1EPKDF16_KS3_KPDF16_EEviiiT16_PT17_ilS9_ilS7_S9_ilPT18_ili26rocblas_geam_ex_operation_.num_agpr, 0
	.set _ZN12_GLOBAL__N_120geam_min_plus_kernelIDF16_Dv2_DF16_S1_Li8ELi32ELi64ELi256ELi4ELi4ELi64ELi64ELi4ELc84ELc84ELb0ELb1ELb1EPKDF16_KS3_KPDF16_EEviiiT16_PT17_ilS9_ilS7_S9_ilPT18_ili26rocblas_geam_ex_operation_.numbered_sgpr, 38
	.set _ZN12_GLOBAL__N_120geam_min_plus_kernelIDF16_Dv2_DF16_S1_Li8ELi32ELi64ELi256ELi4ELi4ELi64ELi64ELi4ELc84ELc84ELb0ELb1ELb1EPKDF16_KS3_KPDF16_EEviiiT16_PT17_ilS9_ilS7_S9_ilPT18_ili26rocblas_geam_ex_operation_.num_named_barrier, 0
	.set _ZN12_GLOBAL__N_120geam_min_plus_kernelIDF16_Dv2_DF16_S1_Li8ELi32ELi64ELi256ELi4ELi4ELi64ELi64ELi4ELc84ELc84ELb0ELb1ELb1EPKDF16_KS3_KPDF16_EEviiiT16_PT17_ilS9_ilS7_S9_ilPT18_ili26rocblas_geam_ex_operation_.private_seg_size, 0
	.set _ZN12_GLOBAL__N_120geam_min_plus_kernelIDF16_Dv2_DF16_S1_Li8ELi32ELi64ELi256ELi4ELi4ELi64ELi64ELi4ELc84ELc84ELb0ELb1ELb1EPKDF16_KS3_KPDF16_EEviiiT16_PT17_ilS9_ilS7_S9_ilPT18_ili26rocblas_geam_ex_operation_.uses_vcc, 1
	.set _ZN12_GLOBAL__N_120geam_min_plus_kernelIDF16_Dv2_DF16_S1_Li8ELi32ELi64ELi256ELi4ELi4ELi64ELi64ELi4ELc84ELc84ELb0ELb1ELb1EPKDF16_KS3_KPDF16_EEviiiT16_PT17_ilS9_ilS7_S9_ilPT18_ili26rocblas_geam_ex_operation_.uses_flat_scratch, 0
	.set _ZN12_GLOBAL__N_120geam_min_plus_kernelIDF16_Dv2_DF16_S1_Li8ELi32ELi64ELi256ELi4ELi4ELi64ELi64ELi4ELc84ELc84ELb0ELb1ELb1EPKDF16_KS3_KPDF16_EEviiiT16_PT17_ilS9_ilS7_S9_ilPT18_ili26rocblas_geam_ex_operation_.has_dyn_sized_stack, 0
	.set _ZN12_GLOBAL__N_120geam_min_plus_kernelIDF16_Dv2_DF16_S1_Li8ELi32ELi64ELi256ELi4ELi4ELi64ELi64ELi4ELc84ELc84ELb0ELb1ELb1EPKDF16_KS3_KPDF16_EEviiiT16_PT17_ilS9_ilS7_S9_ilPT18_ili26rocblas_geam_ex_operation_.has_recursion, 0
	.set _ZN12_GLOBAL__N_120geam_min_plus_kernelIDF16_Dv2_DF16_S1_Li8ELi32ELi64ELi256ELi4ELi4ELi64ELi64ELi4ELc84ELc84ELb0ELb1ELb1EPKDF16_KS3_KPDF16_EEviiiT16_PT17_ilS9_ilS7_S9_ilPT18_ili26rocblas_geam_ex_operation_.has_indirect_call, 0
	.section	.AMDGPU.csdata,"",@progbits
; Kernel info:
; codeLenInByte = 20952
; TotalNumSgprs: 44
; NumVgprs: 179
; NumAgprs: 0
; TotalNumVgprs: 179
; ScratchSize: 0
; MemoryBound: 0
; FloatMode: 240
; IeeeMode: 1
; LDSByteSize: 5120 bytes/workgroup (compile time only)
; SGPRBlocks: 5
; VGPRBlocks: 22
; NumSGPRsForWavesPerEU: 44
; NumVGPRsForWavesPerEU: 179
; AccumOffset: 180
; Occupancy: 2
; WaveLimiterHint : 1
; COMPUTE_PGM_RSRC2:SCRATCH_EN: 0
; COMPUTE_PGM_RSRC2:USER_SGPR: 2
; COMPUTE_PGM_RSRC2:TRAP_HANDLER: 0
; COMPUTE_PGM_RSRC2:TGID_X_EN: 1
; COMPUTE_PGM_RSRC2:TGID_Y_EN: 0
; COMPUTE_PGM_RSRC2:TGID_Z_EN: 1
; COMPUTE_PGM_RSRC2:TIDIG_COMP_CNT: 1
; COMPUTE_PGM_RSRC3_GFX90A:ACCUM_OFFSET: 44
; COMPUTE_PGM_RSRC3_GFX90A:TG_SPLIT: 0
	.section	.text._ZN12_GLOBAL__N_120geam_min_plus_kernelIDF16_Dv2_DF16_S1_Li8ELi32ELi64ELi256ELi4ELi4ELi64ELi64ELi4ELc84ELc84ELb1ELb1ELb1EDF16_KPKDF16_KPDF16_EEviiiT16_PT17_ilS9_ilS7_S9_ilPT18_ili26rocblas_geam_ex_operation_,"axG",@progbits,_ZN12_GLOBAL__N_120geam_min_plus_kernelIDF16_Dv2_DF16_S1_Li8ELi32ELi64ELi256ELi4ELi4ELi64ELi64ELi4ELc84ELc84ELb1ELb1ELb1EDF16_KPKDF16_KPDF16_EEviiiT16_PT17_ilS9_ilS7_S9_ilPT18_ili26rocblas_geam_ex_operation_,comdat
	.globl	_ZN12_GLOBAL__N_120geam_min_plus_kernelIDF16_Dv2_DF16_S1_Li8ELi32ELi64ELi256ELi4ELi4ELi64ELi64ELi4ELc84ELc84ELb1ELb1ELb1EDF16_KPKDF16_KPDF16_EEviiiT16_PT17_ilS9_ilS7_S9_ilPT18_ili26rocblas_geam_ex_operation_ ; -- Begin function _ZN12_GLOBAL__N_120geam_min_plus_kernelIDF16_Dv2_DF16_S1_Li8ELi32ELi64ELi256ELi4ELi4ELi64ELi64ELi4ELc84ELc84ELb1ELb1ELb1EDF16_KPKDF16_KPDF16_EEviiiT16_PT17_ilS9_ilS7_S9_ilPT18_ili26rocblas_geam_ex_operation_
	.p2align	8
	.type	_ZN12_GLOBAL__N_120geam_min_plus_kernelIDF16_Dv2_DF16_S1_Li8ELi32ELi64ELi256ELi4ELi4ELi64ELi64ELi4ELc84ELc84ELb1ELb1ELb1EDF16_KPKDF16_KPDF16_EEviiiT16_PT17_ilS9_ilS7_S9_ilPT18_ili26rocblas_geam_ex_operation_,@function
_ZN12_GLOBAL__N_120geam_min_plus_kernelIDF16_Dv2_DF16_S1_Li8ELi32ELi64ELi256ELi4ELi4ELi64ELi64ELi4ELc84ELc84ELb1ELb1ELb1EDF16_KPKDF16_KPDF16_EEviiiT16_PT17_ilS9_ilS7_S9_ilPT18_ili26rocblas_geam_ex_operation_: ; @_ZN12_GLOBAL__N_120geam_min_plus_kernelIDF16_Dv2_DF16_S1_Li8ELi32ELi64ELi256ELi4ELi4ELi64ELi64ELi4ELc84ELc84ELb1ELb1ELb1EDF16_KPKDF16_KPDF16_EEviiiT16_PT17_ilS9_ilS7_S9_ilPT18_ili26rocblas_geam_ex_operation_
; %bb.0:
	s_load_dwordx4 s[20:23], s[0:1], 0x0
	s_load_dwordx4 s[4:7], s[0:1], 0x20
	s_mov_b32 s8, s3
	s_mov_b32 s9, 0
	s_waitcnt lgkmcnt(0)
	v_cmp_eq_f16_e64 s[10:11], s23, 0
	s_and_b64 vcc, exec, s[10:11]
	s_cbranch_vccnz .LBB229_3
; %bb.1:
	s_load_dwordx2 s[12:13], s[0:1], 0x10
	s_lshl_b64 s[14:15], s[8:9], 3
	s_waitcnt lgkmcnt(0)
	s_add_u32 s12, s12, s14
	s_addc_u32 s13, s13, s15
	s_load_dwordx2 s[12:13], s[12:13], 0x0
	s_lshl_b64 s[4:5], s[4:5], 1
	s_waitcnt lgkmcnt(0)
	s_add_u32 s18, s12, s4
	s_addc_u32 s19, s13, s5
	s_andn2_b64 vcc, exec, s[10:11]
	s_cbranch_vccnz .LBB229_4
.LBB229_2:
	s_mov_b32 s11, 0
	s_mov_b32 s10, s8
	s_mov_b64 s[24:25], 0
	s_mov_b64 s[26:27], 0
	s_cbranch_execz .LBB229_5
	s_branch .LBB229_6
.LBB229_3:
	s_mov_b64 s[18:19], 0
	s_andn2_b64 vcc, exec, s[10:11]
	s_cbranch_vccz .LBB229_2
.LBB229_4:
	s_mov_b64 s[10:11], s[8:9]
	s_mov_b64 s[24:25], 0
	;; [unrolled: 1-line block ×3, first 2 shown]
.LBB229_5:
	s_lshl_b64 s[8:9], s[8:9], 3
	s_add_u32 s6, s6, s8
	s_load_dwordx2 s[4:5], s[0:1], 0x38
	s_addc_u32 s7, s7, s9
	s_load_dwordx2 s[6:7], s[6:7], 0x0
	s_waitcnt lgkmcnt(0)
	s_lshl_b64 s[4:5], s[4:5], 1
	s_add_u32 s26, s6, s4
	s_addc_u32 s27, s7, s5
.LBB229_6:
	s_load_dword s33, s[0:1], 0x40
	s_load_dwordx4 s[4:7], s[0:1], 0x58
	s_waitcnt lgkmcnt(0)
	v_cmp_eq_f16_e64 s[8:9], s33, 0
	v_cmp_neq_f16_e64 s[14:15], s33, 0
	s_and_b64 vcc, exec, s[8:9]
	s_cbranch_vccnz .LBB229_8
; %bb.7:
	s_load_dwordx2 s[8:9], s[0:1], 0x48
	s_lshl_b64 s[12:13], s[10:11], 3
	s_waitcnt lgkmcnt(0)
	s_add_u32 s8, s8, s12
	s_addc_u32 s9, s9, s13
	s_load_dwordx2 s[8:9], s[8:9], 0x0
	s_lshl_b64 s[4:5], s[4:5], 1
	s_waitcnt lgkmcnt(0)
	s_add_u32 s24, s8, s4
	s_addc_u32 s25, s9, s5
.LBB229_8:
	s_lshl_b64 s[4:5], s[10:11], 3
	s_add_u32 s30, s6, s4
	s_addc_u32 s31, s7, s5
	s_add_i32 s3, s20, -1
	s_ashr_i32 s4, s3, 31
	s_lshr_b32 s4, s4, 26
	s_add_i32 s3, s3, s4
	s_ashr_i32 s4, s3, 6
	s_add_i32 s5, s4, 1
	v_cvt_f32_u32_e32 v1, s5
	s_not_b32 s4, s4
	v_and_b32_e32 v42, 0x3ff, v0
	v_bfe_u32 v43, v0, 10, 10
	v_rcp_iflag_f32_e32 v1, v1
	s_load_dword s3, s[0:1], 0x18
	v_lshl_add_u32 v2, v43, 3, v42
	v_lshrrev_b32_e32 v30, 2, v2
	v_mul_f32_e32 v1, 0x4f7ffffe, v1
	v_cvt_u32_f32_e32 v1, v1
	v_and_b32_e32 v44, 3, v0
	v_cmp_gt_i32_e32 vcc, s22, v44
	v_mov_b32_e32 v4, 0x7c00
	v_readfirstlane_b32 s6, v1
	s_mul_i32 s4, s4, s6
	s_mul_hi_u32 s4, s6, s4
	s_add_i32 s6, s6, s4
	s_mul_hi_u32 s4, s2, s6
	s_mul_i32 s6, s4, s5
	s_sub_i32 s6, s2, s6
	s_add_i32 s7, s4, 1
	s_sub_i32 s8, s6, s5
	s_cmp_ge_u32 s6, s5
	s_cselect_b32 s4, s7, s4
	s_cselect_b32 s6, s8, s6
	s_add_i32 s7, s4, 1
	s_cmp_ge_u32 s6, s5
	s_cselect_b32 s6, s7, s4
	s_mul_i32 s36, s6, s5
	s_sub_i32 s4, s2, s36
	s_lshl_b32 s34, s4, 6
	v_add_u32_e32 v9, s34, v30
	v_cmp_gt_i32_e64 s[4:5], s20, v9
	v_cmp_le_i32_e64 s[8:9], s20, v9
	s_and_b64 s[10:11], vcc, s[4:5]
	v_lshlrev_b32_e32 v0, 1, v44
	v_mov_b32_e32 v5, 0x7c00
	s_and_saveexec_b64 s[4:5], s[10:11]
	s_cbranch_execz .LBB229_10
; %bb.9:
	s_waitcnt lgkmcnt(0)
	v_mad_i64_i32 v[6:7], s[10:11], v9, s3, 0
	v_lshl_add_u64 v[6:7], v[6:7], 1, s[18:19]
	v_mov_b32_e32 v1, 0
	v_lshl_add_u64 v[6:7], v[6:7], 0, v[0:1]
	flat_load_ushort v5, v[6:7]
.LBB229_10:
	s_or_b64 exec, exec, s[4:5]
	s_load_dword s28, s[0:1], 0x30
	v_and_b32_e32 v6, 63, v2
	s_lshl_b32 s35, s6, 8
	v_lshrrev_b32_e32 v47, 6, v2
	v_or_b32_e32 v28, s35, v6
	v_cmp_le_i32_e64 s[10:11], s22, v47
	s_waitcnt lgkmcnt(0)
	v_mad_i64_i32 v[2:3], s[4:5], s28, v47, 0
	v_cmp_le_i32_e32 vcc, s21, v28
	v_lshl_add_u64 v[2:3], v[2:3], 1, s[26:27]
	s_nor_b64 s[6:7], vcc, s[10:11]
	v_ashrrev_i32_e32 v29, 31, v28
	s_and_saveexec_b64 s[4:5], s[6:7]
	s_cbranch_execz .LBB229_12
; %bb.11:
	v_lshl_add_u64 v[10:11], v[28:29], 1, v[2:3]
	flat_load_ushort v4, v[10:11]
.LBB229_12:
	s_or_b64 exec, exec, s[4:5]
	v_or_b32_e32 v1, 64, v28
	v_cmp_le_i32_e64 s[12:13], s21, v1
	s_nor_b64 s[6:7], s[12:13], s[10:11]
	v_mov_b32_e32 v7, 0x7c00
	v_mov_b32_e32 v8, 0x7c00
	s_and_saveexec_b64 s[4:5], s[6:7]
	s_cbranch_execz .LBB229_14
; %bb.13:
	v_lshl_add_u64 v[10:11], v[28:29], 1, v[2:3]
	flat_load_ushort v8, v[10:11] offset:128
.LBB229_14:
	s_or_b64 exec, exec, s[4:5]
	v_or_b32_e32 v1, 0x80, v28
	v_cmp_le_i32_e64 s[4:5], s21, v1
	s_ashr_i32 s29, s28, 31
	s_nor_b64 s[16:17], s[4:5], s[10:11]
	s_and_saveexec_b64 s[6:7], s[16:17]
	s_cbranch_execz .LBB229_16
; %bb.15:
	v_lshl_add_u64 v[10:11], v[28:29], 1, v[2:3]
	flat_load_ushort v7, v[10:11] offset:256
.LBB229_16:
	s_or_b64 exec, exec, s[6:7]
	v_or_b32_e32 v1, 0xc0, v28
	v_cmp_le_i32_e64 s[6:7], s21, v1
	s_nor_b64 s[16:17], s[6:7], s[10:11]
	v_mov_b32_e32 v31, 0x7c00
	v_mov_b32_e32 v10, 0x7c00
	s_and_saveexec_b64 s[10:11], s[16:17]
	s_cbranch_execz .LBB229_18
; %bb.17:
	v_lshl_add_u64 v[2:3], v[28:29], 1, v[2:3]
	flat_load_ushort v10, v[2:3] offset:384
.LBB229_18:
	s_or_b64 exec, exec, s[10:11]
	v_or_b32_e32 v1, 4, v44
	v_cmp_gt_i32_e64 s[10:11], s22, v1
	s_xor_b64 s[16:17], s[8:9], -1
	s_and_b64 s[10:11], s[10:11], s[16:17]
	s_and_saveexec_b64 s[8:9], s[10:11]
	s_cbranch_execz .LBB229_20
; %bb.19:
	v_mad_i64_i32 v[2:3], s[10:11], v9, s3, 0
	v_lshl_add_u64 v[2:3], v[2:3], 1, s[18:19]
	v_mov_b32_e32 v1, 0
	v_lshl_add_u64 v[2:3], v[2:3], 0, v[0:1]
	flat_load_ushort v31, v[2:3] offset:8
.LBB229_20:
	s_or_b64 exec, exec, s[8:9]
	v_add_u32_e32 v1, 4, v47
	v_mad_u64_u32 v[2:3], s[10:11], s28, v1, 0
	v_mov_b32_e32 v12, v3
	v_mad_u64_u32 v[12:13], s[10:11], s29, v1, v[12:13]
	v_cmp_le_i32_e64 s[8:9], s22, v1
	v_mov_b32_e32 v3, v12
	v_lshl_add_u64 v[2:3], v[2:3], 1, s[26:27]
	s_nor_b64 s[38:39], vcc, s[8:9]
	v_mov_b32_e32 v32, 0x7c00
	v_mov_b32_e32 v33, 0x7c00
	s_and_saveexec_b64 s[10:11], s[38:39]
	s_cbranch_execz .LBB229_22
; %bb.21:
	v_lshl_add_u64 v[12:13], v[28:29], 1, v[2:3]
	flat_load_ushort v33, v[12:13]
.LBB229_22:
	s_or_b64 exec, exec, s[10:11]
	s_nor_b64 s[38:39], s[12:13], s[8:9]
	s_and_saveexec_b64 s[10:11], s[38:39]
	s_cbranch_execz .LBB229_24
; %bb.23:
	v_lshl_add_u64 v[12:13], v[28:29], 1, v[2:3]
	flat_load_ushort v32, v[12:13] offset:128
.LBB229_24:
	s_or_b64 exec, exec, s[10:11]
	s_nor_b64 s[38:39], s[4:5], s[8:9]
	v_mov_b32_e32 v34, 0x7c00
	v_mov_b32_e32 v35, 0x7c00
	s_and_saveexec_b64 s[10:11], s[38:39]
	s_cbranch_execz .LBB229_26
; %bb.25:
	v_lshl_add_u64 v[12:13], v[28:29], 1, v[2:3]
	flat_load_ushort v35, v[12:13] offset:256
.LBB229_26:
	s_or_b64 exec, exec, s[10:11]
	s_nor_b64 s[10:11], s[6:7], s[8:9]
	s_and_saveexec_b64 s[8:9], s[10:11]
	s_cbranch_execz .LBB229_28
; %bb.27:
	v_lshl_add_u64 v[2:3], v[28:29], 1, v[2:3]
	flat_load_ushort v34, v[2:3] offset:384
.LBB229_28:
	s_or_b64 exec, exec, s[8:9]
	v_lshl_or_b32 v36, v30, 3, v0
	v_lshlrev_b32_e32 v0, 3, v6
	v_lshlrev_b32_e32 v46, 3, v42
	v_lshl_add_u32 v48, v47, 1, v0
	v_add_u32_e32 v49, 0x1000, v46
	s_load_dwordx2 s[10:11], s[30:31], 0x0
	s_waitcnt vmcnt(0)
	ds_write_b16 v36, v5 offset:4096
	s_waitcnt lgkmcnt(0)
	ds_write_b16 v48, v4
	ds_write_b16 v48, v8 offset:512
	ds_write_b16 v48, v7 offset:1024
	;; [unrolled: 1-line block ×3, first 2 shown]
	s_waitcnt lgkmcnt(0)
	s_barrier
	v_lshlrev_b32_e32 v45, 3, v43
	ds_read2_b64 v[16:19], v49 offset1:8
	ds_read2_b64 v[12:15], v49 offset0:16 offset1:24
	ds_read2_b64 v[4:7], v49 offset0:32 offset1:40
	ds_read2_b64 v[38:41], v45 offset1:32
	ds_read2_b64 v[0:3], v49 offset0:48 offset1:56
	ds_read2_b64 v[24:27], v45 offset0:64 offset1:96
	;; [unrolled: 1-line block ×4, first 2 shown]
	s_waitcnt lgkmcnt(4)
	v_pk_add_f16 v37, v16, v38
	s_movk_i32 s8, 0x7c00
	v_pk_add_f16 v50, v18, v38
	v_pk_add_f16 v51, v12, v38
	;; [unrolled: 1-line block ×5, first 2 shown]
	s_waitcnt lgkmcnt(3)
	v_pk_add_f16 v55, v0, v38
	v_pk_add_f16 v38, v2, v38
	v_pk_add_f16 v56, v16, v40
	v_pk_add_f16 v57, v18, v40
	v_pk_add_f16 v58, v12, v40
	v_pk_add_f16 v59, v14, v40
	v_pk_add_f16 v60, v4, v40
	v_pk_add_f16 v61, v6, v40
	v_pk_add_f16 v62, v0, v40
	v_pk_add_f16 v40, v2, v40
	s_waitcnt lgkmcnt(2)
	v_pk_add_f16 v63, v16, v24
	v_pk_add_f16 v64, v18, v24
	v_pk_add_f16 v65, v12, v24
	v_pk_add_f16 v66, v14, v24
	v_pk_add_f16 v67, v4, v24
	v_pk_add_f16 v68, v6, v24
	v_pk_add_f16 v69, v0, v24
	v_pk_add_f16 v24, v2, v24
	v_pk_add_f16 v70, v16, v26
	v_pk_add_f16 v71, v18, v26
	v_pk_add_f16 v72, v12, v26
	v_pk_add_f16 v73, v14, v26
	v_pk_add_f16 v74, v4, v26
	v_pk_add_f16 v75, v6, v26
	v_pk_add_f16 v76, v0, v26
	v_pk_add_f16 v26, v2, v26
	s_waitcnt lgkmcnt(1)
	v_pk_add_f16 v77, v16, v20
	v_pk_add_f16 v78, v18, v20
	v_pk_add_f16 v79, v12, v20
	v_pk_add_f16 v80, v14, v20
	v_pk_add_f16 v102, v4, v20
	v_pk_add_f16 v117, v6, v20
	;; [unrolled: 17-line block ×3, first 2 shown]
	v_pk_add_f16 v132, v0, v8
	v_pk_add_f16 v8, v2, v8
	;; [unrolled: 1-line block ×11, first 2 shown]
	v_pk_min_f16 v10, v37, s8 op_sel_hi:[1,0]
	v_pk_min_f16 v8, v8, s8 op_sel_hi:[1,0]
	v_pk_min_f16 v116, v10, v2
	v_pk_add_f16 v2, v19, v39
	v_pk_min_f16 v10, v50, s8 op_sel_hi:[1,0]
	v_pk_min_f16 v4, v4, s8 op_sel_hi:[1,0]
	v_pk_min_f16 v115, v10, v2
	v_pk_add_f16 v2, v13, v39
	;; [unrolled: 4-line block ×3, first 2 shown]
	v_pk_min_f16 v10, v52, s8 op_sel_hi:[1,0]
	s_cmp_lt_i32 s22, 9
	v_pk_min_f16 v113, v10, v2
	v_pk_add_f16 v2, v5, v39
	v_pk_min_f16 v10, v53, s8 op_sel_hi:[1,0]
	ds_write_b16 v36, v31 offset:4608
	ds_write_b16 v48, v33 offset:2048
	;; [unrolled: 1-line block ×5, first 2 shown]
	v_pk_min_f16 v112, v10, v2
	v_pk_add_f16 v2, v7, v39
	v_pk_min_f16 v10, v54, s8 op_sel_hi:[1,0]
	s_waitcnt lgkmcnt(0)
	v_pk_min_f16 v111, v10, v2
	v_pk_add_f16 v2, v1, v39
	v_pk_min_f16 v10, v55, s8 op_sel_hi:[1,0]
	s_barrier
	v_pk_min_f16 v110, v10, v2
	v_pk_add_f16 v2, v3, v39
	v_pk_min_f16 v10, v38, s8 op_sel_hi:[1,0]
	s_nop 0
	v_pk_min_f16 v109, v10, v2
	v_pk_add_f16 v2, v17, v41
	v_pk_min_f16 v10, v56, s8 op_sel_hi:[1,0]
	s_nop 0
	;; [unrolled: 4-line block ×47, first 2 shown]
	v_pk_min_f16 v62, v10, v2
	v_pk_add_f16 v2, v1, v9
	v_pk_min_f16 v10, v132, s8 op_sel_hi:[1,0]
	v_pk_add_f16 v1, v1, v11
	v_pk_min_f16 v61, v10, v2
	v_pk_add_f16 v2, v3, v9
	s_nop 0
	v_pk_min_f16 v60, v8, v2
	v_pk_add_f16 v2, v17, v11
	v_pk_min_f16 v8, v16, s8 op_sel_hi:[1,0]
	s_nop 0
	v_pk_min_f16 v59, v8, v2
	v_pk_add_f16 v2, v19, v11
	v_pk_min_f16 v8, v18, s8 op_sel_hi:[1,0]
	;; [unrolled: 4-line block ×4, first 2 shown]
	s_nop 0
	v_pk_min_f16 v56, v8, v2
	v_pk_add_f16 v2, v5, v11
	s_nop 0
	v_pk_min_f16 v54, v4, v2
	v_pk_add_f16 v2, v7, v11
	v_pk_min_f16 v4, v6, s8 op_sel_hi:[1,0]
	s_nop 0
	v_pk_min_f16 v53, v4, v2
	v_pk_min_f16 v2, v133, s8 op_sel_hi:[1,0]
	s_nop 0
	v_pk_min_f16 v52, v2, v1
	v_pk_add_f16 v1, v3, v11
	s_nop 0
	v_pk_min_f16 v55, v0, v1
	s_cbranch_scc1 .LBB229_51
; %bb.29:
	v_mov_b32_e32 v0, 0x1200
	v_lshl_add_u32 v117, v42, 3, v0
	v_mov_b32_e32 v0, 0x800
	v_lshl_add_u32 v118, v43, 3, v0
	v_lshl_add_u32 v0, s2, 6, v30
	s_lshl_b32 s2, s36, 6
	v_subrev_u32_e32 v0, s2, v0
	v_and_b32_e32 v2, 3, v42
	v_mad_i64_i32 v[0:1], s[2:3], s3, v0, 0
	v_lshlrev_b32_e32 v2, 1, v2
	v_mov_b32_e32 v3, 0
	v_lshl_add_u64 v[0:1], v[0:1], 1, v[2:3]
	v_lshl_add_u64 v[0:1], s[18:19], 0, v[0:1]
	;; [unrolled: 1-line block ×3, first 2 shown]
	v_add_u32_e32 v0, 8, v47
	v_mad_i64_i32 v[0:1], s[2:3], v0, s28, 0
	v_lshlrev_b64 v[34:35], 1, v[0:1]
	v_add_u32_e32 v0, 12, v47
	v_mad_i64_i32 v[0:1], s[2:3], v0, s28, 0
	v_add_u32_e32 v50, 0x1000, v36
	v_add_u32_e32 v51, 0x1200, v36
	;; [unrolled: 1-line block ×3, first 2 shown]
	s_add_i32 s23, s22, -8
	v_lshl_add_u64 v[36:37], v[28:29], 1, s[26:27]
	s_lshl_b64 s[18:19], s[28:29], 4
	v_lshlrev_b64 v[38:39], 1, v[0:1]
	s_mov_b32 s26, 0
	s_branch .LBB229_31
.LBB229_30:                             ;   in Loop: Header=BB229_31 Depth=1
	s_or_b64 exec, exec, s[2:3]
	v_pk_add_f16 v40, v16, v28
	v_pk_max_f16 v41, v116, v116
	v_pk_max_f16 v115, v115, v115
	v_pk_min_f16 v40, v41, v40
	v_pk_add_f16 v41, v18, v28
	v_pk_max_f16 v114, v114, v114
	v_pk_min_f16 v41, v115, v41
	v_pk_add_f16 v115, v12, v28
	v_pk_max_f16 v113, v113, v113
	v_pk_min_f16 v114, v114, v115
	v_pk_add_f16 v115, v14, v28
	v_pk_max_f16 v112, v112, v112
	v_pk_min_f16 v113, v113, v115
	v_pk_add_f16 v115, v4, v28
	v_pk_max_f16 v111, v111, v111
	v_pk_min_f16 v112, v112, v115
	v_pk_add_f16 v115, v6, v28
	v_pk_max_f16 v109, v109, v109
	v_pk_min_f16 v111, v111, v115
	v_pk_add_f16 v115, v0, v28
	v_pk_add_f16 v28, v2, v28
	v_pk_max_f16 v108, v108, v108
	v_pk_min_f16 v28, v109, v28
	v_pk_add_f16 v109, v16, v30
	v_pk_max_f16 v107, v107, v107
	v_pk_min_f16 v108, v108, v109
	v_pk_add_f16 v109, v18, v30
	v_pk_max_f16 v106, v106, v106
	v_pk_min_f16 v107, v107, v109
	v_pk_add_f16 v109, v12, v30
	v_pk_max_f16 v104, v104, v104
	v_pk_min_f16 v106, v106, v109
	v_pk_add_f16 v109, v14, v30
	v_pk_max_f16 v101, v101, v101
	v_pk_min_f16 v104, v104, v109
	v_pk_add_f16 v109, v4, v30
	v_pk_max_f16 v99, v99, v99
	v_pk_min_f16 v101, v101, v109
	v_pk_add_f16 v109, v6, v30
	v_pk_max_f16 v95, v95, v95
	v_pk_min_f16 v99, v99, v109
	v_pk_add_f16 v109, v0, v30
	v_pk_add_f16 v30, v2, v30
	v_pk_max_f16 v93, v93, v93
	v_pk_min_f16 v30, v95, v30
	v_pk_add_f16 v95, v16, v24
	;; [unrolled: 22-line block ×4, first 2 shown]
	v_pk_max_f16 v82, v82, v82
	v_pk_min_f16 v83, v83, v84
	v_pk_add_f16 v84, v18, v20
	v_pk_max_f16 v81, v81, v81
	v_pk_min_f16 v82, v82, v84
	v_pk_add_f16 v84, v12, v20
	v_pk_max_f16 v85, v85, v85
	v_pk_min_f16 v84, v81, v84
	v_pk_add_f16 v81, v14, v20
	v_pk_max_f16 v80, v80, v80
	v_pk_max_f16 v100, v100, v100
	v_pk_min_f16 v85, v85, v98
	v_pk_min_f16 v98, v80, v81
	v_pk_add_f16 v80, v4, v20
	v_pk_max_f16 v79, v79, v79
	v_pk_max_f16 v97, v97, v97
	v_pk_min_f16 v100, v100, v105
	v_pk_min_f16 v105, v79, v80
	v_pk_add_f16 v79, v6, v20
	v_pk_max_f16 v78, v78, v78
	v_pk_min_f16 v97, v97, v109
	v_pk_min_f16 v109, v78, v79
	v_pk_add_f16 v78, v0, v20
	v_pk_add_f16 v20, v2, v20
	v_pk_max_f16 v76, v76, v76
	v_pk_max_f16 v75, v75, v75
	v_pk_min_f16 v20, v76, v20
	v_pk_add_f16 v76, v16, v22
	v_pk_max_f16 v74, v74, v74
	v_pk_min_f16 v116, v75, v76
	v_pk_add_f16 v75, v18, v22
	;; [unrolled: 3-line block ×7, first 2 shown]
	v_pk_add_f16 v22, v2, v22
	v_pk_min_f16 v129, v68, v70
	v_pk_max_f16 v68, v69, v69
	v_pk_max_f16 v67, v67, v67
	v_pk_min_f16 v22, v68, v22
	v_pk_add_f16 v68, v16, v8
	v_pk_max_f16 v66, v66, v66
	v_pk_min_f16 v130, v67, v68
	v_pk_add_f16 v67, v18, v8
	;; [unrolled: 3-line block ×6, first 2 shown]
	v_pk_add_f16 v16, v16, v10
	v_pk_min_f16 v135, v62, v63
	v_pk_add_f16 v62, v0, v8
	v_pk_add_f16 v8, v2, v8
	;; [unrolled: 1-line block ×9, first 2 shown]
	v_pk_max_f16 v10, v55, v55
	v_pk_max_f16 v110, v110, v110
	v_pk_min_f16 v2, v10, v2
	v_pk_add_f16 v10, v17, v29
	v_pk_min_f16 v110, v110, v115
	v_pk_min_f16 v137, v40, v10
	v_pk_add_f16 v10, v19, v29
	v_pk_max_f16 v77, v77, v77
	v_pk_min_f16 v138, v41, v10
	v_pk_add_f16 v10, v13, v29
	v_pk_min_f16 v115, v77, v78
	v_pk_min_f16 v114, v114, v10
	v_pk_add_f16 v10, v15, v29
	;; [unrolled: 6-line block ×11, first 2 shown]
	s_add_i32 s26, s26, 8
	v_pk_min_f16 v81, v103, v10
	v_pk_add_f16 v10, v1, v25
	v_pk_max_f16 v81, v81, v81
	v_pk_min_f16 v80, v100, v10
	v_pk_add_f16 v10, v3, v25
	v_pk_max_f16 v80, v80, v80
	;; [unrolled: 3-line block ×11, first 2 shown]
	v_pk_min_f16 v73, v83, v10
	v_pk_add_f16 v10, v19, v21
	v_lshl_add_u64 v[32:33], v[32:33], 0, 16
	v_pk_min_f16 v71, v82, v10
	v_pk_add_f16 v10, v13, v21
	s_cmp_ge_i32 s26, s23
	v_pk_min_f16 v69, v84, v10
	v_pk_add_f16 v10, v15, v21
	v_lshl_add_u64 v[36:37], v[36:37], 0, s[18:19]
	v_pk_min_f16 v67, v98, v10
	v_pk_add_f16 v10, v5, v21
	v_pk_max_f16 v67, v67, v67
	v_pk_min_f16 v66, v105, v10
	v_pk_add_f16 v10, v7, v21
	v_pk_max_f16 v66, v66, v66
	;; [unrolled: 3-line block ×6, first 2 shown]
	v_pk_min_f16 v61, v124, v10
	v_pk_add_f16 v10, v13, v23
	s_nop 0
	v_pk_min_f16 v60, v125, v10
	v_pk_add_f16 v10, v15, v23
	s_nop 0
	;; [unrolled: 3-line block ×10, first 2 shown]
	v_pk_min_f16 v28, v133, v10
	v_pk_add_f16 v10, v5, v9
	v_pk_add_f16 v5, v5, v11
	v_pk_min_f16 v27, v134, v10
	v_pk_add_f16 v10, v7, v9
	v_pk_min_f16 v124, v4, v5
	v_pk_min_f16 v26, v135, v10
	v_pk_add_f16 v10, v1, v9
	v_pk_add_f16 v9, v3, v9
	;; [unrolled: 1-line block ×3, first 2 shown]
	v_pk_min_f16 v24, v8, v9
	v_pk_add_f16 v8, v17, v11
	v_pk_add_f16 v4, v7, v11
	v_pk_min_f16 v40, v16, v8
	v_pk_add_f16 v8, v19, v11
	v_pk_min_f16 v126, v0, v1
	v_pk_min_f16 v31, v18, v8
	v_pk_add_f16 v8, v13, v11
	v_pk_add_f16 v0, v3, v11
	v_pk_min_f16 v54, v12, v8
	v_pk_add_f16 v8, v15, v11
	v_pk_min_f16 v25, v136, v10
	v_pk_min_f16 v53, v14, v8
	;; [unrolled: 1-line block ×4, first 2 shown]
	ds_read2_b64 v[12:15], v49 offset1:8
	ds_read2_b64 v[4:7], v49 offset0:16 offset1:24
	ds_read2_b64 v[82:85], v45 offset1:32
	ds_read2_b64 v[8:11], v49 offset0:32 offset1:40
	ds_read2_b64 v[0:3], v49 offset0:48 offset1:56
	;; [unrolled: 1-line block ×4, first 2 shown]
	s_waitcnt lgkmcnt(0)
	v_pk_add_f16 v86, v12, v82
	v_pk_add_f16 v88, v14, v82
	v_pk_min_f16 v86, v109, v86
	v_pk_add_f16 v109, v13, v83
	v_pk_add_f16 v90, v4, v82
	v_pk_min_f16 v116, v86, v109
	v_pk_max_f16 v109, v138, v138
	v_pk_add_f16 v92, v6, v82
	v_pk_min_f16 v88, v109, v88
	v_pk_add_f16 v109, v15, v83
	v_pk_add_f16 v94, v8, v82
	v_pk_min_f16 v115, v88, v109
	v_pk_max_f16 v109, v114, v114
	;; [unrolled: 6-line block ×4, first 2 shown]
	v_pk_add_f16 v86, v6, v20
	v_pk_min_f16 v94, v109, v94
	v_pk_add_f16 v109, v9, v83
	v_pk_add_f16 v88, v8, v20
	;; [unrolled: 1-line block ×4, first 2 shown]
	v_pk_min_f16 v112, v94, v109
	v_pk_add_f16 v94, v2, v20
	v_pk_max_f16 v20, v111, v111
	v_pk_add_f16 v96, v0, v82
	v_pk_min_f16 v20, v20, v95
	v_pk_add_f16 v95, v11, v83
	v_pk_add_f16 v82, v2, v82
	v_pk_min_f16 v111, v20, v95
	v_pk_max_f16 v20, v110, v110
	v_pk_add_f16 v95, v1, v83
	v_pk_min_f16 v20, v20, v96
	v_pk_add_f16 v98, v12, v84
	v_pk_min_f16 v110, v20, v95
	v_pk_max_f16 v20, v139, v139
	v_pk_add_f16 v100, v14, v84
	v_pk_min_f16 v20, v20, v82
	v_pk_add_f16 v82, v3, v83
	v_pk_add_f16 v83, v13, v85
	v_pk_min_f16 v109, v20, v82
	v_pk_max_f16 v20, v108, v108
	v_pk_add_f16 v95, v15, v85
	v_pk_min_f16 v20, v20, v98
	v_pk_add_f16 v103, v4, v84
	v_pk_min_f16 v108, v20, v83
	v_pk_max_f16 v20, v107, v107
	v_pk_add_f16 v105, v6, v84
	v_pk_min_f16 v20, v20, v100
	;; [unrolled: 5-line block ×5, first 2 shown]
	v_pk_add_f16 v134, v14, v22
	v_pk_min_f16 v101, v20, v95
	v_pk_max_f16 v20, v99, v99
	v_pk_add_f16 v82, v4, v22
	v_pk_add_f16 v83, v6, v22
	;; [unrolled: 1-line block ×6, first 2 shown]
	v_pk_min_f16 v20, v20, v128
	v_pk_add_f16 v22, v11, v85
	v_pk_add_f16 v129, v0, v84
	v_pk_min_f16 v99, v20, v22
	v_pk_max_f16 v22, v97, v97
	v_pk_add_f16 v20, v1, v85
	v_pk_min_f16 v22, v22, v129
	v_pk_add_f16 v84, v2, v84
	v_pk_min_f16 v97, v22, v20
	v_pk_max_f16 v22, v140, v140
	v_pk_add_f16 v20, v3, v85
	v_pk_min_f16 v22, v22, v84
	;; [unrolled: 5-line block ×4, first 2 shown]
	v_pk_min_f16 v68, v68, v127
	v_pk_min_f16 v91, v22, v20
	v_pk_max_f16 v22, v89, v89
	v_pk_add_f16 v20, v5, v21
	v_pk_min_f16 v22, v22, v132
	v_pk_add_f16 v139, v1, v23
	v_pk_min_f16 v89, v22, v20
	v_pk_max_f16 v22, v87, v87
	v_pk_add_f16 v20, v7, v21
	v_pk_min_f16 v22, v22, v86
	v_pk_min_f16 v70, v70, v137
	;; [unrolled: 1-line block ×3, first 2 shown]
	v_pk_max_f16 v20, v141, v141
	v_pk_add_f16 v141, v12, v16
	v_pk_min_f16 v85, v20, v88
	v_pk_add_f16 v142, v14, v16
	v_pk_min_f16 v105, v85, v84
	v_pk_min_f16 v84, v68, v140
	v_pk_max_f16 v68, v73, v73
	v_pk_min_f16 v85, v70, v139
	v_pk_min_f16 v68, v68, v141
	v_pk_add_f16 v70, v13, v17
	v_pk_min_f16 v75, v75, v83
	v_pk_min_f16 v83, v68, v70
	v_pk_max_f16 v68, v71, v71
	v_pk_add_f16 v86, v11, v21
	v_pk_min_f16 v81, v81, v90
	v_pk_min_f16 v68, v68, v142
	v_pk_add_f16 v70, v15, v17
	v_pk_min_f16 v103, v81, v86
	v_pk_add_f16 v81, v4, v16
	v_pk_min_f16 v76, v76, v82
	v_pk_min_f16 v82, v68, v70
	v_pk_max_f16 v68, v69, v69
	v_pk_add_f16 v143, v6, v16
	v_pk_min_f16 v68, v68, v81
	v_pk_add_f16 v69, v5, v17
	v_pk_add_f16 v88, v1, v21
	v_pk_min_f16 v80, v80, v92
	v_pk_add_f16 v144, v8, v16
	v_pk_min_f16 v81, v68, v69
	v_pk_min_f16 v67, v67, v143
	v_pk_add_f16 v68, v7, v17
	v_pk_add_f16 v96, v3, v21
	v_pk_min_f16 v100, v80, v88
	v_pk_min_f16 v79, v79, v94
	v_pk_add_f16 v145, v10, v16
	v_pk_min_f16 v80, v67, v68
	v_pk_min_f16 v66, v66, v144
	v_pk_add_f16 v67, v9, v17
	v_pk_add_f16 v128, v13, v23
	v_pk_min_f16 v98, v79, v96
	v_pk_add_f16 v146, v0, v16
	v_pk_min_f16 v78, v78, v133
	;; [unrolled: 2-line block ×3, first 2 shown]
	v_pk_min_f16 v65, v65, v145
	v_pk_add_f16 v66, v11, v17
	v_pk_add_f16 v130, v5, v23
	v_pk_min_f16 v96, v78, v128
	v_pk_min_f16 v78, v65, v66
	v_pk_add_f16 v65, v1, v17
	v_pk_min_f16 v16, v63, v16
	v_pk_add_f16 v17, v3, v17
	v_pk_add_f16 v128, v12, v18
	v_pk_min_f16 v92, v76, v130
	v_pk_min_f16 v76, v16, v17
	v_pk_max_f16 v16, v62, v62
	v_pk_add_f16 v131, v7, v23
	v_pk_min_f16 v16, v16, v128
	v_pk_add_f16 v17, v13, v19
	v_pk_add_f16 v133, v14, v18
	v_pk_min_f16 v90, v75, v131
	v_pk_min_f16 v75, v16, v17
	v_pk_max_f16 v16, v61, v61
	v_pk_add_f16 v129, v15, v23
	v_pk_add_f16 v132, v9, v23
	v_pk_min_f16 v77, v77, v134
	v_pk_min_f16 v74, v74, v135
	;; [unrolled: 1-line block ×3, first 2 shown]
	v_pk_add_f16 v17, v15, v19
	v_pk_min_f16 v94, v77, v129
	v_pk_add_f16 v129, v4, v18
	v_pk_min_f16 v88, v74, v132
	v_pk_min_f16 v74, v16, v17
	v_pk_max_f16 v17, v60, v60
	v_pk_add_f16 v16, v5, v19
	v_pk_min_f16 v17, v17, v129
	v_pk_add_f16 v134, v6, v18
	v_pk_min_f16 v73, v17, v16
	v_pk_max_f16 v17, v59, v59
	v_pk_add_f16 v138, v11, v23
	v_pk_min_f16 v72, v72, v136
	v_pk_add_f16 v16, v7, v19
	v_pk_min_f16 v17, v17, v134
	;; [unrolled: 2-line block ×3, first 2 shown]
	v_pk_min_f16 v72, v17, v16
	v_pk_max_f16 v17, v58, v58
	v_pk_add_f16 v16, v9, v19
	v_pk_min_f16 v17, v17, v130
	v_pk_add_f16 v147, v10, v18
	v_pk_min_f16 v71, v17, v16
	v_pk_max_f16 v17, v57, v57
	ds_read2_b64 v[20:23], v45 offset0:192 offset1:224
	v_pk_add_f16 v16, v11, v19
	v_pk_min_f16 v17, v17, v147
	v_pk_add_f16 v131, v0, v18
	v_pk_min_f16 v70, v17, v16
	v_pk_max_f16 v17, v56, v56
	v_pk_add_f16 v16, v1, v19
	v_pk_min_f16 v17, v17, v131
	v_pk_add_f16 v18, v2, v18
	v_pk_min_f16 v68, v17, v16
	v_pk_max_f16 v17, v29, v29
	v_pk_add_f16 v16, v3, v19
	v_pk_min_f16 v17, v17, v18
	s_waitcnt lgkmcnt(0)
	v_pk_add_f16 v132, v12, v20
	v_pk_min_f16 v69, v17, v16
	v_pk_max_f16 v17, v52, v52
	v_pk_add_f16 v16, v13, v21
	v_pk_min_f16 v17, v17, v132
	v_pk_add_f16 v135, v14, v20
	v_pk_min_f16 v67, v17, v16
	v_pk_max_f16 v17, v41, v41
	v_pk_add_f16 v16, v15, v21
	v_pk_min_f16 v17, v17, v135
	v_pk_add_f16 v136, v4, v20
	v_pk_min_f16 v66, v17, v16
	v_pk_max_f16 v17, v30, v30
	v_pk_min_f16 v64, v64, v146
	v_pk_add_f16 v16, v5, v21
	v_pk_min_f16 v17, v17, v136
	v_pk_add_f16 v137, v6, v20
	v_pk_min_f16 v77, v64, v65
	v_pk_min_f16 v65, v17, v16
	v_pk_max_f16 v17, v28, v28
	v_pk_add_f16 v16, v7, v21
	v_pk_min_f16 v17, v17, v137
	v_pk_add_f16 v138, v8, v20
	v_pk_min_f16 v64, v17, v16
	v_pk_max_f16 v17, v27, v27
	v_pk_add_f16 v16, v9, v21
	v_pk_min_f16 v17, v17, v138
	v_pk_add_f16 v127, v10, v20
	;; [unrolled: 5-line block ×12, first 2 shown]
	v_pk_min_f16 v52, v0, v1
	v_pk_max_f16 v1, v125, v125
	v_pk_add_f16 v0, v3, v23
	v_pk_min_f16 v1, v1, v2
	s_waitcnt vmcnt(0)
	ds_write_b16 v51, v119
	ds_write_b16 v102, v121
	ds_write_b16 v102, v120 offset:512
	ds_write_b16 v102, v123 offset:1024
	;; [unrolled: 1-line block ×3, first 2 shown]
	v_pk_min_f16 v55, v1, v0
	s_waitcnt lgkmcnt(0)
	s_barrier
	s_cbranch_scc1 .LBB229_51
.LBB229_31:                             ; =>This Inner Loop Header: Depth=1
	v_add_u32_e32 v40, s26, v44
	v_add_u32_e32 v0, 8, v40
	v_cmp_gt_i32_e64 s[2:3], s22, v0
	s_and_b64 s[8:9], s[2:3], s[16:17]
	v_mov_b32_e32 v120, 0x7c00
	v_mov_b32_e32 v121, 0x7c00
	s_and_saveexec_b64 s[2:3], s[8:9]
	s_cbranch_execz .LBB229_33
; %bb.32:                               ;   in Loop: Header=BB229_31 Depth=1
	flat_load_ushort v121, v[32:33]
.LBB229_33:                             ;   in Loop: Header=BB229_31 Depth=1
	s_or_b64 exec, exec, s[2:3]
	v_add_u32_e32 v41, s26, v47
	v_add_u32_e32 v0, 8, v41
	v_cmp_le_i32_e64 s[8:9], s22, v0
	s_nor_b64 s[28:29], vcc, s[8:9]
	v_lshl_add_u64 v[0:1], v[36:37], 0, v[34:35]
	s_and_saveexec_b64 s[2:3], s[28:29]
	s_cbranch_execz .LBB229_35
; %bb.34:                               ;   in Loop: Header=BB229_31 Depth=1
	flat_load_ushort v120, v[0:1]
.LBB229_35:                             ;   in Loop: Header=BB229_31 Depth=1
	s_or_b64 exec, exec, s[2:3]
	s_nor_b64 s[28:29], s[12:13], s[8:9]
	v_mov_b32_e32 v122, 0x7c00
	v_mov_b32_e32 v123, 0x7c00
	s_and_saveexec_b64 s[2:3], s[28:29]
	s_cbranch_execz .LBB229_37
; %bb.36:                               ;   in Loop: Header=BB229_31 Depth=1
	flat_load_ushort v123, v[0:1] offset:128
.LBB229_37:                             ;   in Loop: Header=BB229_31 Depth=1
	s_or_b64 exec, exec, s[2:3]
	s_nor_b64 s[28:29], s[4:5], s[8:9]
	s_and_saveexec_b64 s[2:3], s[28:29]
	s_cbranch_execz .LBB229_39
; %bb.38:                               ;   in Loop: Header=BB229_31 Depth=1
	flat_load_ushort v122, v[0:1] offset:256
.LBB229_39:                             ;   in Loop: Header=BB229_31 Depth=1
	s_or_b64 exec, exec, s[2:3]
	s_nor_b64 s[8:9], s[6:7], s[8:9]
	v_mov_b32_e32 v119, 0x7c00
	v_mov_b32_e32 v124, 0x7c00
	s_and_saveexec_b64 s[2:3], s[8:9]
	s_cbranch_execz .LBB229_41
; %bb.40:                               ;   in Loop: Header=BB229_31 Depth=1
	flat_load_ushort v124, v[0:1] offset:384
.LBB229_41:                             ;   in Loop: Header=BB229_31 Depth=1
	s_or_b64 exec, exec, s[2:3]
	ds_read2_b64 v[16:19], v117 offset1:8
	ds_read2_b64 v[12:15], v117 offset0:16 offset1:24
	ds_read2_b64 v[4:7], v117 offset0:32 offset1:40
	;; [unrolled: 1-line block ×3, first 2 shown]
	ds_read2_b64 v[28:31], v118 offset1:32
	ds_read2_b64 v[24:27], v118 offset0:64 offset1:96
	ds_read2_b64 v[20:23], v118 offset0:128 offset1:160
	;; [unrolled: 1-line block ×3, first 2 shown]
	v_add_u32_e32 v40, 12, v40
	v_cmp_gt_i32_e64 s[2:3], s22, v40
	s_and_b64 s[8:9], s[2:3], s[16:17]
	s_waitcnt vmcnt(0) lgkmcnt(0)
	ds_write_b16 v50, v121
	ds_write_b16 v48, v120
	ds_write_b16 v48, v123 offset:512
	ds_write_b16 v48, v122 offset:1024
	ds_write_b16 v48, v124 offset:1536
	s_waitcnt lgkmcnt(0)
	s_barrier
	s_and_saveexec_b64 s[2:3], s[8:9]
	s_cbranch_execz .LBB229_43
; %bb.42:                               ;   in Loop: Header=BB229_31 Depth=1
	flat_load_ushort v119, v[32:33] offset:8
.LBB229_43:                             ;   in Loop: Header=BB229_31 Depth=1
	s_or_b64 exec, exec, s[2:3]
	v_add_u32_e32 v40, 12, v41
	v_cmp_le_i32_e64 s[8:9], s22, v40
	s_nor_b64 s[28:29], vcc, s[8:9]
	v_mov_b32_e32 v120, 0x7c00
	v_lshl_add_u64 v[40:41], v[36:37], 0, v[38:39]
	v_mov_b32_e32 v121, 0x7c00
	s_and_saveexec_b64 s[2:3], s[28:29]
	s_cbranch_execz .LBB229_45
; %bb.44:                               ;   in Loop: Header=BB229_31 Depth=1
	flat_load_ushort v121, v[40:41]
.LBB229_45:                             ;   in Loop: Header=BB229_31 Depth=1
	s_or_b64 exec, exec, s[2:3]
	s_nor_b64 s[28:29], s[12:13], s[8:9]
	s_and_saveexec_b64 s[2:3], s[28:29]
	s_cbranch_execz .LBB229_47
; %bb.46:                               ;   in Loop: Header=BB229_31 Depth=1
	flat_load_ushort v120, v[40:41] offset:128
.LBB229_47:                             ;   in Loop: Header=BB229_31 Depth=1
	s_or_b64 exec, exec, s[2:3]
	s_nor_b64 s[28:29], s[4:5], s[8:9]
	v_mov_b32_e32 v122, 0x7c00
	v_mov_b32_e32 v123, 0x7c00
	s_and_saveexec_b64 s[2:3], s[28:29]
	s_cbranch_execz .LBB229_49
; %bb.48:                               ;   in Loop: Header=BB229_31 Depth=1
	flat_load_ushort v123, v[40:41] offset:256
.LBB229_49:                             ;   in Loop: Header=BB229_31 Depth=1
	s_or_b64 exec, exec, s[2:3]
	s_nor_b64 s[8:9], s[6:7], s[8:9]
	s_and_saveexec_b64 s[2:3], s[8:9]
	s_cbranch_execz .LBB229_30
; %bb.50:                               ;   in Loop: Header=BB229_31 Depth=1
	flat_load_ushort v122, v[40:41] offset:384
	s_branch .LBB229_30
.LBB229_51:
	s_load_dwordx2 s[2:3], s[0:1], 0x70
	s_load_dword s29, s[0:1], 0x50
	s_load_dword s28, s[0:1], 0x68
	v_add_u32_e32 v0, 0x1000, v46
	v_add_u32_e32 v4, 0x800, v45
	ds_read2_b64 v[16:19], v0 offset0:64 offset1:72
	ds_read2_b64 v[12:15], v0 offset0:80 offset1:88
	;; [unrolled: 1-line block ×4, first 2 shown]
	ds_read2_b64 v[28:31], v4 offset1:32
	ds_read2_b64 v[24:27], v4 offset0:64 offset1:96
	ds_read2_b64 v[20:23], v4 offset0:128 offset1:160
	;; [unrolled: 1-line block ×3, first 2 shown]
	s_waitcnt lgkmcnt(0)
	s_lshl_b64 s[0:1], s[2:3], 1
	s_add_u32 s22, s10, s0
	v_add_u32_e32 v102, s35, v43
	s_addc_u32 s23, s11, s1
	v_mad_i64_i32 v[34:35], s[0:1], v102, s29, 0
	v_add_u32_e32 v32, s34, v42
	v_lshl_add_u64 v[50:51], v[34:35], 1, s[24:25]
	v_mad_i64_i32 v[34:35], s[0:1], v102, s28, 0
	v_cmp_gt_i32_e64 s[2:3], s20, v32
	v_cmp_gt_i32_e64 s[18:19], s21, v102
	v_lshl_add_u64 v[48:49], v[34:35], 1, s[22:23]
	v_cndmask_b32_e64 v34, 0, 1, s[14:15]
	v_ashrrev_i32_e32 v33, 31, v32
	s_and_b64 s[6:7], s[2:3], s[18:19]
	v_cmp_ne_u32_e64 s[0:1], 1, v34
	s_and_saveexec_b64 s[4:5], s[6:7]
	s_cbranch_execz .LBB229_56
; %bb.52:
	s_and_b64 vcc, exec, s[0:1]
	s_cbranch_vccnz .LBB229_54
; %bb.53:
	v_lshl_add_u64 v[34:35], v[32:33], 1, v[50:51]
	flat_load_ushort v34, v[34:35]
	s_waitcnt vmcnt(0) lgkmcnt(0)
	v_mul_f16_e32 v34, s33, v34
	v_cvt_f32_f16_e32 v34, v34
	s_branch .LBB229_55
.LBB229_54:
	v_mov_b32_e32 v34, 0
.LBB229_55:
	v_pk_add_f16 v35, v16, v28
	v_max_f16_e32 v36, v116, v116
	v_pk_add_f16 v38, v17, v29
	v_min_f16_e32 v36, v36, v35
	v_lshrrev_b32_e32 v37, 16, v116
	v_lshrrev_b32_e32 v35, 16, v35
	v_lshrrev_b32_e32 v39, 16, v38
	v_min3_f16 v35, v37, v35, v39
	v_min3_f16 v35, v36, v38, v35
	v_cvt_f32_f16_e32 v35, v35
	v_max_f32_e32 v34, v34, v34
	v_min_f32_e32 v34, v34, v35
	v_cvt_f16_f32_e32 v36, v34
	v_lshl_add_u64 v[34:35], v[32:33], 1, v[48:49]
	flat_store_short v[34:35], v36
.LBB229_56:
	s_or_b64 exec, exec, s[4:5]
	v_add_u32_e32 v34, 8, v32
	v_cmp_gt_i32_e64 s[4:5], s20, v34
	v_ashrrev_i32_e32 v35, 31, v34
	s_and_b64 s[8:9], s[4:5], s[18:19]
	s_and_saveexec_b64 s[6:7], s[8:9]
	s_cbranch_execz .LBB229_61
; %bb.57:
	s_and_b64 vcc, exec, s[0:1]
	s_cbranch_vccnz .LBB229_59
; %bb.58:
	v_lshl_add_u64 v[36:37], v[34:35], 1, v[50:51]
	flat_load_ushort v36, v[36:37]
	s_waitcnt vmcnt(0) lgkmcnt(0)
	v_mul_f16_e32 v36, s33, v36
	v_cvt_f32_f16_e32 v36, v36
	s_branch .LBB229_60
.LBB229_59:
	v_mov_b32_e32 v36, 0
.LBB229_60:
	v_pk_add_f16 v37, v18, v28
	v_max_f16_e32 v38, v115, v115
	v_pk_add_f16 v40, v19, v29
	v_min_f16_e32 v38, v38, v37
	v_lshrrev_b32_e32 v39, 16, v115
	v_lshrrev_b32_e32 v37, 16, v37
	v_lshrrev_b32_e32 v41, 16, v40
	v_min3_f16 v37, v39, v37, v41
	v_min3_f16 v37, v38, v40, v37
	v_cvt_f32_f16_e32 v37, v37
	v_max_f32_e32 v36, v36, v36
	v_min_f32_e32 v36, v36, v37
	v_cvt_f16_f32_e32 v38, v36
	v_lshl_add_u64 v[36:37], v[34:35], 1, v[48:49]
	flat_store_short v[36:37], v38
.LBB229_61:
	s_or_b64 exec, exec, s[6:7]
	v_add_u32_e32 v36, 16, v32
	v_cmp_gt_i32_e64 s[6:7], s20, v36
	v_ashrrev_i32_e32 v37, 31, v36
	s_and_b64 s[10:11], s[6:7], s[18:19]
	;; [unrolled: 36-line block ×5, first 2 shown]
	s_and_saveexec_b64 s[14:15], s[16:17]
	s_cbranch_execz .LBB229_81
; %bb.77:
	s_and_b64 vcc, exec, s[0:1]
	s_cbranch_vccnz .LBB229_79
; %bb.78:
	v_lshl_add_u64 v[44:45], v[42:43], 1, v[50:51]
	flat_load_ushort v44, v[44:45]
	s_waitcnt vmcnt(0) lgkmcnt(0)
	v_mul_f16_e32 v44, s33, v44
	v_cvt_f32_f16_e32 v44, v44
	s_branch .LBB229_80
.LBB229_79:
	v_mov_b32_e32 v44, 0
.LBB229_80:
	v_pk_add_f16 v45, v10, v28
	v_max_f16_e32 v46, v111, v111
	v_lshrrev_b32_e32 v47, 16, v111
	v_pk_add_f16 v111, v11, v29
	v_min_f16_e32 v46, v46, v45
	v_lshrrev_b32_e32 v45, 16, v45
	v_lshrrev_b32_e32 v112, 16, v111
	v_min3_f16 v45, v47, v45, v112
	v_min3_f16 v45, v46, v111, v45
	v_cvt_f32_f16_e32 v45, v45
	v_max_f32_e32 v44, v44, v44
	v_min_f32_e32 v44, v44, v45
	v_cvt_f16_f32_e32 v46, v44
	v_lshl_add_u64 v[44:45], v[42:43], 1, v[48:49]
	flat_store_short v[44:45], v46
.LBB229_81:
	s_or_b64 exec, exec, s[14:15]
	v_add_u32_e32 v44, 48, v32
	v_cmp_gt_i32_e64 s[14:15], s20, v44
	v_ashrrev_i32_e32 v45, 31, v44
	s_and_b64 s[26:27], s[14:15], s[18:19]
	s_and_saveexec_b64 s[16:17], s[26:27]
	s_cbranch_execz .LBB229_86
; %bb.82:
	s_and_b64 vcc, exec, s[0:1]
	s_cbranch_vccnz .LBB229_84
; %bb.83:
	v_lshl_add_u64 v[46:47], v[44:45], 1, v[50:51]
	flat_load_ushort v46, v[46:47]
	s_waitcnt vmcnt(0) lgkmcnt(0)
	v_mul_f16_e32 v46, s33, v46
	v_cvt_f32_f16_e32 v46, v46
	s_branch .LBB229_85
.LBB229_84:
	v_mov_b32_e32 v46, 0
.LBB229_85:
	v_pk_add_f16 v47, v0, v28
	v_max_f16_e32 v111, v110, v110
	v_pk_add_f16 v112, v1, v29
	v_min_f16_e32 v111, v111, v47
	v_lshrrev_b32_e32 v110, 16, v110
	v_lshrrev_b32_e32 v47, 16, v47
	;; [unrolled: 1-line block ×3, first 2 shown]
	v_min3_f16 v47, v110, v47, v113
	v_min3_f16 v47, v111, v112, v47
	v_cvt_f32_f16_e32 v47, v47
	v_max_f32_e32 v46, v46, v46
	v_min_f32_e32 v46, v46, v47
	v_cvt_f16_f32_e32 v110, v46
	v_lshl_add_u64 v[46:47], v[44:45], 1, v[48:49]
	flat_store_short v[46:47], v110
.LBB229_86:
	s_or_b64 exec, exec, s[16:17]
	v_add_u32_e32 v46, 56, v32
	v_cmp_gt_i32_e64 s[16:17], s20, v46
	v_ashrrev_i32_e32 v47, 31, v46
	s_and_b64 s[26:27], s[16:17], s[18:19]
	s_and_saveexec_b64 s[18:19], s[26:27]
	s_cbranch_execz .LBB229_91
; %bb.87:
	s_and_b64 vcc, exec, s[0:1]
	s_cbranch_vccnz .LBB229_89
; %bb.88:
	v_lshl_add_u64 v[50:51], v[46:47], 1, v[50:51]
	flat_load_ushort v50, v[50:51]
	s_waitcnt vmcnt(0) lgkmcnt(0)
	v_mul_f16_e32 v50, s33, v50
	v_cvt_f32_f16_e32 v50, v50
	s_branch .LBB229_90
.LBB229_89:
	v_mov_b32_e32 v50, 0
.LBB229_90:
	v_pk_add_f16 v28, v2, v28
	v_max_f16_e32 v51, v109, v109
	v_pk_add_f16 v29, v3, v29
	v_min_f16_e32 v51, v51, v28
	v_lshrrev_b32_e32 v109, 16, v109
	v_lshrrev_b32_e32 v28, 16, v28
	;; [unrolled: 1-line block ×3, first 2 shown]
	v_min3_f16 v28, v109, v28, v110
	v_min3_f16 v28, v51, v29, v28
	v_cvt_f32_f16_e32 v28, v28
	v_max_f32_e32 v29, v50, v50
	v_min_f32_e32 v28, v29, v28
	v_cvt_f16_f32_e32 v50, v28
	v_lshl_add_u64 v[28:29], v[46:47], 1, v[48:49]
	flat_store_short v[28:29], v50
.LBB229_91:
	s_or_b64 exec, exec, s[18:19]
	v_add_u32_e32 v50, 32, v102
	v_mad_i64_i32 v[28:29], s[26:27], v50, s29, 0
	v_cmp_gt_i32_e64 s[18:19], s21, v50
	v_lshl_add_u64 v[48:49], v[28:29], 1, s[24:25]
	v_mad_i64_i32 v[28:29], s[26:27], v50, s28, 0
	v_lshl_add_u64 v[28:29], v[28:29], 1, s[22:23]
	s_and_b64 s[30:31], s[2:3], s[18:19]
	s_and_saveexec_b64 s[26:27], s[30:31]
	s_cbranch_execnz .LBB229_99
; %bb.92:
	s_or_b64 exec, exec, s[26:27]
	s_and_b64 s[30:31], s[4:5], s[18:19]
	s_and_saveexec_b64 s[26:27], s[30:31]
	s_cbranch_execnz .LBB229_103
.LBB229_93:
	s_or_b64 exec, exec, s[26:27]
	s_and_b64 s[30:31], s[6:7], s[18:19]
	s_and_saveexec_b64 s[26:27], s[30:31]
	s_cbranch_execnz .LBB229_107
.LBB229_94:
	s_or_b64 exec, exec, s[26:27]
	s_and_b64 s[30:31], s[8:9], s[18:19]
	s_and_saveexec_b64 s[26:27], s[30:31]
	s_cbranch_execnz .LBB229_111
.LBB229_95:
	s_or_b64 exec, exec, s[26:27]
	s_and_b64 s[30:31], s[10:11], s[18:19]
	s_and_saveexec_b64 s[26:27], s[30:31]
	s_cbranch_execnz .LBB229_115
.LBB229_96:
	s_or_b64 exec, exec, s[26:27]
	s_and_b64 s[30:31], s[12:13], s[18:19]
	s_and_saveexec_b64 s[26:27], s[30:31]
	s_cbranch_execnz .LBB229_119
.LBB229_97:
	s_or_b64 exec, exec, s[26:27]
	s_and_b64 s[30:31], s[14:15], s[18:19]
	s_and_saveexec_b64 s[26:27], s[30:31]
	s_cbranch_execnz .LBB229_123
.LBB229_98:
	s_or_b64 exec, exec, s[26:27]
	s_and_b64 s[26:27], s[16:17], s[18:19]
	s_and_saveexec_b64 s[18:19], s[26:27]
	s_cbranch_execnz .LBB229_127
	s_branch .LBB229_131
.LBB229_99:
	s_and_b64 vcc, exec, s[0:1]
	s_cbranch_vccnz .LBB229_101
; %bb.100:
	v_lshl_add_u64 v[50:51], v[32:33], 1, v[48:49]
	flat_load_ushort v50, v[50:51]
	s_waitcnt vmcnt(0) lgkmcnt(0)
	v_mul_f16_e32 v50, s33, v50
	v_cvt_f32_f16_e32 v50, v50
	s_branch .LBB229_102
.LBB229_101:
	v_mov_b32_e32 v50, 0
.LBB229_102:
	v_pk_add_f16 v51, v16, v30
	v_max_f16_e32 v109, v108, v108
	v_pk_add_f16 v110, v17, v31
	v_min_f16_e32 v109, v109, v51
	v_lshrrev_b32_e32 v108, 16, v108
	v_lshrrev_b32_e32 v51, 16, v51
	;; [unrolled: 1-line block ×3, first 2 shown]
	v_min3_f16 v51, v108, v51, v111
	v_min3_f16 v51, v109, v110, v51
	v_cvt_f32_f16_e32 v51, v51
	v_max_f32_e32 v50, v50, v50
	v_min_f32_e32 v50, v50, v51
	v_cvt_f16_f32_e32 v108, v50
	v_lshl_add_u64 v[50:51], v[32:33], 1, v[28:29]
	flat_store_short v[50:51], v108
	s_or_b64 exec, exec, s[26:27]
	s_and_b64 s[30:31], s[4:5], s[18:19]
	s_and_saveexec_b64 s[26:27], s[30:31]
	s_cbranch_execz .LBB229_93
.LBB229_103:
	s_and_b64 vcc, exec, s[0:1]
	s_cbranch_vccnz .LBB229_105
; %bb.104:
	v_lshl_add_u64 v[50:51], v[34:35], 1, v[48:49]
	flat_load_ushort v50, v[50:51]
	s_waitcnt vmcnt(0) lgkmcnt(0)
	v_mul_f16_e32 v50, s33, v50
	v_cvt_f32_f16_e32 v50, v50
	s_branch .LBB229_106
.LBB229_105:
	v_mov_b32_e32 v50, 0
.LBB229_106:
	v_pk_add_f16 v51, v18, v30
	v_max_f16_e32 v108, v107, v107
	v_pk_add_f16 v109, v19, v31
	v_min_f16_e32 v108, v108, v51
	v_lshrrev_b32_e32 v107, 16, v107
	v_lshrrev_b32_e32 v51, 16, v51
	;; [unrolled: 1-line block ×3, first 2 shown]
	v_min3_f16 v51, v107, v51, v110
	v_min3_f16 v51, v108, v109, v51
	v_cvt_f32_f16_e32 v51, v51
	v_max_f32_e32 v50, v50, v50
	v_min_f32_e32 v50, v50, v51
	v_cvt_f16_f32_e32 v107, v50
	v_lshl_add_u64 v[50:51], v[34:35], 1, v[28:29]
	flat_store_short v[50:51], v107
	s_or_b64 exec, exec, s[26:27]
	s_and_b64 s[30:31], s[6:7], s[18:19]
	s_and_saveexec_b64 s[26:27], s[30:31]
	s_cbranch_execz .LBB229_94
.LBB229_107:
	s_and_b64 vcc, exec, s[0:1]
	s_cbranch_vccnz .LBB229_109
; %bb.108:
	v_lshl_add_u64 v[50:51], v[36:37], 1, v[48:49]
	flat_load_ushort v50, v[50:51]
	s_waitcnt vmcnt(0) lgkmcnt(0)
	v_mul_f16_e32 v50, s33, v50
	v_cvt_f32_f16_e32 v50, v50
	s_branch .LBB229_110
.LBB229_109:
	v_mov_b32_e32 v50, 0
.LBB229_110:
	v_pk_add_f16 v51, v12, v30
	v_max_f16_e32 v107, v106, v106
	v_pk_add_f16 v108, v13, v31
	v_min_f16_e32 v107, v107, v51
	v_lshrrev_b32_e32 v106, 16, v106
	v_lshrrev_b32_e32 v51, 16, v51
	;; [unrolled: 1-line block ×3, first 2 shown]
	v_min3_f16 v51, v106, v51, v109
	v_min3_f16 v51, v107, v108, v51
	v_cvt_f32_f16_e32 v51, v51
	v_max_f32_e32 v50, v50, v50
	v_min_f32_e32 v50, v50, v51
	v_cvt_f16_f32_e32 v106, v50
	v_lshl_add_u64 v[50:51], v[36:37], 1, v[28:29]
	flat_store_short v[50:51], v106
	s_or_b64 exec, exec, s[26:27]
	s_and_b64 s[30:31], s[8:9], s[18:19]
	s_and_saveexec_b64 s[26:27], s[30:31]
	s_cbranch_execz .LBB229_95
.LBB229_111:
	s_and_b64 vcc, exec, s[0:1]
	s_cbranch_vccnz .LBB229_113
; %bb.112:
	v_lshl_add_u64 v[50:51], v[38:39], 1, v[48:49]
	flat_load_ushort v50, v[50:51]
	s_waitcnt vmcnt(0) lgkmcnt(0)
	v_mul_f16_e32 v50, s33, v50
	v_cvt_f32_f16_e32 v50, v50
	s_branch .LBB229_114
.LBB229_113:
	v_mov_b32_e32 v50, 0
.LBB229_114:
	v_pk_add_f16 v51, v14, v30
	v_max_f16_e32 v106, v104, v104
	v_pk_add_f16 v107, v15, v31
	v_min_f16_e32 v106, v106, v51
	v_lshrrev_b32_e32 v104, 16, v104
	v_lshrrev_b32_e32 v51, 16, v51
	;; [unrolled: 1-line block ×3, first 2 shown]
	v_min3_f16 v51, v104, v51, v108
	v_min3_f16 v51, v106, v107, v51
	v_cvt_f32_f16_e32 v51, v51
	v_max_f32_e32 v50, v50, v50
	v_min_f32_e32 v50, v50, v51
	v_cvt_f16_f32_e32 v104, v50
	v_lshl_add_u64 v[50:51], v[38:39], 1, v[28:29]
	flat_store_short v[50:51], v104
	s_or_b64 exec, exec, s[26:27]
	s_and_b64 s[30:31], s[10:11], s[18:19]
	s_and_saveexec_b64 s[26:27], s[30:31]
	s_cbranch_execz .LBB229_96
.LBB229_115:
	s_and_b64 vcc, exec, s[0:1]
	s_cbranch_vccnz .LBB229_117
; %bb.116:
	v_lshl_add_u64 v[50:51], v[40:41], 1, v[48:49]
	flat_load_ushort v50, v[50:51]
	s_waitcnt vmcnt(0) lgkmcnt(0)
	v_mul_f16_e32 v50, s33, v50
	v_cvt_f32_f16_e32 v50, v50
	s_branch .LBB229_118
.LBB229_117:
	v_mov_b32_e32 v50, 0
.LBB229_118:
	v_pk_add_f16 v51, v8, v30
	v_max_f16_e32 v104, v101, v101
	v_pk_add_f16 v106, v9, v31
	v_min_f16_e32 v104, v104, v51
	v_lshrrev_b32_e32 v101, 16, v101
	v_lshrrev_b32_e32 v51, 16, v51
	;; [unrolled: 1-line block ×3, first 2 shown]
	v_min3_f16 v51, v101, v51, v107
	v_min3_f16 v51, v104, v106, v51
	v_cvt_f32_f16_e32 v51, v51
	v_max_f32_e32 v50, v50, v50
	v_min_f32_e32 v50, v50, v51
	v_cvt_f16_f32_e32 v101, v50
	v_lshl_add_u64 v[50:51], v[40:41], 1, v[28:29]
	flat_store_short v[50:51], v101
	s_or_b64 exec, exec, s[26:27]
	s_and_b64 s[30:31], s[12:13], s[18:19]
	s_and_saveexec_b64 s[26:27], s[30:31]
	s_cbranch_execz .LBB229_97
.LBB229_119:
	s_and_b64 vcc, exec, s[0:1]
	s_cbranch_vccnz .LBB229_121
; %bb.120:
	v_lshl_add_u64 v[50:51], v[42:43], 1, v[48:49]
	flat_load_ushort v50, v[50:51]
	s_waitcnt vmcnt(0) lgkmcnt(0)
	v_mul_f16_e32 v50, s33, v50
	v_cvt_f32_f16_e32 v50, v50
	s_branch .LBB229_122
.LBB229_121:
	v_mov_b32_e32 v50, 0
.LBB229_122:
	v_pk_add_f16 v51, v10, v30
	v_max_f16_e32 v101, v99, v99
	v_pk_add_f16 v104, v11, v31
	v_min_f16_e32 v101, v101, v51
	v_lshrrev_b32_e32 v99, 16, v99
	v_lshrrev_b32_e32 v51, 16, v51
	;; [unrolled: 1-line block ×3, first 2 shown]
	v_min3_f16 v51, v99, v51, v106
	v_min3_f16 v51, v101, v104, v51
	v_cvt_f32_f16_e32 v51, v51
	v_max_f32_e32 v50, v50, v50
	v_min_f32_e32 v50, v50, v51
	v_cvt_f16_f32_e32 v99, v50
	v_lshl_add_u64 v[50:51], v[42:43], 1, v[28:29]
	flat_store_short v[50:51], v99
	s_or_b64 exec, exec, s[26:27]
	s_and_b64 s[30:31], s[14:15], s[18:19]
	s_and_saveexec_b64 s[26:27], s[30:31]
	s_cbranch_execz .LBB229_98
.LBB229_123:
	s_and_b64 vcc, exec, s[0:1]
	s_cbranch_vccnz .LBB229_125
; %bb.124:
	v_lshl_add_u64 v[50:51], v[44:45], 1, v[48:49]
	flat_load_ushort v50, v[50:51]
	s_waitcnt vmcnt(0) lgkmcnt(0)
	v_mul_f16_e32 v50, s33, v50
	v_cvt_f32_f16_e32 v50, v50
	s_branch .LBB229_126
.LBB229_125:
	v_mov_b32_e32 v50, 0
.LBB229_126:
	v_pk_add_f16 v51, v0, v30
	v_max_f16_e32 v99, v97, v97
	v_pk_add_f16 v101, v1, v31
	v_min_f16_e32 v99, v99, v51
	v_lshrrev_b32_e32 v97, 16, v97
	v_lshrrev_b32_e32 v51, 16, v51
	;; [unrolled: 1-line block ×3, first 2 shown]
	v_min3_f16 v51, v97, v51, v104
	v_min3_f16 v51, v99, v101, v51
	v_cvt_f32_f16_e32 v51, v51
	v_max_f32_e32 v50, v50, v50
	v_min_f32_e32 v50, v50, v51
	v_cvt_f16_f32_e32 v97, v50
	v_lshl_add_u64 v[50:51], v[44:45], 1, v[28:29]
	flat_store_short v[50:51], v97
	s_or_b64 exec, exec, s[26:27]
	s_and_b64 s[26:27], s[16:17], s[18:19]
	s_and_saveexec_b64 s[18:19], s[26:27]
	s_cbranch_execz .LBB229_131
.LBB229_127:
	s_and_b64 vcc, exec, s[0:1]
	s_cbranch_vccnz .LBB229_129
; %bb.128:
	v_lshl_add_u64 v[48:49], v[46:47], 1, v[48:49]
	flat_load_ushort v48, v[48:49]
	s_waitcnt vmcnt(0) lgkmcnt(0)
	v_mul_f16_e32 v48, s33, v48
	v_cvt_f32_f16_e32 v48, v48
	s_branch .LBB229_130
.LBB229_129:
	v_mov_b32_e32 v48, 0
.LBB229_130:
	v_pk_add_f16 v30, v2, v30
	v_max_f16_e32 v49, v95, v95
	v_pk_add_f16 v31, v3, v31
	v_min_f16_e32 v49, v49, v30
	v_lshrrev_b32_e32 v50, 16, v95
	v_lshrrev_b32_e32 v30, 16, v30
	v_lshrrev_b32_e32 v51, 16, v31
	v_min3_f16 v30, v50, v30, v51
	v_min3_f16 v30, v49, v31, v30
	v_cvt_f32_f16_e32 v30, v30
	v_max_f32_e32 v31, v48, v48
	v_lshl_add_u64 v[28:29], v[46:47], 1, v[28:29]
	v_min_f32_e32 v30, v31, v30
	v_cvt_f16_f32_e32 v30, v30
	flat_store_short v[28:29], v30
.LBB229_131:
	s_or_b64 exec, exec, s[18:19]
	v_add_u32_e32 v48, 64, v102
	v_mad_i64_i32 v[28:29], s[26:27], v48, s29, 0
	v_cmp_gt_i32_e64 s[18:19], s21, v48
	v_lshl_add_u64 v[30:31], v[28:29], 1, s[24:25]
	v_mad_i64_i32 v[28:29], s[26:27], v48, s28, 0
	v_lshl_add_u64 v[28:29], v[28:29], 1, s[22:23]
	s_and_b64 s[30:31], s[2:3], s[18:19]
	s_and_saveexec_b64 s[26:27], s[30:31]
	s_cbranch_execnz .LBB229_139
; %bb.132:
	s_or_b64 exec, exec, s[26:27]
	s_and_b64 s[30:31], s[4:5], s[18:19]
	s_and_saveexec_b64 s[26:27], s[30:31]
	s_cbranch_execnz .LBB229_143
.LBB229_133:
	s_or_b64 exec, exec, s[26:27]
	s_and_b64 s[30:31], s[6:7], s[18:19]
	s_and_saveexec_b64 s[26:27], s[30:31]
	s_cbranch_execnz .LBB229_147
.LBB229_134:
	s_or_b64 exec, exec, s[26:27]
	s_and_b64 s[30:31], s[8:9], s[18:19]
	s_and_saveexec_b64 s[26:27], s[30:31]
	s_cbranch_execnz .LBB229_151
.LBB229_135:
	s_or_b64 exec, exec, s[26:27]
	s_and_b64 s[30:31], s[10:11], s[18:19]
	s_and_saveexec_b64 s[26:27], s[30:31]
	s_cbranch_execnz .LBB229_155
.LBB229_136:
	s_or_b64 exec, exec, s[26:27]
	s_and_b64 s[30:31], s[12:13], s[18:19]
	s_and_saveexec_b64 s[26:27], s[30:31]
	s_cbranch_execnz .LBB229_159
.LBB229_137:
	s_or_b64 exec, exec, s[26:27]
	s_and_b64 s[30:31], s[14:15], s[18:19]
	s_and_saveexec_b64 s[26:27], s[30:31]
	s_cbranch_execnz .LBB229_163
.LBB229_138:
	s_or_b64 exec, exec, s[26:27]
	s_and_b64 s[26:27], s[16:17], s[18:19]
	s_and_saveexec_b64 s[18:19], s[26:27]
	s_cbranch_execnz .LBB229_167
	s_branch .LBB229_171
.LBB229_139:
	s_and_b64 vcc, exec, s[0:1]
	s_cbranch_vccnz .LBB229_141
; %bb.140:
	v_lshl_add_u64 v[48:49], v[32:33], 1, v[30:31]
	flat_load_ushort v48, v[48:49]
	s_waitcnt vmcnt(0) lgkmcnt(0)
	v_mul_f16_e32 v48, s33, v48
	v_cvt_f32_f16_e32 v48, v48
	s_branch .LBB229_142
.LBB229_141:
	v_mov_b32_e32 v48, 0
.LBB229_142:
	v_pk_add_f16 v49, v16, v24
	v_max_f16_e32 v50, v93, v93
	v_lshrrev_b32_e32 v51, 16, v93
	v_pk_add_f16 v93, v17, v25
	v_min_f16_e32 v50, v50, v49
	v_lshrrev_b32_e32 v49, 16, v49
	v_lshrrev_b32_e32 v95, 16, v93
	v_min3_f16 v49, v51, v49, v95
	v_min3_f16 v49, v50, v93, v49
	v_cvt_f32_f16_e32 v49, v49
	v_max_f32_e32 v48, v48, v48
	v_min_f32_e32 v48, v48, v49
	v_cvt_f16_f32_e32 v50, v48
	v_lshl_add_u64 v[48:49], v[32:33], 1, v[28:29]
	flat_store_short v[48:49], v50
	s_or_b64 exec, exec, s[26:27]
	s_and_b64 s[30:31], s[4:5], s[18:19]
	s_and_saveexec_b64 s[26:27], s[30:31]
	s_cbranch_execz .LBB229_133
.LBB229_143:
	s_and_b64 vcc, exec, s[0:1]
	s_cbranch_vccnz .LBB229_145
; %bb.144:
	v_lshl_add_u64 v[48:49], v[34:35], 1, v[30:31]
	flat_load_ushort v48, v[48:49]
	s_waitcnt vmcnt(0) lgkmcnt(0)
	v_mul_f16_e32 v48, s33, v48
	v_cvt_f32_f16_e32 v48, v48
	s_branch .LBB229_146
.LBB229_145:
	v_mov_b32_e32 v48, 0
.LBB229_146:
	v_pk_add_f16 v49, v18, v24
	v_max_f16_e32 v50, v91, v91
	v_lshrrev_b32_e32 v51, 16, v91
	v_pk_add_f16 v91, v19, v25
	v_min_f16_e32 v50, v50, v49
	v_lshrrev_b32_e32 v49, 16, v49
	v_lshrrev_b32_e32 v93, 16, v91
	v_min3_f16 v49, v51, v49, v93
	v_min3_f16 v49, v50, v91, v49
	v_cvt_f32_f16_e32 v49, v49
	v_max_f32_e32 v48, v48, v48
	v_min_f32_e32 v48, v48, v49
	v_cvt_f16_f32_e32 v50, v48
	v_lshl_add_u64 v[48:49], v[34:35], 1, v[28:29]
	flat_store_short v[48:49], v50
	s_or_b64 exec, exec, s[26:27]
	s_and_b64 s[30:31], s[6:7], s[18:19]
	s_and_saveexec_b64 s[26:27], s[30:31]
	s_cbranch_execz .LBB229_134
.LBB229_147:
	s_and_b64 vcc, exec, s[0:1]
	s_cbranch_vccnz .LBB229_149
; %bb.148:
	v_lshl_add_u64 v[48:49], v[36:37], 1, v[30:31]
	flat_load_ushort v48, v[48:49]
	s_waitcnt vmcnt(0) lgkmcnt(0)
	v_mul_f16_e32 v48, s33, v48
	v_cvt_f32_f16_e32 v48, v48
	s_branch .LBB229_150
.LBB229_149:
	v_mov_b32_e32 v48, 0
.LBB229_150:
	v_pk_add_f16 v49, v12, v24
	v_max_f16_e32 v50, v89, v89
	v_lshrrev_b32_e32 v51, 16, v89
	v_pk_add_f16 v89, v13, v25
	v_min_f16_e32 v50, v50, v49
	v_lshrrev_b32_e32 v49, 16, v49
	v_lshrrev_b32_e32 v91, 16, v89
	v_min3_f16 v49, v51, v49, v91
	v_min3_f16 v49, v50, v89, v49
	v_cvt_f32_f16_e32 v49, v49
	v_max_f32_e32 v48, v48, v48
	v_min_f32_e32 v48, v48, v49
	v_cvt_f16_f32_e32 v50, v48
	v_lshl_add_u64 v[48:49], v[36:37], 1, v[28:29]
	flat_store_short v[48:49], v50
	s_or_b64 exec, exec, s[26:27]
	s_and_b64 s[30:31], s[8:9], s[18:19]
	s_and_saveexec_b64 s[26:27], s[30:31]
	s_cbranch_execz .LBB229_135
.LBB229_151:
	s_and_b64 vcc, exec, s[0:1]
	s_cbranch_vccnz .LBB229_153
; %bb.152:
	v_lshl_add_u64 v[48:49], v[38:39], 1, v[30:31]
	flat_load_ushort v48, v[48:49]
	s_waitcnt vmcnt(0) lgkmcnt(0)
	v_mul_f16_e32 v48, s33, v48
	v_cvt_f32_f16_e32 v48, v48
	s_branch .LBB229_154
.LBB229_153:
	v_mov_b32_e32 v48, 0
.LBB229_154:
	v_pk_add_f16 v49, v14, v24
	v_max_f16_e32 v50, v87, v87
	v_lshrrev_b32_e32 v51, 16, v87
	v_pk_add_f16 v87, v15, v25
	v_min_f16_e32 v50, v50, v49
	v_lshrrev_b32_e32 v49, 16, v49
	v_lshrrev_b32_e32 v89, 16, v87
	v_min3_f16 v49, v51, v49, v89
	v_min3_f16 v49, v50, v87, v49
	v_cvt_f32_f16_e32 v49, v49
	v_max_f32_e32 v48, v48, v48
	v_min_f32_e32 v48, v48, v49
	v_cvt_f16_f32_e32 v50, v48
	v_lshl_add_u64 v[48:49], v[38:39], 1, v[28:29]
	flat_store_short v[48:49], v50
	s_or_b64 exec, exec, s[26:27]
	s_and_b64 s[30:31], s[10:11], s[18:19]
	s_and_saveexec_b64 s[26:27], s[30:31]
	s_cbranch_execz .LBB229_136
.LBB229_155:
	s_and_b64 vcc, exec, s[0:1]
	s_cbranch_vccnz .LBB229_157
; %bb.156:
	v_lshl_add_u64 v[48:49], v[40:41], 1, v[30:31]
	flat_load_ushort v48, v[48:49]
	s_waitcnt vmcnt(0) lgkmcnt(0)
	v_mul_f16_e32 v48, s33, v48
	v_cvt_f32_f16_e32 v48, v48
	s_branch .LBB229_158
.LBB229_157:
	v_mov_b32_e32 v48, 0
.LBB229_158:
	v_pk_add_f16 v49, v8, v24
	v_max_f16_e32 v50, v105, v105
	v_pk_add_f16 v87, v9, v25
	v_min_f16_e32 v50, v50, v49
	v_lshrrev_b32_e32 v51, 16, v105
	v_lshrrev_b32_e32 v49, 16, v49
	;; [unrolled: 1-line block ×3, first 2 shown]
	v_min3_f16 v49, v51, v49, v89
	v_min3_f16 v49, v50, v87, v49
	v_cvt_f32_f16_e32 v49, v49
	v_max_f32_e32 v48, v48, v48
	v_min_f32_e32 v48, v48, v49
	v_cvt_f16_f32_e32 v50, v48
	v_lshl_add_u64 v[48:49], v[40:41], 1, v[28:29]
	flat_store_short v[48:49], v50
	s_or_b64 exec, exec, s[26:27]
	s_and_b64 s[30:31], s[12:13], s[18:19]
	s_and_saveexec_b64 s[26:27], s[30:31]
	s_cbranch_execz .LBB229_137
.LBB229_159:
	s_and_b64 vcc, exec, s[0:1]
	s_cbranch_vccnz .LBB229_161
; %bb.160:
	v_lshl_add_u64 v[48:49], v[42:43], 1, v[30:31]
	flat_load_ushort v48, v[48:49]
	s_waitcnt vmcnt(0) lgkmcnt(0)
	v_mul_f16_e32 v48, s33, v48
	v_cvt_f32_f16_e32 v48, v48
	s_branch .LBB229_162
.LBB229_161:
	v_mov_b32_e32 v48, 0
.LBB229_162:
	v_pk_add_f16 v49, v10, v24
	v_max_f16_e32 v50, v103, v103
	v_pk_add_f16 v87, v11, v25
	v_min_f16_e32 v50, v50, v49
	v_lshrrev_b32_e32 v51, 16, v103
	v_lshrrev_b32_e32 v49, 16, v49
	;; [unrolled: 1-line block ×3, first 2 shown]
	v_min3_f16 v49, v51, v49, v89
	v_min3_f16 v49, v50, v87, v49
	v_cvt_f32_f16_e32 v49, v49
	v_max_f32_e32 v48, v48, v48
	v_min_f32_e32 v48, v48, v49
	v_cvt_f16_f32_e32 v50, v48
	v_lshl_add_u64 v[48:49], v[42:43], 1, v[28:29]
	flat_store_short v[48:49], v50
	s_or_b64 exec, exec, s[26:27]
	s_and_b64 s[30:31], s[14:15], s[18:19]
	s_and_saveexec_b64 s[26:27], s[30:31]
	s_cbranch_execz .LBB229_138
.LBB229_163:
	s_and_b64 vcc, exec, s[0:1]
	s_cbranch_vccnz .LBB229_165
; %bb.164:
	v_lshl_add_u64 v[48:49], v[44:45], 1, v[30:31]
	flat_load_ushort v48, v[48:49]
	s_waitcnt vmcnt(0) lgkmcnt(0)
	v_mul_f16_e32 v48, s33, v48
	v_cvt_f32_f16_e32 v48, v48
	s_branch .LBB229_166
.LBB229_165:
	v_mov_b32_e32 v48, 0
.LBB229_166:
	v_pk_add_f16 v49, v0, v24
	v_max_f16_e32 v50, v100, v100
	v_pk_add_f16 v87, v1, v25
	v_min_f16_e32 v50, v50, v49
	v_lshrrev_b32_e32 v51, 16, v100
	v_lshrrev_b32_e32 v49, 16, v49
	;; [unrolled: 1-line block ×3, first 2 shown]
	v_min3_f16 v49, v51, v49, v89
	v_min3_f16 v49, v50, v87, v49
	v_cvt_f32_f16_e32 v49, v49
	v_max_f32_e32 v48, v48, v48
	v_min_f32_e32 v48, v48, v49
	v_cvt_f16_f32_e32 v50, v48
	v_lshl_add_u64 v[48:49], v[44:45], 1, v[28:29]
	flat_store_short v[48:49], v50
	s_or_b64 exec, exec, s[26:27]
	s_and_b64 s[26:27], s[16:17], s[18:19]
	s_and_saveexec_b64 s[18:19], s[26:27]
	s_cbranch_execz .LBB229_171
.LBB229_167:
	s_and_b64 vcc, exec, s[0:1]
	s_cbranch_vccnz .LBB229_169
; %bb.168:
	v_lshl_add_u64 v[30:31], v[46:47], 1, v[30:31]
	flat_load_ushort v30, v[30:31]
	s_waitcnt vmcnt(0) lgkmcnt(0)
	v_mul_f16_e32 v30, s33, v30
	v_cvt_f32_f16_e32 v30, v30
	s_branch .LBB229_170
.LBB229_169:
	v_mov_b32_e32 v30, 0
.LBB229_170:
	v_pk_add_f16 v24, v2, v24
	v_max_f16_e32 v31, v98, v98
	v_pk_add_f16 v25, v3, v25
	v_min_f16_e32 v31, v31, v24
	v_lshrrev_b32_e32 v48, 16, v98
	v_lshrrev_b32_e32 v24, 16, v24
	;; [unrolled: 1-line block ×3, first 2 shown]
	v_min3_f16 v24, v48, v24, v49
	v_min3_f16 v24, v31, v25, v24
	v_cvt_f32_f16_e32 v24, v24
	v_max_f32_e32 v25, v30, v30
	v_min_f32_e32 v24, v25, v24
	v_cvt_f16_f32_e32 v30, v24
	v_lshl_add_u64 v[24:25], v[46:47], 1, v[28:29]
	flat_store_short v[24:25], v30
.LBB229_171:
	s_or_b64 exec, exec, s[18:19]
	v_add_u32_e32 v30, 0x60, v102
	v_mad_i64_i32 v[24:25], s[26:27], v30, s29, 0
	v_cmp_gt_i32_e64 s[18:19], s21, v30
	v_lshl_add_u64 v[28:29], v[24:25], 1, s[24:25]
	v_mad_i64_i32 v[24:25], s[26:27], v30, s28, 0
	v_lshl_add_u64 v[24:25], v[24:25], 1, s[22:23]
	s_and_b64 s[30:31], s[2:3], s[18:19]
	s_and_saveexec_b64 s[26:27], s[30:31]
	s_cbranch_execnz .LBB229_179
; %bb.172:
	s_or_b64 exec, exec, s[26:27]
	s_and_b64 s[30:31], s[4:5], s[18:19]
	s_and_saveexec_b64 s[26:27], s[30:31]
	s_cbranch_execnz .LBB229_183
.LBB229_173:
	s_or_b64 exec, exec, s[26:27]
	s_and_b64 s[30:31], s[6:7], s[18:19]
	s_and_saveexec_b64 s[26:27], s[30:31]
	s_cbranch_execnz .LBB229_187
.LBB229_174:
	s_or_b64 exec, exec, s[26:27]
	s_and_b64 s[30:31], s[8:9], s[18:19]
	s_and_saveexec_b64 s[26:27], s[30:31]
	s_cbranch_execnz .LBB229_191
.LBB229_175:
	s_or_b64 exec, exec, s[26:27]
	s_and_b64 s[30:31], s[10:11], s[18:19]
	s_and_saveexec_b64 s[26:27], s[30:31]
	s_cbranch_execnz .LBB229_195
.LBB229_176:
	s_or_b64 exec, exec, s[26:27]
	s_and_b64 s[30:31], s[12:13], s[18:19]
	s_and_saveexec_b64 s[26:27], s[30:31]
	s_cbranch_execnz .LBB229_199
.LBB229_177:
	s_or_b64 exec, exec, s[26:27]
	s_and_b64 s[30:31], s[14:15], s[18:19]
	s_and_saveexec_b64 s[26:27], s[30:31]
	s_cbranch_execnz .LBB229_203
.LBB229_178:
	s_or_b64 exec, exec, s[26:27]
	s_and_b64 s[26:27], s[16:17], s[18:19]
	s_and_saveexec_b64 s[18:19], s[26:27]
	s_cbranch_execnz .LBB229_207
	s_branch .LBB229_211
.LBB229_179:
	s_and_b64 vcc, exec, s[0:1]
	s_cbranch_vccnz .LBB229_181
; %bb.180:
	v_lshl_add_u64 v[30:31], v[32:33], 1, v[28:29]
	flat_load_ushort v30, v[30:31]
	s_waitcnt vmcnt(0) lgkmcnt(0)
	v_mul_f16_e32 v30, s33, v30
	v_cvt_f32_f16_e32 v30, v30
	s_branch .LBB229_182
.LBB229_181:
	v_mov_b32_e32 v30, 0
.LBB229_182:
	v_pk_add_f16 v31, v16, v26
	v_max_f16_e32 v48, v96, v96
	v_pk_add_f16 v50, v17, v27
	v_min_f16_e32 v48, v48, v31
	v_lshrrev_b32_e32 v49, 16, v96
	v_lshrrev_b32_e32 v31, 16, v31
	;; [unrolled: 1-line block ×3, first 2 shown]
	v_min3_f16 v31, v49, v31, v51
	v_min3_f16 v31, v48, v50, v31
	v_cvt_f32_f16_e32 v31, v31
	v_max_f32_e32 v30, v30, v30
	v_min_f32_e32 v30, v30, v31
	v_cvt_f16_f32_e32 v48, v30
	v_lshl_add_u64 v[30:31], v[32:33], 1, v[24:25]
	flat_store_short v[30:31], v48
	s_or_b64 exec, exec, s[26:27]
	s_and_b64 s[30:31], s[4:5], s[18:19]
	s_and_saveexec_b64 s[26:27], s[30:31]
	s_cbranch_execz .LBB229_173
.LBB229_183:
	s_and_b64 vcc, exec, s[0:1]
	s_cbranch_vccnz .LBB229_185
; %bb.184:
	v_lshl_add_u64 v[30:31], v[34:35], 1, v[28:29]
	flat_load_ushort v30, v[30:31]
	s_waitcnt vmcnt(0) lgkmcnt(0)
	v_mul_f16_e32 v30, s33, v30
	v_cvt_f32_f16_e32 v30, v30
	s_branch .LBB229_186
.LBB229_185:
	v_mov_b32_e32 v30, 0
.LBB229_186:
	v_pk_add_f16 v31, v18, v26
	v_max_f16_e32 v48, v94, v94
	v_pk_add_f16 v50, v19, v27
	v_min_f16_e32 v48, v48, v31
	v_lshrrev_b32_e32 v49, 16, v94
	v_lshrrev_b32_e32 v31, 16, v31
	;; [unrolled: 1-line block ×3, first 2 shown]
	v_min3_f16 v31, v49, v31, v51
	v_min3_f16 v31, v48, v50, v31
	v_cvt_f32_f16_e32 v31, v31
	v_max_f32_e32 v30, v30, v30
	v_min_f32_e32 v30, v30, v31
	v_cvt_f16_f32_e32 v48, v30
	v_lshl_add_u64 v[30:31], v[34:35], 1, v[24:25]
	flat_store_short v[30:31], v48
	s_or_b64 exec, exec, s[26:27]
	s_and_b64 s[30:31], s[6:7], s[18:19]
	s_and_saveexec_b64 s[26:27], s[30:31]
	s_cbranch_execz .LBB229_174
.LBB229_187:
	s_and_b64 vcc, exec, s[0:1]
	s_cbranch_vccnz .LBB229_189
; %bb.188:
	v_lshl_add_u64 v[30:31], v[36:37], 1, v[28:29]
	flat_load_ushort v30, v[30:31]
	s_waitcnt vmcnt(0) lgkmcnt(0)
	v_mul_f16_e32 v30, s33, v30
	v_cvt_f32_f16_e32 v30, v30
	s_branch .LBB229_190
.LBB229_189:
	v_mov_b32_e32 v30, 0
.LBB229_190:
	v_pk_add_f16 v31, v12, v26
	v_max_f16_e32 v48, v92, v92
	v_pk_add_f16 v50, v13, v27
	v_min_f16_e32 v48, v48, v31
	v_lshrrev_b32_e32 v49, 16, v92
	v_lshrrev_b32_e32 v31, 16, v31
	;; [unrolled: 1-line block ×3, first 2 shown]
	v_min3_f16 v31, v49, v31, v51
	v_min3_f16 v31, v48, v50, v31
	v_cvt_f32_f16_e32 v31, v31
	v_max_f32_e32 v30, v30, v30
	v_min_f32_e32 v30, v30, v31
	v_cvt_f16_f32_e32 v48, v30
	v_lshl_add_u64 v[30:31], v[36:37], 1, v[24:25]
	flat_store_short v[30:31], v48
	s_or_b64 exec, exec, s[26:27]
	s_and_b64 s[30:31], s[8:9], s[18:19]
	s_and_saveexec_b64 s[26:27], s[30:31]
	s_cbranch_execz .LBB229_175
.LBB229_191:
	s_and_b64 vcc, exec, s[0:1]
	s_cbranch_vccnz .LBB229_193
; %bb.192:
	v_lshl_add_u64 v[30:31], v[38:39], 1, v[28:29]
	flat_load_ushort v30, v[30:31]
	s_waitcnt vmcnt(0) lgkmcnt(0)
	v_mul_f16_e32 v30, s33, v30
	v_cvt_f32_f16_e32 v30, v30
	s_branch .LBB229_194
.LBB229_193:
	v_mov_b32_e32 v30, 0
.LBB229_194:
	v_pk_add_f16 v31, v14, v26
	v_max_f16_e32 v48, v90, v90
	v_pk_add_f16 v50, v15, v27
	v_min_f16_e32 v48, v48, v31
	v_lshrrev_b32_e32 v49, 16, v90
	v_lshrrev_b32_e32 v31, 16, v31
	;; [unrolled: 1-line block ×3, first 2 shown]
	v_min3_f16 v31, v49, v31, v51
	v_min3_f16 v31, v48, v50, v31
	v_cvt_f32_f16_e32 v31, v31
	v_max_f32_e32 v30, v30, v30
	v_min_f32_e32 v30, v30, v31
	v_cvt_f16_f32_e32 v48, v30
	v_lshl_add_u64 v[30:31], v[38:39], 1, v[24:25]
	flat_store_short v[30:31], v48
	s_or_b64 exec, exec, s[26:27]
	s_and_b64 s[30:31], s[10:11], s[18:19]
	s_and_saveexec_b64 s[26:27], s[30:31]
	s_cbranch_execz .LBB229_176
.LBB229_195:
	s_and_b64 vcc, exec, s[0:1]
	s_cbranch_vccnz .LBB229_197
; %bb.196:
	v_lshl_add_u64 v[30:31], v[40:41], 1, v[28:29]
	flat_load_ushort v30, v[30:31]
	s_waitcnt vmcnt(0) lgkmcnt(0)
	v_mul_f16_e32 v30, s33, v30
	v_cvt_f32_f16_e32 v30, v30
	s_branch .LBB229_198
.LBB229_197:
	v_mov_b32_e32 v30, 0
.LBB229_198:
	v_pk_add_f16 v31, v8, v26
	v_max_f16_e32 v48, v88, v88
	v_pk_add_f16 v50, v9, v27
	v_min_f16_e32 v48, v48, v31
	v_lshrrev_b32_e32 v49, 16, v88
	v_lshrrev_b32_e32 v31, 16, v31
	;; [unrolled: 1-line block ×3, first 2 shown]
	v_min3_f16 v31, v49, v31, v51
	v_min3_f16 v31, v48, v50, v31
	v_cvt_f32_f16_e32 v31, v31
	v_max_f32_e32 v30, v30, v30
	v_min_f32_e32 v30, v30, v31
	v_cvt_f16_f32_e32 v48, v30
	v_lshl_add_u64 v[30:31], v[40:41], 1, v[24:25]
	flat_store_short v[30:31], v48
	s_or_b64 exec, exec, s[26:27]
	s_and_b64 s[30:31], s[12:13], s[18:19]
	s_and_saveexec_b64 s[26:27], s[30:31]
	s_cbranch_execz .LBB229_177
.LBB229_199:
	s_and_b64 vcc, exec, s[0:1]
	s_cbranch_vccnz .LBB229_201
; %bb.200:
	v_lshl_add_u64 v[30:31], v[42:43], 1, v[28:29]
	flat_load_ushort v30, v[30:31]
	s_waitcnt vmcnt(0) lgkmcnt(0)
	v_mul_f16_e32 v30, s33, v30
	v_cvt_f32_f16_e32 v30, v30
	s_branch .LBB229_202
.LBB229_201:
	v_mov_b32_e32 v30, 0
.LBB229_202:
	v_pk_add_f16 v31, v10, v26
	v_max_f16_e32 v48, v86, v86
	v_pk_add_f16 v50, v11, v27
	v_min_f16_e32 v48, v48, v31
	v_lshrrev_b32_e32 v49, 16, v86
	v_lshrrev_b32_e32 v31, 16, v31
	;; [unrolled: 1-line block ×3, first 2 shown]
	v_min3_f16 v31, v49, v31, v51
	v_min3_f16 v31, v48, v50, v31
	v_cvt_f32_f16_e32 v31, v31
	v_max_f32_e32 v30, v30, v30
	v_min_f32_e32 v30, v30, v31
	v_cvt_f16_f32_e32 v48, v30
	v_lshl_add_u64 v[30:31], v[42:43], 1, v[24:25]
	flat_store_short v[30:31], v48
	s_or_b64 exec, exec, s[26:27]
	s_and_b64 s[30:31], s[14:15], s[18:19]
	s_and_saveexec_b64 s[26:27], s[30:31]
	s_cbranch_execz .LBB229_178
.LBB229_203:
	s_and_b64 vcc, exec, s[0:1]
	s_cbranch_vccnz .LBB229_205
; %bb.204:
	v_lshl_add_u64 v[30:31], v[44:45], 1, v[28:29]
	flat_load_ushort v30, v[30:31]
	s_waitcnt vmcnt(0) lgkmcnt(0)
	v_mul_f16_e32 v30, s33, v30
	v_cvt_f32_f16_e32 v30, v30
	s_branch .LBB229_206
.LBB229_205:
	v_mov_b32_e32 v30, 0
.LBB229_206:
	v_pk_add_f16 v31, v0, v26
	v_max_f16_e32 v48, v85, v85
	v_pk_add_f16 v50, v1, v27
	v_min_f16_e32 v48, v48, v31
	v_lshrrev_b32_e32 v49, 16, v85
	v_lshrrev_b32_e32 v31, 16, v31
	;; [unrolled: 1-line block ×3, first 2 shown]
	v_min3_f16 v31, v49, v31, v51
	v_min3_f16 v31, v48, v50, v31
	v_cvt_f32_f16_e32 v31, v31
	v_max_f32_e32 v30, v30, v30
	v_min_f32_e32 v30, v30, v31
	v_cvt_f16_f32_e32 v48, v30
	v_lshl_add_u64 v[30:31], v[44:45], 1, v[24:25]
	flat_store_short v[30:31], v48
	s_or_b64 exec, exec, s[26:27]
	s_and_b64 s[26:27], s[16:17], s[18:19]
	s_and_saveexec_b64 s[18:19], s[26:27]
	s_cbranch_execz .LBB229_211
.LBB229_207:
	s_and_b64 vcc, exec, s[0:1]
	s_cbranch_vccnz .LBB229_209
; %bb.208:
	v_lshl_add_u64 v[28:29], v[46:47], 1, v[28:29]
	flat_load_ushort v28, v[28:29]
	s_waitcnt vmcnt(0) lgkmcnt(0)
	v_mul_f16_e32 v28, s33, v28
	v_cvt_f32_f16_e32 v28, v28
	s_branch .LBB229_210
.LBB229_209:
	v_mov_b32_e32 v28, 0
.LBB229_210:
	v_pk_add_f16 v26, v2, v26
	v_max_f16_e32 v29, v84, v84
	v_pk_add_f16 v27, v3, v27
	v_min_f16_e32 v29, v29, v26
	v_lshrrev_b32_e32 v30, 16, v84
	v_lshrrev_b32_e32 v26, 16, v26
	;; [unrolled: 1-line block ×3, first 2 shown]
	v_min3_f16 v26, v30, v26, v31
	v_min3_f16 v26, v29, v27, v26
	v_cvt_f32_f16_e32 v26, v26
	v_max_f32_e32 v27, v28, v28
	v_lshl_add_u64 v[24:25], v[46:47], 1, v[24:25]
	v_min_f32_e32 v26, v27, v26
	v_cvt_f16_f32_e32 v26, v26
	flat_store_short v[24:25], v26
.LBB229_211:
	s_or_b64 exec, exec, s[18:19]
	v_add_u32_e32 v28, 0x80, v102
	v_mad_i64_i32 v[24:25], s[26:27], v28, s29, 0
	v_cmp_gt_i32_e64 s[18:19], s21, v28
	v_lshl_add_u64 v[26:27], v[24:25], 1, s[24:25]
	v_mad_i64_i32 v[24:25], s[26:27], v28, s28, 0
	v_lshl_add_u64 v[24:25], v[24:25], 1, s[22:23]
	s_and_b64 s[30:31], s[2:3], s[18:19]
	s_and_saveexec_b64 s[26:27], s[30:31]
	s_cbranch_execnz .LBB229_219
; %bb.212:
	s_or_b64 exec, exec, s[26:27]
	s_and_b64 s[30:31], s[4:5], s[18:19]
	s_and_saveexec_b64 s[26:27], s[30:31]
	s_cbranch_execnz .LBB229_223
.LBB229_213:
	s_or_b64 exec, exec, s[26:27]
	s_and_b64 s[30:31], s[6:7], s[18:19]
	s_and_saveexec_b64 s[26:27], s[30:31]
	s_cbranch_execnz .LBB229_227
.LBB229_214:
	s_or_b64 exec, exec, s[26:27]
	s_and_b64 s[30:31], s[8:9], s[18:19]
	s_and_saveexec_b64 s[26:27], s[30:31]
	s_cbranch_execnz .LBB229_231
.LBB229_215:
	s_or_b64 exec, exec, s[26:27]
	s_and_b64 s[30:31], s[10:11], s[18:19]
	s_and_saveexec_b64 s[26:27], s[30:31]
	s_cbranch_execnz .LBB229_235
.LBB229_216:
	s_or_b64 exec, exec, s[26:27]
	s_and_b64 s[30:31], s[12:13], s[18:19]
	s_and_saveexec_b64 s[26:27], s[30:31]
	s_cbranch_execnz .LBB229_239
.LBB229_217:
	s_or_b64 exec, exec, s[26:27]
	s_and_b64 s[30:31], s[14:15], s[18:19]
	s_and_saveexec_b64 s[26:27], s[30:31]
	s_cbranch_execnz .LBB229_243
.LBB229_218:
	s_or_b64 exec, exec, s[26:27]
	s_and_b64 s[26:27], s[16:17], s[18:19]
	s_and_saveexec_b64 s[18:19], s[26:27]
	s_cbranch_execnz .LBB229_247
	s_branch .LBB229_251
.LBB229_219:
	s_and_b64 vcc, exec, s[0:1]
	s_cbranch_vccnz .LBB229_221
; %bb.220:
	v_lshl_add_u64 v[28:29], v[32:33], 1, v[26:27]
	flat_load_ushort v28, v[28:29]
	s_waitcnt vmcnt(0) lgkmcnt(0)
	v_mul_f16_e32 v28, s33, v28
	v_cvt_f32_f16_e32 v28, v28
	s_branch .LBB229_222
.LBB229_221:
	v_mov_b32_e32 v28, 0
.LBB229_222:
	v_pk_add_f16 v29, v16, v20
	v_max_f16_e32 v30, v83, v83
	v_pk_add_f16 v48, v17, v21
	v_min_f16_e32 v30, v30, v29
	v_lshrrev_b32_e32 v31, 16, v83
	v_lshrrev_b32_e32 v29, 16, v29
	;; [unrolled: 1-line block ×3, first 2 shown]
	v_min3_f16 v29, v31, v29, v49
	v_min3_f16 v29, v30, v48, v29
	v_cvt_f32_f16_e32 v29, v29
	v_max_f32_e32 v28, v28, v28
	v_min_f32_e32 v28, v28, v29
	v_cvt_f16_f32_e32 v30, v28
	v_lshl_add_u64 v[28:29], v[32:33], 1, v[24:25]
	flat_store_short v[28:29], v30
	s_or_b64 exec, exec, s[26:27]
	s_and_b64 s[30:31], s[4:5], s[18:19]
	s_and_saveexec_b64 s[26:27], s[30:31]
	s_cbranch_execz .LBB229_213
.LBB229_223:
	s_and_b64 vcc, exec, s[0:1]
	s_cbranch_vccnz .LBB229_225
; %bb.224:
	v_lshl_add_u64 v[28:29], v[34:35], 1, v[26:27]
	flat_load_ushort v28, v[28:29]
	s_waitcnt vmcnt(0) lgkmcnt(0)
	v_mul_f16_e32 v28, s33, v28
	v_cvt_f32_f16_e32 v28, v28
	s_branch .LBB229_226
.LBB229_225:
	v_mov_b32_e32 v28, 0
.LBB229_226:
	v_pk_add_f16 v29, v18, v20
	v_max_f16_e32 v30, v82, v82
	v_pk_add_f16 v48, v19, v21
	v_min_f16_e32 v30, v30, v29
	v_lshrrev_b32_e32 v31, 16, v82
	v_lshrrev_b32_e32 v29, 16, v29
	;; [unrolled: 1-line block ×3, first 2 shown]
	v_min3_f16 v29, v31, v29, v49
	v_min3_f16 v29, v30, v48, v29
	v_cvt_f32_f16_e32 v29, v29
	v_max_f32_e32 v28, v28, v28
	v_min_f32_e32 v28, v28, v29
	v_cvt_f16_f32_e32 v30, v28
	v_lshl_add_u64 v[28:29], v[34:35], 1, v[24:25]
	flat_store_short v[28:29], v30
	s_or_b64 exec, exec, s[26:27]
	s_and_b64 s[30:31], s[6:7], s[18:19]
	s_and_saveexec_b64 s[26:27], s[30:31]
	s_cbranch_execz .LBB229_214
.LBB229_227:
	s_and_b64 vcc, exec, s[0:1]
	s_cbranch_vccnz .LBB229_229
; %bb.228:
	v_lshl_add_u64 v[28:29], v[36:37], 1, v[26:27]
	flat_load_ushort v28, v[28:29]
	s_waitcnt vmcnt(0) lgkmcnt(0)
	v_mul_f16_e32 v28, s33, v28
	v_cvt_f32_f16_e32 v28, v28
	s_branch .LBB229_230
.LBB229_229:
	v_mov_b32_e32 v28, 0
.LBB229_230:
	v_pk_add_f16 v29, v12, v20
	v_max_f16_e32 v30, v81, v81
	v_pk_add_f16 v48, v13, v21
	v_min_f16_e32 v30, v30, v29
	v_lshrrev_b32_e32 v31, 16, v81
	v_lshrrev_b32_e32 v29, 16, v29
	;; [unrolled: 1-line block ×3, first 2 shown]
	v_min3_f16 v29, v31, v29, v49
	v_min3_f16 v29, v30, v48, v29
	v_cvt_f32_f16_e32 v29, v29
	v_max_f32_e32 v28, v28, v28
	v_min_f32_e32 v28, v28, v29
	v_cvt_f16_f32_e32 v30, v28
	v_lshl_add_u64 v[28:29], v[36:37], 1, v[24:25]
	flat_store_short v[28:29], v30
	s_or_b64 exec, exec, s[26:27]
	s_and_b64 s[30:31], s[8:9], s[18:19]
	s_and_saveexec_b64 s[26:27], s[30:31]
	s_cbranch_execz .LBB229_215
.LBB229_231:
	s_and_b64 vcc, exec, s[0:1]
	s_cbranch_vccnz .LBB229_233
; %bb.232:
	v_lshl_add_u64 v[28:29], v[38:39], 1, v[26:27]
	flat_load_ushort v28, v[28:29]
	s_waitcnt vmcnt(0) lgkmcnt(0)
	v_mul_f16_e32 v28, s33, v28
	v_cvt_f32_f16_e32 v28, v28
	s_branch .LBB229_234
.LBB229_233:
	v_mov_b32_e32 v28, 0
.LBB229_234:
	v_pk_add_f16 v29, v14, v20
	v_max_f16_e32 v30, v80, v80
	v_pk_add_f16 v48, v15, v21
	v_min_f16_e32 v30, v30, v29
	v_lshrrev_b32_e32 v31, 16, v80
	v_lshrrev_b32_e32 v29, 16, v29
	;; [unrolled: 1-line block ×3, first 2 shown]
	v_min3_f16 v29, v31, v29, v49
	v_min3_f16 v29, v30, v48, v29
	v_cvt_f32_f16_e32 v29, v29
	v_max_f32_e32 v28, v28, v28
	v_min_f32_e32 v28, v28, v29
	v_cvt_f16_f32_e32 v30, v28
	v_lshl_add_u64 v[28:29], v[38:39], 1, v[24:25]
	flat_store_short v[28:29], v30
	s_or_b64 exec, exec, s[26:27]
	s_and_b64 s[30:31], s[10:11], s[18:19]
	s_and_saveexec_b64 s[26:27], s[30:31]
	s_cbranch_execz .LBB229_216
.LBB229_235:
	s_and_b64 vcc, exec, s[0:1]
	s_cbranch_vccnz .LBB229_237
; %bb.236:
	v_lshl_add_u64 v[28:29], v[40:41], 1, v[26:27]
	flat_load_ushort v28, v[28:29]
	s_waitcnt vmcnt(0) lgkmcnt(0)
	v_mul_f16_e32 v28, s33, v28
	v_cvt_f32_f16_e32 v28, v28
	s_branch .LBB229_238
.LBB229_237:
	v_mov_b32_e32 v28, 0
.LBB229_238:
	v_pk_add_f16 v29, v8, v20
	v_max_f16_e32 v30, v79, v79
	v_pk_add_f16 v48, v9, v21
	v_min_f16_e32 v30, v30, v29
	v_lshrrev_b32_e32 v31, 16, v79
	v_lshrrev_b32_e32 v29, 16, v29
	;; [unrolled: 1-line block ×3, first 2 shown]
	v_min3_f16 v29, v31, v29, v49
	v_min3_f16 v29, v30, v48, v29
	v_cvt_f32_f16_e32 v29, v29
	v_max_f32_e32 v28, v28, v28
	v_min_f32_e32 v28, v28, v29
	v_cvt_f16_f32_e32 v30, v28
	v_lshl_add_u64 v[28:29], v[40:41], 1, v[24:25]
	flat_store_short v[28:29], v30
	s_or_b64 exec, exec, s[26:27]
	s_and_b64 s[30:31], s[12:13], s[18:19]
	s_and_saveexec_b64 s[26:27], s[30:31]
	s_cbranch_execz .LBB229_217
.LBB229_239:
	s_and_b64 vcc, exec, s[0:1]
	s_cbranch_vccnz .LBB229_241
; %bb.240:
	v_lshl_add_u64 v[28:29], v[42:43], 1, v[26:27]
	flat_load_ushort v28, v[28:29]
	s_waitcnt vmcnt(0) lgkmcnt(0)
	v_mul_f16_e32 v28, s33, v28
	v_cvt_f32_f16_e32 v28, v28
	s_branch .LBB229_242
.LBB229_241:
	v_mov_b32_e32 v28, 0
.LBB229_242:
	v_pk_add_f16 v29, v10, v20
	v_max_f16_e32 v30, v78, v78
	v_pk_add_f16 v48, v11, v21
	v_min_f16_e32 v30, v30, v29
	v_lshrrev_b32_e32 v31, 16, v78
	v_lshrrev_b32_e32 v29, 16, v29
	;; [unrolled: 1-line block ×3, first 2 shown]
	v_min3_f16 v29, v31, v29, v49
	v_min3_f16 v29, v30, v48, v29
	v_cvt_f32_f16_e32 v29, v29
	v_max_f32_e32 v28, v28, v28
	v_min_f32_e32 v28, v28, v29
	v_cvt_f16_f32_e32 v30, v28
	v_lshl_add_u64 v[28:29], v[42:43], 1, v[24:25]
	flat_store_short v[28:29], v30
	s_or_b64 exec, exec, s[26:27]
	s_and_b64 s[30:31], s[14:15], s[18:19]
	s_and_saveexec_b64 s[26:27], s[30:31]
	s_cbranch_execz .LBB229_218
.LBB229_243:
	s_and_b64 vcc, exec, s[0:1]
	s_cbranch_vccnz .LBB229_245
; %bb.244:
	v_lshl_add_u64 v[28:29], v[44:45], 1, v[26:27]
	flat_load_ushort v28, v[28:29]
	s_waitcnt vmcnt(0) lgkmcnt(0)
	v_mul_f16_e32 v28, s33, v28
	v_cvt_f32_f16_e32 v28, v28
	s_branch .LBB229_246
.LBB229_245:
	v_mov_b32_e32 v28, 0
.LBB229_246:
	v_pk_add_f16 v29, v0, v20
	v_max_f16_e32 v30, v77, v77
	v_pk_add_f16 v48, v1, v21
	v_min_f16_e32 v30, v30, v29
	v_lshrrev_b32_e32 v31, 16, v77
	v_lshrrev_b32_e32 v29, 16, v29
	;; [unrolled: 1-line block ×3, first 2 shown]
	v_min3_f16 v29, v31, v29, v49
	v_min3_f16 v29, v30, v48, v29
	v_cvt_f32_f16_e32 v29, v29
	v_max_f32_e32 v28, v28, v28
	v_min_f32_e32 v28, v28, v29
	v_cvt_f16_f32_e32 v30, v28
	v_lshl_add_u64 v[28:29], v[44:45], 1, v[24:25]
	flat_store_short v[28:29], v30
	s_or_b64 exec, exec, s[26:27]
	s_and_b64 s[26:27], s[16:17], s[18:19]
	s_and_saveexec_b64 s[18:19], s[26:27]
	s_cbranch_execz .LBB229_251
.LBB229_247:
	s_and_b64 vcc, exec, s[0:1]
	s_cbranch_vccnz .LBB229_249
; %bb.248:
	v_lshl_add_u64 v[26:27], v[46:47], 1, v[26:27]
	flat_load_ushort v26, v[26:27]
	s_waitcnt vmcnt(0) lgkmcnt(0)
	v_mul_f16_e32 v26, s33, v26
	v_cvt_f32_f16_e32 v26, v26
	s_branch .LBB229_250
.LBB229_249:
	v_mov_b32_e32 v26, 0
.LBB229_250:
	v_pk_add_f16 v20, v2, v20
	v_max_f16_e32 v27, v76, v76
	v_pk_add_f16 v21, v3, v21
	v_min_f16_e32 v27, v27, v20
	v_lshrrev_b32_e32 v28, 16, v76
	v_lshrrev_b32_e32 v20, 16, v20
	;; [unrolled: 1-line block ×3, first 2 shown]
	v_min3_f16 v20, v28, v20, v29
	v_min3_f16 v20, v27, v21, v20
	v_cvt_f32_f16_e32 v20, v20
	v_max_f32_e32 v21, v26, v26
	v_min_f32_e32 v20, v21, v20
	v_cvt_f16_f32_e32 v26, v20
	v_lshl_add_u64 v[20:21], v[46:47], 1, v[24:25]
	flat_store_short v[20:21], v26
.LBB229_251:
	s_or_b64 exec, exec, s[18:19]
	v_add_u32_e32 v26, 0xa0, v102
	v_mad_i64_i32 v[20:21], s[26:27], v26, s29, 0
	v_cmp_gt_i32_e64 s[18:19], s21, v26
	v_lshl_add_u64 v[24:25], v[20:21], 1, s[24:25]
	v_mad_i64_i32 v[20:21], s[26:27], v26, s28, 0
	v_lshl_add_u64 v[20:21], v[20:21], 1, s[22:23]
	s_and_b64 s[30:31], s[2:3], s[18:19]
	s_and_saveexec_b64 s[26:27], s[30:31]
	s_cbranch_execnz .LBB229_259
; %bb.252:
	s_or_b64 exec, exec, s[26:27]
	s_and_b64 s[30:31], s[4:5], s[18:19]
	s_and_saveexec_b64 s[26:27], s[30:31]
	s_cbranch_execnz .LBB229_263
.LBB229_253:
	s_or_b64 exec, exec, s[26:27]
	s_and_b64 s[30:31], s[6:7], s[18:19]
	s_and_saveexec_b64 s[26:27], s[30:31]
	s_cbranch_execnz .LBB229_267
.LBB229_254:
	s_or_b64 exec, exec, s[26:27]
	s_and_b64 s[30:31], s[8:9], s[18:19]
	s_and_saveexec_b64 s[26:27], s[30:31]
	s_cbranch_execnz .LBB229_271
.LBB229_255:
	s_or_b64 exec, exec, s[26:27]
	s_and_b64 s[30:31], s[10:11], s[18:19]
	s_and_saveexec_b64 s[26:27], s[30:31]
	s_cbranch_execnz .LBB229_275
.LBB229_256:
	s_or_b64 exec, exec, s[26:27]
	s_and_b64 s[30:31], s[12:13], s[18:19]
	s_and_saveexec_b64 s[26:27], s[30:31]
	s_cbranch_execnz .LBB229_279
.LBB229_257:
	s_or_b64 exec, exec, s[26:27]
	s_and_b64 s[30:31], s[14:15], s[18:19]
	s_and_saveexec_b64 s[26:27], s[30:31]
	s_cbranch_execnz .LBB229_283
.LBB229_258:
	s_or_b64 exec, exec, s[26:27]
	s_and_b64 s[26:27], s[16:17], s[18:19]
	s_and_saveexec_b64 s[18:19], s[26:27]
	s_cbranch_execnz .LBB229_287
	s_branch .LBB229_291
.LBB229_259:
	s_and_b64 vcc, exec, s[0:1]
	s_cbranch_vccnz .LBB229_261
; %bb.260:
	v_lshl_add_u64 v[26:27], v[32:33], 1, v[24:25]
	flat_load_ushort v26, v[26:27]
	s_waitcnt vmcnt(0) lgkmcnt(0)
	v_mul_f16_e32 v26, s33, v26
	v_cvt_f32_f16_e32 v26, v26
	s_branch .LBB229_262
.LBB229_261:
	v_mov_b32_e32 v26, 0
.LBB229_262:
	v_pk_add_f16 v27, v16, v22
	v_max_f16_e32 v28, v75, v75
	v_pk_add_f16 v30, v17, v23
	v_min_f16_e32 v28, v28, v27
	v_lshrrev_b32_e32 v29, 16, v75
	v_lshrrev_b32_e32 v27, 16, v27
	;; [unrolled: 1-line block ×3, first 2 shown]
	v_min3_f16 v27, v29, v27, v31
	v_min3_f16 v27, v28, v30, v27
	v_cvt_f32_f16_e32 v27, v27
	v_max_f32_e32 v26, v26, v26
	v_min_f32_e32 v26, v26, v27
	v_cvt_f16_f32_e32 v28, v26
	v_lshl_add_u64 v[26:27], v[32:33], 1, v[20:21]
	flat_store_short v[26:27], v28
	s_or_b64 exec, exec, s[26:27]
	s_and_b64 s[30:31], s[4:5], s[18:19]
	s_and_saveexec_b64 s[26:27], s[30:31]
	s_cbranch_execz .LBB229_253
.LBB229_263:
	s_and_b64 vcc, exec, s[0:1]
	s_cbranch_vccnz .LBB229_265
; %bb.264:
	v_lshl_add_u64 v[26:27], v[34:35], 1, v[24:25]
	flat_load_ushort v26, v[26:27]
	s_waitcnt vmcnt(0) lgkmcnt(0)
	v_mul_f16_e32 v26, s33, v26
	v_cvt_f32_f16_e32 v26, v26
	s_branch .LBB229_266
.LBB229_265:
	v_mov_b32_e32 v26, 0
.LBB229_266:
	v_pk_add_f16 v27, v18, v22
	v_max_f16_e32 v28, v74, v74
	v_pk_add_f16 v30, v19, v23
	v_min_f16_e32 v28, v28, v27
	v_lshrrev_b32_e32 v29, 16, v74
	v_lshrrev_b32_e32 v27, 16, v27
	;; [unrolled: 1-line block ×3, first 2 shown]
	v_min3_f16 v27, v29, v27, v31
	v_min3_f16 v27, v28, v30, v27
	v_cvt_f32_f16_e32 v27, v27
	v_max_f32_e32 v26, v26, v26
	v_min_f32_e32 v26, v26, v27
	v_cvt_f16_f32_e32 v28, v26
	v_lshl_add_u64 v[26:27], v[34:35], 1, v[20:21]
	flat_store_short v[26:27], v28
	s_or_b64 exec, exec, s[26:27]
	s_and_b64 s[30:31], s[6:7], s[18:19]
	s_and_saveexec_b64 s[26:27], s[30:31]
	s_cbranch_execz .LBB229_254
.LBB229_267:
	s_and_b64 vcc, exec, s[0:1]
	s_cbranch_vccnz .LBB229_269
; %bb.268:
	v_lshl_add_u64 v[26:27], v[36:37], 1, v[24:25]
	flat_load_ushort v26, v[26:27]
	s_waitcnt vmcnt(0) lgkmcnt(0)
	v_mul_f16_e32 v26, s33, v26
	v_cvt_f32_f16_e32 v26, v26
	s_branch .LBB229_270
.LBB229_269:
	v_mov_b32_e32 v26, 0
.LBB229_270:
	v_pk_add_f16 v27, v12, v22
	v_max_f16_e32 v28, v73, v73
	v_pk_add_f16 v30, v13, v23
	v_min_f16_e32 v28, v28, v27
	v_lshrrev_b32_e32 v29, 16, v73
	v_lshrrev_b32_e32 v27, 16, v27
	;; [unrolled: 1-line block ×3, first 2 shown]
	v_min3_f16 v27, v29, v27, v31
	v_min3_f16 v27, v28, v30, v27
	v_cvt_f32_f16_e32 v27, v27
	v_max_f32_e32 v26, v26, v26
	v_min_f32_e32 v26, v26, v27
	v_cvt_f16_f32_e32 v28, v26
	v_lshl_add_u64 v[26:27], v[36:37], 1, v[20:21]
	flat_store_short v[26:27], v28
	s_or_b64 exec, exec, s[26:27]
	s_and_b64 s[30:31], s[8:9], s[18:19]
	s_and_saveexec_b64 s[26:27], s[30:31]
	s_cbranch_execz .LBB229_255
.LBB229_271:
	s_and_b64 vcc, exec, s[0:1]
	s_cbranch_vccnz .LBB229_273
; %bb.272:
	v_lshl_add_u64 v[26:27], v[38:39], 1, v[24:25]
	flat_load_ushort v26, v[26:27]
	s_waitcnt vmcnt(0) lgkmcnt(0)
	v_mul_f16_e32 v26, s33, v26
	v_cvt_f32_f16_e32 v26, v26
	s_branch .LBB229_274
.LBB229_273:
	v_mov_b32_e32 v26, 0
.LBB229_274:
	v_pk_add_f16 v27, v14, v22
	v_max_f16_e32 v28, v72, v72
	v_pk_add_f16 v30, v15, v23
	v_min_f16_e32 v28, v28, v27
	v_lshrrev_b32_e32 v29, 16, v72
	v_lshrrev_b32_e32 v27, 16, v27
	;; [unrolled: 1-line block ×3, first 2 shown]
	v_min3_f16 v27, v29, v27, v31
	v_min3_f16 v27, v28, v30, v27
	v_cvt_f32_f16_e32 v27, v27
	v_max_f32_e32 v26, v26, v26
	v_min_f32_e32 v26, v26, v27
	v_cvt_f16_f32_e32 v28, v26
	v_lshl_add_u64 v[26:27], v[38:39], 1, v[20:21]
	flat_store_short v[26:27], v28
	s_or_b64 exec, exec, s[26:27]
	s_and_b64 s[30:31], s[10:11], s[18:19]
	s_and_saveexec_b64 s[26:27], s[30:31]
	s_cbranch_execz .LBB229_256
.LBB229_275:
	s_and_b64 vcc, exec, s[0:1]
	s_cbranch_vccnz .LBB229_277
; %bb.276:
	v_lshl_add_u64 v[26:27], v[40:41], 1, v[24:25]
	flat_load_ushort v26, v[26:27]
	s_waitcnt vmcnt(0) lgkmcnt(0)
	v_mul_f16_e32 v26, s33, v26
	v_cvt_f32_f16_e32 v26, v26
	s_branch .LBB229_278
.LBB229_277:
	v_mov_b32_e32 v26, 0
.LBB229_278:
	v_pk_add_f16 v27, v8, v22
	v_max_f16_e32 v28, v71, v71
	v_pk_add_f16 v30, v9, v23
	v_min_f16_e32 v28, v28, v27
	v_lshrrev_b32_e32 v29, 16, v71
	v_lshrrev_b32_e32 v27, 16, v27
	;; [unrolled: 1-line block ×3, first 2 shown]
	v_min3_f16 v27, v29, v27, v31
	v_min3_f16 v27, v28, v30, v27
	v_cvt_f32_f16_e32 v27, v27
	v_max_f32_e32 v26, v26, v26
	v_min_f32_e32 v26, v26, v27
	v_cvt_f16_f32_e32 v28, v26
	v_lshl_add_u64 v[26:27], v[40:41], 1, v[20:21]
	flat_store_short v[26:27], v28
	s_or_b64 exec, exec, s[26:27]
	s_and_b64 s[30:31], s[12:13], s[18:19]
	s_and_saveexec_b64 s[26:27], s[30:31]
	s_cbranch_execz .LBB229_257
.LBB229_279:
	s_and_b64 vcc, exec, s[0:1]
	s_cbranch_vccnz .LBB229_281
; %bb.280:
	v_lshl_add_u64 v[26:27], v[42:43], 1, v[24:25]
	flat_load_ushort v26, v[26:27]
	s_waitcnt vmcnt(0) lgkmcnt(0)
	v_mul_f16_e32 v26, s33, v26
	v_cvt_f32_f16_e32 v26, v26
	s_branch .LBB229_282
.LBB229_281:
	v_mov_b32_e32 v26, 0
.LBB229_282:
	v_pk_add_f16 v27, v10, v22
	v_max_f16_e32 v28, v70, v70
	v_pk_add_f16 v30, v11, v23
	v_min_f16_e32 v28, v28, v27
	v_lshrrev_b32_e32 v29, 16, v70
	v_lshrrev_b32_e32 v27, 16, v27
	;; [unrolled: 1-line block ×3, first 2 shown]
	v_min3_f16 v27, v29, v27, v31
	v_min3_f16 v27, v28, v30, v27
	v_cvt_f32_f16_e32 v27, v27
	v_max_f32_e32 v26, v26, v26
	v_min_f32_e32 v26, v26, v27
	v_cvt_f16_f32_e32 v28, v26
	v_lshl_add_u64 v[26:27], v[42:43], 1, v[20:21]
	flat_store_short v[26:27], v28
	s_or_b64 exec, exec, s[26:27]
	s_and_b64 s[30:31], s[14:15], s[18:19]
	s_and_saveexec_b64 s[26:27], s[30:31]
	s_cbranch_execz .LBB229_258
.LBB229_283:
	s_and_b64 vcc, exec, s[0:1]
	s_cbranch_vccnz .LBB229_285
; %bb.284:
	v_lshl_add_u64 v[26:27], v[44:45], 1, v[24:25]
	flat_load_ushort v26, v[26:27]
	s_waitcnt vmcnt(0) lgkmcnt(0)
	v_mul_f16_e32 v26, s33, v26
	v_cvt_f32_f16_e32 v26, v26
	s_branch .LBB229_286
.LBB229_285:
	v_mov_b32_e32 v26, 0
.LBB229_286:
	v_pk_add_f16 v27, v0, v22
	v_max_f16_e32 v28, v68, v68
	v_pk_add_f16 v30, v1, v23
	v_min_f16_e32 v28, v28, v27
	v_lshrrev_b32_e32 v29, 16, v68
	v_lshrrev_b32_e32 v27, 16, v27
	;; [unrolled: 1-line block ×3, first 2 shown]
	v_min3_f16 v27, v29, v27, v31
	v_min3_f16 v27, v28, v30, v27
	v_cvt_f32_f16_e32 v27, v27
	v_max_f32_e32 v26, v26, v26
	v_min_f32_e32 v26, v26, v27
	v_cvt_f16_f32_e32 v28, v26
	v_lshl_add_u64 v[26:27], v[44:45], 1, v[20:21]
	flat_store_short v[26:27], v28
	s_or_b64 exec, exec, s[26:27]
	s_and_b64 s[26:27], s[16:17], s[18:19]
	s_and_saveexec_b64 s[18:19], s[26:27]
	s_cbranch_execz .LBB229_291
.LBB229_287:
	s_and_b64 vcc, exec, s[0:1]
	s_cbranch_vccnz .LBB229_289
; %bb.288:
	v_lshl_add_u64 v[24:25], v[46:47], 1, v[24:25]
	flat_load_ushort v24, v[24:25]
	s_waitcnt vmcnt(0) lgkmcnt(0)
	v_mul_f16_e32 v24, s33, v24
	v_cvt_f32_f16_e32 v24, v24
	s_branch .LBB229_290
.LBB229_289:
	v_mov_b32_e32 v24, 0
.LBB229_290:
	v_pk_add_f16 v22, v2, v22
	v_max_f16_e32 v25, v69, v69
	v_pk_add_f16 v23, v3, v23
	v_min_f16_e32 v25, v25, v22
	v_lshrrev_b32_e32 v26, 16, v69
	v_lshrrev_b32_e32 v22, 16, v22
	;; [unrolled: 1-line block ×3, first 2 shown]
	v_min3_f16 v22, v26, v22, v27
	v_min3_f16 v22, v25, v23, v22
	v_cvt_f32_f16_e32 v22, v22
	v_max_f32_e32 v23, v24, v24
	v_lshl_add_u64 v[20:21], v[46:47], 1, v[20:21]
	v_min_f32_e32 v22, v23, v22
	v_cvt_f16_f32_e32 v22, v22
	flat_store_short v[20:21], v22
.LBB229_291:
	s_or_b64 exec, exec, s[18:19]
	v_add_u32_e32 v24, 0xc0, v102
	v_mad_i64_i32 v[20:21], s[26:27], v24, s29, 0
	v_cmp_gt_i32_e64 s[18:19], s21, v24
	v_lshl_add_u64 v[22:23], v[20:21], 1, s[24:25]
	v_mad_i64_i32 v[20:21], s[26:27], v24, s28, 0
	v_lshl_add_u64 v[20:21], v[20:21], 1, s[22:23]
	s_and_b64 s[30:31], s[2:3], s[18:19]
	s_and_saveexec_b64 s[26:27], s[30:31]
	s_cbranch_execnz .LBB229_299
; %bb.292:
	s_or_b64 exec, exec, s[26:27]
	s_and_b64 s[30:31], s[4:5], s[18:19]
	s_and_saveexec_b64 s[26:27], s[30:31]
	s_cbranch_execnz .LBB229_303
.LBB229_293:
	s_or_b64 exec, exec, s[26:27]
	s_and_b64 s[30:31], s[6:7], s[18:19]
	s_and_saveexec_b64 s[26:27], s[30:31]
	s_cbranch_execnz .LBB229_307
.LBB229_294:
	s_or_b64 exec, exec, s[26:27]
	s_and_b64 s[30:31], s[8:9], s[18:19]
	s_and_saveexec_b64 s[26:27], s[30:31]
	s_cbranch_execnz .LBB229_311
.LBB229_295:
	s_or_b64 exec, exec, s[26:27]
	s_and_b64 s[30:31], s[10:11], s[18:19]
	s_and_saveexec_b64 s[26:27], s[30:31]
	s_cbranch_execnz .LBB229_315
.LBB229_296:
	s_or_b64 exec, exec, s[26:27]
	s_and_b64 s[30:31], s[12:13], s[18:19]
	s_and_saveexec_b64 s[26:27], s[30:31]
	s_cbranch_execnz .LBB229_319
.LBB229_297:
	s_or_b64 exec, exec, s[26:27]
	s_and_b64 s[30:31], s[14:15], s[18:19]
	s_and_saveexec_b64 s[26:27], s[30:31]
	s_cbranch_execnz .LBB229_323
.LBB229_298:
	s_or_b64 exec, exec, s[26:27]
	s_and_b64 s[26:27], s[16:17], s[18:19]
	s_and_saveexec_b64 s[18:19], s[26:27]
	s_cbranch_execnz .LBB229_327
	s_branch .LBB229_331
.LBB229_299:
	s_and_b64 vcc, exec, s[0:1]
	s_cbranch_vccnz .LBB229_301
; %bb.300:
	v_lshl_add_u64 v[24:25], v[32:33], 1, v[22:23]
	flat_load_ushort v24, v[24:25]
	s_waitcnt vmcnt(0) lgkmcnt(0)
	v_mul_f16_e32 v24, s33, v24
	v_cvt_f32_f16_e32 v24, v24
	s_branch .LBB229_302
.LBB229_301:
	v_mov_b32_e32 v24, 0
.LBB229_302:
	v_pk_add_f16 v25, v16, v4
	v_max_f16_e32 v26, v67, v67
	v_pk_add_f16 v28, v17, v5
	v_min_f16_e32 v26, v26, v25
	v_lshrrev_b32_e32 v27, 16, v67
	v_lshrrev_b32_e32 v25, 16, v25
	;; [unrolled: 1-line block ×3, first 2 shown]
	v_min3_f16 v25, v27, v25, v29
	v_min3_f16 v25, v26, v28, v25
	v_cvt_f32_f16_e32 v25, v25
	v_max_f32_e32 v24, v24, v24
	v_min_f32_e32 v24, v24, v25
	v_cvt_f16_f32_e32 v26, v24
	v_lshl_add_u64 v[24:25], v[32:33], 1, v[20:21]
	flat_store_short v[24:25], v26
	s_or_b64 exec, exec, s[26:27]
	s_and_b64 s[30:31], s[4:5], s[18:19]
	s_and_saveexec_b64 s[26:27], s[30:31]
	s_cbranch_execz .LBB229_293
.LBB229_303:
	s_and_b64 vcc, exec, s[0:1]
	s_cbranch_vccnz .LBB229_305
; %bb.304:
	v_lshl_add_u64 v[24:25], v[34:35], 1, v[22:23]
	flat_load_ushort v24, v[24:25]
	s_waitcnt vmcnt(0) lgkmcnt(0)
	v_mul_f16_e32 v24, s33, v24
	v_cvt_f32_f16_e32 v24, v24
	s_branch .LBB229_306
.LBB229_305:
	v_mov_b32_e32 v24, 0
.LBB229_306:
	v_pk_add_f16 v25, v18, v4
	v_max_f16_e32 v26, v66, v66
	v_pk_add_f16 v28, v19, v5
	v_min_f16_e32 v26, v26, v25
	v_lshrrev_b32_e32 v27, 16, v66
	v_lshrrev_b32_e32 v25, 16, v25
	;; [unrolled: 1-line block ×3, first 2 shown]
	v_min3_f16 v25, v27, v25, v29
	v_min3_f16 v25, v26, v28, v25
	v_cvt_f32_f16_e32 v25, v25
	v_max_f32_e32 v24, v24, v24
	v_min_f32_e32 v24, v24, v25
	v_cvt_f16_f32_e32 v26, v24
	v_lshl_add_u64 v[24:25], v[34:35], 1, v[20:21]
	flat_store_short v[24:25], v26
	s_or_b64 exec, exec, s[26:27]
	s_and_b64 s[30:31], s[6:7], s[18:19]
	s_and_saveexec_b64 s[26:27], s[30:31]
	s_cbranch_execz .LBB229_294
.LBB229_307:
	s_and_b64 vcc, exec, s[0:1]
	s_cbranch_vccnz .LBB229_309
; %bb.308:
	v_lshl_add_u64 v[24:25], v[36:37], 1, v[22:23]
	flat_load_ushort v24, v[24:25]
	s_waitcnt vmcnt(0) lgkmcnt(0)
	v_mul_f16_e32 v24, s33, v24
	v_cvt_f32_f16_e32 v24, v24
	s_branch .LBB229_310
.LBB229_309:
	v_mov_b32_e32 v24, 0
.LBB229_310:
	v_pk_add_f16 v25, v12, v4
	v_max_f16_e32 v26, v65, v65
	v_pk_add_f16 v28, v13, v5
	v_min_f16_e32 v26, v26, v25
	v_lshrrev_b32_e32 v27, 16, v65
	v_lshrrev_b32_e32 v25, 16, v25
	;; [unrolled: 1-line block ×3, first 2 shown]
	v_min3_f16 v25, v27, v25, v29
	v_min3_f16 v25, v26, v28, v25
	v_cvt_f32_f16_e32 v25, v25
	v_max_f32_e32 v24, v24, v24
	v_min_f32_e32 v24, v24, v25
	v_cvt_f16_f32_e32 v26, v24
	v_lshl_add_u64 v[24:25], v[36:37], 1, v[20:21]
	flat_store_short v[24:25], v26
	s_or_b64 exec, exec, s[26:27]
	s_and_b64 s[30:31], s[8:9], s[18:19]
	s_and_saveexec_b64 s[26:27], s[30:31]
	s_cbranch_execz .LBB229_295
.LBB229_311:
	s_and_b64 vcc, exec, s[0:1]
	s_cbranch_vccnz .LBB229_313
; %bb.312:
	v_lshl_add_u64 v[24:25], v[38:39], 1, v[22:23]
	flat_load_ushort v24, v[24:25]
	s_waitcnt vmcnt(0) lgkmcnt(0)
	v_mul_f16_e32 v24, s33, v24
	v_cvt_f32_f16_e32 v24, v24
	s_branch .LBB229_314
.LBB229_313:
	v_mov_b32_e32 v24, 0
.LBB229_314:
	v_pk_add_f16 v25, v14, v4
	v_max_f16_e32 v26, v64, v64
	v_pk_add_f16 v28, v15, v5
	v_min_f16_e32 v26, v26, v25
	v_lshrrev_b32_e32 v27, 16, v64
	v_lshrrev_b32_e32 v25, 16, v25
	;; [unrolled: 1-line block ×3, first 2 shown]
	v_min3_f16 v25, v27, v25, v29
	v_min3_f16 v25, v26, v28, v25
	v_cvt_f32_f16_e32 v25, v25
	v_max_f32_e32 v24, v24, v24
	v_min_f32_e32 v24, v24, v25
	v_cvt_f16_f32_e32 v26, v24
	v_lshl_add_u64 v[24:25], v[38:39], 1, v[20:21]
	flat_store_short v[24:25], v26
	s_or_b64 exec, exec, s[26:27]
	s_and_b64 s[30:31], s[10:11], s[18:19]
	s_and_saveexec_b64 s[26:27], s[30:31]
	s_cbranch_execz .LBB229_296
.LBB229_315:
	s_and_b64 vcc, exec, s[0:1]
	s_cbranch_vccnz .LBB229_317
; %bb.316:
	v_lshl_add_u64 v[24:25], v[40:41], 1, v[22:23]
	flat_load_ushort v24, v[24:25]
	s_waitcnt vmcnt(0) lgkmcnt(0)
	v_mul_f16_e32 v24, s33, v24
	v_cvt_f32_f16_e32 v24, v24
	s_branch .LBB229_318
.LBB229_317:
	v_mov_b32_e32 v24, 0
.LBB229_318:
	v_pk_add_f16 v25, v8, v4
	v_max_f16_e32 v26, v63, v63
	v_pk_add_f16 v28, v9, v5
	v_min_f16_e32 v26, v26, v25
	v_lshrrev_b32_e32 v27, 16, v63
	v_lshrrev_b32_e32 v25, 16, v25
	;; [unrolled: 1-line block ×3, first 2 shown]
	v_min3_f16 v25, v27, v25, v29
	v_min3_f16 v25, v26, v28, v25
	v_cvt_f32_f16_e32 v25, v25
	v_max_f32_e32 v24, v24, v24
	v_min_f32_e32 v24, v24, v25
	v_cvt_f16_f32_e32 v26, v24
	v_lshl_add_u64 v[24:25], v[40:41], 1, v[20:21]
	flat_store_short v[24:25], v26
	s_or_b64 exec, exec, s[26:27]
	s_and_b64 s[30:31], s[12:13], s[18:19]
	s_and_saveexec_b64 s[26:27], s[30:31]
	s_cbranch_execz .LBB229_297
.LBB229_319:
	s_and_b64 vcc, exec, s[0:1]
	s_cbranch_vccnz .LBB229_321
; %bb.320:
	v_lshl_add_u64 v[24:25], v[42:43], 1, v[22:23]
	flat_load_ushort v24, v[24:25]
	s_waitcnt vmcnt(0) lgkmcnt(0)
	v_mul_f16_e32 v24, s33, v24
	v_cvt_f32_f16_e32 v24, v24
	s_branch .LBB229_322
.LBB229_321:
	v_mov_b32_e32 v24, 0
.LBB229_322:
	v_pk_add_f16 v25, v10, v4
	v_max_f16_e32 v26, v62, v62
	v_pk_add_f16 v28, v11, v5
	v_min_f16_e32 v26, v26, v25
	v_lshrrev_b32_e32 v27, 16, v62
	v_lshrrev_b32_e32 v25, 16, v25
	;; [unrolled: 1-line block ×3, first 2 shown]
	v_min3_f16 v25, v27, v25, v29
	v_min3_f16 v25, v26, v28, v25
	v_cvt_f32_f16_e32 v25, v25
	v_max_f32_e32 v24, v24, v24
	v_min_f32_e32 v24, v24, v25
	v_cvt_f16_f32_e32 v26, v24
	v_lshl_add_u64 v[24:25], v[42:43], 1, v[20:21]
	flat_store_short v[24:25], v26
	s_or_b64 exec, exec, s[26:27]
	s_and_b64 s[30:31], s[14:15], s[18:19]
	s_and_saveexec_b64 s[26:27], s[30:31]
	s_cbranch_execz .LBB229_298
.LBB229_323:
	s_and_b64 vcc, exec, s[0:1]
	s_cbranch_vccnz .LBB229_325
; %bb.324:
	v_lshl_add_u64 v[24:25], v[44:45], 1, v[22:23]
	flat_load_ushort v24, v[24:25]
	s_waitcnt vmcnt(0) lgkmcnt(0)
	v_mul_f16_e32 v24, s33, v24
	v_cvt_f32_f16_e32 v24, v24
	s_branch .LBB229_326
.LBB229_325:
	v_mov_b32_e32 v24, 0
.LBB229_326:
	v_pk_add_f16 v25, v0, v4
	v_max_f16_e32 v26, v61, v61
	v_pk_add_f16 v28, v1, v5
	v_min_f16_e32 v26, v26, v25
	v_lshrrev_b32_e32 v27, 16, v61
	v_lshrrev_b32_e32 v25, 16, v25
	;; [unrolled: 1-line block ×3, first 2 shown]
	v_min3_f16 v25, v27, v25, v29
	v_min3_f16 v25, v26, v28, v25
	v_cvt_f32_f16_e32 v25, v25
	v_max_f32_e32 v24, v24, v24
	v_min_f32_e32 v24, v24, v25
	v_cvt_f16_f32_e32 v26, v24
	v_lshl_add_u64 v[24:25], v[44:45], 1, v[20:21]
	flat_store_short v[24:25], v26
	s_or_b64 exec, exec, s[26:27]
	s_and_b64 s[26:27], s[16:17], s[18:19]
	s_and_saveexec_b64 s[18:19], s[26:27]
	s_cbranch_execz .LBB229_331
.LBB229_327:
	s_and_b64 vcc, exec, s[0:1]
	s_cbranch_vccnz .LBB229_329
; %bb.328:
	v_lshl_add_u64 v[22:23], v[46:47], 1, v[22:23]
	flat_load_ushort v22, v[22:23]
	s_waitcnt vmcnt(0) lgkmcnt(0)
	v_mul_f16_e32 v22, s33, v22
	v_cvt_f32_f16_e32 v22, v22
	s_branch .LBB229_330
.LBB229_329:
	v_mov_b32_e32 v22, 0
.LBB229_330:
	v_pk_add_f16 v4, v2, v4
	v_max_f16_e32 v23, v60, v60
	v_pk_add_f16 v5, v3, v5
	v_min_f16_e32 v23, v23, v4
	v_lshrrev_b32_e32 v24, 16, v60
	v_lshrrev_b32_e32 v4, 16, v4
	;; [unrolled: 1-line block ×3, first 2 shown]
	v_min3_f16 v4, v24, v4, v25
	v_min3_f16 v4, v23, v5, v4
	v_cvt_f32_f16_e32 v4, v4
	v_max_f32_e32 v5, v22, v22
	v_min_f32_e32 v4, v5, v4
	v_cvt_f16_f32_e32 v22, v4
	v_lshl_add_u64 v[4:5], v[46:47], 1, v[20:21]
	flat_store_short v[4:5], v22
.LBB229_331:
	s_or_b64 exec, exec, s[18:19]
	v_add_u32_e32 v22, 0xe0, v102
	v_cmp_gt_i32_e64 s[18:19], s21, v22
	v_mad_i64_i32 v[4:5], s[20:21], v22, s29, 0
	v_lshl_add_u64 v[20:21], v[4:5], 1, s[24:25]
	v_mad_i64_i32 v[4:5], s[20:21], v22, s28, 0
	v_lshl_add_u64 v[4:5], v[4:5], 1, s[22:23]
	s_and_b64 s[20:21], s[2:3], s[18:19]
	s_and_saveexec_b64 s[2:3], s[20:21]
	s_cbranch_execnz .LBB229_340
; %bb.332:
	s_or_b64 exec, exec, s[2:3]
	s_and_b64 s[4:5], s[4:5], s[18:19]
	s_and_saveexec_b64 s[2:3], s[4:5]
	s_cbranch_execnz .LBB229_344
.LBB229_333:
	s_or_b64 exec, exec, s[2:3]
	s_and_b64 s[4:5], s[6:7], s[18:19]
	s_and_saveexec_b64 s[2:3], s[4:5]
	s_cbranch_execnz .LBB229_348
.LBB229_334:
	s_or_b64 exec, exec, s[2:3]
	s_and_b64 s[4:5], s[8:9], s[18:19]
	s_and_saveexec_b64 s[2:3], s[4:5]
	s_cbranch_execnz .LBB229_352
.LBB229_335:
	s_or_b64 exec, exec, s[2:3]
	s_and_b64 s[4:5], s[10:11], s[18:19]
	s_and_saveexec_b64 s[2:3], s[4:5]
	s_cbranch_execnz .LBB229_356
.LBB229_336:
	s_or_b64 exec, exec, s[2:3]
	s_and_b64 s[4:5], s[12:13], s[18:19]
	s_and_saveexec_b64 s[2:3], s[4:5]
	s_cbranch_execnz .LBB229_360
.LBB229_337:
	s_or_b64 exec, exec, s[2:3]
	s_and_b64 s[4:5], s[14:15], s[18:19]
	s_and_saveexec_b64 s[2:3], s[4:5]
	s_cbranch_execnz .LBB229_364
.LBB229_338:
	s_or_b64 exec, exec, s[2:3]
	s_and_b64 s[2:3], s[16:17], s[18:19]
	s_and_saveexec_b64 s[4:5], s[2:3]
	s_cbranch_execnz .LBB229_368
.LBB229_339:
	s_endpgm
.LBB229_340:
	s_and_b64 vcc, exec, s[0:1]
	s_cbranch_vccnz .LBB229_342
; %bb.341:
	v_lshl_add_u64 v[22:23], v[32:33], 1, v[20:21]
	flat_load_ushort v22, v[22:23]
	s_waitcnt vmcnt(0) lgkmcnt(0)
	v_mul_f16_e32 v22, s33, v22
	v_cvt_f32_f16_e32 v22, v22
	s_branch .LBB229_343
.LBB229_342:
	v_mov_b32_e32 v22, 0
.LBB229_343:
	v_pk_add_f16 v16, v16, v6
	v_max_f16_e32 v23, v59, v59
	v_pk_add_f16 v17, v17, v7
	v_min_f16_e32 v23, v23, v16
	v_lshrrev_b32_e32 v24, 16, v59
	v_lshrrev_b32_e32 v16, 16, v16
	;; [unrolled: 1-line block ×3, first 2 shown]
	v_min3_f16 v16, v24, v16, v25
	v_min3_f16 v16, v23, v17, v16
	v_cvt_f32_f16_e32 v16, v16
	v_max_f32_e32 v17, v22, v22
	v_min_f32_e32 v16, v17, v16
	v_cvt_f16_f32_e32 v22, v16
	v_lshl_add_u64 v[16:17], v[32:33], 1, v[4:5]
	flat_store_short v[16:17], v22
	s_or_b64 exec, exec, s[2:3]
	s_and_b64 s[4:5], s[4:5], s[18:19]
	s_and_saveexec_b64 s[2:3], s[4:5]
	s_cbranch_execz .LBB229_333
.LBB229_344:
	s_and_b64 vcc, exec, s[0:1]
	s_cbranch_vccnz .LBB229_346
; %bb.345:
	v_lshl_add_u64 v[16:17], v[34:35], 1, v[20:21]
	flat_load_ushort v16, v[16:17]
	s_waitcnt vmcnt(0) lgkmcnt(0)
	v_mul_f16_e32 v16, s33, v16
	v_cvt_f32_f16_e32 v16, v16
	s_branch .LBB229_347
.LBB229_346:
	v_mov_b32_e32 v16, 0
.LBB229_347:
	v_pk_add_f16 v17, v18, v6
	v_max_f16_e32 v18, v58, v58
	v_pk_add_f16 v19, v19, v7
	v_min_f16_e32 v18, v18, v17
	v_lshrrev_b32_e32 v22, 16, v58
	v_lshrrev_b32_e32 v17, 16, v17
	;; [unrolled: 1-line block ×3, first 2 shown]
	v_min3_f16 v17, v22, v17, v23
	v_min3_f16 v17, v18, v19, v17
	v_cvt_f32_f16_e32 v17, v17
	v_max_f32_e32 v16, v16, v16
	v_min_f32_e32 v16, v16, v17
	v_cvt_f16_f32_e32 v18, v16
	v_lshl_add_u64 v[16:17], v[34:35], 1, v[4:5]
	flat_store_short v[16:17], v18
	s_or_b64 exec, exec, s[2:3]
	s_and_b64 s[4:5], s[6:7], s[18:19]
	s_and_saveexec_b64 s[2:3], s[4:5]
	s_cbranch_execz .LBB229_334
.LBB229_348:
	s_and_b64 vcc, exec, s[0:1]
	s_cbranch_vccnz .LBB229_350
; %bb.349:
	v_lshl_add_u64 v[16:17], v[36:37], 1, v[20:21]
	flat_load_ushort v16, v[16:17]
	s_waitcnt vmcnt(0) lgkmcnt(0)
	v_mul_f16_e32 v16, s33, v16
	v_cvt_f32_f16_e32 v16, v16
	s_branch .LBB229_351
.LBB229_350:
	v_mov_b32_e32 v16, 0
.LBB229_351:
	v_pk_add_f16 v12, v12, v6
	v_max_f16_e32 v17, v57, v57
	v_pk_add_f16 v13, v13, v7
	v_min_f16_e32 v17, v17, v12
	v_lshrrev_b32_e32 v18, 16, v57
	v_lshrrev_b32_e32 v12, 16, v12
	;; [unrolled: 1-line block ×3, first 2 shown]
	v_min3_f16 v12, v18, v12, v19
	v_min3_f16 v12, v17, v13, v12
	v_cvt_f32_f16_e32 v12, v12
	v_max_f32_e32 v13, v16, v16
	v_min_f32_e32 v12, v13, v12
	v_cvt_f16_f32_e32 v16, v12
	v_lshl_add_u64 v[12:13], v[36:37], 1, v[4:5]
	flat_store_short v[12:13], v16
	s_or_b64 exec, exec, s[2:3]
	s_and_b64 s[4:5], s[8:9], s[18:19]
	s_and_saveexec_b64 s[2:3], s[4:5]
	s_cbranch_execz .LBB229_335
.LBB229_352:
	s_and_b64 vcc, exec, s[0:1]
	s_cbranch_vccnz .LBB229_354
; %bb.353:
	v_lshl_add_u64 v[12:13], v[38:39], 1, v[20:21]
	flat_load_ushort v12, v[12:13]
	s_waitcnt vmcnt(0) lgkmcnt(0)
	v_mul_f16_e32 v12, s33, v12
	v_cvt_f32_f16_e32 v12, v12
	s_branch .LBB229_355
.LBB229_354:
	v_mov_b32_e32 v12, 0
.LBB229_355:
	v_pk_add_f16 v13, v14, v6
	v_max_f16_e32 v14, v56, v56
	v_pk_add_f16 v15, v15, v7
	v_min_f16_e32 v14, v14, v13
	v_lshrrev_b32_e32 v16, 16, v56
	v_lshrrev_b32_e32 v13, 16, v13
	;; [unrolled: 1-line block ×3, first 2 shown]
	v_min3_f16 v13, v16, v13, v17
	v_min3_f16 v13, v14, v15, v13
	v_cvt_f32_f16_e32 v13, v13
	v_max_f32_e32 v12, v12, v12
	v_min_f32_e32 v12, v12, v13
	v_cvt_f16_f32_e32 v14, v12
	v_lshl_add_u64 v[12:13], v[38:39], 1, v[4:5]
	flat_store_short v[12:13], v14
	s_or_b64 exec, exec, s[2:3]
	s_and_b64 s[4:5], s[10:11], s[18:19]
	s_and_saveexec_b64 s[2:3], s[4:5]
	s_cbranch_execz .LBB229_336
.LBB229_356:
	s_and_b64 vcc, exec, s[0:1]
	s_cbranch_vccnz .LBB229_358
; %bb.357:
	v_lshl_add_u64 v[12:13], v[40:41], 1, v[20:21]
	flat_load_ushort v12, v[12:13]
	s_waitcnt vmcnt(0) lgkmcnt(0)
	v_mul_f16_e32 v12, s33, v12
	v_cvt_f32_f16_e32 v12, v12
	s_branch .LBB229_359
.LBB229_358:
	v_mov_b32_e32 v12, 0
.LBB229_359:
	v_pk_add_f16 v8, v8, v6
	v_max_f16_e32 v13, v54, v54
	v_pk_add_f16 v9, v9, v7
	v_min_f16_e32 v13, v13, v8
	v_lshrrev_b32_e32 v14, 16, v54
	v_lshrrev_b32_e32 v8, 16, v8
	;; [unrolled: 1-line block ×3, first 2 shown]
	v_min3_f16 v8, v14, v8, v15
	v_min3_f16 v8, v13, v9, v8
	v_cvt_f32_f16_e32 v8, v8
	v_max_f32_e32 v9, v12, v12
	v_min_f32_e32 v8, v9, v8
	v_cvt_f16_f32_e32 v12, v8
	v_lshl_add_u64 v[8:9], v[40:41], 1, v[4:5]
	flat_store_short v[8:9], v12
	s_or_b64 exec, exec, s[2:3]
	s_and_b64 s[4:5], s[12:13], s[18:19]
	s_and_saveexec_b64 s[2:3], s[4:5]
	s_cbranch_execz .LBB229_337
.LBB229_360:
	s_and_b64 vcc, exec, s[0:1]
	s_cbranch_vccnz .LBB229_362
; %bb.361:
	v_lshl_add_u64 v[8:9], v[42:43], 1, v[20:21]
	flat_load_ushort v8, v[8:9]
	s_waitcnt vmcnt(0) lgkmcnt(0)
	v_mul_f16_e32 v8, s33, v8
	v_cvt_f32_f16_e32 v8, v8
	s_branch .LBB229_363
.LBB229_362:
	v_mov_b32_e32 v8, 0
.LBB229_363:
	v_pk_add_f16 v9, v10, v6
	v_max_f16_e32 v10, v53, v53
	v_pk_add_f16 v11, v11, v7
	v_min_f16_e32 v10, v10, v9
	v_lshrrev_b32_e32 v12, 16, v53
	v_lshrrev_b32_e32 v9, 16, v9
	;; [unrolled: 1-line block ×3, first 2 shown]
	v_min3_f16 v9, v12, v9, v13
	v_min3_f16 v9, v10, v11, v9
	v_cvt_f32_f16_e32 v9, v9
	v_max_f32_e32 v8, v8, v8
	v_min_f32_e32 v8, v8, v9
	v_cvt_f16_f32_e32 v10, v8
	v_lshl_add_u64 v[8:9], v[42:43], 1, v[4:5]
	flat_store_short v[8:9], v10
	s_or_b64 exec, exec, s[2:3]
	s_and_b64 s[4:5], s[14:15], s[18:19]
	s_and_saveexec_b64 s[2:3], s[4:5]
	s_cbranch_execz .LBB229_338
.LBB229_364:
	s_and_b64 vcc, exec, s[0:1]
	s_cbranch_vccnz .LBB229_366
; %bb.365:
	v_lshl_add_u64 v[8:9], v[44:45], 1, v[20:21]
	flat_load_ushort v8, v[8:9]
	s_waitcnt vmcnt(0) lgkmcnt(0)
	v_mul_f16_e32 v8, s33, v8
	v_cvt_f32_f16_e32 v8, v8
	s_branch .LBB229_367
.LBB229_366:
	v_mov_b32_e32 v8, 0
.LBB229_367:
	v_pk_add_f16 v0, v0, v6
	v_max_f16_e32 v9, v52, v52
	v_pk_add_f16 v1, v1, v7
	v_min_f16_e32 v9, v9, v0
	v_lshrrev_b32_e32 v10, 16, v52
	v_lshrrev_b32_e32 v0, 16, v0
	;; [unrolled: 1-line block ×3, first 2 shown]
	v_min3_f16 v0, v10, v0, v11
	v_min3_f16 v0, v9, v1, v0
	v_cvt_f32_f16_e32 v0, v0
	v_max_f32_e32 v1, v8, v8
	v_min_f32_e32 v0, v1, v0
	v_cvt_f16_f32_e32 v8, v0
	v_lshl_add_u64 v[0:1], v[44:45], 1, v[4:5]
	flat_store_short v[0:1], v8
	s_or_b64 exec, exec, s[2:3]
	s_and_b64 s[2:3], s[16:17], s[18:19]
	s_and_saveexec_b64 s[4:5], s[2:3]
	s_cbranch_execz .LBB229_339
.LBB229_368:
	s_and_b64 vcc, exec, s[0:1]
	s_cbranch_vccnz .LBB229_370
; %bb.369:
	v_lshl_add_u64 v[0:1], v[46:47], 1, v[20:21]
	flat_load_ushort v0, v[0:1]
	s_waitcnt vmcnt(0) lgkmcnt(0)
	v_mul_f16_e32 v0, s33, v0
	v_cvt_f32_f16_e32 v0, v0
	s_branch .LBB229_371
.LBB229_370:
	v_mov_b32_e32 v0, 0
.LBB229_371:
	v_pk_add_f16 v1, v2, v6
	v_max_f16_e32 v2, v55, v55
	v_pk_add_f16 v3, v3, v7
	v_min_f16_e32 v2, v2, v1
	v_lshrrev_b32_e32 v6, 16, v55
	v_lshrrev_b32_e32 v1, 16, v1
	;; [unrolled: 1-line block ×3, first 2 shown]
	v_min3_f16 v1, v6, v1, v7
	v_min3_f16 v1, v2, v3, v1
	v_cvt_f32_f16_e32 v1, v1
	v_max_f32_e32 v0, v0, v0
	v_min_f32_e32 v0, v0, v1
	v_cvt_f16_f32_e32 v2, v0
	v_lshl_add_u64 v[0:1], v[46:47], 1, v[4:5]
	flat_store_short v[0:1], v2
	s_endpgm
	.section	.rodata,"a",@progbits
	.p2align	6, 0x0
	.amdhsa_kernel _ZN12_GLOBAL__N_120geam_min_plus_kernelIDF16_Dv2_DF16_S1_Li8ELi32ELi64ELi256ELi4ELi4ELi64ELi64ELi4ELc84ELc84ELb1ELb1ELb1EDF16_KPKDF16_KPDF16_EEviiiT16_PT17_ilS9_ilS7_S9_ilPT18_ili26rocblas_geam_ex_operation_
		.amdhsa_group_segment_fixed_size 5120
		.amdhsa_private_segment_fixed_size 0
		.amdhsa_kernarg_size 128
		.amdhsa_user_sgpr_count 2
		.amdhsa_user_sgpr_dispatch_ptr 0
		.amdhsa_user_sgpr_queue_ptr 0
		.amdhsa_user_sgpr_kernarg_segment_ptr 1
		.amdhsa_user_sgpr_dispatch_id 0
		.amdhsa_user_sgpr_kernarg_preload_length 0
		.amdhsa_user_sgpr_kernarg_preload_offset 0
		.amdhsa_user_sgpr_private_segment_size 0
		.amdhsa_uses_dynamic_stack 0
		.amdhsa_enable_private_segment 0
		.amdhsa_system_sgpr_workgroup_id_x 1
		.amdhsa_system_sgpr_workgroup_id_y 0
		.amdhsa_system_sgpr_workgroup_id_z 1
		.amdhsa_system_sgpr_workgroup_info 0
		.amdhsa_system_vgpr_workitem_id 1
		.amdhsa_next_free_vgpr 148
		.amdhsa_next_free_sgpr 40
		.amdhsa_accum_offset 148
		.amdhsa_reserve_vcc 1
		.amdhsa_float_round_mode_32 0
		.amdhsa_float_round_mode_16_64 0
		.amdhsa_float_denorm_mode_32 3
		.amdhsa_float_denorm_mode_16_64 3
		.amdhsa_dx10_clamp 1
		.amdhsa_ieee_mode 1
		.amdhsa_fp16_overflow 0
		.amdhsa_tg_split 0
		.amdhsa_exception_fp_ieee_invalid_op 0
		.amdhsa_exception_fp_denorm_src 0
		.amdhsa_exception_fp_ieee_div_zero 0
		.amdhsa_exception_fp_ieee_overflow 0
		.amdhsa_exception_fp_ieee_underflow 0
		.amdhsa_exception_fp_ieee_inexact 0
		.amdhsa_exception_int_div_zero 0
	.end_amdhsa_kernel
	.section	.text._ZN12_GLOBAL__N_120geam_min_plus_kernelIDF16_Dv2_DF16_S1_Li8ELi32ELi64ELi256ELi4ELi4ELi64ELi64ELi4ELc84ELc84ELb1ELb1ELb1EDF16_KPKDF16_KPDF16_EEviiiT16_PT17_ilS9_ilS7_S9_ilPT18_ili26rocblas_geam_ex_operation_,"axG",@progbits,_ZN12_GLOBAL__N_120geam_min_plus_kernelIDF16_Dv2_DF16_S1_Li8ELi32ELi64ELi256ELi4ELi4ELi64ELi64ELi4ELc84ELc84ELb1ELb1ELb1EDF16_KPKDF16_KPDF16_EEviiiT16_PT17_ilS9_ilS7_S9_ilPT18_ili26rocblas_geam_ex_operation_,comdat
.Lfunc_end229:
	.size	_ZN12_GLOBAL__N_120geam_min_plus_kernelIDF16_Dv2_DF16_S1_Li8ELi32ELi64ELi256ELi4ELi4ELi64ELi64ELi4ELc84ELc84ELb1ELb1ELb1EDF16_KPKDF16_KPDF16_EEviiiT16_PT17_ilS9_ilS7_S9_ilPT18_ili26rocblas_geam_ex_operation_, .Lfunc_end229-_ZN12_GLOBAL__N_120geam_min_plus_kernelIDF16_Dv2_DF16_S1_Li8ELi32ELi64ELi256ELi4ELi4ELi64ELi64ELi4ELc84ELc84ELb1ELb1ELb1EDF16_KPKDF16_KPDF16_EEviiiT16_PT17_ilS9_ilS7_S9_ilPT18_ili26rocblas_geam_ex_operation_
                                        ; -- End function
	.set _ZN12_GLOBAL__N_120geam_min_plus_kernelIDF16_Dv2_DF16_S1_Li8ELi32ELi64ELi256ELi4ELi4ELi64ELi64ELi4ELc84ELc84ELb1ELb1ELb1EDF16_KPKDF16_KPDF16_EEviiiT16_PT17_ilS9_ilS7_S9_ilPT18_ili26rocblas_geam_ex_operation_.num_vgpr, 148
	.set _ZN12_GLOBAL__N_120geam_min_plus_kernelIDF16_Dv2_DF16_S1_Li8ELi32ELi64ELi256ELi4ELi4ELi64ELi64ELi4ELc84ELc84ELb1ELb1ELb1EDF16_KPKDF16_KPDF16_EEviiiT16_PT17_ilS9_ilS7_S9_ilPT18_ili26rocblas_geam_ex_operation_.num_agpr, 0
	.set _ZN12_GLOBAL__N_120geam_min_plus_kernelIDF16_Dv2_DF16_S1_Li8ELi32ELi64ELi256ELi4ELi4ELi64ELi64ELi4ELc84ELc84ELb1ELb1ELb1EDF16_KPKDF16_KPDF16_EEviiiT16_PT17_ilS9_ilS7_S9_ilPT18_ili26rocblas_geam_ex_operation_.numbered_sgpr, 40
	.set _ZN12_GLOBAL__N_120geam_min_plus_kernelIDF16_Dv2_DF16_S1_Li8ELi32ELi64ELi256ELi4ELi4ELi64ELi64ELi4ELc84ELc84ELb1ELb1ELb1EDF16_KPKDF16_KPDF16_EEviiiT16_PT17_ilS9_ilS7_S9_ilPT18_ili26rocblas_geam_ex_operation_.num_named_barrier, 0
	.set _ZN12_GLOBAL__N_120geam_min_plus_kernelIDF16_Dv2_DF16_S1_Li8ELi32ELi64ELi256ELi4ELi4ELi64ELi64ELi4ELc84ELc84ELb1ELb1ELb1EDF16_KPKDF16_KPDF16_EEviiiT16_PT17_ilS9_ilS7_S9_ilPT18_ili26rocblas_geam_ex_operation_.private_seg_size, 0
	.set _ZN12_GLOBAL__N_120geam_min_plus_kernelIDF16_Dv2_DF16_S1_Li8ELi32ELi64ELi256ELi4ELi4ELi64ELi64ELi4ELc84ELc84ELb1ELb1ELb1EDF16_KPKDF16_KPDF16_EEviiiT16_PT17_ilS9_ilS7_S9_ilPT18_ili26rocblas_geam_ex_operation_.uses_vcc, 1
	.set _ZN12_GLOBAL__N_120geam_min_plus_kernelIDF16_Dv2_DF16_S1_Li8ELi32ELi64ELi256ELi4ELi4ELi64ELi64ELi4ELc84ELc84ELb1ELb1ELb1EDF16_KPKDF16_KPDF16_EEviiiT16_PT17_ilS9_ilS7_S9_ilPT18_ili26rocblas_geam_ex_operation_.uses_flat_scratch, 0
	.set _ZN12_GLOBAL__N_120geam_min_plus_kernelIDF16_Dv2_DF16_S1_Li8ELi32ELi64ELi256ELi4ELi4ELi64ELi64ELi4ELc84ELc84ELb1ELb1ELb1EDF16_KPKDF16_KPDF16_EEviiiT16_PT17_ilS9_ilS7_S9_ilPT18_ili26rocblas_geam_ex_operation_.has_dyn_sized_stack, 0
	.set _ZN12_GLOBAL__N_120geam_min_plus_kernelIDF16_Dv2_DF16_S1_Li8ELi32ELi64ELi256ELi4ELi4ELi64ELi64ELi4ELc84ELc84ELb1ELb1ELb1EDF16_KPKDF16_KPDF16_EEviiiT16_PT17_ilS9_ilS7_S9_ilPT18_ili26rocblas_geam_ex_operation_.has_recursion, 0
	.set _ZN12_GLOBAL__N_120geam_min_plus_kernelIDF16_Dv2_DF16_S1_Li8ELi32ELi64ELi256ELi4ELi4ELi64ELi64ELi4ELc84ELc84ELb1ELb1ELb1EDF16_KPKDF16_KPDF16_EEviiiT16_PT17_ilS9_ilS7_S9_ilPT18_ili26rocblas_geam_ex_operation_.has_indirect_call, 0
	.section	.AMDGPU.csdata,"",@progbits
; Kernel info:
; codeLenInByte = 20280
; TotalNumSgprs: 46
; NumVgprs: 148
; NumAgprs: 0
; TotalNumVgprs: 148
; ScratchSize: 0
; MemoryBound: 0
; FloatMode: 240
; IeeeMode: 1
; LDSByteSize: 5120 bytes/workgroup (compile time only)
; SGPRBlocks: 5
; VGPRBlocks: 18
; NumSGPRsForWavesPerEU: 46
; NumVGPRsForWavesPerEU: 148
; AccumOffset: 148
; Occupancy: 3
; WaveLimiterHint : 1
; COMPUTE_PGM_RSRC2:SCRATCH_EN: 0
; COMPUTE_PGM_RSRC2:USER_SGPR: 2
; COMPUTE_PGM_RSRC2:TRAP_HANDLER: 0
; COMPUTE_PGM_RSRC2:TGID_X_EN: 1
; COMPUTE_PGM_RSRC2:TGID_Y_EN: 0
; COMPUTE_PGM_RSRC2:TGID_Z_EN: 1
; COMPUTE_PGM_RSRC2:TIDIG_COMP_CNT: 1
; COMPUTE_PGM_RSRC3_GFX90A:ACCUM_OFFSET: 36
; COMPUTE_PGM_RSRC3_GFX90A:TG_SPLIT: 0
	.section	.text._ZN12_GLOBAL__N_120geam_min_plus_kernelIDF16_Dv2_DF16_S1_Li8ELi32ELi64ELi256ELi4ELi4ELi64ELi64ELi4ELc84ELc84ELb0ELb1ELb1EDF16_KPKDF16_KPDF16_EEviiiT16_PT17_ilS9_ilS7_S9_ilPT18_ili26rocblas_geam_ex_operation_,"axG",@progbits,_ZN12_GLOBAL__N_120geam_min_plus_kernelIDF16_Dv2_DF16_S1_Li8ELi32ELi64ELi256ELi4ELi4ELi64ELi64ELi4ELc84ELc84ELb0ELb1ELb1EDF16_KPKDF16_KPDF16_EEviiiT16_PT17_ilS9_ilS7_S9_ilPT18_ili26rocblas_geam_ex_operation_,comdat
	.globl	_ZN12_GLOBAL__N_120geam_min_plus_kernelIDF16_Dv2_DF16_S1_Li8ELi32ELi64ELi256ELi4ELi4ELi64ELi64ELi4ELc84ELc84ELb0ELb1ELb1EDF16_KPKDF16_KPDF16_EEviiiT16_PT17_ilS9_ilS7_S9_ilPT18_ili26rocblas_geam_ex_operation_ ; -- Begin function _ZN12_GLOBAL__N_120geam_min_plus_kernelIDF16_Dv2_DF16_S1_Li8ELi32ELi64ELi256ELi4ELi4ELi64ELi64ELi4ELc84ELc84ELb0ELb1ELb1EDF16_KPKDF16_KPDF16_EEviiiT16_PT17_ilS9_ilS7_S9_ilPT18_ili26rocblas_geam_ex_operation_
	.p2align	8
	.type	_ZN12_GLOBAL__N_120geam_min_plus_kernelIDF16_Dv2_DF16_S1_Li8ELi32ELi64ELi256ELi4ELi4ELi64ELi64ELi4ELc84ELc84ELb0ELb1ELb1EDF16_KPKDF16_KPDF16_EEviiiT16_PT17_ilS9_ilS7_S9_ilPT18_ili26rocblas_geam_ex_operation_,@function
_ZN12_GLOBAL__N_120geam_min_plus_kernelIDF16_Dv2_DF16_S1_Li8ELi32ELi64ELi256ELi4ELi4ELi64ELi64ELi4ELc84ELc84ELb0ELb1ELb1EDF16_KPKDF16_KPDF16_EEviiiT16_PT17_ilS9_ilS7_S9_ilPT18_ili26rocblas_geam_ex_operation_: ; @_ZN12_GLOBAL__N_120geam_min_plus_kernelIDF16_Dv2_DF16_S1_Li8ELi32ELi64ELi256ELi4ELi4ELi64ELi64ELi4ELc84ELc84ELb0ELb1ELb1EDF16_KPKDF16_KPDF16_EEviiiT16_PT17_ilS9_ilS7_S9_ilPT18_ili26rocblas_geam_ex_operation_
; %bb.0:
	s_load_dwordx4 s[20:23], s[0:1], 0x0
	s_load_dwordx4 s[4:7], s[0:1], 0x20
	s_mov_b32 s8, s3
	s_mov_b32 s9, 0
	s_waitcnt lgkmcnt(0)
	v_cmp_eq_f16_e64 s[10:11], s23, 0
	s_and_b64 vcc, exec, s[10:11]
	s_cbranch_vccnz .LBB230_3
; %bb.1:
	s_load_dwordx2 s[12:13], s[0:1], 0x10
	s_lshl_b64 s[14:15], s[8:9], 3
	s_waitcnt lgkmcnt(0)
	s_add_u32 s12, s12, s14
	s_addc_u32 s13, s13, s15
	s_load_dwordx2 s[12:13], s[12:13], 0x0
	s_lshl_b64 s[4:5], s[4:5], 1
	s_waitcnt lgkmcnt(0)
	s_add_u32 s28, s12, s4
	s_addc_u32 s29, s13, s5
	s_andn2_b64 vcc, exec, s[10:11]
	s_cbranch_vccnz .LBB230_4
.LBB230_2:
	s_mov_b32 s11, 0
	s_mov_b32 s10, s8
	s_mov_b64 s[24:25], 0
	s_mov_b64 s[16:17], 0
	s_cbranch_execz .LBB230_5
	s_branch .LBB230_6
.LBB230_3:
	s_mov_b64 s[28:29], 0
	s_andn2_b64 vcc, exec, s[10:11]
	s_cbranch_vccz .LBB230_2
.LBB230_4:
	s_mov_b64 s[10:11], s[8:9]
	s_mov_b64 s[24:25], 0
	;; [unrolled: 1-line block ×3, first 2 shown]
.LBB230_5:
	s_lshl_b64 s[8:9], s[8:9], 3
	s_add_u32 s6, s6, s8
	s_load_dwordx2 s[4:5], s[0:1], 0x38
	s_addc_u32 s7, s7, s9
	s_load_dwordx2 s[6:7], s[6:7], 0x0
	s_waitcnt lgkmcnt(0)
	s_lshl_b64 s[4:5], s[4:5], 1
	s_add_u32 s16, s6, s4
	s_addc_u32 s17, s7, s5
.LBB230_6:
	s_load_dword s30, s[0:1], 0x40
	s_load_dwordx4 s[4:7], s[0:1], 0x58
	s_waitcnt lgkmcnt(0)
	v_cmp_eq_f16_e64 s[8:9], s30, 0
	v_cmp_neq_f16_e64 s[14:15], s30, 0
	s_and_b64 vcc, exec, s[8:9]
	s_cbranch_vccnz .LBB230_8
; %bb.7:
	s_load_dwordx2 s[8:9], s[0:1], 0x48
	s_lshl_b64 s[12:13], s[10:11], 3
	s_waitcnt lgkmcnt(0)
	s_add_u32 s8, s8, s12
	s_addc_u32 s9, s9, s13
	s_load_dwordx2 s[8:9], s[8:9], 0x0
	s_lshl_b64 s[4:5], s[4:5], 1
	s_waitcnt lgkmcnt(0)
	s_add_u32 s24, s8, s4
	s_addc_u32 s25, s9, s5
.LBB230_8:
	s_lshl_b64 s[4:5], s[10:11], 3
	s_add_u32 s26, s6, s4
	s_addc_u32 s27, s7, s5
	s_add_i32 s3, s20, -1
	s_ashr_i32 s4, s3, 31
	s_lshr_b32 s4, s4, 26
	s_add_i32 s3, s3, s4
	s_ashr_i32 s3, s3, 6
	s_add_i32 s4, s3, 1
	v_cvt_f32_u32_e32 v1, s4
	s_not_b32 s3, s3
	v_and_b32_e32 v44, 0x3ff, v0
	v_bfe_u32 v45, v0, 10, 10
	v_rcp_iflag_f32_e32 v1, v1
	v_and_b32_e32 v46, 3, v0
	v_lshl_add_u32 v0, v45, 3, v44
	s_load_dword s37, s[0:1], 0x18
	v_mul_f32_e32 v1, 0x4f7ffffe, v1
	v_cvt_u32_f32_e32 v1, v1
	v_lshrrev_b32_e32 v2, 2, v0
	v_cmp_eq_f16_e64 s[18:19], s23, 0
                                        ; implicit-def: $vgpr3
	v_readfirstlane_b32 s5, v1
	s_mul_i32 s3, s3, s5
	s_mul_hi_u32 s3, s5, s3
	s_add_i32 s5, s5, s3
	s_mul_hi_u32 s3, s2, s5
	s_mul_i32 s5, s3, s4
	s_sub_i32 s5, s2, s5
	s_add_i32 s6, s3, 1
	s_sub_i32 s7, s5, s4
	s_cmp_ge_u32 s5, s4
	s_cselect_b32 s3, s6, s3
	s_cselect_b32 s5, s7, s5
	s_add_i32 s6, s3, 1
	s_cmp_ge_u32 s5, s4
	s_cselect_b32 s6, s6, s3
	s_mul_i32 s3, s6, s4
	s_sub_i32 s2, s2, s3
	s_lshl_b32 s31, s2, 6
	v_add_u32_e32 v28, s31, v2
	v_cmp_le_i32_e64 s[2:3], s22, v46
	v_cmp_le_i32_e32 vcc, s20, v28
	s_or_b64 s[2:3], s[2:3], vcc
	s_nor_b64 s[4:5], s[18:19], s[2:3]
                                        ; implicit-def: $sgpr7
	s_and_saveexec_b64 s[8:9], s[4:5]
	s_xor_b64 s[4:5], exec, s[8:9]
	s_cbranch_execz .LBB230_10
; %bb.9:
	s_add_i32 s7, s22, -1
	s_waitcnt lgkmcnt(0)
	v_mad_i64_i32 v[4:5], s[8:9], v28, s37, 0
	v_min_u32_e32 v1, s7, v46
	v_lshl_add_u64 v[4:5], v[4:5], 1, s[28:29]
	v_lshlrev_b32_e32 v6, 1, v1
	v_mov_b32_e32 v7, 0
	v_lshl_add_u64 v[4:5], v[4:5], 0, v[6:7]
	flat_load_ushort v1, v[4:5]
	s_waitcnt vmcnt(0) lgkmcnt(0)
	v_mul_f16_e32 v3, s23, v1
.LBB230_10:
	s_or_saveexec_b64 s[4:5], s[4:5]
	v_mov_b32_e32 v1, s7
	s_xor_b64 exec, exec, s[4:5]
; %bb.11:
	v_mov_b32_e32 v1, 0x7c00
	v_cndmask_b32_e64 v3, 0, v1, s[2:3]
	s_add_i32 s2, s22, -1
	v_mov_b32_e32 v1, s2
; %bb.12:
	s_or_b64 exec, exec, s[4:5]
	s_load_dword s34, s[0:1], 0x30
	v_lshrrev_b32_e32 v47, 6, v0
	v_and_b32_e32 v4, 63, v0
	s_lshl_b32 s33, s6, 8
	v_min_i32_e32 v0, v47, v1
	v_or_b32_e32 v32, s33, v4
	s_waitcnt lgkmcnt(0)
	v_mad_i64_i32 v[0:1], s[2:3], v0, s34, 0
	v_cmp_le_i32_e64 s[10:11], s22, v47
	v_cmp_le_i32_e64 s[2:3], s21, v32
	v_mov_b32_e32 v6, 0x7c00
	s_or_b64 s[4:5], s[2:3], s[10:11]
	v_lshl_add_u64 v[0:1], v[0:1], 1, s[16:17]
	v_cndmask_b32_e64 v5, 0, v6, s[4:5]
	s_nor_b64 s[6:7], s[18:19], s[4:5]
	v_ashrrev_i32_e32 v33, 31, v32
	s_and_saveexec_b64 s[4:5], s[6:7]
	s_cbranch_execz .LBB230_14
; %bb.13:
	v_lshl_add_u64 v[8:9], v[32:33], 1, v[0:1]
	flat_load_ushort v5, v[8:9]
	s_waitcnt vmcnt(0) lgkmcnt(0)
	v_mul_f16_e32 v5, s23, v5
.LBB230_14:
	s_or_b64 exec, exec, s[4:5]
	v_or_b32_e32 v7, 64, v32
	s_add_i32 s12, s21, -1
	v_cmp_le_i32_e64 s[4:5], s21, v7
	v_min_i32_e32 v34, s12, v7
	s_or_b64 s[6:7], s[4:5], s[10:11]
	v_cndmask_b32_e64 v6, 0, v6, s[6:7]
	s_nor_b64 s[8:9], s[6:7], s[18:19]
	v_ashrrev_i32_e32 v35, 31, v34
	s_and_saveexec_b64 s[6:7], s[8:9]
	s_cbranch_execz .LBB230_16
; %bb.15:
	v_lshl_add_u64 v[6:7], v[34:35], 1, v[0:1]
	flat_load_ushort v6, v[6:7]
	s_waitcnt vmcnt(0) lgkmcnt(0)
	v_mul_f16_e32 v6, s23, v6
.LBB230_16:
	s_or_b64 exec, exec, s[6:7]
	v_or_b32_e32 v7, 0x80, v32
	v_cmp_le_i32_e64 s[6:7], s21, v7
	v_min_i32_e32 v36, s12, v7
	v_mov_b32_e32 v8, 0x7c00
	s_or_b64 s[8:9], s[6:7], s[10:11]
	v_cndmask_b32_e64 v7, 0, v8, s[8:9]
	s_nor_b64 s[38:39], s[8:9], s[18:19]
	v_ashrrev_i32_e32 v37, 31, v36
	s_and_saveexec_b64 s[8:9], s[38:39]
	s_cbranch_execz .LBB230_18
; %bb.17:
	v_lshl_add_u64 v[10:11], v[36:37], 1, v[0:1]
	flat_load_ushort v7, v[10:11]
	s_waitcnt vmcnt(0) lgkmcnt(0)
	v_mul_f16_e32 v7, s23, v7
.LBB230_18:
	s_or_b64 exec, exec, s[8:9]
	v_or_b32_e32 v9, 0xc0, v32
	v_cmp_le_i32_e64 s[8:9], s21, v9
	v_min_i32_e32 v38, s12, v9
	s_or_b64 s[10:11], s[8:9], s[10:11]
	v_cndmask_b32_e64 v8, 0, v8, s[10:11]
	s_nor_b64 s[12:13], s[10:11], s[18:19]
	v_ashrrev_i32_e32 v39, 31, v38
	s_and_saveexec_b64 s[10:11], s[12:13]
	s_cbranch_execz .LBB230_20
; %bb.19:
	v_lshl_add_u64 v[0:1], v[38:39], 1, v[0:1]
	flat_load_ushort v0, v[0:1]
	s_waitcnt vmcnt(0) lgkmcnt(0)
	v_mul_f16_e32 v8, s23, v0
.LBB230_20:
	s_or_b64 exec, exec, s[10:11]
	v_or_b32_e32 v0, 4, v46
	v_cmp_le_i32_e64 s[10:11], s22, v0
	s_or_b64 s[10:11], s[10:11], vcc
	s_nor_b64 s[12:13], s[18:19], s[10:11]
                                        ; implicit-def: $vgpr29
                                        ; implicit-def: $sgpr35
	s_and_saveexec_b64 s[38:39], s[12:13]
	s_xor_b64 s[12:13], exec, s[38:39]
	s_cbranch_execz .LBB230_22
; %bb.21:
	s_add_i32 s35, s22, -1
	v_mad_i64_i32 v[10:11], s[38:39], v28, s37, 0
	v_min_u32_e32 v0, s35, v0
	v_lshl_add_u64 v[10:11], v[10:11], 1, s[28:29]
	v_lshlrev_b32_e32 v0, 1, v0
	v_mov_b32_e32 v1, 0
	v_lshl_add_u64 v[0:1], v[10:11], 0, v[0:1]
	flat_load_ushort v0, v[0:1]
	s_waitcnt vmcnt(0) lgkmcnt(0)
	v_mul_f16_e32 v29, s23, v0
.LBB230_22:
	s_or_saveexec_b64 s[12:13], s[12:13]
	v_mov_b32_e32 v0, s35
	s_xor_b64 exec, exec, s[12:13]
; %bb.23:
	v_mov_b32_e32 v0, 0x7c00
	v_cndmask_b32_e64 v29, 0, v0, s[10:11]
	s_add_i32 s10, s22, -1
	v_mov_b32_e32 v0, s10
; %bb.24:
	s_or_b64 exec, exec, s[12:13]
	v_add_u32_e32 v1, 4, v47
	v_min_i32_e32 v0, v1, v0
	v_cmp_le_i32_e64 s[10:11], s22, v1
	v_mad_i64_i32 v[0:1], s[12:13], v0, s34, 0
	v_mov_b32_e32 v9, 0x7c00
	s_or_b64 s[12:13], s[2:3], s[10:11]
	v_lshl_add_u64 v[0:1], v[0:1], 1, s[16:17]
	v_cndmask_b32_e64 v30, 0, v9, s[12:13]
	s_nor_b64 s[38:39], s[18:19], s[12:13]
	s_and_saveexec_b64 s[12:13], s[38:39]
	s_cbranch_execz .LBB230_26
; %bb.25:
	v_lshl_add_u64 v[10:11], v[32:33], 1, v[0:1]
	flat_load_ushort v10, v[10:11]
	s_waitcnt vmcnt(0) lgkmcnt(0)
	v_mul_f16_e32 v30, s23, v10
.LBB230_26:
	s_or_b64 exec, exec, s[12:13]
	s_or_b64 s[12:13], s[4:5], s[10:11]
	v_cndmask_b32_e64 v31, 0, v9, s[12:13]
	s_nor_b64 s[38:39], s[12:13], s[18:19]
	s_and_saveexec_b64 s[12:13], s[38:39]
	s_cbranch_execz .LBB230_28
; %bb.27:
	v_lshl_add_u64 v[10:11], v[34:35], 1, v[0:1]
	flat_load_ushort v9, v[10:11]
	s_waitcnt vmcnt(0) lgkmcnt(0)
	v_mul_f16_e32 v31, s23, v9
.LBB230_28:
	s_or_b64 exec, exec, s[12:13]
	v_mov_b32_e32 v9, 0x7c00
	s_or_b64 s[12:13], s[6:7], s[10:11]
	v_cndmask_b32_e64 v40, 0, v9, s[12:13]
	s_nor_b64 s[38:39], s[12:13], s[18:19]
	s_and_saveexec_b64 s[12:13], s[38:39]
	s_cbranch_execz .LBB230_30
; %bb.29:
	v_lshl_add_u64 v[10:11], v[36:37], 1, v[0:1]
	flat_load_ushort v10, v[10:11]
	s_waitcnt vmcnt(0) lgkmcnt(0)
	v_mul_f16_e32 v40, s23, v10
.LBB230_30:
	s_or_b64 exec, exec, s[12:13]
	s_or_b64 s[10:11], s[8:9], s[10:11]
	v_cndmask_b32_e64 v41, 0, v9, s[10:11]
	s_nor_b64 s[38:39], s[10:11], s[18:19]
	s_movk_i32 s12, 0x7c00
	s_and_saveexec_b64 s[10:11], s[38:39]
	s_cbranch_execz .LBB230_32
; %bb.31:
	v_lshl_add_u64 v[0:1], v[38:39], 1, v[0:1]
	flat_load_ushort v0, v[0:1]
	s_waitcnt vmcnt(0) lgkmcnt(0)
	v_mul_f16_e32 v41, s23, v0
.LBB230_32:
	s_or_b64 exec, exec, s[10:11]
	v_lshlrev_b32_e32 v0, 1, v46
	v_lshl_or_b32 v42, v2, 3, v0
	v_lshlrev_b32_e32 v0, 3, v4
	v_lshlrev_b32_e32 v49, 3, v44
	v_lshl_add_u32 v50, v47, 1, v0
	v_add_u32_e32 v51, 0x1000, v49
	s_load_dwordx2 s[26:27], s[26:27], 0x0
	ds_write_b16 v42, v3 offset:4096
	ds_write_b16 v50, v5
	ds_write_b16 v50, v6 offset:512
	ds_write_b16 v50, v7 offset:1024
	;; [unrolled: 1-line block ×3, first 2 shown]
	s_waitcnt lgkmcnt(0)
	s_barrier
	v_lshlrev_b32_e32 v48, 3, v45
	ds_read2_b64 v[16:19], v51 offset1:8
	ds_read2_b64 v[12:15], v51 offset0:16 offset1:24
	ds_read2_b64 v[4:7], v51 offset0:32 offset1:40
	ds_read2_b64 v[52:55], v48 offset1:32
	ds_read2_b64 v[0:3], v51 offset0:48 offset1:56
	ds_read2_b64 v[24:27], v48 offset0:64 offset1:96
	;; [unrolled: 1-line block ×4, first 2 shown]
	s_waitcnt lgkmcnt(4)
	v_pk_add_f16 v43, v16, v52
	v_pk_add_f16 v56, v18, v52
	;; [unrolled: 1-line block ×6, first 2 shown]
	s_waitcnt lgkmcnt(3)
	v_pk_add_f16 v61, v0, v52
	v_pk_add_f16 v52, v2, v52
	v_pk_add_f16 v62, v16, v54
	v_pk_add_f16 v63, v18, v54
	v_pk_add_f16 v64, v12, v54
	v_pk_add_f16 v65, v14, v54
	v_pk_add_f16 v66, v4, v54
	v_pk_add_f16 v67, v6, v54
	v_pk_add_f16 v68, v0, v54
	v_pk_add_f16 v54, v2, v54
	s_waitcnt lgkmcnt(2)
	v_pk_add_f16 v69, v16, v24
	v_pk_add_f16 v70, v18, v24
	v_pk_add_f16 v71, v12, v24
	v_pk_add_f16 v72, v14, v24
	v_pk_add_f16 v73, v4, v24
	v_pk_add_f16 v74, v6, v24
	v_pk_add_f16 v75, v0, v24
	v_pk_add_f16 v24, v2, v24
	v_pk_add_f16 v76, v16, v26
	v_pk_add_f16 v77, v18, v26
	v_pk_add_f16 v78, v12, v26
	v_pk_add_f16 v79, v14, v26
	v_pk_add_f16 v80, v4, v26
	v_pk_add_f16 v81, v6, v26
	v_pk_add_f16 v82, v0, v26
	v_pk_add_f16 v26, v2, v26
	s_waitcnt lgkmcnt(1)
	v_pk_add_f16 v83, v16, v20
	v_pk_add_f16 v103, v18, v20
	v_pk_add_f16 v117, v12, v20
	v_pk_add_f16 v118, v14, v20
	v_pk_add_f16 v119, v4, v20
	v_pk_add_f16 v120, v6, v20
	;; [unrolled: 17-line block ×3, first 2 shown]
	v_pk_add_f16 v135, v0, v8
	v_pk_add_f16 v8, v2, v8
	;; [unrolled: 1-line block ×11, first 2 shown]
	v_pk_min_f16 v10, v43, s12 op_sel_hi:[1,0]
	v_pk_min_f16 v8, v8, s12 op_sel_hi:[1,0]
	v_pk_min_f16 v116, v10, v2
	v_pk_add_f16 v2, v19, v53
	v_pk_min_f16 v10, v56, s12 op_sel_hi:[1,0]
	v_pk_min_f16 v4, v4, s12 op_sel_hi:[1,0]
	v_pk_min_f16 v115, v10, v2
	v_pk_add_f16 v2, v13, v53
	;; [unrolled: 4-line block ×3, first 2 shown]
	v_pk_min_f16 v10, v58, s12 op_sel_hi:[1,0]
	s_cmp_lt_i32 s22, 9
	v_pk_min_f16 v113, v10, v2
	v_pk_add_f16 v2, v5, v53
	v_pk_min_f16 v10, v59, s12 op_sel_hi:[1,0]
	ds_write_b16 v42, v29 offset:4608
	ds_write_b16 v50, v30 offset:2048
	;; [unrolled: 1-line block ×5, first 2 shown]
	v_pk_min_f16 v112, v10, v2
	v_pk_add_f16 v2, v7, v53
	v_pk_min_f16 v10, v60, s12 op_sel_hi:[1,0]
	s_waitcnt lgkmcnt(0)
	v_pk_min_f16 v111, v10, v2
	v_pk_add_f16 v2, v1, v53
	v_pk_min_f16 v10, v61, s12 op_sel_hi:[1,0]
	s_barrier
	v_pk_min_f16 v110, v10, v2
	v_pk_add_f16 v2, v3, v53
	v_pk_min_f16 v10, v52, s12 op_sel_hi:[1,0]
	s_nop 0
	v_pk_min_f16 v109, v10, v2
	v_pk_add_f16 v2, v17, v55
	v_pk_min_f16 v10, v62, s12 op_sel_hi:[1,0]
	s_nop 0
	;; [unrolled: 4-line block ×47, first 2 shown]
	v_pk_min_f16 v62, v10, v2
	v_pk_add_f16 v2, v1, v9
	v_pk_min_f16 v10, v135, s12 op_sel_hi:[1,0]
	v_pk_add_f16 v1, v1, v11
	v_pk_min_f16 v61, v10, v2
	v_pk_add_f16 v2, v3, v9
	s_nop 0
	v_pk_min_f16 v60, v8, v2
	v_pk_add_f16 v2, v17, v11
	v_pk_min_f16 v8, v16, s12 op_sel_hi:[1,0]
	s_nop 0
	v_pk_min_f16 v59, v8, v2
	v_pk_add_f16 v2, v19, v11
	v_pk_min_f16 v8, v18, s12 op_sel_hi:[1,0]
	;; [unrolled: 4-line block ×4, first 2 shown]
	s_nop 0
	v_pk_min_f16 v56, v8, v2
	v_pk_add_f16 v2, v5, v11
	s_nop 0
	v_pk_min_f16 v54, v4, v2
	v_pk_add_f16 v2, v7, v11
	v_pk_min_f16 v4, v6, s12 op_sel_hi:[1,0]
	s_nop 0
	v_pk_min_f16 v53, v4, v2
	v_pk_min_f16 v2, v136, s12 op_sel_hi:[1,0]
	s_nop 0
	v_pk_min_f16 v52, v2, v1
	v_pk_add_f16 v1, v3, v11
	s_nop 0
	v_pk_min_f16 v55, v0, v1
	s_cbranch_scc1 .LBB230_59
; %bb.33:
	v_mov_b32_e32 v0, 0x1200
	v_lshl_add_u32 v119, v44, 3, v0
	v_mov_b32_e32 v0, 0x800
	v_and_b32_e32 v2, 3, v44
	v_lshl_add_u32 v120, v45, 3, v0
	v_mad_i64_i32 v[0:1], s[10:11], s37, v28, 0
	v_lshlrev_b32_e32 v2, 1, v2
	v_mov_b32_e32 v3, 0
	v_lshl_add_u64 v[0:1], v[0:1], 1, v[2:3]
	v_lshl_add_u64 v[0:1], s[28:29], 0, v[0:1]
	v_add_u32_e32 v103, 0x1000, v42
	v_add_u32_e32 v117, 0x1200, v42
	;; [unrolled: 1-line block ×3, first 2 shown]
	s_add_i32 s35, s22, -8
	s_add_i32 s36, s22, -1
	v_lshl_add_u64 v[40:41], v[0:1], 0, 24
	s_mov_b32 s37, 0
	v_mov_b32_e32 v121, 0x7c00
	s_branch .LBB230_35
.LBB230_34:                             ;   in Loop: Header=BB230_35 Depth=1
	s_or_b64 exec, exec, s[10:11]
	v_pk_add_f16 v42, v16, v28
	v_pk_max_f16 v43, v116, v116
	v_pk_max_f16 v115, v115, v115
	v_pk_min_f16 v42, v43, v42
	v_pk_add_f16 v43, v18, v28
	v_pk_max_f16 v114, v114, v114
	v_pk_min_f16 v43, v115, v43
	v_pk_add_f16 v115, v12, v28
	v_pk_max_f16 v113, v113, v113
	v_pk_min_f16 v114, v114, v115
	v_pk_add_f16 v115, v14, v28
	v_pk_max_f16 v112, v112, v112
	v_pk_min_f16 v113, v113, v115
	v_pk_add_f16 v115, v4, v28
	v_pk_max_f16 v111, v111, v111
	v_pk_min_f16 v112, v112, v115
	v_pk_add_f16 v115, v6, v28
	v_pk_max_f16 v109, v109, v109
	v_pk_min_f16 v111, v111, v115
	v_pk_add_f16 v115, v0, v28
	v_pk_add_f16 v28, v2, v28
	v_pk_max_f16 v108, v108, v108
	v_pk_min_f16 v28, v109, v28
	v_pk_add_f16 v109, v16, v30
	v_pk_max_f16 v107, v107, v107
	v_pk_min_f16 v108, v108, v109
	v_pk_add_f16 v109, v18, v30
	v_pk_max_f16 v105, v105, v105
	v_pk_min_f16 v107, v107, v109
	v_pk_add_f16 v109, v12, v30
	v_pk_max_f16 v102, v102, v102
	v_pk_min_f16 v105, v105, v109
	v_pk_add_f16 v109, v14, v30
	v_pk_max_f16 v100, v100, v100
	v_pk_min_f16 v102, v102, v109
	v_pk_add_f16 v109, v4, v30
	v_pk_max_f16 v98, v98, v98
	v_pk_min_f16 v100, v100, v109
	v_pk_add_f16 v109, v6, v30
	v_pk_max_f16 v94, v94, v94
	v_pk_min_f16 v98, v98, v109
	v_pk_add_f16 v109, v0, v30
	v_pk_add_f16 v30, v2, v30
	v_pk_max_f16 v92, v92, v92
	v_pk_min_f16 v30, v94, v30
	v_pk_add_f16 v94, v16, v24
	;; [unrolled: 22-line block ×4, first 2 shown]
	v_pk_max_f16 v82, v82, v82
	v_pk_min_f16 v83, v83, v84
	v_pk_add_f16 v84, v18, v20
	v_pk_max_f16 v81, v81, v81
	v_pk_min_f16 v82, v82, v84
	v_pk_add_f16 v84, v12, v20
	;; [unrolled: 3-line block ×3, first 2 shown]
	v_pk_max_f16 v80, v80, v80
	v_pk_max_f16 v99, v99, v99
	v_pk_min_f16 v85, v85, v97
	v_pk_min_f16 v97, v80, v81
	v_pk_add_f16 v80, v4, v20
	v_pk_max_f16 v79, v79, v79
	v_pk_max_f16 v96, v96, v96
	v_pk_min_f16 v99, v99, v106
	v_pk_min_f16 v106, v79, v80
	v_pk_add_f16 v79, v6, v20
	v_pk_max_f16 v78, v78, v78
	v_pk_min_f16 v96, v96, v109
	v_pk_min_f16 v109, v78, v79
	v_pk_add_f16 v78, v0, v20
	v_pk_add_f16 v20, v2, v20
	v_pk_max_f16 v76, v76, v76
	v_pk_max_f16 v75, v75, v75
	v_pk_min_f16 v20, v76, v20
	v_pk_add_f16 v76, v16, v22
	v_pk_max_f16 v74, v74, v74
	v_pk_min_f16 v116, v75, v76
	v_pk_add_f16 v75, v18, v22
	v_pk_max_f16 v73, v73, v73
	v_pk_min_f16 v127, v74, v75
	v_pk_add_f16 v74, v12, v22
	v_pk_max_f16 v72, v72, v72
	v_pk_min_f16 v128, v73, v74
	v_pk_add_f16 v73, v14, v22
	v_pk_max_f16 v71, v71, v71
	v_pk_min_f16 v129, v72, v73
	v_pk_add_f16 v72, v4, v22
	v_pk_max_f16 v70, v70, v70
	v_pk_min_f16 v130, v71, v72
	v_pk_add_f16 v71, v6, v22
	v_pk_max_f16 v68, v68, v68
	v_pk_min_f16 v131, v70, v71
	v_pk_add_f16 v70, v0, v22
	v_pk_add_f16 v22, v2, v22
	v_pk_max_f16 v67, v67, v67
	v_pk_min_f16 v22, v68, v22
	v_pk_add_f16 v68, v16, v8
	v_pk_max_f16 v66, v66, v66
	v_pk_min_f16 v133, v67, v68
	;; [unrolled: 3-line block ×6, first 2 shown]
	v_pk_add_f16 v63, v6, v8
	v_pk_add_f16 v16, v16, v10
	v_pk_min_f16 v138, v62, v63
	v_pk_add_f16 v62, v0, v8
	v_pk_add_f16 v8, v2, v8
	;; [unrolled: 1-line block ×9, first 2 shown]
	v_pk_max_f16 v10, v55, v55
	v_pk_max_f16 v110, v110, v110
	v_pk_min_f16 v2, v10, v2
	v_pk_add_f16 v10, v17, v29
	v_pk_min_f16 v110, v110, v115
	v_pk_min_f16 v140, v42, v10
	v_pk_add_f16 v10, v19, v29
	v_pk_max_f16 v77, v77, v77
	v_pk_min_f16 v141, v43, v10
	v_pk_add_f16 v10, v13, v29
	v_pk_min_f16 v115, v77, v78
	v_pk_min_f16 v114, v114, v10
	v_pk_add_f16 v10, v15, v29
	;; [unrolled: 6-line block ×12, first 2 shown]
	v_pk_max_f16 v81, v81, v81
	v_pk_min_f16 v78, v24, v10
	v_pk_add_f16 v10, v17, v27
	v_pk_max_f16 v80, v80, v80
	v_pk_min_f16 v77, v95, v10
	v_pk_add_f16 v10, v19, v27
	;; [unrolled: 3-line block ×18, first 2 shown]
	s_add_i32 s37, s37, 8
	v_pk_min_f16 v60, v127, v10
	v_pk_add_f16 v10, v13, v23
	s_cmp_ge_i32 s37, s35
	v_pk_min_f16 v59, v128, v10
	v_pk_add_f16 v10, v15, v23
	v_lshl_add_u64 v[40:41], v[40:41], 0, 16
	v_pk_min_f16 v58, v129, v10
	v_pk_add_f16 v10, v5, v23
	s_nop 0
	v_pk_min_f16 v57, v130, v10
	v_pk_add_f16 v10, v7, v23
	s_nop 0
	;; [unrolled: 3-line block ×8, first 2 shown]
	v_pk_min_f16 v28, v136, v10
	v_pk_add_f16 v10, v5, v9
	v_pk_add_f16 v5, v5, v11
	v_pk_min_f16 v27, v137, v10
	v_pk_add_f16 v10, v7, v9
	v_pk_min_f16 v128, v4, v5
	v_pk_min_f16 v26, v138, v10
	v_pk_add_f16 v10, v1, v9
	v_pk_add_f16 v9, v3, v9
	;; [unrolled: 1-line block ×3, first 2 shown]
	v_pk_min_f16 v24, v8, v9
	v_pk_add_f16 v8, v17, v11
	v_pk_add_f16 v4, v7, v11
	v_pk_min_f16 v42, v16, v8
	v_pk_add_f16 v8, v19, v11
	v_pk_min_f16 v130, v0, v1
	v_pk_min_f16 v31, v18, v8
	v_pk_add_f16 v8, v13, v11
	v_pk_add_f16 v0, v3, v11
	v_pk_min_f16 v55, v12, v8
	v_pk_add_f16 v8, v15, v11
	v_pk_min_f16 v25, v139, v10
	v_pk_min_f16 v54, v14, v8
	;; [unrolled: 1-line block ×4, first 2 shown]
	ds_read2_b64 v[12:15], v51 offset1:8
	ds_read2_b64 v[4:7], v51 offset0:16 offset1:24
	ds_read2_b64 v[82:85], v48 offset1:32
	ds_read2_b64 v[8:11], v51 offset0:32 offset1:40
	ds_read2_b64 v[0:3], v51 offset0:48 offset1:56
	;; [unrolled: 1-line block ×4, first 2 shown]
	s_waitcnt lgkmcnt(4)
	v_pk_add_f16 v86, v12, v82
	v_pk_add_f16 v87, v14, v82
	v_pk_min_f16 v86, v109, v86
	v_pk_add_f16 v109, v13, v83
	v_pk_add_f16 v89, v4, v82
	v_pk_min_f16 v116, v86, v109
	v_pk_max_f16 v109, v141, v141
	v_pk_add_f16 v91, v6, v82
	v_pk_min_f16 v87, v109, v87
	v_pk_add_f16 v109, v15, v83
	s_waitcnt lgkmcnt(3)
	v_pk_add_f16 v93, v8, v82
	v_pk_min_f16 v115, v87, v109
	v_pk_max_f16 v109, v114, v114
	v_pk_add_f16 v94, v10, v82
	v_pk_min_f16 v89, v109, v89
	v_pk_add_f16 v109, v5, v83
	s_waitcnt lgkmcnt(2)
	v_pk_add_f16 v95, v0, v82
	v_pk_add_f16 v97, v2, v82
	s_waitcnt lgkmcnt(1)
	v_pk_add_f16 v134, v12, v20
	v_pk_add_f16 v135, v14, v20
	;; [unrolled: 1-line block ×7, first 2 shown]
	v_pk_min_f16 v114, v89, v109
	v_pk_add_f16 v89, v2, v20
	v_pk_max_f16 v20, v113, v113
	v_pk_add_f16 v99, v12, v84
	v_pk_min_f16 v20, v20, v91
	v_pk_add_f16 v91, v7, v83
	v_pk_add_f16 v101, v14, v84
	v_pk_min_f16 v113, v20, v91
	v_pk_max_f16 v20, v112, v112
	v_pk_add_f16 v104, v4, v84
	v_pk_min_f16 v20, v20, v93
	v_pk_add_f16 v93, v9, v83
	v_pk_add_f16 v106, v6, v84
	v_pk_min_f16 v112, v20, v93
	v_pk_max_f16 v20, v111, v111
	v_pk_add_f16 v91, v12, v22
	v_pk_min_f16 v20, v20, v94
	v_pk_add_f16 v94, v11, v83
	v_pk_add_f16 v93, v14, v22
	v_pk_min_f16 v111, v20, v94
	v_pk_max_f16 v20, v110, v110
	v_pk_add_f16 v94, v1, v83
	v_pk_min_f16 v20, v20, v95
	v_pk_add_f16 v83, v3, v83
	v_pk_min_f16 v110, v20, v94
	v_pk_max_f16 v20, v142, v142
	v_pk_add_f16 v94, v13, v85
	v_pk_min_f16 v20, v20, v97
	v_pk_add_f16 v138, v4, v22
	v_pk_min_f16 v109, v20, v83
	;; [unrolled: 5-line block ×5, first 2 shown]
	v_pk_max_f16 v20, v102, v102
	v_pk_add_f16 v142, v2, v22
	v_pk_min_f16 v20, v20, v106
	v_pk_add_f16 v22, v7, v85
	v_pk_add_f16 v131, v8, v84
	v_pk_min_f16 v102, v20, v22
	v_pk_max_f16 v22, v100, v100
	v_pk_add_f16 v20, v9, v85
	v_pk_min_f16 v22, v22, v131
	v_pk_add_f16 v132, v10, v84
	v_pk_min_f16 v100, v22, v20
	v_pk_max_f16 v22, v98, v98
	v_pk_add_f16 v20, v11, v85
	v_pk_min_f16 v22, v22, v132
	;; [unrolled: 5-line block ×5, first 2 shown]
	v_pk_min_f16 v68, v68, v142
	v_pk_min_f16 v92, v22, v20
	v_pk_max_f16 v22, v90, v90
	v_pk_add_f16 v20, v15, v21
	v_pk_min_f16 v22, v22, v135
	v_pk_add_f16 v143, v1, v23
	v_pk_min_f16 v90, v22, v20
	v_pk_max_f16 v22, v88, v88
	v_pk_add_f16 v20, v5, v21
	v_pk_min_f16 v22, v22, v136
	s_waitcnt lgkmcnt(0)
	v_pk_add_f16 v145, v12, v16
	v_pk_min_f16 v88, v22, v20
	v_pk_max_f16 v20, v144, v144
	v_pk_add_f16 v144, v3, v23
	v_pk_min_f16 v85, v20, v137
	v_pk_min_f16 v70, v70, v141
	;; [unrolled: 1-line block ×4, first 2 shown]
	v_pk_max_f16 v68, v71, v71
	v_pk_min_f16 v85, v70, v143
	v_pk_min_f16 v68, v68, v145
	v_pk_add_f16 v70, v13, v17
	v_pk_add_f16 v95, v9, v21
	;; [unrolled: 1-line block ×11, first 2 shown]
	ds_read2_b64 v[20:23], v48 offset0:192 offset1:224
	v_pk_min_f16 v81, v81, v82
	v_pk_add_f16 v82, v14, v16
	v_pk_min_f16 v73, v73, v83
	v_pk_min_f16 v83, v68, v70
	v_pk_max_f16 v68, v69, v69
	v_pk_min_f16 v104, v81, v95
	v_pk_add_f16 v81, v4, v16
	v_pk_min_f16 v68, v68, v82
	v_pk_add_f16 v69, v15, v17
	v_pk_add_f16 v146, v6, v16
	v_pk_min_f16 v82, v68, v69
	v_pk_min_f16 v67, v67, v81
	v_pk_add_f16 v68, v5, v17
	v_pk_min_f16 v80, v80, v86
	v_pk_add_f16 v147, v8, v16
	v_pk_min_f16 v81, v67, v68
	v_pk_min_f16 v66, v66, v146
	v_pk_add_f16 v67, v7, v17
	v_pk_min_f16 v101, v80, v97
	;; [unrolled: 3-line block ×3, first 2 shown]
	v_pk_min_f16 v77, v77, v91
	v_pk_min_f16 v76, v76, v93
	;; [unrolled: 1-line block ×7, first 2 shown]
	v_pk_add_f16 v66, v9, v17
	v_pk_min_f16 v99, v79, v99
	v_pk_add_f16 v149, v0, v16
	v_pk_add_f16 v16, v2, v16
	v_pk_min_f16 v97, v78, v131
	v_pk_add_f16 v131, v12, v18
	v_pk_add_f16 v150, v14, v18
	v_pk_min_f16 v95, v77, v132
	v_pk_add_f16 v132, v4, v18
	v_pk_add_f16 v151, v6, v18
	v_pk_min_f16 v93, v76, v133
	v_pk_add_f16 v133, v8, v18
	v_pk_add_f16 v138, v10, v18
	v_pk_min_f16 v91, v75, v134
	v_pk_add_f16 v134, v0, v18
	v_pk_add_f16 v18, v2, v18
	v_pk_min_f16 v89, v74, v135
	s_waitcnt lgkmcnt(0)
	v_pk_add_f16 v135, v12, v20
	v_pk_add_f16 v139, v14, v20
	v_pk_min_f16 v87, v73, v136
	v_pk_add_f16 v136, v4, v20
	v_pk_add_f16 v140, v6, v20
	v_pk_min_f16 v86, v72, v137
	v_pk_add_f16 v137, v8, v20
	v_pk_add_f16 v141, v10, v20
	;; [unrolled: 1-line block ×9, first 2 shown]
	v_pk_min_f16 v79, v65, v66
	v_pk_add_f16 v10, v10, v22
	v_pk_min_f16 v64, v64, v148
	v_pk_add_f16 v65, v11, v17
	v_pk_add_f16 v0, v0, v22
	;; [unrolled: 1-line block ×3, first 2 shown]
	v_pk_max_f16 v22, v62, v62
	v_pk_min_f16 v78, v64, v65
	v_pk_add_f16 v64, v1, v17
	v_pk_min_f16 v16, v22, v16
	v_pk_add_f16 v17, v3, v17
	v_pk_min_f16 v63, v63, v149
	v_pk_min_f16 v76, v16, v17
	v_pk_max_f16 v17, v61, v61
	v_pk_add_f16 v16, v13, v19
	v_pk_min_f16 v17, v17, v131
	v_pk_min_f16 v77, v63, v64
	;; [unrolled: 1-line block ×3, first 2 shown]
	v_pk_max_f16 v17, v60, v60
	v_pk_add_f16 v16, v15, v19
	v_pk_min_f16 v17, v17, v150
	ds_write_b16 v117, v122
	ds_write_b16 v118, v123
	ds_write_b16 v118, v124 offset:512
	ds_write_b16 v118, v125 offset:1024
	;; [unrolled: 1-line block ×3, first 2 shown]
	v_pk_min_f16 v74, v17, v16
	v_pk_max_f16 v17, v59, v59
	v_pk_add_f16 v16, v5, v19
	v_pk_min_f16 v17, v17, v132
	s_waitcnt lgkmcnt(0)
	v_pk_min_f16 v73, v17, v16
	v_pk_max_f16 v17, v58, v58
	v_pk_add_f16 v16, v7, v19
	v_pk_min_f16 v17, v17, v151
	s_barrier
	v_pk_min_f16 v72, v17, v16
	v_pk_max_f16 v17, v57, v57
	v_pk_add_f16 v16, v9, v19
	v_pk_min_f16 v17, v17, v133
	s_nop 0
	v_pk_min_f16 v71, v17, v16
	v_pk_max_f16 v17, v56, v56
	v_pk_add_f16 v16, v11, v19
	v_pk_min_f16 v17, v17, v138
	s_nop 0
	;; [unrolled: 5-line block ×4, first 2 shown]
	v_pk_min_f16 v68, v17, v16
	v_pk_max_f16 v17, v53, v53
	v_pk_add_f16 v16, v13, v21
	v_pk_min_f16 v17, v17, v135
	v_pk_add_f16 v13, v13, v23
	v_pk_min_f16 v67, v17, v16
	v_pk_max_f16 v17, v52, v52
	v_pk_add_f16 v16, v15, v21
	v_pk_min_f16 v17, v17, v139
	s_nop 0
	v_pk_min_f16 v66, v17, v16
	v_pk_max_f16 v17, v30, v30
	v_pk_add_f16 v16, v5, v21
	v_pk_min_f16 v17, v17, v136
	v_pk_add_f16 v5, v5, v23
	v_pk_min_f16 v65, v17, v16
	v_pk_max_f16 v17, v28, v28
	v_pk_add_f16 v16, v7, v21
	v_pk_min_f16 v17, v17, v140
	s_nop 0
	v_pk_min_f16 v64, v17, v16
	v_pk_max_f16 v17, v27, v27
	v_pk_add_f16 v16, v9, v21
	v_pk_min_f16 v17, v17, v137
	s_nop 0
	;; [unrolled: 5-line block ×3, first 2 shown]
	v_pk_min_f16 v62, v17, v16
	v_pk_max_f16 v17, v25, v25
	v_pk_add_f16 v16, v1, v21
	v_pk_min_f16 v17, v17, v143
	v_pk_add_f16 v1, v1, v23
	v_pk_min_f16 v61, v17, v16
	v_pk_max_f16 v17, v24, v24
	v_pk_add_f16 v16, v3, v21
	v_pk_min_f16 v17, v17, v20
	s_nop 0
	v_pk_min_f16 v60, v17, v16
	v_pk_max_f16 v16, v42, v42
	s_nop 0
	v_pk_min_f16 v12, v16, v12
	s_nop 0
	v_pk_min_f16 v59, v12, v13
	v_pk_max_f16 v13, v31, v31
	v_pk_add_f16 v12, v15, v23
	v_pk_min_f16 v13, v13, v14
	s_nop 0
	v_pk_min_f16 v58, v13, v12
	v_pk_max_f16 v12, v55, v55
	s_nop 0
	v_pk_min_f16 v4, v12, v4
	s_nop 0
	v_pk_min_f16 v57, v4, v5
	v_pk_max_f16 v5, v54, v54
	v_pk_add_f16 v4, v7, v23
	v_pk_min_f16 v5, v5, v6
	s_nop 0
	v_pk_min_f16 v56, v5, v4
	v_pk_max_f16 v5, v128, v128
	v_pk_add_f16 v4, v9, v23
	;; [unrolled: 5-line block ×3, first 2 shown]
	v_pk_min_f16 v5, v5, v10
	s_nop 0
	v_pk_min_f16 v53, v5, v4
	v_pk_max_f16 v4, v130, v130
	s_nop 0
	v_pk_min_f16 v0, v4, v0
	s_nop 0
	v_pk_min_f16 v52, v0, v1
	v_pk_max_f16 v1, v129, v129
	v_pk_add_f16 v0, v3, v23
	v_pk_min_f16 v1, v1, v2
	s_nop 0
	v_pk_min_f16 v55, v1, v0
	s_cbranch_scc1 .LBB230_59
.LBB230_35:                             ; =>This Inner Loop Header: Depth=1
	v_add_u32_e32 v42, s37, v46
	v_add_u32_e32 v0, 8, v42
	v_cmp_le_i32_e64 s[10:11], s22, v0
	s_or_b64 s[10:11], s[10:11], vcc
	s_nor_b64 s[12:13], s[18:19], s[10:11]
                                        ; implicit-def: $vgpr122
	s_and_saveexec_b64 s[28:29], s[12:13]
	s_xor_b64 s[28:29], exec, s[28:29]
	s_cbranch_execz .LBB230_37
; %bb.36:                               ;   in Loop: Header=BB230_35 Depth=1
	v_add_co_u32_e64 v0, s[12:13], -8, v40
	s_nop 1
	v_addc_co_u32_e64 v1, s[12:13], -1, v41, s[12:13]
	flat_load_ushort v0, v[0:1]
	s_waitcnt vmcnt(0) lgkmcnt(0)
	v_mul_f16_e32 v122, s23, v0
.LBB230_37:                             ;   in Loop: Header=BB230_35 Depth=1
	s_andn2_saveexec_b64 s[12:13], s[28:29]
; %bb.38:                               ;   in Loop: Header=BB230_35 Depth=1
	v_cndmask_b32_e64 v122, 0, v121, s[10:11]
; %bb.39:                               ;   in Loop: Header=BB230_35 Depth=1
	s_or_b64 exec, exec, s[12:13]
	v_add_u32_e32 v43, s37, v47
	v_add_u32_e32 v0, 8, v43
	v_cmp_le_i32_e64 s[10:11], s22, v0
	v_min_i32_e32 v0, s36, v0
	v_mad_i64_i32 v[0:1], s[12:13], v0, s34, 0
	s_or_b64 s[12:13], s[2:3], s[10:11]
	v_lshl_add_u64 v[0:1], v[0:1], 1, s[16:17]
	v_cndmask_b32_e64 v123, 0, v121, s[12:13]
	s_nor_b64 s[28:29], s[18:19], s[12:13]
	s_and_saveexec_b64 s[12:13], s[28:29]
	s_cbranch_execz .LBB230_41
; %bb.40:                               ;   in Loop: Header=BB230_35 Depth=1
	v_lshl_add_u64 v[2:3], v[32:33], 1, v[0:1]
	flat_load_ushort v2, v[2:3]
	s_waitcnt vmcnt(0) lgkmcnt(0)
	v_mul_f16_e32 v123, s23, v2
.LBB230_41:                             ;   in Loop: Header=BB230_35 Depth=1
	s_or_b64 exec, exec, s[12:13]
	s_or_b64 s[12:13], s[4:5], s[10:11]
	v_cndmask_b32_e64 v124, 0, v121, s[12:13]
	s_nor_b64 s[28:29], s[12:13], s[18:19]
	s_and_saveexec_b64 s[12:13], s[28:29]
	s_cbranch_execz .LBB230_43
; %bb.42:                               ;   in Loop: Header=BB230_35 Depth=1
	v_lshl_add_u64 v[2:3], v[34:35], 1, v[0:1]
	flat_load_ushort v2, v[2:3]
	s_waitcnt vmcnt(0) lgkmcnt(0)
	v_mul_f16_e32 v124, s23, v2
.LBB230_43:                             ;   in Loop: Header=BB230_35 Depth=1
	s_or_b64 exec, exec, s[12:13]
	s_or_b64 s[12:13], s[6:7], s[10:11]
	v_cndmask_b32_e64 v125, 0, v121, s[12:13]
	s_nor_b64 s[28:29], s[12:13], s[18:19]
	s_and_saveexec_b64 s[12:13], s[28:29]
	s_cbranch_execz .LBB230_45
; %bb.44:                               ;   in Loop: Header=BB230_35 Depth=1
	v_lshl_add_u64 v[2:3], v[36:37], 1, v[0:1]
	flat_load_ushort v2, v[2:3]
	s_waitcnt vmcnt(0) lgkmcnt(0)
	v_mul_f16_e32 v125, s23, v2
.LBB230_45:                             ;   in Loop: Header=BB230_35 Depth=1
	s_or_b64 exec, exec, s[12:13]
	s_or_b64 s[10:11], s[8:9], s[10:11]
	v_cndmask_b32_e64 v126, 0, v121, s[10:11]
	s_nor_b64 s[12:13], s[10:11], s[18:19]
	s_and_saveexec_b64 s[10:11], s[12:13]
	s_cbranch_execz .LBB230_47
; %bb.46:                               ;   in Loop: Header=BB230_35 Depth=1
	v_lshl_add_u64 v[0:1], v[38:39], 1, v[0:1]
	flat_load_ushort v0, v[0:1]
	s_waitcnt vmcnt(0) lgkmcnt(0)
	v_mul_f16_e32 v126, s23, v0
.LBB230_47:                             ;   in Loop: Header=BB230_35 Depth=1
	s_or_b64 exec, exec, s[10:11]
	ds_read2_b64 v[16:19], v119 offset1:8
	ds_read2_b64 v[12:15], v119 offset0:16 offset1:24
	ds_read2_b64 v[4:7], v119 offset0:32 offset1:40
	;; [unrolled: 1-line block ×3, first 2 shown]
	ds_read2_b64 v[28:31], v120 offset1:32
	ds_read2_b64 v[24:27], v120 offset0:64 offset1:96
	ds_read2_b64 v[20:23], v120 offset0:128 offset1:160
	;; [unrolled: 1-line block ×3, first 2 shown]
	v_add_u32_e32 v42, 12, v42
	v_cmp_le_i32_e64 s[10:11], s22, v42
	s_or_b64 s[10:11], s[10:11], vcc
	s_nor_b64 s[12:13], s[18:19], s[10:11]
	ds_write_b16 v103, v122
	ds_write_b16 v50, v123
	ds_write_b16 v50, v124 offset:512
	ds_write_b16 v50, v125 offset:1024
	;; [unrolled: 1-line block ×3, first 2 shown]
	s_waitcnt lgkmcnt(0)
	s_barrier
                                        ; implicit-def: $vgpr122
	s_and_saveexec_b64 s[28:29], s[12:13]
	s_xor_b64 s[12:13], exec, s[28:29]
	s_cbranch_execz .LBB230_49
; %bb.48:                               ;   in Loop: Header=BB230_35 Depth=1
	flat_load_ushort v42, v[40:41]
	s_waitcnt vmcnt(0) lgkmcnt(0)
	v_mul_f16_e32 v122, s23, v42
.LBB230_49:                             ;   in Loop: Header=BB230_35 Depth=1
	s_andn2_saveexec_b64 s[12:13], s[12:13]
; %bb.50:                               ;   in Loop: Header=BB230_35 Depth=1
	v_cndmask_b32_e64 v122, 0, v121, s[10:11]
; %bb.51:                               ;   in Loop: Header=BB230_35 Depth=1
	s_or_b64 exec, exec, s[12:13]
	v_add_u32_e32 v42, 12, v43
	v_cmp_le_i32_e64 s[10:11], s22, v42
	v_min_i32_e32 v42, s36, v42
	v_mad_i64_i32 v[42:43], s[12:13], v42, s34, 0
	s_or_b64 s[12:13], s[2:3], s[10:11]
	v_lshl_add_u64 v[42:43], v[42:43], 1, s[16:17]
	v_cndmask_b32_e64 v123, 0, v121, s[12:13]
	s_nor_b64 s[28:29], s[18:19], s[12:13]
	s_and_saveexec_b64 s[12:13], s[28:29]
	s_cbranch_execz .LBB230_53
; %bb.52:                               ;   in Loop: Header=BB230_35 Depth=1
	v_lshl_add_u64 v[124:125], v[32:33], 1, v[42:43]
	flat_load_ushort v123, v[124:125]
	s_waitcnt vmcnt(0) lgkmcnt(0)
	v_mul_f16_e32 v123, s23, v123
.LBB230_53:                             ;   in Loop: Header=BB230_35 Depth=1
	s_or_b64 exec, exec, s[12:13]
	s_or_b64 s[12:13], s[4:5], s[10:11]
	v_cndmask_b32_e64 v124, 0, v121, s[12:13]
	s_nor_b64 s[28:29], s[12:13], s[18:19]
	s_and_saveexec_b64 s[12:13], s[28:29]
	s_cbranch_execz .LBB230_55
; %bb.54:                               ;   in Loop: Header=BB230_35 Depth=1
	v_lshl_add_u64 v[124:125], v[34:35], 1, v[42:43]
	flat_load_ushort v124, v[124:125]
	s_waitcnt vmcnt(0) lgkmcnt(0)
	v_mul_f16_e32 v124, s23, v124
.LBB230_55:                             ;   in Loop: Header=BB230_35 Depth=1
	s_or_b64 exec, exec, s[12:13]
	s_or_b64 s[12:13], s[6:7], s[10:11]
	;; [unrolled: 12-line block ×3, first 2 shown]
	v_cndmask_b32_e64 v126, 0, v121, s[10:11]
	s_nor_b64 s[12:13], s[10:11], s[18:19]
	s_and_saveexec_b64 s[10:11], s[12:13]
	s_cbranch_execz .LBB230_34
; %bb.58:                               ;   in Loop: Header=BB230_35 Depth=1
	v_lshl_add_u64 v[42:43], v[38:39], 1, v[42:43]
	flat_load_ushort v42, v[42:43]
	s_waitcnt vmcnt(0) lgkmcnt(0)
	v_mul_f16_e32 v126, s23, v42
	s_branch .LBB230_34
.LBB230_59:
	s_load_dwordx2 s[2:3], s[0:1], 0x70
	s_load_dword s29, s[0:1], 0x50
	s_load_dword s28, s[0:1], 0x68
	v_add_u32_e32 v0, 0x1000, v49
	v_add_u32_e32 v4, 0x800, v48
	ds_read2_b64 v[16:19], v0 offset0:64 offset1:72
	ds_read2_b64 v[12:15], v0 offset0:80 offset1:88
	ds_read2_b64 v[8:11], v0 offset0:96 offset1:104
	ds_read2_b64 v[0:3], v0 offset0:112 offset1:120
	ds_read2_b64 v[28:31], v4 offset1:32
	ds_read2_b64 v[24:27], v4 offset0:64 offset1:96
	ds_read2_b64 v[20:23], v4 offset0:128 offset1:160
	;; [unrolled: 1-line block ×3, first 2 shown]
	s_waitcnt lgkmcnt(0)
	s_lshl_b64 s[0:1], s[2:3], 1
	s_add_u32 s22, s26, s0
	v_add_u32_e32 v103, s33, v45
	s_addc_u32 s23, s27, s1
	v_mad_i64_i32 v[34:35], s[0:1], v103, s29, 0
	v_add_u32_e32 v32, s31, v44
	v_lshl_add_u64 v[50:51], v[34:35], 1, s[24:25]
	v_mad_i64_i32 v[34:35], s[0:1], v103, s28, 0
	v_cmp_gt_i32_e64 s[2:3], s20, v32
	v_cmp_gt_i32_e64 s[18:19], s21, v103
	v_lshl_add_u64 v[48:49], v[34:35], 1, s[22:23]
	v_cndmask_b32_e64 v34, 0, 1, s[14:15]
	v_ashrrev_i32_e32 v33, 31, v32
	s_and_b64 s[6:7], s[2:3], s[18:19]
	v_cmp_ne_u32_e64 s[0:1], 1, v34
	s_and_saveexec_b64 s[4:5], s[6:7]
	s_cbranch_execz .LBB230_64
; %bb.60:
	s_and_b64 vcc, exec, s[0:1]
	s_cbranch_vccnz .LBB230_62
; %bb.61:
	v_lshl_add_u64 v[34:35], v[32:33], 1, v[50:51]
	flat_load_ushort v34, v[34:35]
	s_waitcnt vmcnt(0) lgkmcnt(0)
	v_mul_f16_e32 v34, s30, v34
	v_cvt_f32_f16_e32 v34, v34
	s_branch .LBB230_63
.LBB230_62:
	v_mov_b32_e32 v34, 0
.LBB230_63:
	v_pk_add_f16 v35, v16, v28
	v_max_f16_e32 v36, v116, v116
	v_pk_add_f16 v38, v17, v29
	v_min_f16_e32 v36, v36, v35
	v_lshrrev_b32_e32 v37, 16, v116
	v_lshrrev_b32_e32 v35, 16, v35
	v_lshrrev_b32_e32 v39, 16, v38
	v_min3_f16 v35, v37, v35, v39
	v_min3_f16 v35, v36, v38, v35
	v_cvt_f32_f16_e32 v35, v35
	v_max_f32_e32 v34, v34, v34
	v_min_f32_e32 v34, v34, v35
	v_cvt_f16_f32_e32 v36, v34
	v_lshl_add_u64 v[34:35], v[32:33], 1, v[48:49]
	flat_store_short v[34:35], v36
.LBB230_64:
	s_or_b64 exec, exec, s[4:5]
	v_add_u32_e32 v34, 8, v32
	v_cmp_gt_i32_e64 s[4:5], s20, v34
	v_ashrrev_i32_e32 v35, 31, v34
	s_and_b64 s[8:9], s[4:5], s[18:19]
	s_and_saveexec_b64 s[6:7], s[8:9]
	s_cbranch_execz .LBB230_69
; %bb.65:
	s_and_b64 vcc, exec, s[0:1]
	s_cbranch_vccnz .LBB230_67
; %bb.66:
	v_lshl_add_u64 v[36:37], v[34:35], 1, v[50:51]
	flat_load_ushort v36, v[36:37]
	s_waitcnt vmcnt(0) lgkmcnt(0)
	v_mul_f16_e32 v36, s30, v36
	v_cvt_f32_f16_e32 v36, v36
	s_branch .LBB230_68
.LBB230_67:
	v_mov_b32_e32 v36, 0
.LBB230_68:
	v_pk_add_f16 v37, v18, v28
	v_max_f16_e32 v38, v115, v115
	v_pk_add_f16 v40, v19, v29
	v_min_f16_e32 v38, v38, v37
	v_lshrrev_b32_e32 v39, 16, v115
	v_lshrrev_b32_e32 v37, 16, v37
	v_lshrrev_b32_e32 v41, 16, v40
	v_min3_f16 v37, v39, v37, v41
	v_min3_f16 v37, v38, v40, v37
	v_cvt_f32_f16_e32 v37, v37
	v_max_f32_e32 v36, v36, v36
	v_min_f32_e32 v36, v36, v37
	v_cvt_f16_f32_e32 v38, v36
	v_lshl_add_u64 v[36:37], v[34:35], 1, v[48:49]
	flat_store_short v[36:37], v38
.LBB230_69:
	s_or_b64 exec, exec, s[6:7]
	v_add_u32_e32 v36, 16, v32
	v_cmp_gt_i32_e64 s[6:7], s20, v36
	v_ashrrev_i32_e32 v37, 31, v36
	s_and_b64 s[10:11], s[6:7], s[18:19]
	;; [unrolled: 36-line block ×5, first 2 shown]
	s_and_saveexec_b64 s[14:15], s[16:17]
	s_cbranch_execz .LBB230_89
; %bb.85:
	s_and_b64 vcc, exec, s[0:1]
	s_cbranch_vccnz .LBB230_87
; %bb.86:
	v_lshl_add_u64 v[44:45], v[42:43], 1, v[50:51]
	flat_load_ushort v44, v[44:45]
	s_waitcnt vmcnt(0) lgkmcnt(0)
	v_mul_f16_e32 v44, s30, v44
	v_cvt_f32_f16_e32 v44, v44
	s_branch .LBB230_88
.LBB230_87:
	v_mov_b32_e32 v44, 0
.LBB230_88:
	v_pk_add_f16 v45, v10, v28
	v_max_f16_e32 v46, v111, v111
	v_lshrrev_b32_e32 v47, 16, v111
	v_pk_add_f16 v111, v11, v29
	v_min_f16_e32 v46, v46, v45
	v_lshrrev_b32_e32 v45, 16, v45
	v_lshrrev_b32_e32 v112, 16, v111
	v_min3_f16 v45, v47, v45, v112
	v_min3_f16 v45, v46, v111, v45
	v_cvt_f32_f16_e32 v45, v45
	v_max_f32_e32 v44, v44, v44
	v_min_f32_e32 v44, v44, v45
	v_cvt_f16_f32_e32 v46, v44
	v_lshl_add_u64 v[44:45], v[42:43], 1, v[48:49]
	flat_store_short v[44:45], v46
.LBB230_89:
	s_or_b64 exec, exec, s[14:15]
	v_add_u32_e32 v44, 48, v32
	v_cmp_gt_i32_e64 s[14:15], s20, v44
	v_ashrrev_i32_e32 v45, 31, v44
	s_and_b64 s[26:27], s[14:15], s[18:19]
	s_and_saveexec_b64 s[16:17], s[26:27]
	s_cbranch_execz .LBB230_94
; %bb.90:
	s_and_b64 vcc, exec, s[0:1]
	s_cbranch_vccnz .LBB230_92
; %bb.91:
	v_lshl_add_u64 v[46:47], v[44:45], 1, v[50:51]
	flat_load_ushort v46, v[46:47]
	s_waitcnt vmcnt(0) lgkmcnt(0)
	v_mul_f16_e32 v46, s30, v46
	v_cvt_f32_f16_e32 v46, v46
	s_branch .LBB230_93
.LBB230_92:
	v_mov_b32_e32 v46, 0
.LBB230_93:
	v_pk_add_f16 v47, v0, v28
	v_max_f16_e32 v111, v110, v110
	v_pk_add_f16 v112, v1, v29
	v_min_f16_e32 v111, v111, v47
	v_lshrrev_b32_e32 v110, 16, v110
	v_lshrrev_b32_e32 v47, 16, v47
	;; [unrolled: 1-line block ×3, first 2 shown]
	v_min3_f16 v47, v110, v47, v113
	v_min3_f16 v47, v111, v112, v47
	v_cvt_f32_f16_e32 v47, v47
	v_max_f32_e32 v46, v46, v46
	v_min_f32_e32 v46, v46, v47
	v_cvt_f16_f32_e32 v110, v46
	v_lshl_add_u64 v[46:47], v[44:45], 1, v[48:49]
	flat_store_short v[46:47], v110
.LBB230_94:
	s_or_b64 exec, exec, s[16:17]
	v_add_u32_e32 v46, 56, v32
	v_cmp_gt_i32_e64 s[16:17], s20, v46
	v_ashrrev_i32_e32 v47, 31, v46
	s_and_b64 s[26:27], s[16:17], s[18:19]
	s_and_saveexec_b64 s[18:19], s[26:27]
	s_cbranch_execz .LBB230_99
; %bb.95:
	s_and_b64 vcc, exec, s[0:1]
	s_cbranch_vccnz .LBB230_97
; %bb.96:
	v_lshl_add_u64 v[50:51], v[46:47], 1, v[50:51]
	flat_load_ushort v50, v[50:51]
	s_waitcnt vmcnt(0) lgkmcnt(0)
	v_mul_f16_e32 v50, s30, v50
	v_cvt_f32_f16_e32 v50, v50
	s_branch .LBB230_98
.LBB230_97:
	v_mov_b32_e32 v50, 0
.LBB230_98:
	v_pk_add_f16 v28, v2, v28
	v_max_f16_e32 v51, v109, v109
	v_pk_add_f16 v29, v3, v29
	v_min_f16_e32 v51, v51, v28
	v_lshrrev_b32_e32 v109, 16, v109
	v_lshrrev_b32_e32 v28, 16, v28
	;; [unrolled: 1-line block ×3, first 2 shown]
	v_min3_f16 v28, v109, v28, v110
	v_min3_f16 v28, v51, v29, v28
	v_cvt_f32_f16_e32 v28, v28
	v_max_f32_e32 v29, v50, v50
	v_min_f32_e32 v28, v29, v28
	v_cvt_f16_f32_e32 v50, v28
	v_lshl_add_u64 v[28:29], v[46:47], 1, v[48:49]
	flat_store_short v[28:29], v50
.LBB230_99:
	s_or_b64 exec, exec, s[18:19]
	v_add_u32_e32 v50, 32, v103
	v_mad_i64_i32 v[28:29], s[26:27], v50, s29, 0
	v_cmp_gt_i32_e64 s[18:19], s21, v50
	v_lshl_add_u64 v[48:49], v[28:29], 1, s[24:25]
	v_mad_i64_i32 v[28:29], s[26:27], v50, s28, 0
	v_lshl_add_u64 v[28:29], v[28:29], 1, s[22:23]
	s_and_b64 s[34:35], s[2:3], s[18:19]
	s_and_saveexec_b64 s[26:27], s[34:35]
	s_cbranch_execnz .LBB230_107
; %bb.100:
	s_or_b64 exec, exec, s[26:27]
	s_and_b64 s[34:35], s[4:5], s[18:19]
	s_and_saveexec_b64 s[26:27], s[34:35]
	s_cbranch_execnz .LBB230_111
.LBB230_101:
	s_or_b64 exec, exec, s[26:27]
	s_and_b64 s[34:35], s[6:7], s[18:19]
	s_and_saveexec_b64 s[26:27], s[34:35]
	s_cbranch_execnz .LBB230_115
.LBB230_102:
	s_or_b64 exec, exec, s[26:27]
	s_and_b64 s[34:35], s[8:9], s[18:19]
	s_and_saveexec_b64 s[26:27], s[34:35]
	s_cbranch_execnz .LBB230_119
.LBB230_103:
	s_or_b64 exec, exec, s[26:27]
	s_and_b64 s[34:35], s[10:11], s[18:19]
	s_and_saveexec_b64 s[26:27], s[34:35]
	s_cbranch_execnz .LBB230_123
.LBB230_104:
	s_or_b64 exec, exec, s[26:27]
	s_and_b64 s[34:35], s[12:13], s[18:19]
	s_and_saveexec_b64 s[26:27], s[34:35]
	s_cbranch_execnz .LBB230_127
.LBB230_105:
	s_or_b64 exec, exec, s[26:27]
	s_and_b64 s[34:35], s[14:15], s[18:19]
	s_and_saveexec_b64 s[26:27], s[34:35]
	s_cbranch_execnz .LBB230_131
.LBB230_106:
	s_or_b64 exec, exec, s[26:27]
	s_and_b64 s[26:27], s[16:17], s[18:19]
	s_and_saveexec_b64 s[18:19], s[26:27]
	s_cbranch_execnz .LBB230_135
	s_branch .LBB230_139
.LBB230_107:
	s_and_b64 vcc, exec, s[0:1]
	s_cbranch_vccnz .LBB230_109
; %bb.108:
	v_lshl_add_u64 v[50:51], v[32:33], 1, v[48:49]
	flat_load_ushort v50, v[50:51]
	s_waitcnt vmcnt(0) lgkmcnt(0)
	v_mul_f16_e32 v50, s30, v50
	v_cvt_f32_f16_e32 v50, v50
	s_branch .LBB230_110
.LBB230_109:
	v_mov_b32_e32 v50, 0
.LBB230_110:
	v_pk_add_f16 v51, v16, v30
	v_max_f16_e32 v109, v108, v108
	v_pk_add_f16 v110, v17, v31
	v_min_f16_e32 v109, v109, v51
	v_lshrrev_b32_e32 v108, 16, v108
	v_lshrrev_b32_e32 v51, 16, v51
	v_lshrrev_b32_e32 v111, 16, v110
	v_min3_f16 v51, v108, v51, v111
	v_min3_f16 v51, v109, v110, v51
	v_cvt_f32_f16_e32 v51, v51
	v_max_f32_e32 v50, v50, v50
	v_min_f32_e32 v50, v50, v51
	v_cvt_f16_f32_e32 v108, v50
	v_lshl_add_u64 v[50:51], v[32:33], 1, v[28:29]
	flat_store_short v[50:51], v108
	s_or_b64 exec, exec, s[26:27]
	s_and_b64 s[34:35], s[4:5], s[18:19]
	s_and_saveexec_b64 s[26:27], s[34:35]
	s_cbranch_execz .LBB230_101
.LBB230_111:
	s_and_b64 vcc, exec, s[0:1]
	s_cbranch_vccnz .LBB230_113
; %bb.112:
	v_lshl_add_u64 v[50:51], v[34:35], 1, v[48:49]
	flat_load_ushort v50, v[50:51]
	s_waitcnt vmcnt(0) lgkmcnt(0)
	v_mul_f16_e32 v50, s30, v50
	v_cvt_f32_f16_e32 v50, v50
	s_branch .LBB230_114
.LBB230_113:
	v_mov_b32_e32 v50, 0
.LBB230_114:
	v_pk_add_f16 v51, v18, v30
	v_max_f16_e32 v108, v107, v107
	v_pk_add_f16 v109, v19, v31
	v_min_f16_e32 v108, v108, v51
	v_lshrrev_b32_e32 v107, 16, v107
	v_lshrrev_b32_e32 v51, 16, v51
	;; [unrolled: 1-line block ×3, first 2 shown]
	v_min3_f16 v51, v107, v51, v110
	v_min3_f16 v51, v108, v109, v51
	v_cvt_f32_f16_e32 v51, v51
	v_max_f32_e32 v50, v50, v50
	v_min_f32_e32 v50, v50, v51
	v_cvt_f16_f32_e32 v107, v50
	v_lshl_add_u64 v[50:51], v[34:35], 1, v[28:29]
	flat_store_short v[50:51], v107
	s_or_b64 exec, exec, s[26:27]
	s_and_b64 s[34:35], s[6:7], s[18:19]
	s_and_saveexec_b64 s[26:27], s[34:35]
	s_cbranch_execz .LBB230_102
.LBB230_115:
	s_and_b64 vcc, exec, s[0:1]
	s_cbranch_vccnz .LBB230_117
; %bb.116:
	v_lshl_add_u64 v[50:51], v[36:37], 1, v[48:49]
	flat_load_ushort v50, v[50:51]
	s_waitcnt vmcnt(0) lgkmcnt(0)
	v_mul_f16_e32 v50, s30, v50
	v_cvt_f32_f16_e32 v50, v50
	s_branch .LBB230_118
.LBB230_117:
	v_mov_b32_e32 v50, 0
.LBB230_118:
	v_pk_add_f16 v51, v12, v30
	v_max_f16_e32 v107, v105, v105
	v_pk_add_f16 v108, v13, v31
	v_min_f16_e32 v107, v107, v51
	v_lshrrev_b32_e32 v105, 16, v105
	v_lshrrev_b32_e32 v51, 16, v51
	;; [unrolled: 1-line block ×3, first 2 shown]
	v_min3_f16 v51, v105, v51, v109
	v_min3_f16 v51, v107, v108, v51
	v_cvt_f32_f16_e32 v51, v51
	v_max_f32_e32 v50, v50, v50
	v_min_f32_e32 v50, v50, v51
	v_cvt_f16_f32_e32 v105, v50
	v_lshl_add_u64 v[50:51], v[36:37], 1, v[28:29]
	flat_store_short v[50:51], v105
	s_or_b64 exec, exec, s[26:27]
	s_and_b64 s[34:35], s[8:9], s[18:19]
	s_and_saveexec_b64 s[26:27], s[34:35]
	s_cbranch_execz .LBB230_103
.LBB230_119:
	s_and_b64 vcc, exec, s[0:1]
	s_cbranch_vccnz .LBB230_121
; %bb.120:
	v_lshl_add_u64 v[50:51], v[38:39], 1, v[48:49]
	flat_load_ushort v50, v[50:51]
	s_waitcnt vmcnt(0) lgkmcnt(0)
	v_mul_f16_e32 v50, s30, v50
	v_cvt_f32_f16_e32 v50, v50
	s_branch .LBB230_122
.LBB230_121:
	v_mov_b32_e32 v50, 0
.LBB230_122:
	v_pk_add_f16 v51, v14, v30
	v_max_f16_e32 v105, v102, v102
	v_pk_add_f16 v107, v15, v31
	v_min_f16_e32 v105, v105, v51
	v_lshrrev_b32_e32 v102, 16, v102
	v_lshrrev_b32_e32 v51, 16, v51
	;; [unrolled: 1-line block ×3, first 2 shown]
	v_min3_f16 v51, v102, v51, v108
	v_min3_f16 v51, v105, v107, v51
	v_cvt_f32_f16_e32 v51, v51
	v_max_f32_e32 v50, v50, v50
	v_min_f32_e32 v50, v50, v51
	v_cvt_f16_f32_e32 v102, v50
	v_lshl_add_u64 v[50:51], v[38:39], 1, v[28:29]
	flat_store_short v[50:51], v102
	s_or_b64 exec, exec, s[26:27]
	s_and_b64 s[34:35], s[10:11], s[18:19]
	s_and_saveexec_b64 s[26:27], s[34:35]
	s_cbranch_execz .LBB230_104
.LBB230_123:
	s_and_b64 vcc, exec, s[0:1]
	s_cbranch_vccnz .LBB230_125
; %bb.124:
	v_lshl_add_u64 v[50:51], v[40:41], 1, v[48:49]
	flat_load_ushort v50, v[50:51]
	s_waitcnt vmcnt(0) lgkmcnt(0)
	v_mul_f16_e32 v50, s30, v50
	v_cvt_f32_f16_e32 v50, v50
	s_branch .LBB230_126
.LBB230_125:
	v_mov_b32_e32 v50, 0
.LBB230_126:
	v_pk_add_f16 v51, v8, v30
	v_max_f16_e32 v102, v100, v100
	v_pk_add_f16 v105, v9, v31
	v_min_f16_e32 v102, v102, v51
	v_lshrrev_b32_e32 v100, 16, v100
	v_lshrrev_b32_e32 v51, 16, v51
	;; [unrolled: 1-line block ×3, first 2 shown]
	v_min3_f16 v51, v100, v51, v107
	v_min3_f16 v51, v102, v105, v51
	v_cvt_f32_f16_e32 v51, v51
	v_max_f32_e32 v50, v50, v50
	v_min_f32_e32 v50, v50, v51
	v_cvt_f16_f32_e32 v100, v50
	v_lshl_add_u64 v[50:51], v[40:41], 1, v[28:29]
	flat_store_short v[50:51], v100
	s_or_b64 exec, exec, s[26:27]
	s_and_b64 s[34:35], s[12:13], s[18:19]
	s_and_saveexec_b64 s[26:27], s[34:35]
	s_cbranch_execz .LBB230_105
.LBB230_127:
	s_and_b64 vcc, exec, s[0:1]
	s_cbranch_vccnz .LBB230_129
; %bb.128:
	v_lshl_add_u64 v[50:51], v[42:43], 1, v[48:49]
	flat_load_ushort v50, v[50:51]
	s_waitcnt vmcnt(0) lgkmcnt(0)
	v_mul_f16_e32 v50, s30, v50
	v_cvt_f32_f16_e32 v50, v50
	s_branch .LBB230_130
.LBB230_129:
	v_mov_b32_e32 v50, 0
.LBB230_130:
	v_pk_add_f16 v51, v10, v30
	v_max_f16_e32 v100, v98, v98
	v_pk_add_f16 v102, v11, v31
	v_min_f16_e32 v100, v100, v51
	v_lshrrev_b32_e32 v98, 16, v98
	v_lshrrev_b32_e32 v51, 16, v51
	;; [unrolled: 1-line block ×3, first 2 shown]
	v_min3_f16 v51, v98, v51, v105
	v_min3_f16 v51, v100, v102, v51
	v_cvt_f32_f16_e32 v51, v51
	v_max_f32_e32 v50, v50, v50
	v_min_f32_e32 v50, v50, v51
	v_cvt_f16_f32_e32 v98, v50
	v_lshl_add_u64 v[50:51], v[42:43], 1, v[28:29]
	flat_store_short v[50:51], v98
	s_or_b64 exec, exec, s[26:27]
	s_and_b64 s[34:35], s[14:15], s[18:19]
	s_and_saveexec_b64 s[26:27], s[34:35]
	s_cbranch_execz .LBB230_106
.LBB230_131:
	s_and_b64 vcc, exec, s[0:1]
	s_cbranch_vccnz .LBB230_133
; %bb.132:
	v_lshl_add_u64 v[50:51], v[44:45], 1, v[48:49]
	flat_load_ushort v50, v[50:51]
	s_waitcnt vmcnt(0) lgkmcnt(0)
	v_mul_f16_e32 v50, s30, v50
	v_cvt_f32_f16_e32 v50, v50
	s_branch .LBB230_134
.LBB230_133:
	v_mov_b32_e32 v50, 0
.LBB230_134:
	v_pk_add_f16 v51, v0, v30
	v_max_f16_e32 v98, v96, v96
	v_pk_add_f16 v100, v1, v31
	v_min_f16_e32 v98, v98, v51
	v_lshrrev_b32_e32 v96, 16, v96
	v_lshrrev_b32_e32 v51, 16, v51
	v_lshrrev_b32_e32 v102, 16, v100
	v_min3_f16 v51, v96, v51, v102
	v_min3_f16 v51, v98, v100, v51
	v_cvt_f32_f16_e32 v51, v51
	v_max_f32_e32 v50, v50, v50
	v_min_f32_e32 v50, v50, v51
	v_cvt_f16_f32_e32 v96, v50
	v_lshl_add_u64 v[50:51], v[44:45], 1, v[28:29]
	flat_store_short v[50:51], v96
	s_or_b64 exec, exec, s[26:27]
	s_and_b64 s[26:27], s[16:17], s[18:19]
	s_and_saveexec_b64 s[18:19], s[26:27]
	s_cbranch_execz .LBB230_139
.LBB230_135:
	s_and_b64 vcc, exec, s[0:1]
	s_cbranch_vccnz .LBB230_137
; %bb.136:
	v_lshl_add_u64 v[48:49], v[46:47], 1, v[48:49]
	flat_load_ushort v48, v[48:49]
	s_waitcnt vmcnt(0) lgkmcnt(0)
	v_mul_f16_e32 v48, s30, v48
	v_cvt_f32_f16_e32 v48, v48
	s_branch .LBB230_138
.LBB230_137:
	v_mov_b32_e32 v48, 0
.LBB230_138:
	v_pk_add_f16 v30, v2, v30
	v_max_f16_e32 v49, v94, v94
	v_pk_add_f16 v31, v3, v31
	v_min_f16_e32 v49, v49, v30
	v_lshrrev_b32_e32 v50, 16, v94
	v_lshrrev_b32_e32 v30, 16, v30
	;; [unrolled: 1-line block ×3, first 2 shown]
	v_min3_f16 v30, v50, v30, v51
	v_min3_f16 v30, v49, v31, v30
	v_cvt_f32_f16_e32 v30, v30
	v_max_f32_e32 v31, v48, v48
	v_lshl_add_u64 v[28:29], v[46:47], 1, v[28:29]
	v_min_f32_e32 v30, v31, v30
	v_cvt_f16_f32_e32 v30, v30
	flat_store_short v[28:29], v30
.LBB230_139:
	s_or_b64 exec, exec, s[18:19]
	v_add_u32_e32 v48, 64, v103
	v_mad_i64_i32 v[28:29], s[26:27], v48, s29, 0
	v_cmp_gt_i32_e64 s[18:19], s21, v48
	v_lshl_add_u64 v[30:31], v[28:29], 1, s[24:25]
	v_mad_i64_i32 v[28:29], s[26:27], v48, s28, 0
	v_lshl_add_u64 v[28:29], v[28:29], 1, s[22:23]
	s_and_b64 s[34:35], s[2:3], s[18:19]
	s_and_saveexec_b64 s[26:27], s[34:35]
	s_cbranch_execnz .LBB230_147
; %bb.140:
	s_or_b64 exec, exec, s[26:27]
	s_and_b64 s[34:35], s[4:5], s[18:19]
	s_and_saveexec_b64 s[26:27], s[34:35]
	s_cbranch_execnz .LBB230_151
.LBB230_141:
	s_or_b64 exec, exec, s[26:27]
	s_and_b64 s[34:35], s[6:7], s[18:19]
	s_and_saveexec_b64 s[26:27], s[34:35]
	s_cbranch_execnz .LBB230_155
.LBB230_142:
	s_or_b64 exec, exec, s[26:27]
	s_and_b64 s[34:35], s[8:9], s[18:19]
	s_and_saveexec_b64 s[26:27], s[34:35]
	s_cbranch_execnz .LBB230_159
.LBB230_143:
	s_or_b64 exec, exec, s[26:27]
	s_and_b64 s[34:35], s[10:11], s[18:19]
	s_and_saveexec_b64 s[26:27], s[34:35]
	s_cbranch_execnz .LBB230_163
.LBB230_144:
	s_or_b64 exec, exec, s[26:27]
	s_and_b64 s[34:35], s[12:13], s[18:19]
	s_and_saveexec_b64 s[26:27], s[34:35]
	s_cbranch_execnz .LBB230_167
.LBB230_145:
	s_or_b64 exec, exec, s[26:27]
	s_and_b64 s[34:35], s[14:15], s[18:19]
	s_and_saveexec_b64 s[26:27], s[34:35]
	s_cbranch_execnz .LBB230_171
.LBB230_146:
	s_or_b64 exec, exec, s[26:27]
	s_and_b64 s[26:27], s[16:17], s[18:19]
	s_and_saveexec_b64 s[18:19], s[26:27]
	s_cbranch_execnz .LBB230_175
	s_branch .LBB230_179
.LBB230_147:
	s_and_b64 vcc, exec, s[0:1]
	s_cbranch_vccnz .LBB230_149
; %bb.148:
	v_lshl_add_u64 v[48:49], v[32:33], 1, v[30:31]
	flat_load_ushort v48, v[48:49]
	s_waitcnt vmcnt(0) lgkmcnt(0)
	v_mul_f16_e32 v48, s30, v48
	v_cvt_f32_f16_e32 v48, v48
	s_branch .LBB230_150
.LBB230_149:
	v_mov_b32_e32 v48, 0
.LBB230_150:
	v_pk_add_f16 v49, v16, v24
	v_max_f16_e32 v50, v92, v92
	v_lshrrev_b32_e32 v51, 16, v92
	v_pk_add_f16 v92, v17, v25
	v_min_f16_e32 v50, v50, v49
	v_lshrrev_b32_e32 v49, 16, v49
	v_lshrrev_b32_e32 v94, 16, v92
	v_min3_f16 v49, v51, v49, v94
	v_min3_f16 v49, v50, v92, v49
	v_cvt_f32_f16_e32 v49, v49
	v_max_f32_e32 v48, v48, v48
	v_min_f32_e32 v48, v48, v49
	v_cvt_f16_f32_e32 v50, v48
	v_lshl_add_u64 v[48:49], v[32:33], 1, v[28:29]
	flat_store_short v[48:49], v50
	s_or_b64 exec, exec, s[26:27]
	s_and_b64 s[34:35], s[4:5], s[18:19]
	s_and_saveexec_b64 s[26:27], s[34:35]
	s_cbranch_execz .LBB230_141
.LBB230_151:
	s_and_b64 vcc, exec, s[0:1]
	s_cbranch_vccnz .LBB230_153
; %bb.152:
	v_lshl_add_u64 v[48:49], v[34:35], 1, v[30:31]
	flat_load_ushort v48, v[48:49]
	s_waitcnt vmcnt(0) lgkmcnt(0)
	v_mul_f16_e32 v48, s30, v48
	v_cvt_f32_f16_e32 v48, v48
	s_branch .LBB230_154
.LBB230_153:
	v_mov_b32_e32 v48, 0
.LBB230_154:
	v_pk_add_f16 v49, v18, v24
	v_max_f16_e32 v50, v90, v90
	v_lshrrev_b32_e32 v51, 16, v90
	v_pk_add_f16 v90, v19, v25
	v_min_f16_e32 v50, v50, v49
	v_lshrrev_b32_e32 v49, 16, v49
	v_lshrrev_b32_e32 v92, 16, v90
	v_min3_f16 v49, v51, v49, v92
	v_min3_f16 v49, v50, v90, v49
	v_cvt_f32_f16_e32 v49, v49
	v_max_f32_e32 v48, v48, v48
	v_min_f32_e32 v48, v48, v49
	v_cvt_f16_f32_e32 v50, v48
	v_lshl_add_u64 v[48:49], v[34:35], 1, v[28:29]
	flat_store_short v[48:49], v50
	s_or_b64 exec, exec, s[26:27]
	s_and_b64 s[34:35], s[6:7], s[18:19]
	s_and_saveexec_b64 s[26:27], s[34:35]
	s_cbranch_execz .LBB230_142
.LBB230_155:
	s_and_b64 vcc, exec, s[0:1]
	s_cbranch_vccnz .LBB230_157
; %bb.156:
	v_lshl_add_u64 v[48:49], v[36:37], 1, v[30:31]
	flat_load_ushort v48, v[48:49]
	s_waitcnt vmcnt(0) lgkmcnt(0)
	v_mul_f16_e32 v48, s30, v48
	v_cvt_f32_f16_e32 v48, v48
	s_branch .LBB230_158
.LBB230_157:
	v_mov_b32_e32 v48, 0
.LBB230_158:
	v_pk_add_f16 v49, v12, v24
	v_max_f16_e32 v50, v88, v88
	v_lshrrev_b32_e32 v51, 16, v88
	v_pk_add_f16 v88, v13, v25
	v_min_f16_e32 v50, v50, v49
	v_lshrrev_b32_e32 v49, 16, v49
	v_lshrrev_b32_e32 v90, 16, v88
	v_min3_f16 v49, v51, v49, v90
	v_min3_f16 v49, v50, v88, v49
	v_cvt_f32_f16_e32 v49, v49
	v_max_f32_e32 v48, v48, v48
	v_min_f32_e32 v48, v48, v49
	v_cvt_f16_f32_e32 v50, v48
	v_lshl_add_u64 v[48:49], v[36:37], 1, v[28:29]
	flat_store_short v[48:49], v50
	s_or_b64 exec, exec, s[26:27]
	s_and_b64 s[34:35], s[8:9], s[18:19]
	s_and_saveexec_b64 s[26:27], s[34:35]
	s_cbranch_execz .LBB230_143
.LBB230_159:
	s_and_b64 vcc, exec, s[0:1]
	s_cbranch_vccnz .LBB230_161
; %bb.160:
	v_lshl_add_u64 v[48:49], v[38:39], 1, v[30:31]
	flat_load_ushort v48, v[48:49]
	s_waitcnt vmcnt(0) lgkmcnt(0)
	v_mul_f16_e32 v48, s30, v48
	v_cvt_f32_f16_e32 v48, v48
	s_branch .LBB230_162
.LBB230_161:
	v_mov_b32_e32 v48, 0
.LBB230_162:
	v_pk_add_f16 v49, v14, v24
	v_max_f16_e32 v50, v106, v106
	v_pk_add_f16 v88, v15, v25
	v_min_f16_e32 v50, v50, v49
	v_lshrrev_b32_e32 v51, 16, v106
	v_lshrrev_b32_e32 v49, 16, v49
	;; [unrolled: 1-line block ×3, first 2 shown]
	v_min3_f16 v49, v51, v49, v90
	v_min3_f16 v49, v50, v88, v49
	v_cvt_f32_f16_e32 v49, v49
	v_max_f32_e32 v48, v48, v48
	v_min_f32_e32 v48, v48, v49
	v_cvt_f16_f32_e32 v50, v48
	v_lshl_add_u64 v[48:49], v[38:39], 1, v[28:29]
	flat_store_short v[48:49], v50
	s_or_b64 exec, exec, s[26:27]
	s_and_b64 s[34:35], s[10:11], s[18:19]
	s_and_saveexec_b64 s[26:27], s[34:35]
	s_cbranch_execz .LBB230_144
.LBB230_163:
	s_and_b64 vcc, exec, s[0:1]
	s_cbranch_vccnz .LBB230_165
; %bb.164:
	v_lshl_add_u64 v[48:49], v[40:41], 1, v[30:31]
	flat_load_ushort v48, v[48:49]
	s_waitcnt vmcnt(0) lgkmcnt(0)
	v_mul_f16_e32 v48, s30, v48
	v_cvt_f32_f16_e32 v48, v48
	s_branch .LBB230_166
.LBB230_165:
	v_mov_b32_e32 v48, 0
.LBB230_166:
	v_pk_add_f16 v49, v8, v24
	v_max_f16_e32 v50, v104, v104
	v_pk_add_f16 v88, v9, v25
	v_min_f16_e32 v50, v50, v49
	v_lshrrev_b32_e32 v51, 16, v104
	v_lshrrev_b32_e32 v49, 16, v49
	;; [unrolled: 1-line block ×3, first 2 shown]
	v_min3_f16 v49, v51, v49, v90
	v_min3_f16 v49, v50, v88, v49
	v_cvt_f32_f16_e32 v49, v49
	v_max_f32_e32 v48, v48, v48
	v_min_f32_e32 v48, v48, v49
	v_cvt_f16_f32_e32 v50, v48
	v_lshl_add_u64 v[48:49], v[40:41], 1, v[28:29]
	flat_store_short v[48:49], v50
	s_or_b64 exec, exec, s[26:27]
	s_and_b64 s[34:35], s[12:13], s[18:19]
	s_and_saveexec_b64 s[26:27], s[34:35]
	s_cbranch_execz .LBB230_145
.LBB230_167:
	s_and_b64 vcc, exec, s[0:1]
	s_cbranch_vccnz .LBB230_169
; %bb.168:
	v_lshl_add_u64 v[48:49], v[42:43], 1, v[30:31]
	flat_load_ushort v48, v[48:49]
	s_waitcnt vmcnt(0) lgkmcnt(0)
	v_mul_f16_e32 v48, s30, v48
	v_cvt_f32_f16_e32 v48, v48
	s_branch .LBB230_170
.LBB230_169:
	v_mov_b32_e32 v48, 0
.LBB230_170:
	v_pk_add_f16 v49, v10, v24
	v_max_f16_e32 v50, v101, v101
	v_pk_add_f16 v88, v11, v25
	v_min_f16_e32 v50, v50, v49
	v_lshrrev_b32_e32 v51, 16, v101
	v_lshrrev_b32_e32 v49, 16, v49
	;; [unrolled: 1-line block ×3, first 2 shown]
	v_min3_f16 v49, v51, v49, v90
	v_min3_f16 v49, v50, v88, v49
	v_cvt_f32_f16_e32 v49, v49
	v_max_f32_e32 v48, v48, v48
	v_min_f32_e32 v48, v48, v49
	v_cvt_f16_f32_e32 v50, v48
	v_lshl_add_u64 v[48:49], v[42:43], 1, v[28:29]
	flat_store_short v[48:49], v50
	s_or_b64 exec, exec, s[26:27]
	s_and_b64 s[34:35], s[14:15], s[18:19]
	s_and_saveexec_b64 s[26:27], s[34:35]
	s_cbranch_execz .LBB230_146
.LBB230_171:
	s_and_b64 vcc, exec, s[0:1]
	s_cbranch_vccnz .LBB230_173
; %bb.172:
	v_lshl_add_u64 v[48:49], v[44:45], 1, v[30:31]
	flat_load_ushort v48, v[48:49]
	s_waitcnt vmcnt(0) lgkmcnt(0)
	v_mul_f16_e32 v48, s30, v48
	v_cvt_f32_f16_e32 v48, v48
	s_branch .LBB230_174
.LBB230_173:
	v_mov_b32_e32 v48, 0
.LBB230_174:
	v_pk_add_f16 v49, v0, v24
	v_max_f16_e32 v50, v99, v99
	v_pk_add_f16 v88, v1, v25
	v_min_f16_e32 v50, v50, v49
	v_lshrrev_b32_e32 v51, 16, v99
	v_lshrrev_b32_e32 v49, 16, v49
	;; [unrolled: 1-line block ×3, first 2 shown]
	v_min3_f16 v49, v51, v49, v90
	v_min3_f16 v49, v50, v88, v49
	v_cvt_f32_f16_e32 v49, v49
	v_max_f32_e32 v48, v48, v48
	v_min_f32_e32 v48, v48, v49
	v_cvt_f16_f32_e32 v50, v48
	v_lshl_add_u64 v[48:49], v[44:45], 1, v[28:29]
	flat_store_short v[48:49], v50
	s_or_b64 exec, exec, s[26:27]
	s_and_b64 s[26:27], s[16:17], s[18:19]
	s_and_saveexec_b64 s[18:19], s[26:27]
	s_cbranch_execz .LBB230_179
.LBB230_175:
	s_and_b64 vcc, exec, s[0:1]
	s_cbranch_vccnz .LBB230_177
; %bb.176:
	v_lshl_add_u64 v[30:31], v[46:47], 1, v[30:31]
	flat_load_ushort v30, v[30:31]
	s_waitcnt vmcnt(0) lgkmcnt(0)
	v_mul_f16_e32 v30, s30, v30
	v_cvt_f32_f16_e32 v30, v30
	s_branch .LBB230_178
.LBB230_177:
	v_mov_b32_e32 v30, 0
.LBB230_178:
	v_pk_add_f16 v24, v2, v24
	v_max_f16_e32 v31, v97, v97
	v_pk_add_f16 v25, v3, v25
	v_min_f16_e32 v31, v31, v24
	v_lshrrev_b32_e32 v48, 16, v97
	v_lshrrev_b32_e32 v24, 16, v24
	;; [unrolled: 1-line block ×3, first 2 shown]
	v_min3_f16 v24, v48, v24, v49
	v_min3_f16 v24, v31, v25, v24
	v_cvt_f32_f16_e32 v24, v24
	v_max_f32_e32 v25, v30, v30
	v_min_f32_e32 v24, v25, v24
	v_cvt_f16_f32_e32 v30, v24
	v_lshl_add_u64 v[24:25], v[46:47], 1, v[28:29]
	flat_store_short v[24:25], v30
.LBB230_179:
	s_or_b64 exec, exec, s[18:19]
	v_add_u32_e32 v30, 0x60, v103
	v_mad_i64_i32 v[24:25], s[26:27], v30, s29, 0
	v_cmp_gt_i32_e64 s[18:19], s21, v30
	v_lshl_add_u64 v[28:29], v[24:25], 1, s[24:25]
	v_mad_i64_i32 v[24:25], s[26:27], v30, s28, 0
	v_lshl_add_u64 v[24:25], v[24:25], 1, s[22:23]
	s_and_b64 s[34:35], s[2:3], s[18:19]
	s_and_saveexec_b64 s[26:27], s[34:35]
	s_cbranch_execnz .LBB230_187
; %bb.180:
	s_or_b64 exec, exec, s[26:27]
	s_and_b64 s[34:35], s[4:5], s[18:19]
	s_and_saveexec_b64 s[26:27], s[34:35]
	s_cbranch_execnz .LBB230_191
.LBB230_181:
	s_or_b64 exec, exec, s[26:27]
	s_and_b64 s[34:35], s[6:7], s[18:19]
	s_and_saveexec_b64 s[26:27], s[34:35]
	s_cbranch_execnz .LBB230_195
.LBB230_182:
	s_or_b64 exec, exec, s[26:27]
	s_and_b64 s[34:35], s[8:9], s[18:19]
	s_and_saveexec_b64 s[26:27], s[34:35]
	s_cbranch_execnz .LBB230_199
.LBB230_183:
	s_or_b64 exec, exec, s[26:27]
	s_and_b64 s[34:35], s[10:11], s[18:19]
	s_and_saveexec_b64 s[26:27], s[34:35]
	s_cbranch_execnz .LBB230_203
.LBB230_184:
	s_or_b64 exec, exec, s[26:27]
	s_and_b64 s[34:35], s[12:13], s[18:19]
	s_and_saveexec_b64 s[26:27], s[34:35]
	s_cbranch_execnz .LBB230_207
.LBB230_185:
	s_or_b64 exec, exec, s[26:27]
	s_and_b64 s[34:35], s[14:15], s[18:19]
	s_and_saveexec_b64 s[26:27], s[34:35]
	s_cbranch_execnz .LBB230_211
.LBB230_186:
	s_or_b64 exec, exec, s[26:27]
	s_and_b64 s[26:27], s[16:17], s[18:19]
	s_and_saveexec_b64 s[18:19], s[26:27]
	s_cbranch_execnz .LBB230_215
	s_branch .LBB230_219
.LBB230_187:
	s_and_b64 vcc, exec, s[0:1]
	s_cbranch_vccnz .LBB230_189
; %bb.188:
	v_lshl_add_u64 v[30:31], v[32:33], 1, v[28:29]
	flat_load_ushort v30, v[30:31]
	s_waitcnt vmcnt(0) lgkmcnt(0)
	v_mul_f16_e32 v30, s30, v30
	v_cvt_f32_f16_e32 v30, v30
	s_branch .LBB230_190
.LBB230_189:
	v_mov_b32_e32 v30, 0
.LBB230_190:
	v_pk_add_f16 v31, v16, v26
	v_max_f16_e32 v48, v95, v95
	v_pk_add_f16 v50, v17, v27
	v_min_f16_e32 v48, v48, v31
	v_lshrrev_b32_e32 v49, 16, v95
	v_lshrrev_b32_e32 v31, 16, v31
	;; [unrolled: 1-line block ×3, first 2 shown]
	v_min3_f16 v31, v49, v31, v51
	v_min3_f16 v31, v48, v50, v31
	v_cvt_f32_f16_e32 v31, v31
	v_max_f32_e32 v30, v30, v30
	v_min_f32_e32 v30, v30, v31
	v_cvt_f16_f32_e32 v48, v30
	v_lshl_add_u64 v[30:31], v[32:33], 1, v[24:25]
	flat_store_short v[30:31], v48
	s_or_b64 exec, exec, s[26:27]
	s_and_b64 s[34:35], s[4:5], s[18:19]
	s_and_saveexec_b64 s[26:27], s[34:35]
	s_cbranch_execz .LBB230_181
.LBB230_191:
	s_and_b64 vcc, exec, s[0:1]
	s_cbranch_vccnz .LBB230_193
; %bb.192:
	v_lshl_add_u64 v[30:31], v[34:35], 1, v[28:29]
	flat_load_ushort v30, v[30:31]
	s_waitcnt vmcnt(0) lgkmcnt(0)
	v_mul_f16_e32 v30, s30, v30
	v_cvt_f32_f16_e32 v30, v30
	s_branch .LBB230_194
.LBB230_193:
	v_mov_b32_e32 v30, 0
.LBB230_194:
	v_pk_add_f16 v31, v18, v26
	v_max_f16_e32 v48, v93, v93
	v_pk_add_f16 v50, v19, v27
	v_min_f16_e32 v48, v48, v31
	v_lshrrev_b32_e32 v49, 16, v93
	v_lshrrev_b32_e32 v31, 16, v31
	;; [unrolled: 1-line block ×3, first 2 shown]
	v_min3_f16 v31, v49, v31, v51
	v_min3_f16 v31, v48, v50, v31
	v_cvt_f32_f16_e32 v31, v31
	v_max_f32_e32 v30, v30, v30
	v_min_f32_e32 v30, v30, v31
	v_cvt_f16_f32_e32 v48, v30
	v_lshl_add_u64 v[30:31], v[34:35], 1, v[24:25]
	flat_store_short v[30:31], v48
	s_or_b64 exec, exec, s[26:27]
	s_and_b64 s[34:35], s[6:7], s[18:19]
	s_and_saveexec_b64 s[26:27], s[34:35]
	s_cbranch_execz .LBB230_182
.LBB230_195:
	s_and_b64 vcc, exec, s[0:1]
	s_cbranch_vccnz .LBB230_197
; %bb.196:
	v_lshl_add_u64 v[30:31], v[36:37], 1, v[28:29]
	flat_load_ushort v30, v[30:31]
	s_waitcnt vmcnt(0) lgkmcnt(0)
	v_mul_f16_e32 v30, s30, v30
	v_cvt_f32_f16_e32 v30, v30
	s_branch .LBB230_198
.LBB230_197:
	v_mov_b32_e32 v30, 0
.LBB230_198:
	v_pk_add_f16 v31, v12, v26
	v_max_f16_e32 v48, v91, v91
	v_pk_add_f16 v50, v13, v27
	v_min_f16_e32 v48, v48, v31
	v_lshrrev_b32_e32 v49, 16, v91
	v_lshrrev_b32_e32 v31, 16, v31
	;; [unrolled: 1-line block ×3, first 2 shown]
	v_min3_f16 v31, v49, v31, v51
	v_min3_f16 v31, v48, v50, v31
	v_cvt_f32_f16_e32 v31, v31
	v_max_f32_e32 v30, v30, v30
	v_min_f32_e32 v30, v30, v31
	v_cvt_f16_f32_e32 v48, v30
	v_lshl_add_u64 v[30:31], v[36:37], 1, v[24:25]
	flat_store_short v[30:31], v48
	s_or_b64 exec, exec, s[26:27]
	s_and_b64 s[34:35], s[8:9], s[18:19]
	s_and_saveexec_b64 s[26:27], s[34:35]
	s_cbranch_execz .LBB230_183
.LBB230_199:
	s_and_b64 vcc, exec, s[0:1]
	s_cbranch_vccnz .LBB230_201
; %bb.200:
	v_lshl_add_u64 v[30:31], v[38:39], 1, v[28:29]
	flat_load_ushort v30, v[30:31]
	s_waitcnt vmcnt(0) lgkmcnt(0)
	v_mul_f16_e32 v30, s30, v30
	v_cvt_f32_f16_e32 v30, v30
	s_branch .LBB230_202
.LBB230_201:
	v_mov_b32_e32 v30, 0
.LBB230_202:
	v_pk_add_f16 v31, v14, v26
	v_max_f16_e32 v48, v89, v89
	v_pk_add_f16 v50, v15, v27
	v_min_f16_e32 v48, v48, v31
	v_lshrrev_b32_e32 v49, 16, v89
	v_lshrrev_b32_e32 v31, 16, v31
	;; [unrolled: 1-line block ×3, first 2 shown]
	v_min3_f16 v31, v49, v31, v51
	v_min3_f16 v31, v48, v50, v31
	v_cvt_f32_f16_e32 v31, v31
	v_max_f32_e32 v30, v30, v30
	v_min_f32_e32 v30, v30, v31
	v_cvt_f16_f32_e32 v48, v30
	v_lshl_add_u64 v[30:31], v[38:39], 1, v[24:25]
	flat_store_short v[30:31], v48
	s_or_b64 exec, exec, s[26:27]
	s_and_b64 s[34:35], s[10:11], s[18:19]
	s_and_saveexec_b64 s[26:27], s[34:35]
	s_cbranch_execz .LBB230_184
.LBB230_203:
	s_and_b64 vcc, exec, s[0:1]
	s_cbranch_vccnz .LBB230_205
; %bb.204:
	v_lshl_add_u64 v[30:31], v[40:41], 1, v[28:29]
	flat_load_ushort v30, v[30:31]
	s_waitcnt vmcnt(0) lgkmcnt(0)
	v_mul_f16_e32 v30, s30, v30
	v_cvt_f32_f16_e32 v30, v30
	s_branch .LBB230_206
.LBB230_205:
	v_mov_b32_e32 v30, 0
.LBB230_206:
	v_pk_add_f16 v31, v8, v26
	v_max_f16_e32 v48, v87, v87
	v_pk_add_f16 v50, v9, v27
	v_min_f16_e32 v48, v48, v31
	v_lshrrev_b32_e32 v49, 16, v87
	v_lshrrev_b32_e32 v31, 16, v31
	;; [unrolled: 1-line block ×3, first 2 shown]
	v_min3_f16 v31, v49, v31, v51
	v_min3_f16 v31, v48, v50, v31
	v_cvt_f32_f16_e32 v31, v31
	v_max_f32_e32 v30, v30, v30
	v_min_f32_e32 v30, v30, v31
	v_cvt_f16_f32_e32 v48, v30
	v_lshl_add_u64 v[30:31], v[40:41], 1, v[24:25]
	flat_store_short v[30:31], v48
	s_or_b64 exec, exec, s[26:27]
	s_and_b64 s[34:35], s[12:13], s[18:19]
	s_and_saveexec_b64 s[26:27], s[34:35]
	s_cbranch_execz .LBB230_185
.LBB230_207:
	s_and_b64 vcc, exec, s[0:1]
	s_cbranch_vccnz .LBB230_209
; %bb.208:
	v_lshl_add_u64 v[30:31], v[42:43], 1, v[28:29]
	flat_load_ushort v30, v[30:31]
	s_waitcnt vmcnt(0) lgkmcnt(0)
	v_mul_f16_e32 v30, s30, v30
	v_cvt_f32_f16_e32 v30, v30
	s_branch .LBB230_210
.LBB230_209:
	v_mov_b32_e32 v30, 0
.LBB230_210:
	v_pk_add_f16 v31, v10, v26
	v_max_f16_e32 v48, v86, v86
	v_pk_add_f16 v50, v11, v27
	v_min_f16_e32 v48, v48, v31
	v_lshrrev_b32_e32 v49, 16, v86
	v_lshrrev_b32_e32 v31, 16, v31
	;; [unrolled: 1-line block ×3, first 2 shown]
	v_min3_f16 v31, v49, v31, v51
	v_min3_f16 v31, v48, v50, v31
	v_cvt_f32_f16_e32 v31, v31
	v_max_f32_e32 v30, v30, v30
	v_min_f32_e32 v30, v30, v31
	v_cvt_f16_f32_e32 v48, v30
	v_lshl_add_u64 v[30:31], v[42:43], 1, v[24:25]
	flat_store_short v[30:31], v48
	s_or_b64 exec, exec, s[26:27]
	s_and_b64 s[34:35], s[14:15], s[18:19]
	s_and_saveexec_b64 s[26:27], s[34:35]
	s_cbranch_execz .LBB230_186
.LBB230_211:
	s_and_b64 vcc, exec, s[0:1]
	s_cbranch_vccnz .LBB230_213
; %bb.212:
	v_lshl_add_u64 v[30:31], v[44:45], 1, v[28:29]
	flat_load_ushort v30, v[30:31]
	s_waitcnt vmcnt(0) lgkmcnt(0)
	v_mul_f16_e32 v30, s30, v30
	v_cvt_f32_f16_e32 v30, v30
	s_branch .LBB230_214
.LBB230_213:
	v_mov_b32_e32 v30, 0
.LBB230_214:
	v_pk_add_f16 v31, v0, v26
	v_max_f16_e32 v48, v85, v85
	v_pk_add_f16 v50, v1, v27
	v_min_f16_e32 v48, v48, v31
	v_lshrrev_b32_e32 v49, 16, v85
	v_lshrrev_b32_e32 v31, 16, v31
	;; [unrolled: 1-line block ×3, first 2 shown]
	v_min3_f16 v31, v49, v31, v51
	v_min3_f16 v31, v48, v50, v31
	v_cvt_f32_f16_e32 v31, v31
	v_max_f32_e32 v30, v30, v30
	v_min_f32_e32 v30, v30, v31
	v_cvt_f16_f32_e32 v48, v30
	v_lshl_add_u64 v[30:31], v[44:45], 1, v[24:25]
	flat_store_short v[30:31], v48
	s_or_b64 exec, exec, s[26:27]
	s_and_b64 s[26:27], s[16:17], s[18:19]
	s_and_saveexec_b64 s[18:19], s[26:27]
	s_cbranch_execz .LBB230_219
.LBB230_215:
	s_and_b64 vcc, exec, s[0:1]
	s_cbranch_vccnz .LBB230_217
; %bb.216:
	v_lshl_add_u64 v[28:29], v[46:47], 1, v[28:29]
	flat_load_ushort v28, v[28:29]
	s_waitcnt vmcnt(0) lgkmcnt(0)
	v_mul_f16_e32 v28, s30, v28
	v_cvt_f32_f16_e32 v28, v28
	s_branch .LBB230_218
.LBB230_217:
	v_mov_b32_e32 v28, 0
.LBB230_218:
	v_pk_add_f16 v26, v2, v26
	v_max_f16_e32 v29, v84, v84
	v_pk_add_f16 v27, v3, v27
	v_min_f16_e32 v29, v29, v26
	v_lshrrev_b32_e32 v30, 16, v84
	v_lshrrev_b32_e32 v26, 16, v26
	;; [unrolled: 1-line block ×3, first 2 shown]
	v_min3_f16 v26, v30, v26, v31
	v_min3_f16 v26, v29, v27, v26
	v_cvt_f32_f16_e32 v26, v26
	v_max_f32_e32 v27, v28, v28
	v_lshl_add_u64 v[24:25], v[46:47], 1, v[24:25]
	v_min_f32_e32 v26, v27, v26
	v_cvt_f16_f32_e32 v26, v26
	flat_store_short v[24:25], v26
.LBB230_219:
	s_or_b64 exec, exec, s[18:19]
	v_add_u32_e32 v28, 0x80, v103
	v_mad_i64_i32 v[24:25], s[26:27], v28, s29, 0
	v_cmp_gt_i32_e64 s[18:19], s21, v28
	v_lshl_add_u64 v[26:27], v[24:25], 1, s[24:25]
	v_mad_i64_i32 v[24:25], s[26:27], v28, s28, 0
	v_lshl_add_u64 v[24:25], v[24:25], 1, s[22:23]
	s_and_b64 s[34:35], s[2:3], s[18:19]
	s_and_saveexec_b64 s[26:27], s[34:35]
	s_cbranch_execnz .LBB230_227
; %bb.220:
	s_or_b64 exec, exec, s[26:27]
	s_and_b64 s[34:35], s[4:5], s[18:19]
	s_and_saveexec_b64 s[26:27], s[34:35]
	s_cbranch_execnz .LBB230_231
.LBB230_221:
	s_or_b64 exec, exec, s[26:27]
	s_and_b64 s[34:35], s[6:7], s[18:19]
	s_and_saveexec_b64 s[26:27], s[34:35]
	s_cbranch_execnz .LBB230_235
.LBB230_222:
	s_or_b64 exec, exec, s[26:27]
	s_and_b64 s[34:35], s[8:9], s[18:19]
	s_and_saveexec_b64 s[26:27], s[34:35]
	s_cbranch_execnz .LBB230_239
.LBB230_223:
	s_or_b64 exec, exec, s[26:27]
	s_and_b64 s[34:35], s[10:11], s[18:19]
	s_and_saveexec_b64 s[26:27], s[34:35]
	s_cbranch_execnz .LBB230_243
.LBB230_224:
	s_or_b64 exec, exec, s[26:27]
	s_and_b64 s[34:35], s[12:13], s[18:19]
	s_and_saveexec_b64 s[26:27], s[34:35]
	s_cbranch_execnz .LBB230_247
.LBB230_225:
	s_or_b64 exec, exec, s[26:27]
	s_and_b64 s[34:35], s[14:15], s[18:19]
	s_and_saveexec_b64 s[26:27], s[34:35]
	s_cbranch_execnz .LBB230_251
.LBB230_226:
	s_or_b64 exec, exec, s[26:27]
	s_and_b64 s[26:27], s[16:17], s[18:19]
	s_and_saveexec_b64 s[18:19], s[26:27]
	s_cbranch_execnz .LBB230_255
	s_branch .LBB230_259
.LBB230_227:
	s_and_b64 vcc, exec, s[0:1]
	s_cbranch_vccnz .LBB230_229
; %bb.228:
	v_lshl_add_u64 v[28:29], v[32:33], 1, v[26:27]
	flat_load_ushort v28, v[28:29]
	s_waitcnt vmcnt(0) lgkmcnt(0)
	v_mul_f16_e32 v28, s30, v28
	v_cvt_f32_f16_e32 v28, v28
	s_branch .LBB230_230
.LBB230_229:
	v_mov_b32_e32 v28, 0
.LBB230_230:
	v_pk_add_f16 v29, v16, v20
	v_max_f16_e32 v30, v83, v83
	v_pk_add_f16 v48, v17, v21
	v_min_f16_e32 v30, v30, v29
	v_lshrrev_b32_e32 v31, 16, v83
	v_lshrrev_b32_e32 v29, 16, v29
	;; [unrolled: 1-line block ×3, first 2 shown]
	v_min3_f16 v29, v31, v29, v49
	v_min3_f16 v29, v30, v48, v29
	v_cvt_f32_f16_e32 v29, v29
	v_max_f32_e32 v28, v28, v28
	v_min_f32_e32 v28, v28, v29
	v_cvt_f16_f32_e32 v30, v28
	v_lshl_add_u64 v[28:29], v[32:33], 1, v[24:25]
	flat_store_short v[28:29], v30
	s_or_b64 exec, exec, s[26:27]
	s_and_b64 s[34:35], s[4:5], s[18:19]
	s_and_saveexec_b64 s[26:27], s[34:35]
	s_cbranch_execz .LBB230_221
.LBB230_231:
	s_and_b64 vcc, exec, s[0:1]
	s_cbranch_vccnz .LBB230_233
; %bb.232:
	v_lshl_add_u64 v[28:29], v[34:35], 1, v[26:27]
	flat_load_ushort v28, v[28:29]
	s_waitcnt vmcnt(0) lgkmcnt(0)
	v_mul_f16_e32 v28, s30, v28
	v_cvt_f32_f16_e32 v28, v28
	s_branch .LBB230_234
.LBB230_233:
	v_mov_b32_e32 v28, 0
.LBB230_234:
	v_pk_add_f16 v29, v18, v20
	v_max_f16_e32 v30, v82, v82
	v_pk_add_f16 v48, v19, v21
	v_min_f16_e32 v30, v30, v29
	v_lshrrev_b32_e32 v31, 16, v82
	v_lshrrev_b32_e32 v29, 16, v29
	v_lshrrev_b32_e32 v49, 16, v48
	v_min3_f16 v29, v31, v29, v49
	v_min3_f16 v29, v30, v48, v29
	v_cvt_f32_f16_e32 v29, v29
	v_max_f32_e32 v28, v28, v28
	v_min_f32_e32 v28, v28, v29
	v_cvt_f16_f32_e32 v30, v28
	v_lshl_add_u64 v[28:29], v[34:35], 1, v[24:25]
	flat_store_short v[28:29], v30
	s_or_b64 exec, exec, s[26:27]
	s_and_b64 s[34:35], s[6:7], s[18:19]
	s_and_saveexec_b64 s[26:27], s[34:35]
	s_cbranch_execz .LBB230_222
.LBB230_235:
	s_and_b64 vcc, exec, s[0:1]
	s_cbranch_vccnz .LBB230_237
; %bb.236:
	v_lshl_add_u64 v[28:29], v[36:37], 1, v[26:27]
	flat_load_ushort v28, v[28:29]
	s_waitcnt vmcnt(0) lgkmcnt(0)
	v_mul_f16_e32 v28, s30, v28
	v_cvt_f32_f16_e32 v28, v28
	s_branch .LBB230_238
.LBB230_237:
	v_mov_b32_e32 v28, 0
.LBB230_238:
	v_pk_add_f16 v29, v12, v20
	v_max_f16_e32 v30, v81, v81
	v_pk_add_f16 v48, v13, v21
	v_min_f16_e32 v30, v30, v29
	v_lshrrev_b32_e32 v31, 16, v81
	v_lshrrev_b32_e32 v29, 16, v29
	;; [unrolled: 1-line block ×3, first 2 shown]
	v_min3_f16 v29, v31, v29, v49
	v_min3_f16 v29, v30, v48, v29
	v_cvt_f32_f16_e32 v29, v29
	v_max_f32_e32 v28, v28, v28
	v_min_f32_e32 v28, v28, v29
	v_cvt_f16_f32_e32 v30, v28
	v_lshl_add_u64 v[28:29], v[36:37], 1, v[24:25]
	flat_store_short v[28:29], v30
	s_or_b64 exec, exec, s[26:27]
	s_and_b64 s[34:35], s[8:9], s[18:19]
	s_and_saveexec_b64 s[26:27], s[34:35]
	s_cbranch_execz .LBB230_223
.LBB230_239:
	s_and_b64 vcc, exec, s[0:1]
	s_cbranch_vccnz .LBB230_241
; %bb.240:
	v_lshl_add_u64 v[28:29], v[38:39], 1, v[26:27]
	flat_load_ushort v28, v[28:29]
	s_waitcnt vmcnt(0) lgkmcnt(0)
	v_mul_f16_e32 v28, s30, v28
	v_cvt_f32_f16_e32 v28, v28
	s_branch .LBB230_242
.LBB230_241:
	v_mov_b32_e32 v28, 0
.LBB230_242:
	v_pk_add_f16 v29, v14, v20
	v_max_f16_e32 v30, v80, v80
	v_pk_add_f16 v48, v15, v21
	v_min_f16_e32 v30, v30, v29
	v_lshrrev_b32_e32 v31, 16, v80
	v_lshrrev_b32_e32 v29, 16, v29
	;; [unrolled: 1-line block ×3, first 2 shown]
	v_min3_f16 v29, v31, v29, v49
	v_min3_f16 v29, v30, v48, v29
	v_cvt_f32_f16_e32 v29, v29
	v_max_f32_e32 v28, v28, v28
	v_min_f32_e32 v28, v28, v29
	v_cvt_f16_f32_e32 v30, v28
	v_lshl_add_u64 v[28:29], v[38:39], 1, v[24:25]
	flat_store_short v[28:29], v30
	s_or_b64 exec, exec, s[26:27]
	s_and_b64 s[34:35], s[10:11], s[18:19]
	s_and_saveexec_b64 s[26:27], s[34:35]
	s_cbranch_execz .LBB230_224
.LBB230_243:
	s_and_b64 vcc, exec, s[0:1]
	s_cbranch_vccnz .LBB230_245
; %bb.244:
	v_lshl_add_u64 v[28:29], v[40:41], 1, v[26:27]
	flat_load_ushort v28, v[28:29]
	s_waitcnt vmcnt(0) lgkmcnt(0)
	v_mul_f16_e32 v28, s30, v28
	v_cvt_f32_f16_e32 v28, v28
	s_branch .LBB230_246
.LBB230_245:
	v_mov_b32_e32 v28, 0
.LBB230_246:
	v_pk_add_f16 v29, v8, v20
	v_max_f16_e32 v30, v79, v79
	v_pk_add_f16 v48, v9, v21
	v_min_f16_e32 v30, v30, v29
	v_lshrrev_b32_e32 v31, 16, v79
	v_lshrrev_b32_e32 v29, 16, v29
	;; [unrolled: 1-line block ×3, first 2 shown]
	v_min3_f16 v29, v31, v29, v49
	v_min3_f16 v29, v30, v48, v29
	v_cvt_f32_f16_e32 v29, v29
	v_max_f32_e32 v28, v28, v28
	v_min_f32_e32 v28, v28, v29
	v_cvt_f16_f32_e32 v30, v28
	v_lshl_add_u64 v[28:29], v[40:41], 1, v[24:25]
	flat_store_short v[28:29], v30
	s_or_b64 exec, exec, s[26:27]
	s_and_b64 s[34:35], s[12:13], s[18:19]
	s_and_saveexec_b64 s[26:27], s[34:35]
	s_cbranch_execz .LBB230_225
.LBB230_247:
	s_and_b64 vcc, exec, s[0:1]
	s_cbranch_vccnz .LBB230_249
; %bb.248:
	v_lshl_add_u64 v[28:29], v[42:43], 1, v[26:27]
	flat_load_ushort v28, v[28:29]
	s_waitcnt vmcnt(0) lgkmcnt(0)
	v_mul_f16_e32 v28, s30, v28
	v_cvt_f32_f16_e32 v28, v28
	s_branch .LBB230_250
.LBB230_249:
	v_mov_b32_e32 v28, 0
.LBB230_250:
	v_pk_add_f16 v29, v10, v20
	v_max_f16_e32 v30, v78, v78
	v_pk_add_f16 v48, v11, v21
	v_min_f16_e32 v30, v30, v29
	v_lshrrev_b32_e32 v31, 16, v78
	v_lshrrev_b32_e32 v29, 16, v29
	;; [unrolled: 1-line block ×3, first 2 shown]
	v_min3_f16 v29, v31, v29, v49
	v_min3_f16 v29, v30, v48, v29
	v_cvt_f32_f16_e32 v29, v29
	v_max_f32_e32 v28, v28, v28
	v_min_f32_e32 v28, v28, v29
	v_cvt_f16_f32_e32 v30, v28
	v_lshl_add_u64 v[28:29], v[42:43], 1, v[24:25]
	flat_store_short v[28:29], v30
	s_or_b64 exec, exec, s[26:27]
	s_and_b64 s[34:35], s[14:15], s[18:19]
	s_and_saveexec_b64 s[26:27], s[34:35]
	s_cbranch_execz .LBB230_226
.LBB230_251:
	s_and_b64 vcc, exec, s[0:1]
	s_cbranch_vccnz .LBB230_253
; %bb.252:
	v_lshl_add_u64 v[28:29], v[44:45], 1, v[26:27]
	flat_load_ushort v28, v[28:29]
	s_waitcnt vmcnt(0) lgkmcnt(0)
	v_mul_f16_e32 v28, s30, v28
	v_cvt_f32_f16_e32 v28, v28
	s_branch .LBB230_254
.LBB230_253:
	v_mov_b32_e32 v28, 0
.LBB230_254:
	v_pk_add_f16 v29, v0, v20
	v_max_f16_e32 v30, v77, v77
	v_pk_add_f16 v48, v1, v21
	v_min_f16_e32 v30, v30, v29
	v_lshrrev_b32_e32 v31, 16, v77
	v_lshrrev_b32_e32 v29, 16, v29
	;; [unrolled: 1-line block ×3, first 2 shown]
	v_min3_f16 v29, v31, v29, v49
	v_min3_f16 v29, v30, v48, v29
	v_cvt_f32_f16_e32 v29, v29
	v_max_f32_e32 v28, v28, v28
	v_min_f32_e32 v28, v28, v29
	v_cvt_f16_f32_e32 v30, v28
	v_lshl_add_u64 v[28:29], v[44:45], 1, v[24:25]
	flat_store_short v[28:29], v30
	s_or_b64 exec, exec, s[26:27]
	s_and_b64 s[26:27], s[16:17], s[18:19]
	s_and_saveexec_b64 s[18:19], s[26:27]
	s_cbranch_execz .LBB230_259
.LBB230_255:
	s_and_b64 vcc, exec, s[0:1]
	s_cbranch_vccnz .LBB230_257
; %bb.256:
	v_lshl_add_u64 v[26:27], v[46:47], 1, v[26:27]
	flat_load_ushort v26, v[26:27]
	s_waitcnt vmcnt(0) lgkmcnt(0)
	v_mul_f16_e32 v26, s30, v26
	v_cvt_f32_f16_e32 v26, v26
	s_branch .LBB230_258
.LBB230_257:
	v_mov_b32_e32 v26, 0
.LBB230_258:
	v_pk_add_f16 v20, v2, v20
	v_max_f16_e32 v27, v76, v76
	v_pk_add_f16 v21, v3, v21
	v_min_f16_e32 v27, v27, v20
	v_lshrrev_b32_e32 v28, 16, v76
	v_lshrrev_b32_e32 v20, 16, v20
	v_lshrrev_b32_e32 v29, 16, v21
	v_min3_f16 v20, v28, v20, v29
	v_min3_f16 v20, v27, v21, v20
	v_cvt_f32_f16_e32 v20, v20
	v_max_f32_e32 v21, v26, v26
	v_min_f32_e32 v20, v21, v20
	v_cvt_f16_f32_e32 v26, v20
	v_lshl_add_u64 v[20:21], v[46:47], 1, v[24:25]
	flat_store_short v[20:21], v26
.LBB230_259:
	s_or_b64 exec, exec, s[18:19]
	v_add_u32_e32 v26, 0xa0, v103
	v_mad_i64_i32 v[20:21], s[26:27], v26, s29, 0
	v_cmp_gt_i32_e64 s[18:19], s21, v26
	v_lshl_add_u64 v[24:25], v[20:21], 1, s[24:25]
	v_mad_i64_i32 v[20:21], s[26:27], v26, s28, 0
	v_lshl_add_u64 v[20:21], v[20:21], 1, s[22:23]
	s_and_b64 s[34:35], s[2:3], s[18:19]
	s_and_saveexec_b64 s[26:27], s[34:35]
	s_cbranch_execnz .LBB230_267
; %bb.260:
	s_or_b64 exec, exec, s[26:27]
	s_and_b64 s[34:35], s[4:5], s[18:19]
	s_and_saveexec_b64 s[26:27], s[34:35]
	s_cbranch_execnz .LBB230_271
.LBB230_261:
	s_or_b64 exec, exec, s[26:27]
	s_and_b64 s[34:35], s[6:7], s[18:19]
	s_and_saveexec_b64 s[26:27], s[34:35]
	s_cbranch_execnz .LBB230_275
.LBB230_262:
	s_or_b64 exec, exec, s[26:27]
	s_and_b64 s[34:35], s[8:9], s[18:19]
	s_and_saveexec_b64 s[26:27], s[34:35]
	s_cbranch_execnz .LBB230_279
.LBB230_263:
	s_or_b64 exec, exec, s[26:27]
	s_and_b64 s[34:35], s[10:11], s[18:19]
	s_and_saveexec_b64 s[26:27], s[34:35]
	s_cbranch_execnz .LBB230_283
.LBB230_264:
	s_or_b64 exec, exec, s[26:27]
	s_and_b64 s[34:35], s[12:13], s[18:19]
	s_and_saveexec_b64 s[26:27], s[34:35]
	s_cbranch_execnz .LBB230_287
.LBB230_265:
	s_or_b64 exec, exec, s[26:27]
	s_and_b64 s[34:35], s[14:15], s[18:19]
	s_and_saveexec_b64 s[26:27], s[34:35]
	s_cbranch_execnz .LBB230_291
.LBB230_266:
	s_or_b64 exec, exec, s[26:27]
	s_and_b64 s[26:27], s[16:17], s[18:19]
	s_and_saveexec_b64 s[18:19], s[26:27]
	s_cbranch_execnz .LBB230_295
	s_branch .LBB230_299
.LBB230_267:
	s_and_b64 vcc, exec, s[0:1]
	s_cbranch_vccnz .LBB230_269
; %bb.268:
	v_lshl_add_u64 v[26:27], v[32:33], 1, v[24:25]
	flat_load_ushort v26, v[26:27]
	s_waitcnt vmcnt(0) lgkmcnt(0)
	v_mul_f16_e32 v26, s30, v26
	v_cvt_f32_f16_e32 v26, v26
	s_branch .LBB230_270
.LBB230_269:
	v_mov_b32_e32 v26, 0
.LBB230_270:
	v_pk_add_f16 v27, v16, v22
	v_max_f16_e32 v28, v75, v75
	v_pk_add_f16 v30, v17, v23
	v_min_f16_e32 v28, v28, v27
	v_lshrrev_b32_e32 v29, 16, v75
	v_lshrrev_b32_e32 v27, 16, v27
	;; [unrolled: 1-line block ×3, first 2 shown]
	v_min3_f16 v27, v29, v27, v31
	v_min3_f16 v27, v28, v30, v27
	v_cvt_f32_f16_e32 v27, v27
	v_max_f32_e32 v26, v26, v26
	v_min_f32_e32 v26, v26, v27
	v_cvt_f16_f32_e32 v28, v26
	v_lshl_add_u64 v[26:27], v[32:33], 1, v[20:21]
	flat_store_short v[26:27], v28
	s_or_b64 exec, exec, s[26:27]
	s_and_b64 s[34:35], s[4:5], s[18:19]
	s_and_saveexec_b64 s[26:27], s[34:35]
	s_cbranch_execz .LBB230_261
.LBB230_271:
	s_and_b64 vcc, exec, s[0:1]
	s_cbranch_vccnz .LBB230_273
; %bb.272:
	v_lshl_add_u64 v[26:27], v[34:35], 1, v[24:25]
	flat_load_ushort v26, v[26:27]
	s_waitcnt vmcnt(0) lgkmcnt(0)
	v_mul_f16_e32 v26, s30, v26
	v_cvt_f32_f16_e32 v26, v26
	s_branch .LBB230_274
.LBB230_273:
	v_mov_b32_e32 v26, 0
.LBB230_274:
	v_pk_add_f16 v27, v18, v22
	v_max_f16_e32 v28, v74, v74
	v_pk_add_f16 v30, v19, v23
	v_min_f16_e32 v28, v28, v27
	v_lshrrev_b32_e32 v29, 16, v74
	v_lshrrev_b32_e32 v27, 16, v27
	;; [unrolled: 1-line block ×3, first 2 shown]
	v_min3_f16 v27, v29, v27, v31
	v_min3_f16 v27, v28, v30, v27
	v_cvt_f32_f16_e32 v27, v27
	v_max_f32_e32 v26, v26, v26
	v_min_f32_e32 v26, v26, v27
	v_cvt_f16_f32_e32 v28, v26
	v_lshl_add_u64 v[26:27], v[34:35], 1, v[20:21]
	flat_store_short v[26:27], v28
	s_or_b64 exec, exec, s[26:27]
	s_and_b64 s[34:35], s[6:7], s[18:19]
	s_and_saveexec_b64 s[26:27], s[34:35]
	s_cbranch_execz .LBB230_262
.LBB230_275:
	s_and_b64 vcc, exec, s[0:1]
	s_cbranch_vccnz .LBB230_277
; %bb.276:
	v_lshl_add_u64 v[26:27], v[36:37], 1, v[24:25]
	flat_load_ushort v26, v[26:27]
	s_waitcnt vmcnt(0) lgkmcnt(0)
	v_mul_f16_e32 v26, s30, v26
	v_cvt_f32_f16_e32 v26, v26
	s_branch .LBB230_278
.LBB230_277:
	v_mov_b32_e32 v26, 0
.LBB230_278:
	v_pk_add_f16 v27, v12, v22
	v_max_f16_e32 v28, v73, v73
	v_pk_add_f16 v30, v13, v23
	v_min_f16_e32 v28, v28, v27
	v_lshrrev_b32_e32 v29, 16, v73
	v_lshrrev_b32_e32 v27, 16, v27
	;; [unrolled: 1-line block ×3, first 2 shown]
	v_min3_f16 v27, v29, v27, v31
	v_min3_f16 v27, v28, v30, v27
	v_cvt_f32_f16_e32 v27, v27
	v_max_f32_e32 v26, v26, v26
	v_min_f32_e32 v26, v26, v27
	v_cvt_f16_f32_e32 v28, v26
	v_lshl_add_u64 v[26:27], v[36:37], 1, v[20:21]
	flat_store_short v[26:27], v28
	s_or_b64 exec, exec, s[26:27]
	s_and_b64 s[34:35], s[8:9], s[18:19]
	s_and_saveexec_b64 s[26:27], s[34:35]
	s_cbranch_execz .LBB230_263
.LBB230_279:
	s_and_b64 vcc, exec, s[0:1]
	s_cbranch_vccnz .LBB230_281
; %bb.280:
	v_lshl_add_u64 v[26:27], v[38:39], 1, v[24:25]
	flat_load_ushort v26, v[26:27]
	s_waitcnt vmcnt(0) lgkmcnt(0)
	v_mul_f16_e32 v26, s30, v26
	v_cvt_f32_f16_e32 v26, v26
	s_branch .LBB230_282
.LBB230_281:
	v_mov_b32_e32 v26, 0
.LBB230_282:
	v_pk_add_f16 v27, v14, v22
	v_max_f16_e32 v28, v72, v72
	v_pk_add_f16 v30, v15, v23
	v_min_f16_e32 v28, v28, v27
	v_lshrrev_b32_e32 v29, 16, v72
	v_lshrrev_b32_e32 v27, 16, v27
	;; [unrolled: 1-line block ×3, first 2 shown]
	v_min3_f16 v27, v29, v27, v31
	v_min3_f16 v27, v28, v30, v27
	v_cvt_f32_f16_e32 v27, v27
	v_max_f32_e32 v26, v26, v26
	v_min_f32_e32 v26, v26, v27
	v_cvt_f16_f32_e32 v28, v26
	v_lshl_add_u64 v[26:27], v[38:39], 1, v[20:21]
	flat_store_short v[26:27], v28
	s_or_b64 exec, exec, s[26:27]
	s_and_b64 s[34:35], s[10:11], s[18:19]
	s_and_saveexec_b64 s[26:27], s[34:35]
	s_cbranch_execz .LBB230_264
.LBB230_283:
	s_and_b64 vcc, exec, s[0:1]
	s_cbranch_vccnz .LBB230_285
; %bb.284:
	v_lshl_add_u64 v[26:27], v[40:41], 1, v[24:25]
	flat_load_ushort v26, v[26:27]
	s_waitcnt vmcnt(0) lgkmcnt(0)
	v_mul_f16_e32 v26, s30, v26
	v_cvt_f32_f16_e32 v26, v26
	s_branch .LBB230_286
.LBB230_285:
	v_mov_b32_e32 v26, 0
.LBB230_286:
	v_pk_add_f16 v27, v8, v22
	v_max_f16_e32 v28, v71, v71
	v_pk_add_f16 v30, v9, v23
	v_min_f16_e32 v28, v28, v27
	v_lshrrev_b32_e32 v29, 16, v71
	v_lshrrev_b32_e32 v27, 16, v27
	;; [unrolled: 1-line block ×3, first 2 shown]
	v_min3_f16 v27, v29, v27, v31
	v_min3_f16 v27, v28, v30, v27
	v_cvt_f32_f16_e32 v27, v27
	v_max_f32_e32 v26, v26, v26
	v_min_f32_e32 v26, v26, v27
	v_cvt_f16_f32_e32 v28, v26
	v_lshl_add_u64 v[26:27], v[40:41], 1, v[20:21]
	flat_store_short v[26:27], v28
	s_or_b64 exec, exec, s[26:27]
	s_and_b64 s[34:35], s[12:13], s[18:19]
	s_and_saveexec_b64 s[26:27], s[34:35]
	s_cbranch_execz .LBB230_265
.LBB230_287:
	s_and_b64 vcc, exec, s[0:1]
	s_cbranch_vccnz .LBB230_289
; %bb.288:
	v_lshl_add_u64 v[26:27], v[42:43], 1, v[24:25]
	flat_load_ushort v26, v[26:27]
	s_waitcnt vmcnt(0) lgkmcnt(0)
	v_mul_f16_e32 v26, s30, v26
	v_cvt_f32_f16_e32 v26, v26
	s_branch .LBB230_290
.LBB230_289:
	v_mov_b32_e32 v26, 0
.LBB230_290:
	v_pk_add_f16 v27, v10, v22
	v_max_f16_e32 v28, v70, v70
	v_pk_add_f16 v30, v11, v23
	v_min_f16_e32 v28, v28, v27
	v_lshrrev_b32_e32 v29, 16, v70
	v_lshrrev_b32_e32 v27, 16, v27
	;; [unrolled: 1-line block ×3, first 2 shown]
	v_min3_f16 v27, v29, v27, v31
	v_min3_f16 v27, v28, v30, v27
	v_cvt_f32_f16_e32 v27, v27
	v_max_f32_e32 v26, v26, v26
	v_min_f32_e32 v26, v26, v27
	v_cvt_f16_f32_e32 v28, v26
	v_lshl_add_u64 v[26:27], v[42:43], 1, v[20:21]
	flat_store_short v[26:27], v28
	s_or_b64 exec, exec, s[26:27]
	s_and_b64 s[34:35], s[14:15], s[18:19]
	s_and_saveexec_b64 s[26:27], s[34:35]
	s_cbranch_execz .LBB230_266
.LBB230_291:
	s_and_b64 vcc, exec, s[0:1]
	s_cbranch_vccnz .LBB230_293
; %bb.292:
	v_lshl_add_u64 v[26:27], v[44:45], 1, v[24:25]
	flat_load_ushort v26, v[26:27]
	s_waitcnt vmcnt(0) lgkmcnt(0)
	v_mul_f16_e32 v26, s30, v26
	v_cvt_f32_f16_e32 v26, v26
	s_branch .LBB230_294
.LBB230_293:
	v_mov_b32_e32 v26, 0
.LBB230_294:
	v_pk_add_f16 v27, v0, v22
	v_max_f16_e32 v28, v69, v69
	v_pk_add_f16 v30, v1, v23
	v_min_f16_e32 v28, v28, v27
	v_lshrrev_b32_e32 v29, 16, v69
	v_lshrrev_b32_e32 v27, 16, v27
	;; [unrolled: 1-line block ×3, first 2 shown]
	v_min3_f16 v27, v29, v27, v31
	v_min3_f16 v27, v28, v30, v27
	v_cvt_f32_f16_e32 v27, v27
	v_max_f32_e32 v26, v26, v26
	v_min_f32_e32 v26, v26, v27
	v_cvt_f16_f32_e32 v28, v26
	v_lshl_add_u64 v[26:27], v[44:45], 1, v[20:21]
	flat_store_short v[26:27], v28
	s_or_b64 exec, exec, s[26:27]
	s_and_b64 s[26:27], s[16:17], s[18:19]
	s_and_saveexec_b64 s[18:19], s[26:27]
	s_cbranch_execz .LBB230_299
.LBB230_295:
	s_and_b64 vcc, exec, s[0:1]
	s_cbranch_vccnz .LBB230_297
; %bb.296:
	v_lshl_add_u64 v[24:25], v[46:47], 1, v[24:25]
	flat_load_ushort v24, v[24:25]
	s_waitcnt vmcnt(0) lgkmcnt(0)
	v_mul_f16_e32 v24, s30, v24
	v_cvt_f32_f16_e32 v24, v24
	s_branch .LBB230_298
.LBB230_297:
	v_mov_b32_e32 v24, 0
.LBB230_298:
	v_pk_add_f16 v22, v2, v22
	v_max_f16_e32 v25, v68, v68
	v_pk_add_f16 v23, v3, v23
	v_min_f16_e32 v25, v25, v22
	v_lshrrev_b32_e32 v26, 16, v68
	v_lshrrev_b32_e32 v22, 16, v22
	;; [unrolled: 1-line block ×3, first 2 shown]
	v_min3_f16 v22, v26, v22, v27
	v_min3_f16 v22, v25, v23, v22
	v_cvt_f32_f16_e32 v22, v22
	v_max_f32_e32 v23, v24, v24
	v_lshl_add_u64 v[20:21], v[46:47], 1, v[20:21]
	v_min_f32_e32 v22, v23, v22
	v_cvt_f16_f32_e32 v22, v22
	flat_store_short v[20:21], v22
.LBB230_299:
	s_or_b64 exec, exec, s[18:19]
	v_add_u32_e32 v24, 0xc0, v103
	v_mad_i64_i32 v[20:21], s[26:27], v24, s29, 0
	v_cmp_gt_i32_e64 s[18:19], s21, v24
	v_lshl_add_u64 v[22:23], v[20:21], 1, s[24:25]
	v_mad_i64_i32 v[20:21], s[26:27], v24, s28, 0
	v_lshl_add_u64 v[20:21], v[20:21], 1, s[22:23]
	s_and_b64 s[34:35], s[2:3], s[18:19]
	s_and_saveexec_b64 s[26:27], s[34:35]
	s_cbranch_execnz .LBB230_307
; %bb.300:
	s_or_b64 exec, exec, s[26:27]
	s_and_b64 s[34:35], s[4:5], s[18:19]
	s_and_saveexec_b64 s[26:27], s[34:35]
	s_cbranch_execnz .LBB230_311
.LBB230_301:
	s_or_b64 exec, exec, s[26:27]
	s_and_b64 s[34:35], s[6:7], s[18:19]
	s_and_saveexec_b64 s[26:27], s[34:35]
	s_cbranch_execnz .LBB230_315
.LBB230_302:
	s_or_b64 exec, exec, s[26:27]
	s_and_b64 s[34:35], s[8:9], s[18:19]
	s_and_saveexec_b64 s[26:27], s[34:35]
	s_cbranch_execnz .LBB230_319
.LBB230_303:
	s_or_b64 exec, exec, s[26:27]
	s_and_b64 s[34:35], s[10:11], s[18:19]
	s_and_saveexec_b64 s[26:27], s[34:35]
	s_cbranch_execnz .LBB230_323
.LBB230_304:
	s_or_b64 exec, exec, s[26:27]
	s_and_b64 s[34:35], s[12:13], s[18:19]
	s_and_saveexec_b64 s[26:27], s[34:35]
	s_cbranch_execnz .LBB230_327
.LBB230_305:
	s_or_b64 exec, exec, s[26:27]
	s_and_b64 s[34:35], s[14:15], s[18:19]
	s_and_saveexec_b64 s[26:27], s[34:35]
	s_cbranch_execnz .LBB230_331
.LBB230_306:
	s_or_b64 exec, exec, s[26:27]
	s_and_b64 s[26:27], s[16:17], s[18:19]
	s_and_saveexec_b64 s[18:19], s[26:27]
	s_cbranch_execnz .LBB230_335
	s_branch .LBB230_339
.LBB230_307:
	s_and_b64 vcc, exec, s[0:1]
	s_cbranch_vccnz .LBB230_309
; %bb.308:
	v_lshl_add_u64 v[24:25], v[32:33], 1, v[22:23]
	flat_load_ushort v24, v[24:25]
	s_waitcnt vmcnt(0) lgkmcnt(0)
	v_mul_f16_e32 v24, s30, v24
	v_cvt_f32_f16_e32 v24, v24
	s_branch .LBB230_310
.LBB230_309:
	v_mov_b32_e32 v24, 0
.LBB230_310:
	v_pk_add_f16 v25, v16, v4
	v_max_f16_e32 v26, v67, v67
	v_pk_add_f16 v28, v17, v5
	v_min_f16_e32 v26, v26, v25
	v_lshrrev_b32_e32 v27, 16, v67
	v_lshrrev_b32_e32 v25, 16, v25
	;; [unrolled: 1-line block ×3, first 2 shown]
	v_min3_f16 v25, v27, v25, v29
	v_min3_f16 v25, v26, v28, v25
	v_cvt_f32_f16_e32 v25, v25
	v_max_f32_e32 v24, v24, v24
	v_min_f32_e32 v24, v24, v25
	v_cvt_f16_f32_e32 v26, v24
	v_lshl_add_u64 v[24:25], v[32:33], 1, v[20:21]
	flat_store_short v[24:25], v26
	s_or_b64 exec, exec, s[26:27]
	s_and_b64 s[34:35], s[4:5], s[18:19]
	s_and_saveexec_b64 s[26:27], s[34:35]
	s_cbranch_execz .LBB230_301
.LBB230_311:
	s_and_b64 vcc, exec, s[0:1]
	s_cbranch_vccnz .LBB230_313
; %bb.312:
	v_lshl_add_u64 v[24:25], v[34:35], 1, v[22:23]
	flat_load_ushort v24, v[24:25]
	s_waitcnt vmcnt(0) lgkmcnt(0)
	v_mul_f16_e32 v24, s30, v24
	v_cvt_f32_f16_e32 v24, v24
	s_branch .LBB230_314
.LBB230_313:
	v_mov_b32_e32 v24, 0
.LBB230_314:
	v_pk_add_f16 v25, v18, v4
	v_max_f16_e32 v26, v66, v66
	v_pk_add_f16 v28, v19, v5
	v_min_f16_e32 v26, v26, v25
	v_lshrrev_b32_e32 v27, 16, v66
	v_lshrrev_b32_e32 v25, 16, v25
	v_lshrrev_b32_e32 v29, 16, v28
	v_min3_f16 v25, v27, v25, v29
	v_min3_f16 v25, v26, v28, v25
	v_cvt_f32_f16_e32 v25, v25
	v_max_f32_e32 v24, v24, v24
	v_min_f32_e32 v24, v24, v25
	v_cvt_f16_f32_e32 v26, v24
	v_lshl_add_u64 v[24:25], v[34:35], 1, v[20:21]
	flat_store_short v[24:25], v26
	s_or_b64 exec, exec, s[26:27]
	s_and_b64 s[34:35], s[6:7], s[18:19]
	s_and_saveexec_b64 s[26:27], s[34:35]
	s_cbranch_execz .LBB230_302
.LBB230_315:
	s_and_b64 vcc, exec, s[0:1]
	s_cbranch_vccnz .LBB230_317
; %bb.316:
	v_lshl_add_u64 v[24:25], v[36:37], 1, v[22:23]
	flat_load_ushort v24, v[24:25]
	s_waitcnt vmcnt(0) lgkmcnt(0)
	v_mul_f16_e32 v24, s30, v24
	v_cvt_f32_f16_e32 v24, v24
	s_branch .LBB230_318
.LBB230_317:
	v_mov_b32_e32 v24, 0
.LBB230_318:
	v_pk_add_f16 v25, v12, v4
	v_max_f16_e32 v26, v65, v65
	v_pk_add_f16 v28, v13, v5
	v_min_f16_e32 v26, v26, v25
	v_lshrrev_b32_e32 v27, 16, v65
	v_lshrrev_b32_e32 v25, 16, v25
	;; [unrolled: 1-line block ×3, first 2 shown]
	v_min3_f16 v25, v27, v25, v29
	v_min3_f16 v25, v26, v28, v25
	v_cvt_f32_f16_e32 v25, v25
	v_max_f32_e32 v24, v24, v24
	v_min_f32_e32 v24, v24, v25
	v_cvt_f16_f32_e32 v26, v24
	v_lshl_add_u64 v[24:25], v[36:37], 1, v[20:21]
	flat_store_short v[24:25], v26
	s_or_b64 exec, exec, s[26:27]
	s_and_b64 s[34:35], s[8:9], s[18:19]
	s_and_saveexec_b64 s[26:27], s[34:35]
	s_cbranch_execz .LBB230_303
.LBB230_319:
	s_and_b64 vcc, exec, s[0:1]
	s_cbranch_vccnz .LBB230_321
; %bb.320:
	v_lshl_add_u64 v[24:25], v[38:39], 1, v[22:23]
	flat_load_ushort v24, v[24:25]
	s_waitcnt vmcnt(0) lgkmcnt(0)
	v_mul_f16_e32 v24, s30, v24
	v_cvt_f32_f16_e32 v24, v24
	s_branch .LBB230_322
.LBB230_321:
	v_mov_b32_e32 v24, 0
.LBB230_322:
	v_pk_add_f16 v25, v14, v4
	v_max_f16_e32 v26, v64, v64
	v_pk_add_f16 v28, v15, v5
	v_min_f16_e32 v26, v26, v25
	v_lshrrev_b32_e32 v27, 16, v64
	v_lshrrev_b32_e32 v25, 16, v25
	;; [unrolled: 1-line block ×3, first 2 shown]
	v_min3_f16 v25, v27, v25, v29
	v_min3_f16 v25, v26, v28, v25
	v_cvt_f32_f16_e32 v25, v25
	v_max_f32_e32 v24, v24, v24
	v_min_f32_e32 v24, v24, v25
	v_cvt_f16_f32_e32 v26, v24
	v_lshl_add_u64 v[24:25], v[38:39], 1, v[20:21]
	flat_store_short v[24:25], v26
	s_or_b64 exec, exec, s[26:27]
	s_and_b64 s[34:35], s[10:11], s[18:19]
	s_and_saveexec_b64 s[26:27], s[34:35]
	s_cbranch_execz .LBB230_304
.LBB230_323:
	s_and_b64 vcc, exec, s[0:1]
	s_cbranch_vccnz .LBB230_325
; %bb.324:
	v_lshl_add_u64 v[24:25], v[40:41], 1, v[22:23]
	flat_load_ushort v24, v[24:25]
	s_waitcnt vmcnt(0) lgkmcnt(0)
	v_mul_f16_e32 v24, s30, v24
	v_cvt_f32_f16_e32 v24, v24
	s_branch .LBB230_326
.LBB230_325:
	v_mov_b32_e32 v24, 0
.LBB230_326:
	v_pk_add_f16 v25, v8, v4
	v_max_f16_e32 v26, v63, v63
	v_pk_add_f16 v28, v9, v5
	v_min_f16_e32 v26, v26, v25
	v_lshrrev_b32_e32 v27, 16, v63
	v_lshrrev_b32_e32 v25, 16, v25
	;; [unrolled: 1-line block ×3, first 2 shown]
	v_min3_f16 v25, v27, v25, v29
	v_min3_f16 v25, v26, v28, v25
	v_cvt_f32_f16_e32 v25, v25
	v_max_f32_e32 v24, v24, v24
	v_min_f32_e32 v24, v24, v25
	v_cvt_f16_f32_e32 v26, v24
	v_lshl_add_u64 v[24:25], v[40:41], 1, v[20:21]
	flat_store_short v[24:25], v26
	s_or_b64 exec, exec, s[26:27]
	s_and_b64 s[34:35], s[12:13], s[18:19]
	s_and_saveexec_b64 s[26:27], s[34:35]
	s_cbranch_execz .LBB230_305
.LBB230_327:
	s_and_b64 vcc, exec, s[0:1]
	s_cbranch_vccnz .LBB230_329
; %bb.328:
	v_lshl_add_u64 v[24:25], v[42:43], 1, v[22:23]
	flat_load_ushort v24, v[24:25]
	s_waitcnt vmcnt(0) lgkmcnt(0)
	v_mul_f16_e32 v24, s30, v24
	v_cvt_f32_f16_e32 v24, v24
	s_branch .LBB230_330
.LBB230_329:
	v_mov_b32_e32 v24, 0
.LBB230_330:
	v_pk_add_f16 v25, v10, v4
	v_max_f16_e32 v26, v62, v62
	v_pk_add_f16 v28, v11, v5
	v_min_f16_e32 v26, v26, v25
	v_lshrrev_b32_e32 v27, 16, v62
	v_lshrrev_b32_e32 v25, 16, v25
	;; [unrolled: 1-line block ×3, first 2 shown]
	v_min3_f16 v25, v27, v25, v29
	v_min3_f16 v25, v26, v28, v25
	v_cvt_f32_f16_e32 v25, v25
	v_max_f32_e32 v24, v24, v24
	v_min_f32_e32 v24, v24, v25
	v_cvt_f16_f32_e32 v26, v24
	v_lshl_add_u64 v[24:25], v[42:43], 1, v[20:21]
	flat_store_short v[24:25], v26
	s_or_b64 exec, exec, s[26:27]
	s_and_b64 s[34:35], s[14:15], s[18:19]
	s_and_saveexec_b64 s[26:27], s[34:35]
	s_cbranch_execz .LBB230_306
.LBB230_331:
	s_and_b64 vcc, exec, s[0:1]
	s_cbranch_vccnz .LBB230_333
; %bb.332:
	v_lshl_add_u64 v[24:25], v[44:45], 1, v[22:23]
	flat_load_ushort v24, v[24:25]
	s_waitcnt vmcnt(0) lgkmcnt(0)
	v_mul_f16_e32 v24, s30, v24
	v_cvt_f32_f16_e32 v24, v24
	s_branch .LBB230_334
.LBB230_333:
	v_mov_b32_e32 v24, 0
.LBB230_334:
	v_pk_add_f16 v25, v0, v4
	v_max_f16_e32 v26, v61, v61
	v_pk_add_f16 v28, v1, v5
	v_min_f16_e32 v26, v26, v25
	v_lshrrev_b32_e32 v27, 16, v61
	v_lshrrev_b32_e32 v25, 16, v25
	;; [unrolled: 1-line block ×3, first 2 shown]
	v_min3_f16 v25, v27, v25, v29
	v_min3_f16 v25, v26, v28, v25
	v_cvt_f32_f16_e32 v25, v25
	v_max_f32_e32 v24, v24, v24
	v_min_f32_e32 v24, v24, v25
	v_cvt_f16_f32_e32 v26, v24
	v_lshl_add_u64 v[24:25], v[44:45], 1, v[20:21]
	flat_store_short v[24:25], v26
	s_or_b64 exec, exec, s[26:27]
	s_and_b64 s[26:27], s[16:17], s[18:19]
	s_and_saveexec_b64 s[18:19], s[26:27]
	s_cbranch_execz .LBB230_339
.LBB230_335:
	s_and_b64 vcc, exec, s[0:1]
	s_cbranch_vccnz .LBB230_337
; %bb.336:
	v_lshl_add_u64 v[22:23], v[46:47], 1, v[22:23]
	flat_load_ushort v22, v[22:23]
	s_waitcnt vmcnt(0) lgkmcnt(0)
	v_mul_f16_e32 v22, s30, v22
	v_cvt_f32_f16_e32 v22, v22
	s_branch .LBB230_338
.LBB230_337:
	v_mov_b32_e32 v22, 0
.LBB230_338:
	v_pk_add_f16 v4, v2, v4
	v_max_f16_e32 v23, v60, v60
	v_pk_add_f16 v5, v3, v5
	v_min_f16_e32 v23, v23, v4
	v_lshrrev_b32_e32 v24, 16, v60
	v_lshrrev_b32_e32 v4, 16, v4
	v_lshrrev_b32_e32 v25, 16, v5
	v_min3_f16 v4, v24, v4, v25
	v_min3_f16 v4, v23, v5, v4
	v_cvt_f32_f16_e32 v4, v4
	v_max_f32_e32 v5, v22, v22
	v_min_f32_e32 v4, v5, v4
	v_cvt_f16_f32_e32 v22, v4
	v_lshl_add_u64 v[4:5], v[46:47], 1, v[20:21]
	flat_store_short v[4:5], v22
.LBB230_339:
	s_or_b64 exec, exec, s[18:19]
	v_add_u32_e32 v22, 0xe0, v103
	v_cmp_gt_i32_e64 s[18:19], s21, v22
	v_mad_i64_i32 v[4:5], s[20:21], v22, s29, 0
	v_lshl_add_u64 v[20:21], v[4:5], 1, s[24:25]
	v_mad_i64_i32 v[4:5], s[20:21], v22, s28, 0
	v_lshl_add_u64 v[4:5], v[4:5], 1, s[22:23]
	s_and_b64 s[20:21], s[2:3], s[18:19]
	s_and_saveexec_b64 s[2:3], s[20:21]
	s_cbranch_execnz .LBB230_348
; %bb.340:
	s_or_b64 exec, exec, s[2:3]
	s_and_b64 s[4:5], s[4:5], s[18:19]
	s_and_saveexec_b64 s[2:3], s[4:5]
	s_cbranch_execnz .LBB230_352
.LBB230_341:
	s_or_b64 exec, exec, s[2:3]
	s_and_b64 s[4:5], s[6:7], s[18:19]
	s_and_saveexec_b64 s[2:3], s[4:5]
	s_cbranch_execnz .LBB230_356
.LBB230_342:
	s_or_b64 exec, exec, s[2:3]
	s_and_b64 s[4:5], s[8:9], s[18:19]
	s_and_saveexec_b64 s[2:3], s[4:5]
	s_cbranch_execnz .LBB230_360
.LBB230_343:
	s_or_b64 exec, exec, s[2:3]
	s_and_b64 s[4:5], s[10:11], s[18:19]
	s_and_saveexec_b64 s[2:3], s[4:5]
	s_cbranch_execnz .LBB230_364
.LBB230_344:
	s_or_b64 exec, exec, s[2:3]
	s_and_b64 s[4:5], s[12:13], s[18:19]
	s_and_saveexec_b64 s[2:3], s[4:5]
	s_cbranch_execnz .LBB230_368
.LBB230_345:
	s_or_b64 exec, exec, s[2:3]
	s_and_b64 s[4:5], s[14:15], s[18:19]
	s_and_saveexec_b64 s[2:3], s[4:5]
	s_cbranch_execnz .LBB230_372
.LBB230_346:
	s_or_b64 exec, exec, s[2:3]
	s_and_b64 s[2:3], s[16:17], s[18:19]
	s_and_saveexec_b64 s[4:5], s[2:3]
	s_cbranch_execnz .LBB230_376
.LBB230_347:
	s_endpgm
.LBB230_348:
	s_and_b64 vcc, exec, s[0:1]
	s_cbranch_vccnz .LBB230_350
; %bb.349:
	v_lshl_add_u64 v[22:23], v[32:33], 1, v[20:21]
	flat_load_ushort v22, v[22:23]
	s_waitcnt vmcnt(0) lgkmcnt(0)
	v_mul_f16_e32 v22, s30, v22
	v_cvt_f32_f16_e32 v22, v22
	s_branch .LBB230_351
.LBB230_350:
	v_mov_b32_e32 v22, 0
.LBB230_351:
	v_pk_add_f16 v16, v16, v6
	v_max_f16_e32 v23, v59, v59
	v_pk_add_f16 v17, v17, v7
	v_min_f16_e32 v23, v23, v16
	v_lshrrev_b32_e32 v24, 16, v59
	v_lshrrev_b32_e32 v16, 16, v16
	;; [unrolled: 1-line block ×3, first 2 shown]
	v_min3_f16 v16, v24, v16, v25
	v_min3_f16 v16, v23, v17, v16
	v_cvt_f32_f16_e32 v16, v16
	v_max_f32_e32 v17, v22, v22
	v_min_f32_e32 v16, v17, v16
	v_cvt_f16_f32_e32 v22, v16
	v_lshl_add_u64 v[16:17], v[32:33], 1, v[4:5]
	flat_store_short v[16:17], v22
	s_or_b64 exec, exec, s[2:3]
	s_and_b64 s[4:5], s[4:5], s[18:19]
	s_and_saveexec_b64 s[2:3], s[4:5]
	s_cbranch_execz .LBB230_341
.LBB230_352:
	s_and_b64 vcc, exec, s[0:1]
	s_cbranch_vccnz .LBB230_354
; %bb.353:
	v_lshl_add_u64 v[16:17], v[34:35], 1, v[20:21]
	flat_load_ushort v16, v[16:17]
	s_waitcnt vmcnt(0) lgkmcnt(0)
	v_mul_f16_e32 v16, s30, v16
	v_cvt_f32_f16_e32 v16, v16
	s_branch .LBB230_355
.LBB230_354:
	v_mov_b32_e32 v16, 0
.LBB230_355:
	v_pk_add_f16 v17, v18, v6
	v_max_f16_e32 v18, v58, v58
	v_pk_add_f16 v19, v19, v7
	v_min_f16_e32 v18, v18, v17
	v_lshrrev_b32_e32 v22, 16, v58
	v_lshrrev_b32_e32 v17, 16, v17
	;; [unrolled: 1-line block ×3, first 2 shown]
	v_min3_f16 v17, v22, v17, v23
	v_min3_f16 v17, v18, v19, v17
	v_cvt_f32_f16_e32 v17, v17
	v_max_f32_e32 v16, v16, v16
	v_min_f32_e32 v16, v16, v17
	v_cvt_f16_f32_e32 v18, v16
	v_lshl_add_u64 v[16:17], v[34:35], 1, v[4:5]
	flat_store_short v[16:17], v18
	s_or_b64 exec, exec, s[2:3]
	s_and_b64 s[4:5], s[6:7], s[18:19]
	s_and_saveexec_b64 s[2:3], s[4:5]
	s_cbranch_execz .LBB230_342
.LBB230_356:
	s_and_b64 vcc, exec, s[0:1]
	s_cbranch_vccnz .LBB230_358
; %bb.357:
	v_lshl_add_u64 v[16:17], v[36:37], 1, v[20:21]
	flat_load_ushort v16, v[16:17]
	s_waitcnt vmcnt(0) lgkmcnt(0)
	v_mul_f16_e32 v16, s30, v16
	v_cvt_f32_f16_e32 v16, v16
	s_branch .LBB230_359
.LBB230_358:
	v_mov_b32_e32 v16, 0
.LBB230_359:
	v_pk_add_f16 v12, v12, v6
	v_max_f16_e32 v17, v57, v57
	v_pk_add_f16 v13, v13, v7
	v_min_f16_e32 v17, v17, v12
	v_lshrrev_b32_e32 v18, 16, v57
	v_lshrrev_b32_e32 v12, 16, v12
	;; [unrolled: 1-line block ×3, first 2 shown]
	v_min3_f16 v12, v18, v12, v19
	v_min3_f16 v12, v17, v13, v12
	v_cvt_f32_f16_e32 v12, v12
	v_max_f32_e32 v13, v16, v16
	v_min_f32_e32 v12, v13, v12
	v_cvt_f16_f32_e32 v16, v12
	v_lshl_add_u64 v[12:13], v[36:37], 1, v[4:5]
	flat_store_short v[12:13], v16
	s_or_b64 exec, exec, s[2:3]
	s_and_b64 s[4:5], s[8:9], s[18:19]
	s_and_saveexec_b64 s[2:3], s[4:5]
	s_cbranch_execz .LBB230_343
.LBB230_360:
	s_and_b64 vcc, exec, s[0:1]
	s_cbranch_vccnz .LBB230_362
; %bb.361:
	v_lshl_add_u64 v[12:13], v[38:39], 1, v[20:21]
	flat_load_ushort v12, v[12:13]
	s_waitcnt vmcnt(0) lgkmcnt(0)
	v_mul_f16_e32 v12, s30, v12
	v_cvt_f32_f16_e32 v12, v12
	s_branch .LBB230_363
.LBB230_362:
	v_mov_b32_e32 v12, 0
.LBB230_363:
	v_pk_add_f16 v13, v14, v6
	v_max_f16_e32 v14, v56, v56
	v_pk_add_f16 v15, v15, v7
	v_min_f16_e32 v14, v14, v13
	v_lshrrev_b32_e32 v16, 16, v56
	v_lshrrev_b32_e32 v13, 16, v13
	;; [unrolled: 1-line block ×3, first 2 shown]
	v_min3_f16 v13, v16, v13, v17
	v_min3_f16 v13, v14, v15, v13
	v_cvt_f32_f16_e32 v13, v13
	v_max_f32_e32 v12, v12, v12
	v_min_f32_e32 v12, v12, v13
	v_cvt_f16_f32_e32 v14, v12
	v_lshl_add_u64 v[12:13], v[38:39], 1, v[4:5]
	flat_store_short v[12:13], v14
	s_or_b64 exec, exec, s[2:3]
	s_and_b64 s[4:5], s[10:11], s[18:19]
	s_and_saveexec_b64 s[2:3], s[4:5]
	s_cbranch_execz .LBB230_344
.LBB230_364:
	s_and_b64 vcc, exec, s[0:1]
	s_cbranch_vccnz .LBB230_366
; %bb.365:
	v_lshl_add_u64 v[12:13], v[40:41], 1, v[20:21]
	flat_load_ushort v12, v[12:13]
	s_waitcnt vmcnt(0) lgkmcnt(0)
	v_mul_f16_e32 v12, s30, v12
	v_cvt_f32_f16_e32 v12, v12
	s_branch .LBB230_367
.LBB230_366:
	v_mov_b32_e32 v12, 0
.LBB230_367:
	v_pk_add_f16 v8, v8, v6
	v_max_f16_e32 v13, v54, v54
	v_pk_add_f16 v9, v9, v7
	v_min_f16_e32 v13, v13, v8
	v_lshrrev_b32_e32 v14, 16, v54
	v_lshrrev_b32_e32 v8, 16, v8
	;; [unrolled: 1-line block ×3, first 2 shown]
	v_min3_f16 v8, v14, v8, v15
	v_min3_f16 v8, v13, v9, v8
	v_cvt_f32_f16_e32 v8, v8
	v_max_f32_e32 v9, v12, v12
	v_min_f32_e32 v8, v9, v8
	v_cvt_f16_f32_e32 v12, v8
	v_lshl_add_u64 v[8:9], v[40:41], 1, v[4:5]
	flat_store_short v[8:9], v12
	s_or_b64 exec, exec, s[2:3]
	s_and_b64 s[4:5], s[12:13], s[18:19]
	s_and_saveexec_b64 s[2:3], s[4:5]
	s_cbranch_execz .LBB230_345
.LBB230_368:
	s_and_b64 vcc, exec, s[0:1]
	s_cbranch_vccnz .LBB230_370
; %bb.369:
	v_lshl_add_u64 v[8:9], v[42:43], 1, v[20:21]
	flat_load_ushort v8, v[8:9]
	s_waitcnt vmcnt(0) lgkmcnt(0)
	v_mul_f16_e32 v8, s30, v8
	v_cvt_f32_f16_e32 v8, v8
	s_branch .LBB230_371
.LBB230_370:
	v_mov_b32_e32 v8, 0
.LBB230_371:
	v_pk_add_f16 v9, v10, v6
	v_max_f16_e32 v10, v53, v53
	v_pk_add_f16 v11, v11, v7
	v_min_f16_e32 v10, v10, v9
	v_lshrrev_b32_e32 v12, 16, v53
	v_lshrrev_b32_e32 v9, 16, v9
	;; [unrolled: 1-line block ×3, first 2 shown]
	v_min3_f16 v9, v12, v9, v13
	v_min3_f16 v9, v10, v11, v9
	v_cvt_f32_f16_e32 v9, v9
	v_max_f32_e32 v8, v8, v8
	v_min_f32_e32 v8, v8, v9
	v_cvt_f16_f32_e32 v10, v8
	v_lshl_add_u64 v[8:9], v[42:43], 1, v[4:5]
	flat_store_short v[8:9], v10
	s_or_b64 exec, exec, s[2:3]
	s_and_b64 s[4:5], s[14:15], s[18:19]
	s_and_saveexec_b64 s[2:3], s[4:5]
	s_cbranch_execz .LBB230_346
.LBB230_372:
	s_and_b64 vcc, exec, s[0:1]
	s_cbranch_vccnz .LBB230_374
; %bb.373:
	v_lshl_add_u64 v[8:9], v[44:45], 1, v[20:21]
	flat_load_ushort v8, v[8:9]
	s_waitcnt vmcnt(0) lgkmcnt(0)
	v_mul_f16_e32 v8, s30, v8
	v_cvt_f32_f16_e32 v8, v8
	s_branch .LBB230_375
.LBB230_374:
	v_mov_b32_e32 v8, 0
.LBB230_375:
	v_pk_add_f16 v0, v0, v6
	v_max_f16_e32 v9, v52, v52
	v_pk_add_f16 v1, v1, v7
	v_min_f16_e32 v9, v9, v0
	v_lshrrev_b32_e32 v10, 16, v52
	v_lshrrev_b32_e32 v0, 16, v0
	;; [unrolled: 1-line block ×3, first 2 shown]
	v_min3_f16 v0, v10, v0, v11
	v_min3_f16 v0, v9, v1, v0
	v_cvt_f32_f16_e32 v0, v0
	v_max_f32_e32 v1, v8, v8
	v_min_f32_e32 v0, v1, v0
	v_cvt_f16_f32_e32 v8, v0
	v_lshl_add_u64 v[0:1], v[44:45], 1, v[4:5]
	flat_store_short v[0:1], v8
	s_or_b64 exec, exec, s[2:3]
	s_and_b64 s[2:3], s[16:17], s[18:19]
	s_and_saveexec_b64 s[4:5], s[2:3]
	s_cbranch_execz .LBB230_347
.LBB230_376:
	s_and_b64 vcc, exec, s[0:1]
	s_cbranch_vccnz .LBB230_378
; %bb.377:
	v_lshl_add_u64 v[0:1], v[46:47], 1, v[20:21]
	flat_load_ushort v0, v[0:1]
	s_waitcnt vmcnt(0) lgkmcnt(0)
	v_mul_f16_e32 v0, s30, v0
	v_cvt_f32_f16_e32 v0, v0
	s_branch .LBB230_379
.LBB230_378:
	v_mov_b32_e32 v0, 0
.LBB230_379:
	v_pk_add_f16 v1, v2, v6
	v_max_f16_e32 v2, v55, v55
	v_pk_add_f16 v3, v3, v7
	v_min_f16_e32 v2, v2, v1
	v_lshrrev_b32_e32 v6, 16, v55
	v_lshrrev_b32_e32 v1, 16, v1
	;; [unrolled: 1-line block ×3, first 2 shown]
	v_min3_f16 v1, v6, v1, v7
	v_min3_f16 v1, v2, v3, v1
	v_cvt_f32_f16_e32 v1, v1
	v_max_f32_e32 v0, v0, v0
	v_min_f32_e32 v0, v0, v1
	v_cvt_f16_f32_e32 v2, v0
	v_lshl_add_u64 v[0:1], v[46:47], 1, v[4:5]
	flat_store_short v[0:1], v2
	s_endpgm
	.section	.rodata,"a",@progbits
	.p2align	6, 0x0
	.amdhsa_kernel _ZN12_GLOBAL__N_120geam_min_plus_kernelIDF16_Dv2_DF16_S1_Li8ELi32ELi64ELi256ELi4ELi4ELi64ELi64ELi4ELc84ELc84ELb0ELb1ELb1EDF16_KPKDF16_KPDF16_EEviiiT16_PT17_ilS9_ilS7_S9_ilPT18_ili26rocblas_geam_ex_operation_
		.amdhsa_group_segment_fixed_size 5120
		.amdhsa_private_segment_fixed_size 0
		.amdhsa_kernarg_size 128
		.amdhsa_user_sgpr_count 2
		.amdhsa_user_sgpr_dispatch_ptr 0
		.amdhsa_user_sgpr_queue_ptr 0
		.amdhsa_user_sgpr_kernarg_segment_ptr 1
		.amdhsa_user_sgpr_dispatch_id 0
		.amdhsa_user_sgpr_kernarg_preload_length 0
		.amdhsa_user_sgpr_kernarg_preload_offset 0
		.amdhsa_user_sgpr_private_segment_size 0
		.amdhsa_uses_dynamic_stack 0
		.amdhsa_enable_private_segment 0
		.amdhsa_system_sgpr_workgroup_id_x 1
		.amdhsa_system_sgpr_workgroup_id_y 0
		.amdhsa_system_sgpr_workgroup_id_z 1
		.amdhsa_system_sgpr_workgroup_info 0
		.amdhsa_system_vgpr_workitem_id 1
		.amdhsa_next_free_vgpr 152
		.amdhsa_next_free_sgpr 40
		.amdhsa_accum_offset 152
		.amdhsa_reserve_vcc 1
		.amdhsa_float_round_mode_32 0
		.amdhsa_float_round_mode_16_64 0
		.amdhsa_float_denorm_mode_32 3
		.amdhsa_float_denorm_mode_16_64 3
		.amdhsa_dx10_clamp 1
		.amdhsa_ieee_mode 1
		.amdhsa_fp16_overflow 0
		.amdhsa_tg_split 0
		.amdhsa_exception_fp_ieee_invalid_op 0
		.amdhsa_exception_fp_denorm_src 0
		.amdhsa_exception_fp_ieee_div_zero 0
		.amdhsa_exception_fp_ieee_overflow 0
		.amdhsa_exception_fp_ieee_underflow 0
		.amdhsa_exception_fp_ieee_inexact 0
		.amdhsa_exception_int_div_zero 0
	.end_amdhsa_kernel
	.section	.text._ZN12_GLOBAL__N_120geam_min_plus_kernelIDF16_Dv2_DF16_S1_Li8ELi32ELi64ELi256ELi4ELi4ELi64ELi64ELi4ELc84ELc84ELb0ELb1ELb1EDF16_KPKDF16_KPDF16_EEviiiT16_PT17_ilS9_ilS7_S9_ilPT18_ili26rocblas_geam_ex_operation_,"axG",@progbits,_ZN12_GLOBAL__N_120geam_min_plus_kernelIDF16_Dv2_DF16_S1_Li8ELi32ELi64ELi256ELi4ELi4ELi64ELi64ELi4ELc84ELc84ELb0ELb1ELb1EDF16_KPKDF16_KPDF16_EEviiiT16_PT17_ilS9_ilS7_S9_ilPT18_ili26rocblas_geam_ex_operation_,comdat
.Lfunc_end230:
	.size	_ZN12_GLOBAL__N_120geam_min_plus_kernelIDF16_Dv2_DF16_S1_Li8ELi32ELi64ELi256ELi4ELi4ELi64ELi64ELi4ELc84ELc84ELb0ELb1ELb1EDF16_KPKDF16_KPDF16_EEviiiT16_PT17_ilS9_ilS7_S9_ilPT18_ili26rocblas_geam_ex_operation_, .Lfunc_end230-_ZN12_GLOBAL__N_120geam_min_plus_kernelIDF16_Dv2_DF16_S1_Li8ELi32ELi64ELi256ELi4ELi4ELi64ELi64ELi4ELc84ELc84ELb0ELb1ELb1EDF16_KPKDF16_KPDF16_EEviiiT16_PT17_ilS9_ilS7_S9_ilPT18_ili26rocblas_geam_ex_operation_
                                        ; -- End function
	.set _ZN12_GLOBAL__N_120geam_min_plus_kernelIDF16_Dv2_DF16_S1_Li8ELi32ELi64ELi256ELi4ELi4ELi64ELi64ELi4ELc84ELc84ELb0ELb1ELb1EDF16_KPKDF16_KPDF16_EEviiiT16_PT17_ilS9_ilS7_S9_ilPT18_ili26rocblas_geam_ex_operation_.num_vgpr, 152
	.set _ZN12_GLOBAL__N_120geam_min_plus_kernelIDF16_Dv2_DF16_S1_Li8ELi32ELi64ELi256ELi4ELi4ELi64ELi64ELi4ELc84ELc84ELb0ELb1ELb1EDF16_KPKDF16_KPDF16_EEviiiT16_PT17_ilS9_ilS7_S9_ilPT18_ili26rocblas_geam_ex_operation_.num_agpr, 0
	.set _ZN12_GLOBAL__N_120geam_min_plus_kernelIDF16_Dv2_DF16_S1_Li8ELi32ELi64ELi256ELi4ELi4ELi64ELi64ELi4ELc84ELc84ELb0ELb1ELb1EDF16_KPKDF16_KPDF16_EEviiiT16_PT17_ilS9_ilS7_S9_ilPT18_ili26rocblas_geam_ex_operation_.numbered_sgpr, 40
	.set _ZN12_GLOBAL__N_120geam_min_plus_kernelIDF16_Dv2_DF16_S1_Li8ELi32ELi64ELi256ELi4ELi4ELi64ELi64ELi4ELc84ELc84ELb0ELb1ELb1EDF16_KPKDF16_KPDF16_EEviiiT16_PT17_ilS9_ilS7_S9_ilPT18_ili26rocblas_geam_ex_operation_.num_named_barrier, 0
	.set _ZN12_GLOBAL__N_120geam_min_plus_kernelIDF16_Dv2_DF16_S1_Li8ELi32ELi64ELi256ELi4ELi4ELi64ELi64ELi4ELc84ELc84ELb0ELb1ELb1EDF16_KPKDF16_KPDF16_EEviiiT16_PT17_ilS9_ilS7_S9_ilPT18_ili26rocblas_geam_ex_operation_.private_seg_size, 0
	.set _ZN12_GLOBAL__N_120geam_min_plus_kernelIDF16_Dv2_DF16_S1_Li8ELi32ELi64ELi256ELi4ELi4ELi64ELi64ELi4ELc84ELc84ELb0ELb1ELb1EDF16_KPKDF16_KPDF16_EEviiiT16_PT17_ilS9_ilS7_S9_ilPT18_ili26rocblas_geam_ex_operation_.uses_vcc, 1
	.set _ZN12_GLOBAL__N_120geam_min_plus_kernelIDF16_Dv2_DF16_S1_Li8ELi32ELi64ELi256ELi4ELi4ELi64ELi64ELi4ELc84ELc84ELb0ELb1ELb1EDF16_KPKDF16_KPDF16_EEviiiT16_PT17_ilS9_ilS7_S9_ilPT18_ili26rocblas_geam_ex_operation_.uses_flat_scratch, 0
	.set _ZN12_GLOBAL__N_120geam_min_plus_kernelIDF16_Dv2_DF16_S1_Li8ELi32ELi64ELi256ELi4ELi4ELi64ELi64ELi4ELc84ELc84ELb0ELb1ELb1EDF16_KPKDF16_KPDF16_EEviiiT16_PT17_ilS9_ilS7_S9_ilPT18_ili26rocblas_geam_ex_operation_.has_dyn_sized_stack, 0
	.set _ZN12_GLOBAL__N_120geam_min_plus_kernelIDF16_Dv2_DF16_S1_Li8ELi32ELi64ELi256ELi4ELi4ELi64ELi64ELi4ELc84ELc84ELb0ELb1ELb1EDF16_KPKDF16_KPDF16_EEviiiT16_PT17_ilS9_ilS7_S9_ilPT18_ili26rocblas_geam_ex_operation_.has_recursion, 0
	.set _ZN12_GLOBAL__N_120geam_min_plus_kernelIDF16_Dv2_DF16_S1_Li8ELi32ELi64ELi256ELi4ELi4ELi64ELi64ELi4ELc84ELc84ELb0ELb1ELb1EDF16_KPKDF16_KPDF16_EEviiiT16_PT17_ilS9_ilS7_S9_ilPT18_ili26rocblas_geam_ex_operation_.has_indirect_call, 0
	.section	.AMDGPU.csdata,"",@progbits
; Kernel info:
; codeLenInByte = 20788
; TotalNumSgprs: 46
; NumVgprs: 152
; NumAgprs: 0
; TotalNumVgprs: 152
; ScratchSize: 0
; MemoryBound: 0
; FloatMode: 240
; IeeeMode: 1
; LDSByteSize: 5120 bytes/workgroup (compile time only)
; SGPRBlocks: 5
; VGPRBlocks: 18
; NumSGPRsForWavesPerEU: 46
; NumVGPRsForWavesPerEU: 152
; AccumOffset: 152
; Occupancy: 3
; WaveLimiterHint : 1
; COMPUTE_PGM_RSRC2:SCRATCH_EN: 0
; COMPUTE_PGM_RSRC2:USER_SGPR: 2
; COMPUTE_PGM_RSRC2:TRAP_HANDLER: 0
; COMPUTE_PGM_RSRC2:TGID_X_EN: 1
; COMPUTE_PGM_RSRC2:TGID_Y_EN: 0
; COMPUTE_PGM_RSRC2:TGID_Z_EN: 1
; COMPUTE_PGM_RSRC2:TIDIG_COMP_CNT: 1
; COMPUTE_PGM_RSRC3_GFX90A:ACCUM_OFFSET: 37
; COMPUTE_PGM_RSRC3_GFX90A:TG_SPLIT: 0
	.section	.text._ZN12_GLOBAL__N_120geam_min_plus_kernelIDF16_Dv2_DF16_S1_Li8ELi32ELi64ELi128ELi4ELi64ELi4ELi4ELi64ELc78ELc78ELb0ELb0ELb0EPKDF16_KS3_KPDF16_EEviiiT16_PT17_ilS9_ilS7_S9_ilPT18_ili26rocblas_geam_ex_operation_,"axG",@progbits,_ZN12_GLOBAL__N_120geam_min_plus_kernelIDF16_Dv2_DF16_S1_Li8ELi32ELi64ELi128ELi4ELi64ELi4ELi4ELi64ELc78ELc78ELb0ELb0ELb0EPKDF16_KS3_KPDF16_EEviiiT16_PT17_ilS9_ilS7_S9_ilPT18_ili26rocblas_geam_ex_operation_,comdat
	.globl	_ZN12_GLOBAL__N_120geam_min_plus_kernelIDF16_Dv2_DF16_S1_Li8ELi32ELi64ELi128ELi4ELi64ELi4ELi4ELi64ELc78ELc78ELb0ELb0ELb0EPKDF16_KS3_KPDF16_EEviiiT16_PT17_ilS9_ilS7_S9_ilPT18_ili26rocblas_geam_ex_operation_ ; -- Begin function _ZN12_GLOBAL__N_120geam_min_plus_kernelIDF16_Dv2_DF16_S1_Li8ELi32ELi64ELi128ELi4ELi64ELi4ELi4ELi64ELc78ELc78ELb0ELb0ELb0EPKDF16_KS3_KPDF16_EEviiiT16_PT17_ilS9_ilS7_S9_ilPT18_ili26rocblas_geam_ex_operation_
	.p2align	8
	.type	_ZN12_GLOBAL__N_120geam_min_plus_kernelIDF16_Dv2_DF16_S1_Li8ELi32ELi64ELi128ELi4ELi64ELi4ELi4ELi64ELc78ELc78ELb0ELb0ELb0EPKDF16_KS3_KPDF16_EEviiiT16_PT17_ilS9_ilS7_S9_ilPT18_ili26rocblas_geam_ex_operation_,@function
_ZN12_GLOBAL__N_120geam_min_plus_kernelIDF16_Dv2_DF16_S1_Li8ELi32ELi64ELi128ELi4ELi64ELi4ELi4ELi64ELc78ELc78ELb0ELb0ELb0EPKDF16_KS3_KPDF16_EEviiiT16_PT17_ilS9_ilS7_S9_ilPT18_ili26rocblas_geam_ex_operation_: ; @_ZN12_GLOBAL__N_120geam_min_plus_kernelIDF16_Dv2_DF16_S1_Li8ELi32ELi64ELi128ELi4ELi64ELi4ELi4ELi64ELc78ELc78ELb0ELb0ELb0EPKDF16_KS3_KPDF16_EEviiiT16_PT17_ilS9_ilS7_S9_ilPT18_ili26rocblas_geam_ex_operation_
; %bb.0:
	s_load_dwordx4 s[8:11], s[0:1], 0x10
	s_load_dwordx4 s[12:15], s[0:1], 0x28
	s_mov_b32 s22, s3
	s_mov_b32 s23, 0
	s_lshl_b64 s[4:5], s[22:23], 1
	s_waitcnt lgkmcnt(0)
	s_add_u32 s6, s8, s4
	s_addc_u32 s7, s9, s5
	v_mov_b32_e32 v1, 0
	global_load_ushort v41, v1, s[6:7]
	s_load_dwordx4 s[16:19], s[0:1], 0x40
	s_load_dwordx2 s[24:25], s[0:1], 0x50
	s_mov_b64 s[20:21], 0
	s_waitcnt lgkmcnt(0)
	s_add_u32 s4, s18, s4
	s_addc_u32 s5, s19, s5
	s_mov_b64 s[18:19], 0
	s_waitcnt vmcnt(0)
	v_cmp_eq_f16_e32 vcc, 0, v41
	s_and_b64 s[8:9], exec, vcc
	v_cmp_neq_f16_e64 s[6:7], 0, v41
	s_mov_b64 vcc, s[8:9]
	s_cbranch_vccnz .LBB231_2
; %bb.1:
	s_lshl_b64 s[18:19], s[22:23], 3
	s_add_u32 s10, s10, s18
	s_addc_u32 s11, s11, s19
	s_load_dwordx2 s[10:11], s[10:11], 0x0
	s_lshl_b64 s[12:13], s[12:13], 1
	s_waitcnt lgkmcnt(0)
	s_add_u32 s18, s10, s12
	s_addc_u32 s19, s11, s13
.LBB231_2:
	global_load_ushort v52, v1, s[4:5]
	v_cndmask_b32_e64 v1, 0, 1, s[6:7]
	v_cmp_ne_u32_e64 s[4:5], 1, v1
	s_andn2_b64 vcc, exec, s[6:7]
	s_cbranch_vccnz .LBB231_4
; %bb.3:
	s_lshl_b64 s[6:7], s[22:23], 3
	s_add_u32 s6, s14, s6
	s_addc_u32 s7, s15, s7
	s_load_dwordx2 s[6:7], s[6:7], 0x0
	s_lshl_b64 s[10:11], s[16:17], 1
	s_waitcnt lgkmcnt(0)
	s_add_u32 s20, s6, s10
	s_addc_u32 s21, s7, s11
.LBB231_4:
	s_load_dwordx4 s[12:15], s[0:1], 0x60
	s_waitcnt vmcnt(0)
	v_cmp_eq_f16_e32 vcc, 0, v52
	s_cbranch_vccnz .LBB231_6
; %bb.5:
	s_lshl_b64 s[6:7], s[22:23], 3
	s_add_u32 s6, s24, s6
	s_addc_u32 s7, s25, s7
	s_load_dwordx2 s[6:7], s[6:7], 0x0
	s_waitcnt lgkmcnt(0)
	s_lshl_b64 s[10:11], s[12:13], 1
	s_add_u32 s6, s6, s10
	s_addc_u32 s7, s7, s11
	s_branch .LBB231_7
.LBB231_6:
	s_mov_b64 s[6:7], 0
.LBB231_7:
	s_waitcnt lgkmcnt(0)
	s_load_dword s12, s[0:1], 0x20
	s_load_dword s16, s[0:1], 0x0
	;; [unrolled: 1-line block ×3, first 2 shown]
	s_lshl_b64 s[10:11], s[22:23], 3
	v_and_b32_e32 v40, 0x3ff, v0
	s_waitcnt lgkmcnt(0)
	s_ashr_i32 s13, s12, 31
	s_add_u32 s10, s14, s10
	s_addc_u32 s11, s15, s11
	s_add_i32 s14, s16, -1
	s_ashr_i32 s15, s14, 31
	s_lshr_b32 s15, s15, 26
	s_add_i32 s14, s14, s15
	s_ashr_i32 s14, s14, 6
	s_add_i32 s15, s14, 1
	v_cvt_f32_u32_e32 v1, s15
	s_not_b32 s14, s14
	v_bfe_u32 v48, v0, 10, 10
	v_and_b32_e32 v11, 3, v0
	v_rcp_iflag_f32_e32 v1, v1
	v_lshl_add_u32 v0, v48, 3, v40
	v_and_b32_e32 v5, 63, v0
	v_lshrrev_b32_e32 v12, 2, v0
	v_mul_f32_e32 v1, 0x4f7ffffe, v1
	v_cvt_u32_f32_e32 v1, v1
	v_lshrrev_b32_e32 v4, 6, v0
	v_mov_b32_e32 v10, 0
	v_lshlrev_b32_e32 v0, 1, v11
	v_readfirstlane_b32 s16, v1
	s_mul_i32 s14, s14, s16
	s_mul_hi_u32 s14, s16, s14
	s_add_i32 s16, s16, s14
	s_mul_hi_u32 s14, s2, s16
	s_mul_i32 s16, s14, s15
	s_sub_i32 s16, s2, s16
	s_add_i32 s17, s14, 1
	s_sub_i32 s22, s16, s15
	s_cmp_ge_u32 s16, s15
	s_cselect_b32 s14, s17, s14
	s_cselect_b32 s16, s22, s16
	s_add_i32 s17, s14, 1
	s_cmp_ge_u32 s16, s15
	s_cselect_b32 s14, s17, s14
	s_mul_i32 s22, s14, s15
	s_sub_i32 s15, s2, s22
	s_lshl_b32 s15, s15, 6
	s_lshl_b32 s14, s14, 7
	v_or_b32_e32 v2, s15, v5
	v_add_u32_e32 v6, s14, v12
	s_and_b64 vcc, exec, s[4:5]
	v_ashrrev_i32_e32 v3, 31, v2
	v_add_u32_e32 v7, 64, v6
	s_cbranch_vccnz .LBB231_10
; %bb.8:
	v_mad_i64_i32 v[8:9], s[16:17], s12, v4, 0
	v_lshl_add_u64 v[8:9], v[8:9], 1, s[18:19]
	v_lshl_add_u64 v[8:9], v[2:3], 1, v[8:9]
	v_mov_b32_e32 v1, 0
	flat_load_ushort v13, v[8:9]
	v_lshl_add_u64 v[8:9], s[20:21], 0, v[0:1]
	v_mad_i64_i32 v[14:15], s[16:17], v6, s3, 0
	v_lshl_add_u64 v[14:15], v[14:15], 1, v[8:9]
	flat_load_ushort v1, v[14:15]
	v_mad_i64_i32 v[14:15], s[16:17], v7, s3, 0
	v_lshl_add_u64 v[8:9], v[14:15], 1, v[8:9]
	flat_load_ushort v9, v[8:9]
	s_waitcnt vmcnt(0) lgkmcnt(0)
	v_mul_f16_e32 v13, v41, v13
	v_mul_f16_e32 v1, v41, v1
	v_pack_b32_f16 v8, v1, 0
	v_mul_f16_e32 v9, v41, v9
	s_and_b64 vcc, exec, s[4:5]
	s_cbranch_vccnz .LBB231_11
.LBB231_9:
	v_add_u32_e32 v1, 4, v4
	v_mad_i64_i32 v[14:15], s[4:5], s12, v1, 0
	v_lshl_add_u64 v[14:15], v[14:15], 1, s[18:19]
	v_lshl_add_u64 v[2:3], v[2:3], 1, v[14:15]
	v_mov_b32_e32 v1, 0
	flat_load_ushort v10, v[2:3]
	v_lshl_add_u64 v[0:1], s[20:21], 0, v[0:1]
	v_mad_i64_i32 v[2:3], s[4:5], v6, s3, 0
	v_lshl_add_u64 v[2:3], v[2:3], 1, v[0:1]
	flat_load_ushort v14, v[2:3] offset:8
	v_mad_i64_i32 v[2:3], s[4:5], v7, s3, 0
	v_lshl_add_u64 v[0:1], v[2:3], 1, v[0:1]
	flat_load_ushort v0, v[0:1] offset:8
	s_waitcnt vmcnt(0) lgkmcnt(0)
	v_mul_f16_e32 v10, v41, v10
	v_mul_f16_e32 v1, v41, v14
	v_pack_b32_f16 v1, v1, 0
	v_mul_f16_e32 v2, v41, v0
	s_branch .LBB231_12
.LBB231_10:
	v_mov_b32_e32 v8, 0
	v_mov_b32_e32 v13, 0
	;; [unrolled: 1-line block ×3, first 2 shown]
	s_and_b64 vcc, exec, s[4:5]
	s_cbranch_vccz .LBB231_9
.LBB231_11:
	v_mov_b32_e32 v1, 0
	v_mov_b32_e32 v2, 0
.LBB231_12:
	v_lshlrev_b32_e32 v0, 3, v5
	v_lshlrev_b32_e32 v3, 3, v12
	v_lshl_add_u32 v0, v4, 1, v0
	v_lshl_or_b32 v44, v11, 1, v3
	v_lshlrev_b32_e32 v43, 3, v40
	v_lshlrev_b32_e32 v42, 3, v48
	s_load_dwordx2 s[10:11], s[10:11], 0x0
	ds_write_b16 v0, v13 offset:2048
	ds_write_b16 v44, v8
	ds_write_b16 v44, v9 offset:512
	s_waitcnt lgkmcnt(0)
	s_barrier
	ds_read2_b64 v[12:15], v42 offset1:32
	v_add_u32_e32 v45, 0x800, v43
	ds_read2_b64 v[16:19], v45 offset0:48 offset1:56
	ds_read2_b64 v[20:23], v42 offset0:64 offset1:96
	ds_read2_b64 v[24:27], v45 offset1:8
	ds_read2_b64 v[28:31], v45 offset0:16 offset1:24
	ds_read2_b64 v[32:35], v45 offset0:32 offset1:40
	s_waitcnt lgkmcnt(5)
	v_pk_max_f16 v3, v12, v12
	s_waitcnt lgkmcnt(4)
	v_pk_max_f16 v11, v18, v18
	v_pk_max_f16 v14, v14, v14
	v_pk_min_f16 v12, v11, v3
	s_waitcnt lgkmcnt(3)
	v_pk_max_f16 v18, v20, v20
	s_waitcnt lgkmcnt(2)
	v_pk_max_f16 v20, v24, v24
	v_pk_max_f16 v22, v22, v22
	v_pk_max_f16 v26, v26, v26
	s_waitcnt lgkmcnt(1)
	v_pk_max_f16 v28, v28, v28
	v_pk_max_f16 v30, v30, v30
	;; [unrolled: 4-line block ×3, first 2 shown]
	v_pk_max_f16 v16, v16, v16
	v_pk_max_f16 v19, v19, v19
	v_pk_min_f16 v24, v20, v3
	v_pk_min_f16 v36, v20, v14
	;; [unrolled: 1-line block ×14, first 2 shown]
	v_pk_max_f16 v15, v15, v15
	v_pk_min_f16 v67, v30, v18
	v_pk_min_f16 v30, v30, v22
	;; [unrolled: 1-line block ×17, first 2 shown]
	v_pk_add_f16 v12, v12, 0
	v_pk_min_f16 v22, v19, v13
	v_pk_max_f16 v21, v21, v21
	v_pk_add_f16 v50, v12, v22
	v_pk_add_f16 v12, v46, 0
	v_pk_min_f16 v22, v19, v15
	v_pk_max_f16 v25, v25, v25
	v_pk_add_f16 v46, v12, v22
	;; [unrolled: 4-line block ×6, first 2 shown]
	v_pk_add_f16 v12, v20, 0
	v_pk_min_f16 v20, v25, v23
	v_pk_min_f16 v22, v31, v23
	v_pk_add_f16 v54, v12, v20
	v_pk_add_f16 v12, v38, 0
	v_pk_min_f16 v20, v27, v13
	v_pk_add_f16 v24, v72, 0
	v_pk_add_f16 v56, v12, v20
	;; [unrolled: 1-line block ×3, first 2 shown]
	v_pk_min_f16 v20, v27, v15
	s_load_dword s16, s[0:1], 0x8
	v_pk_add_f16 v59, v12, v20
	v_pk_add_f16 v12, v55, 0
	v_pk_min_f16 v20, v27, v21
	v_pk_add_f16 v3, v3, 0
	v_pk_add_f16 v55, v12, v20
	v_pk_add_f16 v12, v26, 0
	v_pk_min_f16 v20, v27, v23
	v_pk_add_f16 v26, v34, 0
	;; [unrolled: 4-line block ×7, first 2 shown]
	v_pk_add_f16 v64, v12, v20
	v_pk_add_f16 v12, v65, 0
	v_pk_min_f16 v20, v31, v15
	s_waitcnt lgkmcnt(0)
	s_cmp_lt_i32 s16, 9
	v_pk_add_f16 v66, v12, v20
	v_pk_add_f16 v12, v67, 0
	v_pk_min_f16 v20, v31, v21
	ds_write_b16 v0, v10 offset:2560
	ds_write_b16 v44, v1 offset:1024
	ds_write_b16 v44, v2 offset:1536
	v_pk_add_f16 v63, v12, v20
	v_pk_add_f16 v12, v30, 0
	;; [unrolled: 1-line block ×4, first 2 shown]
	v_pk_max_f16 v12, v33, v33
	s_waitcnt lgkmcnt(0)
	v_pk_min_f16 v22, v12, v13
	s_barrier
	v_pk_add_f16 v65, v20, v22
	v_pk_add_f16 v20, v69, 0
	v_pk_min_f16 v22, v12, v15
	s_nop 0
	v_pk_add_f16 v68, v20, v22
	v_pk_add_f16 v20, v70, 0
	v_pk_min_f16 v22, v12, v21
	v_pk_min_f16 v12, v12, v23
	v_pk_add_f16 v69, v20, v22
	v_pk_add_f16 v20, v32, 0
	;; [unrolled: 1-line block ×4, first 2 shown]
	v_pk_max_f16 v12, v35, v35
	s_nop 0
	v_pk_min_f16 v20, v12, v13
	s_nop 0
	v_pk_add_f16 v71, v22, v20
	v_pk_min_f16 v20, v12, v15
	s_nop 0
	v_pk_add_f16 v72, v24, v20
	v_pk_min_f16 v20, v12, v21
	v_pk_min_f16 v12, v12, v23
	v_pk_add_f16 v73, v25, v20
	v_pk_add_f16 v74, v26, v12
	v_pk_max_f16 v12, v17, v17
	s_nop 0
	v_pk_min_f16 v13, v12, v13
	s_nop 0
	v_pk_add_f16 v75, v3, v13
	v_pk_min_f16 v3, v12, v15
	s_nop 0
	v_pk_add_f16 v76, v14, v3
	;; [unrolled: 3-line block ×5, first 2 shown]
	s_cbranch_scc1 .LBB231_23
; %bb.13:
	s_mov_b32 s17, 0x5040100
	v_perm_b32 v90, v2, v1, s17
	v_mov_b32_e32 v1, 0xa00
	v_lshl_add_u32 v83, v40, 3, v1
	v_mov_b32_e32 v1, 0x400
	v_lshl_add_u32 v84, v48, 3, v1
	v_and_b32_e32 v1, 3, v40
	v_mad_i64_i32 v[2:3], s[4:5], s3, v7, 0
	v_lshlrev_b32_e32 v24, 1, v1
	v_lshl_add_u64 v[26:27], v[2:3], 1, s[20:21]
	v_mad_i64_i32 v[2:3], s[4:5], s3, v6, 0
	v_add_u32_e32 v1, 8, v4
	v_lshl_add_u64 v[28:29], v[2:3], 1, s[20:21]
	v_mad_i64_i32 v[2:3], s[4:5], v1, s12, 0
	v_lshl_or_b32 v1, s2, 6, v5
	s_lshl_b32 s2, s22, 6
	v_lshlrev_b64 v[30:31], 1, v[2:3]
	v_subrev_u32_e32 v2, s2, v1
	v_ashrrev_i32_e32 v3, 31, v2
	v_add_u32_e32 v1, 12, v4
	v_lshl_add_u64 v[32:33], v[2:3], 1, s[18:19]
	v_mad_i64_i32 v[2:3], s[4:5], v1, s12, 0
	v_or_b32_e32 v80, 0x800, v0
	v_add_u32_e32 v81, 0xa00, v0
	v_add_u32_e32 v82, 0x400, v44
	s_add_i32 s16, s16, -8
	v_perm_b32 v0, v9, v8, s17
	v_mov_b32_e32 v25, 0
	s_lshl_b64 s[2:3], s[12:13], 4
	v_lshlrev_b64 v[34:35], 1, v[2:3]
	s_mov_b32 s12, 0
	s_mov_b32 s13, 0xffff
	s_branch .LBB231_15
.LBB231_14:                             ;   in Loop: Header=BB231_15 Depth=1
	v_pk_max_f16 v2, v2, v2
	v_pk_max_f16 v20, v20, v20
	;; [unrolled: 1-line block ×12, first 2 shown]
	v_pk_min_f16 v92, v8, v20
	v_pk_max_f16 v17, v17, v17
	v_pk_max_f16 v19, v19, v19
	v_pk_min_f16 v93, v8, v22
	v_pk_min_f16 v94, v8, v16
	;; [unrolled: 1-line block ×3, first 2 shown]
	v_pk_max_f16 v13, v13, v13
	v_pk_max_f16 v15, v15, v15
	;; [unrolled: 1-line block ×10, first 2 shown]
	v_pk_min_f16 v98, v4, v20
	v_pk_min_f16 v99, v4, v22
	v_pk_min_f16 v100, v4, v16
	v_pk_min_f16 v4, v4, v18
	v_pk_min_f16 v101, v6, v20
	v_pk_min_f16 v102, v6, v22
	v_pk_min_f16 v103, v6, v16
	v_pk_min_f16 v6, v6, v18
	v_pk_min_f16 v104, v2, v20
	v_pk_min_f16 v36, v12, v20
	v_pk_min_f16 v37, v12, v22
	v_pk_min_f16 v38, v12, v16
	v_pk_min_f16 v12, v12, v18
	v_pk_min_f16 v39, v14, v20
	v_pk_min_f16 v90, v14, v22
	v_pk_min_f16 v91, v14, v16
	v_pk_min_f16 v14, v14, v18
	v_pk_min_f16 v95, v10, v20
	v_pk_min_f16 v96, v10, v22
	v_pk_min_f16 v97, v10, v16
	v_pk_min_f16 v10, v10, v18
	v_pk_min_f16 v20, v0, v20
	v_pk_min_f16 v105, v2, v22
	v_pk_min_f16 v22, v0, v22
	v_pk_min_f16 v106, v2, v16
	v_pk_min_f16 v16, v0, v16
	v_pk_min_f16 v0, v0, v18
	v_pk_min_f16 v2, v2, v18
	v_pk_min_f16 v18, v13, v21
	v_pk_min_f16 v107, v13, v23
	v_pk_min_f16 v108, v13, v17
	v_pk_min_f16 v13, v13, v19
	v_pk_min_f16 v109, v15, v21
	v_pk_min_f16 v110, v15, v23
	v_pk_min_f16 v111, v15, v17
	v_pk_min_f16 v15, v15, v19
	v_pk_min_f16 v112, v9, v21
	v_pk_min_f16 v113, v9, v23
	v_pk_min_f16 v114, v9, v17
	v_pk_min_f16 v9, v9, v19
	v_pk_min_f16 v115, v11, v21
	v_pk_min_f16 v116, v11, v23
	v_pk_min_f16 v117, v11, v17
	v_pk_min_f16 v11, v11, v19
	v_pk_min_f16 v118, v5, v21
	v_pk_min_f16 v119, v5, v23
	v_pk_min_f16 v120, v5, v17
	v_pk_min_f16 v5, v5, v19
	v_pk_min_f16 v121, v7, v21
	v_pk_min_f16 v122, v7, v23
	v_pk_min_f16 v123, v7, v17
	v_pk_min_f16 v7, v7, v19
	v_pk_min_f16 v124, v3, v21
	v_pk_min_f16 v21, v1, v21
	v_pk_min_f16 v125, v3, v23
	v_pk_min_f16 v23, v1, v23
	v_pk_min_f16 v126, v3, v17
	v_pk_min_f16 v17, v1, v17
	v_pk_min_f16 v1, v1, v19
	v_pk_min_f16 v19, v3, v19
	v_pk_add_f16 v3, v50, v104
	v_pk_add_f16 v8, v62, v8
	;; [unrolled: 1-line block ×17, first 2 shown]
	ds_read2_b64 v[2:5], v45 offset0:48 offset1:56
	ds_read2_b64 v[6:9], v42 offset1:32
	v_pk_add_f16 v36, v47, v36
	v_pk_add_f16 v37, v51, v37
	;; [unrolled: 1-line block ×3, first 2 shown]
	s_waitcnt lgkmcnt(1)
	v_pk_max_f16 v4, v4, v4
	s_waitcnt lgkmcnt(0)
	v_pk_max_f16 v6, v6, v6
	v_pk_add_f16 v39, v56, v39
	v_pk_add_f16 v47, v59, v90
	;; [unrolled: 1-line block ×12, first 2 shown]
	ds_read2_b64 v[10:13], v42 offset0:64 offset1:96
	v_pk_min_f16 v14, v4, v6
	v_pk_add_f16 v22, v22, v23
	v_pk_add_f16 v23, v16, v17
	;; [unrolled: 1-line block ×3, first 2 shown]
	ds_read2_b64 v[14:17], v45 offset1:8
	v_pk_add_f16 v46, v46, v105
	v_pk_max_f16 v8, v8, v8
	v_pk_add_f16 v49, v49, v106
	v_pk_add_f16 v46, v46, v125
	;; [unrolled: 1-line block ×3, first 2 shown]
	v_pk_min_f16 v19, v4, v8
	s_waitcnt lgkmcnt(1)
	v_pk_max_f16 v10, v10, v10
	v_pk_add_f16 v49, v49, v126
	v_pk_add_f16 v46, v46, v19
	v_pk_min_f16 v19, v4, v10
	s_waitcnt lgkmcnt(0)
	v_pk_max_f16 v14, v14, v14
	v_pk_add_f16 v49, v49, v19
	v_pk_min_f16 v19, v14, v6
	v_pk_add_f16 v62, v72, v102
	v_pk_add_f16 v72, v18, v19
	v_pk_min_f16 v18, v14, v8
	v_pk_add_f16 v51, v57, v92
	v_pk_add_f16 v57, v63, v97
	v_pk_add_f16 v63, v73, v103
	v_pk_add_f16 v73, v36, v18
	v_pk_min_f16 v18, v14, v10
	v_pk_max_f16 v16, v16, v16
	v_pk_add_f16 v39, v39, v109
	v_pk_add_f16 v74, v37, v18
	v_pk_min_f16 v18, v16, v6
	v_pk_add_f16 v20, v75, v20
	v_pk_add_f16 v47, v47, v110
	;; [unrolled: 1-line block ×3, first 2 shown]
	v_pk_min_f16 v18, v16, v8
	v_pk_add_f16 v54, v61, v94
	v_pk_add_f16 v61, v71, v101
	;; [unrolled: 1-line block ×4, first 2 shown]
	ds_read2_b64 v[18:21], v45 offset0:16 offset1:24
	v_pk_add_f16 v50, v50, v111
	v_pk_max_f16 v12, v12, v12
	v_pk_min_f16 v36, v16, v10
	v_pk_add_f16 v51, v51, v112
	s_waitcnt lgkmcnt(0)
	v_pk_max_f16 v18, v18, v18
	v_pk_add_f16 v77, v50, v36
	v_pk_min_f16 v16, v16, v12
	v_pk_min_f16 v36, v18, v6
	v_pk_add_f16 v53, v53, v113
	v_pk_add_f16 v16, v66, v16
	;; [unrolled: 1-line block ×3, first 2 shown]
	v_pk_min_f16 v36, v18, v8
	v_pk_add_f16 v0, v78, v0
	v_pk_add_f16 v54, v54, v114
	;; [unrolled: 1-line block ×3, first 2 shown]
	v_pk_min_f16 v36, v18, v10
	v_pk_max_f16 v20, v20, v20
	v_pk_add_f16 v55, v55, v115
	v_pk_add_f16 v79, v54, v36
	v_pk_min_f16 v18, v18, v12
	v_pk_min_f16 v36, v20, v6
	v_pk_add_f16 v56, v56, v116
	v_pk_min_f16 v14, v14, v12
	v_pk_add_f16 v18, v67, v18
	v_pk_add_f16 v67, v55, v36
	v_pk_min_f16 v36, v20, v8
	v_pk_add_f16 v1, v0, v1
	v_perm_b32 v0, v89, v88, s17
	v_pk_add_f16 v14, v38, v14
	v_pk_add_f16 v88, v56, v36
	ds_read2_b64 v[36:39], v45 offset0:32 offset1:40
	v_pk_add_f16 v57, v57, v117
	v_pk_min_f16 v47, v20, v10
	v_pk_add_f16 v58, v58, v118
	v_pk_add_f16 v89, v57, v47
	s_waitcnt lgkmcnt(0)
	v_pk_max_f16 v36, v36, v36
	v_pk_min_f16 v20, v20, v12
	v_pk_min_f16 v47, v36, v6
	v_pk_add_f16 v59, v59, v119
	v_pk_add_f16 v20, v68, v20
	;; [unrolled: 1-line block ×3, first 2 shown]
	v_pk_min_f16 v47, v36, v8
	v_pk_add_f16 v60, v60, v120
	v_pk_add_f16 v90, v59, v47
	v_pk_min_f16 v47, v36, v10
	v_pk_max_f16 v38, v38, v38
	v_pk_add_f16 v61, v61, v121
	v_pk_add_f16 v91, v60, v47
	v_pk_min_f16 v47, v38, v6
	v_pk_add_f16 v62, v62, v122
	v_pk_add_f16 v92, v61, v47
	v_pk_min_f16 v47, v38, v8
	v_pk_max_f16 v2, v2, v2
	v_pk_add_f16 v93, v62, v47
	v_pk_min_f16 v47, v38, v10
	v_pk_min_f16 v6, v2, v6
	;; [unrolled: 1-line block ×5, first 2 shown]
	v_pk_add_f16 v63, v63, v123
	v_pk_add_f16 v1, v1, v2
	v_pk_min_f16 v2, v4, v12
	v_pk_max_f16 v4, v5, v5
	v_pk_max_f16 v5, v7, v7
	v_pk_min_f16 v36, v36, v12
	v_pk_min_f16 v7, v4, v5
	;; [unrolled: 1-line block ×3, first 2 shown]
	v_pk_add_f16 v50, v65, v7
	v_pk_max_f16 v7, v9, v9
	v_pk_add_f16 v94, v63, v47
	v_pk_min_f16 v9, v4, v7
	v_pk_add_f16 v2, v64, v2
	v_pk_add_f16 v46, v46, v9
	v_pk_max_f16 v9, v11, v11
	v_pk_add_f16 v36, v69, v36
	v_pk_min_f16 v11, v4, v9
	v_pk_add_f16 v38, v70, v38
	v_pk_add_f16 v49, v49, v11
	v_pk_max_f16 v11, v15, v15
	v_pk_max_f16 v3, v3, v3
	v_pk_min_f16 v12, v11, v5
	v_pk_add_f16 v6, v71, v6
	v_pk_add_f16 v47, v72, v12
	v_pk_min_f16 v12, v11, v7
	v_pk_add_f16 v8, v22, v8
	v_pk_add_f16 v51, v73, v12
	;; [unrolled: 3-line block ×3, first 2 shown]
	v_pk_max_f16 v12, v13, v13
	s_add_i32 s12, s12, 8
	v_pk_min_f16 v11, v11, v12
	v_lshl_add_u64 v[26:27], v[26:27], 0, 16
	v_pk_add_f16 v54, v14, v11
	v_pk_max_f16 v11, v17, v17
	v_lshl_add_u64 v[28:29], v[28:29], 0, 16
	v_pk_min_f16 v13, v11, v5
	s_cmp_ge_i32 s12, s16
	v_pk_add_f16 v56, v75, v13
	v_pk_min_f16 v13, v11, v7
	v_lshl_add_u64 v[32:33], v[32:33], 0, s[2:3]
	v_pk_add_f16 v59, v76, v13
	v_pk_min_f16 v13, v11, v9
	v_pk_min_f16 v11, v11, v12
	v_pk_add_f16 v55, v77, v13
	v_pk_add_f16 v58, v16, v11
	v_pk_max_f16 v11, v19, v19
	ds_write_b16 v81, v86
	ds_write_b16 v82, v85
	ds_write_b16 v82, v87 offset:512
	v_pk_min_f16 v13, v11, v5
	s_waitcnt lgkmcnt(0)
	v_pk_add_f16 v57, v66, v13
	v_pk_min_f16 v13, v11, v7
	s_barrier
	v_pk_add_f16 v60, v78, v13
	v_pk_min_f16 v13, v11, v9
	v_pk_min_f16 v11, v11, v12
	v_pk_add_f16 v61, v79, v13
	v_pk_add_f16 v62, v18, v11
	v_pk_max_f16 v11, v21, v21
	s_nop 0
	v_pk_min_f16 v13, v11, v5
	s_nop 0
	v_pk_add_f16 v64, v67, v13
	v_pk_min_f16 v13, v11, v7
	s_nop 0
	v_pk_add_f16 v66, v88, v13
	v_pk_min_f16 v13, v11, v9
	v_pk_min_f16 v11, v11, v12
	v_pk_add_f16 v63, v89, v13
	v_pk_add_f16 v67, v20, v11
	v_pk_max_f16 v11, v37, v37
	s_nop 0
	v_pk_min_f16 v13, v11, v5
	s_nop 0
	v_pk_add_f16 v65, v68, v13
	v_pk_min_f16 v13, v11, v7
	s_nop 0
	v_pk_add_f16 v68, v90, v13
	v_pk_min_f16 v13, v11, v9
	v_pk_min_f16 v11, v11, v12
	v_pk_add_f16 v69, v91, v13
	v_pk_add_f16 v70, v36, v11
	v_pk_max_f16 v11, v39, v39
	v_perm_b32 v90, v87, v85, s17
	v_pk_min_f16 v13, v11, v5
	v_pk_min_f16 v5, v3, v5
	v_pk_add_f16 v71, v92, v13
	v_pk_add_f16 v75, v6, v5
	v_pk_min_f16 v5, v3, v7
	v_pk_min_f16 v13, v11, v7
	v_pk_add_f16 v76, v8, v5
	v_pk_min_f16 v5, v3, v9
	v_pk_min_f16 v3, v3, v12
	;; [unrolled: 3-line block ×3, first 2 shown]
	v_pk_add_f16 v78, v1, v3
	v_pk_min_f16 v1, v4, v12
	v_pk_add_f16 v73, v94, v13
	v_pk_add_f16 v74, v38, v11
	;; [unrolled: 1-line block ×4, first 2 shown]
	s_cbranch_scc1 .LBB231_23
.LBB231_15:                             ; =>This Inner Loop Header: Depth=1
	s_mov_b64 s[4:5], -1
	s_mov_b64 vcc, s[8:9]
                                        ; implicit-def: $vgpr88
	s_cbranch_vccz .LBB231_17
; %bb.16:                               ;   in Loop: Header=BB231_15 Depth=1
	v_and_b32_e32 v88, 0xffff0000, v0
	s_mov_b64 s[4:5], 0
.LBB231_17:                             ;   in Loop: Header=BB231_15 Depth=1
	v_mov_b32_e32 v85, 0
	s_andn2_b64 vcc, exec, s[4:5]
	v_lshl_add_u64 v[36:37], v[28:29], 0, v[24:25]
	v_lshl_add_u64 v[38:39], v[26:27], 0, v[24:25]
	v_mov_b32_e32 v89, 0
	s_cbranch_vccnz .LBB231_19
; %bb.18:                               ;   in Loop: Header=BB231_15 Depth=1
	v_lshl_add_u64 v[2:3], v[32:33], 0, v[30:31]
	flat_load_ushort v1, v[36:37] offset:16
	flat_load_ushort v4, v[2:3]
	flat_load_ushort v5, v[38:39] offset:16
	s_waitcnt vmcnt(0) lgkmcnt(0)
	v_mul_f16_e32 v1, v41, v1
	v_mul_f16_e32 v85, v41, v4
	v_bfi_b32 v88, s13, v1, v0
	v_mul_f16_e32 v89, v41, v5
.LBB231_19:                             ;   in Loop: Header=BB231_15 Depth=1
	ds_read2_b64 v[0:3], v83 offset0:48 offset1:56
	ds_read2_b64 v[16:19], v84 offset0:64 offset1:96
	ds_read2_b64 v[20:23], v84 offset1:32
	ds_read2_b64 v[12:15], v83 offset1:8
	ds_read2_b64 v[8:11], v83 offset0:16 offset1:24
	ds_read2_b64 v[4:7], v83 offset0:32 offset1:40
	s_mov_b64 s[4:5], -1
	s_mov_b64 vcc, s[8:9]
	ds_write_b16 v80, v85
	ds_write_b16 v44, v88
	ds_write_b16 v44, v89 offset:512
	s_waitcnt lgkmcnt(0)
	s_barrier
                                        ; implicit-def: $vgpr85
	s_cbranch_vccz .LBB231_21
; %bb.20:                               ;   in Loop: Header=BB231_15 Depth=1
	v_and_b32_e32 v85, 0xffff0000, v90
	s_mov_b64 s[4:5], 0
.LBB231_21:                             ;   in Loop: Header=BB231_15 Depth=1
	v_mov_b32_e32 v86, 0
	s_andn2_b64 vcc, exec, s[4:5]
	v_mov_b32_e32 v87, 0
	s_cbranch_vccnz .LBB231_14
; %bb.22:                               ;   in Loop: Header=BB231_15 Depth=1
	v_lshl_add_u64 v[86:87], v[32:33], 0, v[34:35]
	flat_load_ushort v85, v[36:37] offset:24
	flat_load_ushort v91, v[86:87]
	flat_load_ushort v92, v[38:39] offset:24
	s_waitcnt vmcnt(0) lgkmcnt(0)
	v_mul_f16_e32 v36, v41, v85
	v_mul_f16_e32 v86, v41, v91
	v_bfi_b32 v85, s13, v36, v90
	v_mul_f16_e32 v87, v41, v92
	s_branch .LBB231_14
.LBB231_23:
	v_add_u32_e32 v12, 0x800, v43
	s_load_dwordx2 s[2:3], s[0:1], 0x78
	s_load_dword s12, s[0:1], 0x58
	s_load_dword s13, s[0:1], 0x70
	ds_read2_b64 v[4:7], v12 offset0:112 offset1:120
	ds_read2_b64 v[8:11], v42 offset0:192 offset1:224
	ds_read2_b64 v[0:3], v42 offset0:128 offset1:160
	ds_read2_b64 v[16:19], v12 offset0:64 offset1:72
	s_waitcnt lgkmcnt(0)
	s_lshl_b64 s[0:1], s[2:3], 1
	v_pk_max_f16 v6, v6, v6
	v_pk_max_f16 v8, v8, v8
	;; [unrolled: 1-line block ×3, first 2 shown]
	v_pk_min_f16 v15, v6, v8
	v_pk_max_f16 v0, v0, v0
	v_pk_add_f16 v28, v49, v15
	v_pk_max_f16 v15, v16, v16
	v_pk_max_f16 v10, v10, v10
	v_pk_min_f16 v20, v15, v2
	v_pk_min_f16 v16, v15, v0
	v_pk_add_f16 v29, v51, v20
	v_pk_min_f16 v20, v15, v8
	v_pk_min_f16 v15, v15, v10
	v_pk_add_f16 v30, v53, v20
	v_pk_add_f16 v31, v54, v15
	v_pk_max_f16 v15, v18, v18
	v_pk_min_f16 v13, v6, v0
	v_pk_min_f16 v20, v15, v2
	;; [unrolled: 1-line block ×3, first 2 shown]
	v_pk_add_f16 v49, v59, v20
	ds_read2_b64 v[20:23], v12 offset0:80 offset1:88
	v_pk_min_f16 v24, v15, v8
	v_pk_min_f16 v15, v15, v10
	v_pk_add_f16 v13, v50, v13
	v_pk_add_f16 v51, v58, v15
	s_waitcnt lgkmcnt(0)
	v_pk_max_f16 v15, v20, v20
	v_pk_add_f16 v50, v55, v24
	v_pk_min_f16 v24, v15, v2
	v_pk_min_f16 v20, v15, v0
	v_pk_add_f16 v54, v60, v24
	v_pk_min_f16 v24, v15, v8
	v_pk_min_f16 v15, v15, v10
	v_pk_add_f16 v18, v56, v18
	v_pk_add_f16 v56, v62, v15
	v_pk_max_f16 v15, v22, v22
	v_pk_add_f16 v55, v61, v24
	v_pk_min_f16 v24, v15, v2
	v_pk_add_f16 v20, v57, v20
	v_pk_add_f16 v57, v66, v24
	ds_read2_b64 v[24:27], v12 offset0:96 offset1:104
	v_pk_min_f16 v12, v15, v8
	v_pk_min_f16 v22, v15, v0
	v_pk_add_f16 v58, v63, v12
	v_pk_min_f16 v12, v15, v10
	v_pk_max_f16 v4, v4, v4
	v_pk_add_f16 v59, v67, v12
	s_waitcnt lgkmcnt(0)
	v_pk_max_f16 v12, v24, v24
	v_pk_min_f16 v14, v6, v2
	v_pk_min_f16 v15, v12, v0
	v_pk_add_f16 v14, v46, v14
	v_pk_add_f16 v24, v65, v15
	v_pk_min_f16 v15, v12, v2
	v_pk_add_f16 v22, v64, v22
	v_pk_add_f16 v60, v68, v15
	v_pk_min_f16 v15, v12, v8
	v_pk_min_f16 v12, v12, v10
	v_pk_add_f16 v61, v69, v15
	v_pk_add_f16 v62, v70, v12
	v_pk_max_f16 v12, v26, v26
	v_pk_max_f16 v11, v11, v11
	v_pk_min_f16 v15, v12, v0
	v_pk_min_f16 v0, v4, v0
	v_pk_add_f16 v26, v71, v15
	v_pk_add_f16 v66, v75, v0
	v_pk_min_f16 v0, v4, v2
	v_pk_min_f16 v15, v12, v2
	v_pk_add_f16 v67, v76, v0
	v_pk_min_f16 v0, v4, v8
	v_pk_add_f16 v63, v72, v15
	v_pk_add_f16 v68, v77, v0
	v_pk_min_f16 v0, v4, v10
	v_pk_min_f16 v15, v12, v8
	v_pk_add_f16 v69, v78, v0
	v_pk_min_f16 v0, v6, v10
	v_pk_add_f16 v64, v73, v15
	v_pk_add_f16 v70, v79, v0
	v_pk_max_f16 v0, v1, v1
	v_pk_max_f16 v1, v7, v7
	v_pk_min_f16 v12, v12, v10
	v_pk_min_f16 v2, v1, v0
	v_pk_add_f16 v65, v74, v12
	v_pk_add_f16 v7, v13, v2
	v_pk_max_f16 v2, v3, v3
	v_pk_max_f16 v12, v19, v19
	v_pk_min_f16 v3, v1, v2
	v_pk_max_f16 v19, v21, v21
	v_pk_add_f16 v15, v14, v3
	v_pk_max_f16 v3, v9, v9
	v_pk_max_f16 v23, v23, v23
	v_pk_min_f16 v4, v1, v3
	v_pk_max_f16 v25, v25, v25
	v_pk_add_f16 v9, v28, v4
	v_pk_max_f16 v4, v17, v17
	v_pk_max_f16 v27, v27, v27
	;; [unrolled: 1-line block ×3, first 2 shown]
	v_add_u32_e32 v32, s15, v40
	s_add_u32 s8, s10, s0
	v_pk_add_f16 v16, v47, v16
	v_pk_min_f16 v6, v4, v0
	v_pk_min_f16 v8, v4, v2
	;; [unrolled: 1-line block ×29, first 2 shown]
	v_add_u32_e32 v34, 8, v32
	v_add_u32_e32 v36, 16, v32
	;; [unrolled: 1-line block ×7, first 2 shown]
	v_cmp_neq_f16_e64 s[4:5], 0, v52
	s_addc_u32 s9, s11, s1
	v_ashrrev_i32_e32 v33, 31, v32
	v_ashrrev_i32_e32 v35, 31, v34
	v_ashrrev_i32_e32 v37, 31, v36
	v_ashrrev_i32_e32 v39, 31, v38
	v_ashrrev_i32_e32 v41, 31, v40
	v_ashrrev_i32_e32 v43, 31, v42
	v_ashrrev_i32_e32 v45, 31, v44
	v_ashrrev_i32_e32 v47, 31, v46
	v_add_u32_e32 v53, s14, v48
	s_mov_b64 s[10:11], 15
	v_pk_add_f16 v0, v16, v6
	v_pk_add_f16 v8, v29, v8
	;; [unrolled: 1-line block ×29, first 2 shown]
	s_branch .LBB231_25
.LBB231_24:                             ;   in Loop: Header=BB231_25 Depth=1
	s_add_i32 s0, s10, -1
	s_cmp_eq_u32 s0, 1
	s_cselect_b64 vcc, -1, 0
	s_cmp_eq_u32 s0, 2
	v_cndmask_b32_e32 v48, v0, v54, vcc
	s_cselect_b64 vcc, -1, 0
	s_cmp_eq_u32 s0, 3
	v_cndmask_b32_e32 v48, v48, v1, vcc
	;; [unrolled: 3-line block ×62, first 2 shown]
	s_cselect_b64 vcc, -1, 0
	s_cmp_eq_u32 s10, 1
	s_cselect_b64 s[0:1], -1, 0
	s_cmp_eq_u32 s10, 2
	v_cndmask_b32_e64 v49, v0, v54, s[0:1]
	s_cselect_b64 s[0:1], -1, 0
	s_cmp_eq_u32 s10, 3
	v_cndmask_b32_e64 v49, v49, v1, s[0:1]
	;; [unrolled: 3-line block ×61, first 2 shown]
	v_cndmask_b32_e32 v48, v48, v85, vcc
	s_cselect_b64 vcc, -1, 0
	s_cmp_eq_u32 s10, 63
	v_cndmask_b32_e32 v49, v49, v31, vcc
	s_cselect_b64 vcc, -1, 0
	v_cndmask_b32_e32 v49, v49, v85, vcc
	s_add_u32 s10, s10, 16
	v_add_f16_e32 v48, v48, v49
	s_addc_u32 s11, s11, 0
	v_add_f16_e32 v54, v48, v86
	v_lshl_add_u64 v[48:49], v[46:47], 1, v[50:51]
	s_cmpk_lg_i32 s10, 0x4f
	v_add_u32_e32 v53, 32, v53
	flat_store_short v[48:49], v54
	s_cbranch_scc0 .LBB231_41
.LBB231_25:                             ; =>This Inner Loop Header: Depth=1
	v_mad_i64_i32 v[48:49], s[0:1], v53, s12, 0
	v_cndmask_b32_e64 v50, 0, 1, s[4:5]
	v_lshl_add_u64 v[48:49], v[48:49], 1, s[6:7]
	v_mov_b32_e32 v86, 0
	v_cmp_ne_u32_e64 s[2:3], 1, v50
	s_andn2_b64 vcc, exec, s[4:5]
	v_mov_b32_e32 v50, 0
	s_cbranch_vccnz .LBB231_27
; %bb.26:                               ;   in Loop: Header=BB231_25 Depth=1
	v_lshl_add_u64 v[50:51], v[32:33], 1, v[48:49]
	flat_load_ushort v50, v[50:51]
	s_waitcnt vmcnt(0) lgkmcnt(0)
	v_mul_f16_e32 v50, v52, v50
.LBB231_27:                             ;   in Loop: Header=BB231_25 Depth=1
	s_add_i32 s0, s10, -15
	s_cmp_eq_u32 s0, 1
	v_lshrrev_b32_e32 v54, 16, v0
	s_cselect_b64 vcc, -1, 0
	s_cmp_eq_u32 s0, 2
	v_cndmask_b32_e32 v51, v0, v54, vcc
	s_cselect_b64 vcc, -1, 0
	s_cmp_eq_u32 s0, 3
	v_cndmask_b32_e32 v51, v51, v1, vcc
	v_lshrrev_b32_e32 v55, 16, v1
	s_cselect_b64 vcc, -1, 0
	s_cmp_eq_u32 s0, 4
	v_cndmask_b32_e32 v51, v51, v55, vcc
	s_cselect_b64 vcc, -1, 0
	s_cmp_eq_u32 s0, 5
	v_cndmask_b32_e32 v51, v51, v4, vcc
	;; [unrolled: 7-line block ×31, first 2 shown]
	s_cselect_b64 vcc, -1, 0
	s_add_i32 s0, s10, -14
	v_lshrrev_b32_e32 v85, 16, v31
	s_cmp_eq_u32 s0, 1
	v_cndmask_b32_e32 v51, v51, v85, vcc
	s_cselect_b64 vcc, -1, 0
	s_cmp_eq_u32 s0, 2
	v_cndmask_b32_e32 v87, v0, v54, vcc
	s_cselect_b64 vcc, -1, 0
	;; [unrolled: 3-line block ×63, first 2 shown]
	v_cndmask_b32_e32 v87, v87, v85, vcc
	v_add_f16_e32 v51, v51, v87
	v_add_f16_e32 v87, v51, v50
	v_mad_i64_i32 v[50:51], s[0:1], v53, s13, 0
	v_lshl_add_u64 v[50:51], v[50:51], 1, s[8:9]
	v_lshl_add_u64 v[88:89], v[32:33], 1, v[50:51]
	s_and_b64 vcc, exec, s[2:3]
	flat_store_short v[88:89], v87
	s_cbranch_vccnz .LBB231_29
; %bb.28:                               ;   in Loop: Header=BB231_25 Depth=1
	v_lshl_add_u64 v[86:87], v[34:35], 1, v[48:49]
	flat_load_ushort v86, v[86:87]
	s_waitcnt vmcnt(0) lgkmcnt(0)
	v_mul_f16_e32 v86, v52, v86
.LBB231_29:                             ;   in Loop: Header=BB231_25 Depth=1
	s_add_i32 s0, s10, -13
	s_cmp_eq_u32 s0, 1
	s_cselect_b64 vcc, -1, 0
	s_cmp_eq_u32 s0, 2
	v_cndmask_b32_e32 v87, v0, v54, vcc
	s_cselect_b64 vcc, -1, 0
	s_cmp_eq_u32 s0, 3
	v_cndmask_b32_e32 v87, v87, v1, vcc
	;; [unrolled: 3-line block ×62, first 2 shown]
	s_cselect_b64 vcc, -1, 0
	s_add_i32 s0, s10, -12
	s_cmp_eq_u32 s0, 1
	v_cndmask_b32_e32 v87, v87, v85, vcc
	s_cselect_b64 vcc, -1, 0
	s_cmp_eq_u32 s0, 2
	v_cndmask_b32_e32 v88, v0, v54, vcc
	s_cselect_b64 vcc, -1, 0
	;; [unrolled: 3-line block ×63, first 2 shown]
	v_cndmask_b32_e32 v88, v88, v85, vcc
	v_add_f16_e32 v87, v87, v88
	v_add_f16_e32 v88, v87, v86
	v_lshl_add_u64 v[86:87], v[34:35], 1, v[50:51]
	flat_store_short v[86:87], v88
	s_and_b64 vcc, exec, s[2:3]
	v_mov_b32_e32 v86, 0
	v_mov_b32_e32 v87, 0
	s_cbranch_vccnz .LBB231_31
; %bb.30:                               ;   in Loop: Header=BB231_25 Depth=1
	v_lshl_add_u64 v[88:89], v[36:37], 1, v[48:49]
	flat_load_ushort v87, v[88:89]
	s_waitcnt vmcnt(0) lgkmcnt(0)
	v_mul_f16_e32 v87, v52, v87
.LBB231_31:                             ;   in Loop: Header=BB231_25 Depth=1
	s_add_i32 s0, s10, -11
	s_cmp_eq_u32 s0, 1
	s_cselect_b64 vcc, -1, 0
	s_cmp_eq_u32 s0, 2
	v_cndmask_b32_e32 v88, v0, v54, vcc
	s_cselect_b64 vcc, -1, 0
	s_cmp_eq_u32 s0, 3
	v_cndmask_b32_e32 v88, v88, v1, vcc
	;; [unrolled: 3-line block ×62, first 2 shown]
	s_cselect_b64 vcc, -1, 0
	s_add_i32 s0, s10, -10
	s_cmp_eq_u32 s0, 1
	v_cndmask_b32_e32 v88, v88, v85, vcc
	s_cselect_b64 vcc, -1, 0
	s_cmp_eq_u32 s0, 2
	v_cndmask_b32_e32 v89, v0, v54, vcc
	s_cselect_b64 vcc, -1, 0
	;; [unrolled: 3-line block ×63, first 2 shown]
	v_cndmask_b32_e32 v89, v89, v85, vcc
	v_add_f16_e32 v88, v88, v89
	v_add_f16_e32 v87, v88, v87
	v_lshl_add_u64 v[88:89], v[36:37], 1, v[50:51]
	s_and_b64 vcc, exec, s[2:3]
	flat_store_short v[88:89], v87
	s_cbranch_vccnz .LBB231_33
; %bb.32:                               ;   in Loop: Header=BB231_25 Depth=1
	v_lshl_add_u64 v[86:87], v[38:39], 1, v[48:49]
	flat_load_ushort v86, v[86:87]
	s_waitcnt vmcnt(0) lgkmcnt(0)
	v_mul_f16_e32 v86, v52, v86
.LBB231_33:                             ;   in Loop: Header=BB231_25 Depth=1
	s_add_i32 s0, s10, -9
	s_cmp_eq_u32 s0, 1
	s_cselect_b64 vcc, -1, 0
	s_cmp_eq_u32 s0, 2
	v_cndmask_b32_e32 v87, v0, v54, vcc
	s_cselect_b64 vcc, -1, 0
	s_cmp_eq_u32 s0, 3
	v_cndmask_b32_e32 v87, v87, v1, vcc
	;; [unrolled: 3-line block ×62, first 2 shown]
	s_cselect_b64 vcc, -1, 0
	s_add_i32 s0, s10, -8
	s_cmp_eq_u32 s0, 1
	v_cndmask_b32_e32 v87, v87, v85, vcc
	s_cselect_b64 vcc, -1, 0
	s_cmp_eq_u32 s0, 2
	v_cndmask_b32_e32 v88, v0, v54, vcc
	s_cselect_b64 vcc, -1, 0
	;; [unrolled: 3-line block ×63, first 2 shown]
	v_cndmask_b32_e32 v88, v88, v85, vcc
	v_add_f16_e32 v87, v87, v88
	v_add_f16_e32 v88, v87, v86
	v_lshl_add_u64 v[86:87], v[38:39], 1, v[50:51]
	flat_store_short v[86:87], v88
	s_and_b64 vcc, exec, s[2:3]
	v_mov_b32_e32 v86, 0
	v_mov_b32_e32 v87, 0
	s_cbranch_vccnz .LBB231_35
; %bb.34:                               ;   in Loop: Header=BB231_25 Depth=1
	v_lshl_add_u64 v[88:89], v[40:41], 1, v[48:49]
	flat_load_ushort v87, v[88:89]
	s_waitcnt vmcnt(0) lgkmcnt(0)
	v_mul_f16_e32 v87, v52, v87
.LBB231_35:                             ;   in Loop: Header=BB231_25 Depth=1
	s_add_i32 s0, s10, -7
	s_cmp_eq_u32 s0, 1
	s_cselect_b64 vcc, -1, 0
	s_cmp_eq_u32 s0, 2
	v_cndmask_b32_e32 v88, v0, v54, vcc
	s_cselect_b64 vcc, -1, 0
	s_cmp_eq_u32 s0, 3
	v_cndmask_b32_e32 v88, v88, v1, vcc
	;; [unrolled: 3-line block ×62, first 2 shown]
	s_cselect_b64 vcc, -1, 0
	s_add_i32 s0, s10, -6
	s_cmp_eq_u32 s0, 1
	v_cndmask_b32_e32 v88, v88, v85, vcc
	s_cselect_b64 vcc, -1, 0
	s_cmp_eq_u32 s0, 2
	v_cndmask_b32_e32 v89, v0, v54, vcc
	s_cselect_b64 vcc, -1, 0
	s_cmp_eq_u32 s0, 3
	v_cndmask_b32_e32 v89, v89, v1, vcc
	s_cselect_b64 vcc, -1, 0
	s_cmp_eq_u32 s0, 4
	v_cndmask_b32_e32 v89, v89, v55, vcc
	s_cselect_b64 vcc, -1, 0
	s_cmp_eq_u32 s0, 5
	v_cndmask_b32_e32 v89, v89, v4, vcc
	s_cselect_b64 vcc, -1, 0
	s_cmp_eq_u32 s0, 6
	v_cndmask_b32_e32 v89, v89, v56, vcc
	s_cselect_b64 vcc, -1, 0
	s_cmp_eq_u32 s0, 7
	v_cndmask_b32_e32 v89, v89, v5, vcc
	s_cselect_b64 vcc, -1, 0
	s_cmp_eq_u32 s0, 8
	v_cndmask_b32_e32 v89, v89, v57, vcc
	s_cselect_b64 vcc, -1, 0
	s_cmp_eq_u32 s0, 9
	v_cndmask_b32_e32 v89, v89, v16, vcc
	s_cselect_b64 vcc, -1, 0
	s_cmp_eq_u32 s0, 10
	v_cndmask_b32_e32 v89, v89, v58, vcc
	s_cselect_b64 vcc, -1, 0
	s_cmp_eq_u32 s0, 11
	v_cndmask_b32_e32 v89, v89, v23, vcc
	s_cselect_b64 vcc, -1, 0
	s_cmp_eq_u32 s0, 12
	v_cndmask_b32_e32 v89, v89, v59, vcc
	s_cselect_b64 vcc, -1, 0
	s_cmp_eq_u32 s0, 13
	v_cndmask_b32_e32 v89, v89, v24, vcc
	s_cselect_b64 vcc, -1, 0
	s_cmp_eq_u32 s0, 14
	v_cndmask_b32_e32 v89, v89, v60, vcc
	s_cselect_b64 vcc, -1, 0
	s_cmp_eq_u32 s0, 15
	v_cndmask_b32_e32 v89, v89, v7, vcc
	s_cselect_b64 vcc, -1, 0
	s_cmp_eq_u32 s0, 16
	v_cndmask_b32_e32 v89, v89, v61, vcc
	s_cselect_b64 vcc, -1, 0
	s_cmp_eq_u32 s0, 17
	v_cndmask_b32_e32 v89, v89, v8, vcc
	s_cselect_b64 vcc, -1, 0
	s_cmp_eq_u32 s0, 18
	v_cndmask_b32_e32 v89, v89, v62, vcc
	s_cselect_b64 vcc, -1, 0
	s_cmp_eq_u32 s0, 19
	v_cndmask_b32_e32 v89, v89, v11, vcc
	s_cselect_b64 vcc, -1, 0
	s_cmp_eq_u32 s0, 20
	v_cndmask_b32_e32 v89, v89, v63, vcc
	s_cselect_b64 vcc, -1, 0
	s_cmp_eq_u32 s0, 21
	v_cndmask_b32_e32 v89, v89, v12, vcc
	s_cselect_b64 vcc, -1, 0
	s_cmp_eq_u32 s0, 22
	v_cndmask_b32_e32 v89, v89, v64, vcc
	s_cselect_b64 vcc, -1, 0
	s_cmp_eq_u32 s0, 23
	v_cndmask_b32_e32 v89, v89, v17, vcc
	s_cselect_b64 vcc, -1, 0
	s_cmp_eq_u32 s0, 24
	v_cndmask_b32_e32 v89, v89, v65, vcc
	s_cselect_b64 vcc, -1, 0
	s_cmp_eq_u32 s0, 25
	v_cndmask_b32_e32 v89, v89, v18, vcc
	s_cselect_b64 vcc, -1, 0
	s_cmp_eq_u32 s0, 26
	v_cndmask_b32_e32 v89, v89, v66, vcc
	s_cselect_b64 vcc, -1, 0
	s_cmp_eq_u32 s0, 27
	v_cndmask_b32_e32 v89, v89, v25, vcc
	s_cselect_b64 vcc, -1, 0
	s_cmp_eq_u32 s0, 28
	v_cndmask_b32_e32 v89, v89, v67, vcc
	s_cselect_b64 vcc, -1, 0
	s_cmp_eq_u32 s0, 29
	v_cndmask_b32_e32 v89, v89, v26, vcc
	s_cselect_b64 vcc, -1, 0
	s_cmp_eq_u32 s0, 30
	v_cndmask_b32_e32 v89, v89, v68, vcc
	s_cselect_b64 vcc, -1, 0
	s_cmp_eq_u32 s0, 31
	v_cndmask_b32_e32 v89, v89, v15, vcc
	s_cselect_b64 vcc, -1, 0
	s_cmp_eq_u32 s0, 32
	v_cndmask_b32_e32 v89, v89, v69, vcc
	s_cselect_b64 vcc, -1, 0
	s_cmp_eq_u32 s0, 33
	v_cndmask_b32_e32 v89, v89, v2, vcc
	s_cselect_b64 vcc, -1, 0
	s_cmp_eq_u32 s0, 34
	v_cndmask_b32_e32 v89, v89, v70, vcc
	s_cselect_b64 vcc, -1, 0
	s_cmp_eq_u32 s0, 35
	v_cndmask_b32_e32 v89, v89, v3, vcc
	s_cselect_b64 vcc, -1, 0
	s_cmp_eq_u32 s0, 36
	v_cndmask_b32_e32 v89, v89, v71, vcc
	s_cselect_b64 vcc, -1, 0
	s_cmp_eq_u32 s0, 37
	v_cndmask_b32_e32 v89, v89, v6, vcc
	s_cselect_b64 vcc, -1, 0
	s_cmp_eq_u32 s0, 38
	v_cndmask_b32_e32 v89, v89, v72, vcc
	s_cselect_b64 vcc, -1, 0
	s_cmp_eq_u32 s0, 39
	v_cndmask_b32_e32 v89, v89, v19, vcc
	s_cselect_b64 vcc, -1, 0
	s_cmp_eq_u32 s0, 40
	v_cndmask_b32_e32 v89, v89, v73, vcc
	s_cselect_b64 vcc, -1, 0
	s_cmp_eq_u32 s0, 41
	v_cndmask_b32_e32 v89, v89, v20, vcc
	s_cselect_b64 vcc, -1, 0
	s_cmp_eq_u32 s0, 42
	v_cndmask_b32_e32 v89, v89, v74, vcc
	s_cselect_b64 vcc, -1, 0
	s_cmp_eq_u32 s0, 43
	v_cndmask_b32_e32 v89, v89, v27, vcc
	s_cselect_b64 vcc, -1, 0
	s_cmp_eq_u32 s0, 44
	v_cndmask_b32_e32 v89, v89, v75, vcc
	s_cselect_b64 vcc, -1, 0
	s_cmp_eq_u32 s0, 45
	v_cndmask_b32_e32 v89, v89, v28, vcc
	s_cselect_b64 vcc, -1, 0
	s_cmp_eq_u32 s0, 46
	v_cndmask_b32_e32 v89, v89, v76, vcc
	s_cselect_b64 vcc, -1, 0
	s_cmp_eq_u32 s0, 47
	v_cndmask_b32_e32 v89, v89, v9, vcc
	s_cselect_b64 vcc, -1, 0
	s_cmp_eq_u32 s0, 48
	v_cndmask_b32_e32 v89, v89, v77, vcc
	s_cselect_b64 vcc, -1, 0
	s_cmp_eq_u32 s0, 49
	v_cndmask_b32_e32 v89, v89, v10, vcc
	s_cselect_b64 vcc, -1, 0
	s_cmp_eq_u32 s0, 50
	v_cndmask_b32_e32 v89, v89, v78, vcc
	s_cselect_b64 vcc, -1, 0
	s_cmp_eq_u32 s0, 51
	v_cndmask_b32_e32 v89, v89, v13, vcc
	s_cselect_b64 vcc, -1, 0
	s_cmp_eq_u32 s0, 52
	v_cndmask_b32_e32 v89, v89, v79, vcc
	s_cselect_b64 vcc, -1, 0
	s_cmp_eq_u32 s0, 53
	v_cndmask_b32_e32 v89, v89, v14, vcc
	s_cselect_b64 vcc, -1, 0
	s_cmp_eq_u32 s0, 54
	v_cndmask_b32_e32 v89, v89, v80, vcc
	s_cselect_b64 vcc, -1, 0
	s_cmp_eq_u32 s0, 55
	v_cndmask_b32_e32 v89, v89, v21, vcc
	s_cselect_b64 vcc, -1, 0
	s_cmp_eq_u32 s0, 56
	v_cndmask_b32_e32 v89, v89, v81, vcc
	s_cselect_b64 vcc, -1, 0
	s_cmp_eq_u32 s0, 57
	v_cndmask_b32_e32 v89, v89, v22, vcc
	s_cselect_b64 vcc, -1, 0
	s_cmp_eq_u32 s0, 58
	v_cndmask_b32_e32 v89, v89, v82, vcc
	s_cselect_b64 vcc, -1, 0
	s_cmp_eq_u32 s0, 59
	v_cndmask_b32_e32 v89, v89, v29, vcc
	s_cselect_b64 vcc, -1, 0
	s_cmp_eq_u32 s0, 60
	v_cndmask_b32_e32 v89, v89, v83, vcc
	s_cselect_b64 vcc, -1, 0
	s_cmp_eq_u32 s0, 61
	v_cndmask_b32_e32 v89, v89, v30, vcc
	s_cselect_b64 vcc, -1, 0
	s_cmp_eq_u32 s0, 62
	v_cndmask_b32_e32 v89, v89, v84, vcc
	s_cselect_b64 vcc, -1, 0
	s_cmp_eq_u32 s0, 63
	v_cndmask_b32_e32 v89, v89, v31, vcc
	s_cselect_b64 vcc, -1, 0
	v_cndmask_b32_e32 v89, v89, v85, vcc
	v_add_f16_e32 v88, v88, v89
	v_add_f16_e32 v87, v88, v87
	v_lshl_add_u64 v[88:89], v[40:41], 1, v[50:51]
	s_and_b64 vcc, exec, s[2:3]
	flat_store_short v[88:89], v87
	s_cbranch_vccnz .LBB231_37
; %bb.36:                               ;   in Loop: Header=BB231_25 Depth=1
	v_lshl_add_u64 v[86:87], v[42:43], 1, v[48:49]
	flat_load_ushort v86, v[86:87]
	s_waitcnt vmcnt(0) lgkmcnt(0)
	v_mul_f16_e32 v86, v52, v86
.LBB231_37:                             ;   in Loop: Header=BB231_25 Depth=1
	s_add_i32 s0, s10, -5
	s_cmp_eq_u32 s0, 1
	s_cselect_b64 vcc, -1, 0
	s_cmp_eq_u32 s0, 2
	v_cndmask_b32_e32 v87, v0, v54, vcc
	s_cselect_b64 vcc, -1, 0
	s_cmp_eq_u32 s0, 3
	v_cndmask_b32_e32 v87, v87, v1, vcc
	;; [unrolled: 3-line block ×62, first 2 shown]
	s_cselect_b64 vcc, -1, 0
	s_add_i32 s0, s10, -4
	s_cmp_eq_u32 s0, 1
	v_cndmask_b32_e32 v87, v87, v85, vcc
	s_cselect_b64 vcc, -1, 0
	s_cmp_eq_u32 s0, 2
	v_cndmask_b32_e32 v88, v0, v54, vcc
	s_cselect_b64 vcc, -1, 0
	s_cmp_eq_u32 s0, 3
	v_cndmask_b32_e32 v88, v88, v1, vcc
	s_cselect_b64 vcc, -1, 0
	s_cmp_eq_u32 s0, 4
	v_cndmask_b32_e32 v88, v88, v55, vcc
	s_cselect_b64 vcc, -1, 0
	s_cmp_eq_u32 s0, 5
	v_cndmask_b32_e32 v88, v88, v4, vcc
	s_cselect_b64 vcc, -1, 0
	s_cmp_eq_u32 s0, 6
	v_cndmask_b32_e32 v88, v88, v56, vcc
	s_cselect_b64 vcc, -1, 0
	s_cmp_eq_u32 s0, 7
	v_cndmask_b32_e32 v88, v88, v5, vcc
	s_cselect_b64 vcc, -1, 0
	s_cmp_eq_u32 s0, 8
	v_cndmask_b32_e32 v88, v88, v57, vcc
	s_cselect_b64 vcc, -1, 0
	s_cmp_eq_u32 s0, 9
	v_cndmask_b32_e32 v88, v88, v16, vcc
	s_cselect_b64 vcc, -1, 0
	s_cmp_eq_u32 s0, 10
	v_cndmask_b32_e32 v88, v88, v58, vcc
	s_cselect_b64 vcc, -1, 0
	s_cmp_eq_u32 s0, 11
	v_cndmask_b32_e32 v88, v88, v23, vcc
	s_cselect_b64 vcc, -1, 0
	s_cmp_eq_u32 s0, 12
	v_cndmask_b32_e32 v88, v88, v59, vcc
	s_cselect_b64 vcc, -1, 0
	s_cmp_eq_u32 s0, 13
	v_cndmask_b32_e32 v88, v88, v24, vcc
	s_cselect_b64 vcc, -1, 0
	s_cmp_eq_u32 s0, 14
	v_cndmask_b32_e32 v88, v88, v60, vcc
	s_cselect_b64 vcc, -1, 0
	s_cmp_eq_u32 s0, 15
	v_cndmask_b32_e32 v88, v88, v7, vcc
	s_cselect_b64 vcc, -1, 0
	s_cmp_eq_u32 s0, 16
	v_cndmask_b32_e32 v88, v88, v61, vcc
	s_cselect_b64 vcc, -1, 0
	s_cmp_eq_u32 s0, 17
	v_cndmask_b32_e32 v88, v88, v8, vcc
	s_cselect_b64 vcc, -1, 0
	s_cmp_eq_u32 s0, 18
	v_cndmask_b32_e32 v88, v88, v62, vcc
	s_cselect_b64 vcc, -1, 0
	s_cmp_eq_u32 s0, 19
	v_cndmask_b32_e32 v88, v88, v11, vcc
	s_cselect_b64 vcc, -1, 0
	s_cmp_eq_u32 s0, 20
	v_cndmask_b32_e32 v88, v88, v63, vcc
	s_cselect_b64 vcc, -1, 0
	s_cmp_eq_u32 s0, 21
	v_cndmask_b32_e32 v88, v88, v12, vcc
	s_cselect_b64 vcc, -1, 0
	s_cmp_eq_u32 s0, 22
	v_cndmask_b32_e32 v88, v88, v64, vcc
	s_cselect_b64 vcc, -1, 0
	s_cmp_eq_u32 s0, 23
	v_cndmask_b32_e32 v88, v88, v17, vcc
	s_cselect_b64 vcc, -1, 0
	s_cmp_eq_u32 s0, 24
	v_cndmask_b32_e32 v88, v88, v65, vcc
	s_cselect_b64 vcc, -1, 0
	s_cmp_eq_u32 s0, 25
	v_cndmask_b32_e32 v88, v88, v18, vcc
	s_cselect_b64 vcc, -1, 0
	s_cmp_eq_u32 s0, 26
	v_cndmask_b32_e32 v88, v88, v66, vcc
	s_cselect_b64 vcc, -1, 0
	s_cmp_eq_u32 s0, 27
	v_cndmask_b32_e32 v88, v88, v25, vcc
	s_cselect_b64 vcc, -1, 0
	s_cmp_eq_u32 s0, 28
	v_cndmask_b32_e32 v88, v88, v67, vcc
	s_cselect_b64 vcc, -1, 0
	s_cmp_eq_u32 s0, 29
	v_cndmask_b32_e32 v88, v88, v26, vcc
	s_cselect_b64 vcc, -1, 0
	s_cmp_eq_u32 s0, 30
	v_cndmask_b32_e32 v88, v88, v68, vcc
	s_cselect_b64 vcc, -1, 0
	s_cmp_eq_u32 s0, 31
	v_cndmask_b32_e32 v88, v88, v15, vcc
	s_cselect_b64 vcc, -1, 0
	s_cmp_eq_u32 s0, 32
	v_cndmask_b32_e32 v88, v88, v69, vcc
	s_cselect_b64 vcc, -1, 0
	s_cmp_eq_u32 s0, 33
	v_cndmask_b32_e32 v88, v88, v2, vcc
	s_cselect_b64 vcc, -1, 0
	s_cmp_eq_u32 s0, 34
	v_cndmask_b32_e32 v88, v88, v70, vcc
	s_cselect_b64 vcc, -1, 0
	s_cmp_eq_u32 s0, 35
	v_cndmask_b32_e32 v88, v88, v3, vcc
	s_cselect_b64 vcc, -1, 0
	s_cmp_eq_u32 s0, 36
	v_cndmask_b32_e32 v88, v88, v71, vcc
	s_cselect_b64 vcc, -1, 0
	s_cmp_eq_u32 s0, 37
	v_cndmask_b32_e32 v88, v88, v6, vcc
	s_cselect_b64 vcc, -1, 0
	s_cmp_eq_u32 s0, 38
	v_cndmask_b32_e32 v88, v88, v72, vcc
	s_cselect_b64 vcc, -1, 0
	s_cmp_eq_u32 s0, 39
	v_cndmask_b32_e32 v88, v88, v19, vcc
	s_cselect_b64 vcc, -1, 0
	s_cmp_eq_u32 s0, 40
	v_cndmask_b32_e32 v88, v88, v73, vcc
	s_cselect_b64 vcc, -1, 0
	s_cmp_eq_u32 s0, 41
	v_cndmask_b32_e32 v88, v88, v20, vcc
	s_cselect_b64 vcc, -1, 0
	s_cmp_eq_u32 s0, 42
	v_cndmask_b32_e32 v88, v88, v74, vcc
	s_cselect_b64 vcc, -1, 0
	s_cmp_eq_u32 s0, 43
	v_cndmask_b32_e32 v88, v88, v27, vcc
	s_cselect_b64 vcc, -1, 0
	s_cmp_eq_u32 s0, 44
	v_cndmask_b32_e32 v88, v88, v75, vcc
	s_cselect_b64 vcc, -1, 0
	s_cmp_eq_u32 s0, 45
	v_cndmask_b32_e32 v88, v88, v28, vcc
	s_cselect_b64 vcc, -1, 0
	s_cmp_eq_u32 s0, 46
	v_cndmask_b32_e32 v88, v88, v76, vcc
	s_cselect_b64 vcc, -1, 0
	s_cmp_eq_u32 s0, 47
	v_cndmask_b32_e32 v88, v88, v9, vcc
	s_cselect_b64 vcc, -1, 0
	s_cmp_eq_u32 s0, 48
	v_cndmask_b32_e32 v88, v88, v77, vcc
	s_cselect_b64 vcc, -1, 0
	s_cmp_eq_u32 s0, 49
	v_cndmask_b32_e32 v88, v88, v10, vcc
	s_cselect_b64 vcc, -1, 0
	s_cmp_eq_u32 s0, 50
	v_cndmask_b32_e32 v88, v88, v78, vcc
	s_cselect_b64 vcc, -1, 0
	s_cmp_eq_u32 s0, 51
	v_cndmask_b32_e32 v88, v88, v13, vcc
	s_cselect_b64 vcc, -1, 0
	s_cmp_eq_u32 s0, 52
	v_cndmask_b32_e32 v88, v88, v79, vcc
	s_cselect_b64 vcc, -1, 0
	s_cmp_eq_u32 s0, 53
	v_cndmask_b32_e32 v88, v88, v14, vcc
	s_cselect_b64 vcc, -1, 0
	s_cmp_eq_u32 s0, 54
	v_cndmask_b32_e32 v88, v88, v80, vcc
	s_cselect_b64 vcc, -1, 0
	s_cmp_eq_u32 s0, 55
	v_cndmask_b32_e32 v88, v88, v21, vcc
	s_cselect_b64 vcc, -1, 0
	s_cmp_eq_u32 s0, 56
	v_cndmask_b32_e32 v88, v88, v81, vcc
	s_cselect_b64 vcc, -1, 0
	s_cmp_eq_u32 s0, 57
	v_cndmask_b32_e32 v88, v88, v22, vcc
	s_cselect_b64 vcc, -1, 0
	s_cmp_eq_u32 s0, 58
	v_cndmask_b32_e32 v88, v88, v82, vcc
	s_cselect_b64 vcc, -1, 0
	s_cmp_eq_u32 s0, 59
	v_cndmask_b32_e32 v88, v88, v29, vcc
	s_cselect_b64 vcc, -1, 0
	s_cmp_eq_u32 s0, 60
	v_cndmask_b32_e32 v88, v88, v83, vcc
	s_cselect_b64 vcc, -1, 0
	s_cmp_eq_u32 s0, 61
	v_cndmask_b32_e32 v88, v88, v30, vcc
	s_cselect_b64 vcc, -1, 0
	s_cmp_eq_u32 s0, 62
	v_cndmask_b32_e32 v88, v88, v84, vcc
	s_cselect_b64 vcc, -1, 0
	s_cmp_eq_u32 s0, 63
	v_cndmask_b32_e32 v88, v88, v31, vcc
	s_cselect_b64 vcc, -1, 0
	v_cndmask_b32_e32 v88, v88, v85, vcc
	v_add_f16_e32 v87, v87, v88
	v_add_f16_e32 v88, v87, v86
	v_lshl_add_u64 v[86:87], v[42:43], 1, v[50:51]
	flat_store_short v[86:87], v88
	s_and_b64 vcc, exec, s[2:3]
	v_mov_b32_e32 v86, 0
	v_mov_b32_e32 v87, 0
	s_cbranch_vccnz .LBB231_39
; %bb.38:                               ;   in Loop: Header=BB231_25 Depth=1
	v_lshl_add_u64 v[88:89], v[44:45], 1, v[48:49]
	flat_load_ushort v87, v[88:89]
	s_waitcnt vmcnt(0) lgkmcnt(0)
	v_mul_f16_e32 v87, v52, v87
.LBB231_39:                             ;   in Loop: Header=BB231_25 Depth=1
	s_add_i32 s0, s10, -3
	s_cmp_eq_u32 s0, 1
	s_cselect_b64 vcc, -1, 0
	s_cmp_eq_u32 s0, 2
	v_cndmask_b32_e32 v88, v0, v54, vcc
	s_cselect_b64 vcc, -1, 0
	s_cmp_eq_u32 s0, 3
	v_cndmask_b32_e32 v88, v88, v1, vcc
	;; [unrolled: 3-line block ×62, first 2 shown]
	s_cselect_b64 vcc, -1, 0
	s_add_i32 s0, s10, -2
	s_cmp_eq_u32 s0, 1
	v_cndmask_b32_e32 v88, v88, v85, vcc
	s_cselect_b64 vcc, -1, 0
	s_cmp_eq_u32 s0, 2
	v_cndmask_b32_e32 v89, v0, v54, vcc
	s_cselect_b64 vcc, -1, 0
	;; [unrolled: 3-line block ×63, first 2 shown]
	v_cndmask_b32_e32 v89, v89, v85, vcc
	v_add_f16_e32 v88, v88, v89
	v_add_f16_e32 v87, v88, v87
	v_lshl_add_u64 v[88:89], v[44:45], 1, v[50:51]
	s_and_b64 vcc, exec, s[2:3]
	flat_store_short v[88:89], v87
	s_cbranch_vccnz .LBB231_24
; %bb.40:                               ;   in Loop: Header=BB231_25 Depth=1
	v_lshl_add_u64 v[48:49], v[46:47], 1, v[48:49]
	flat_load_ushort v48, v[48:49]
	s_waitcnt vmcnt(0) lgkmcnt(0)
	v_mul_f16_e32 v86, v52, v48
	s_branch .LBB231_24
.LBB231_41:
	s_endpgm
	.section	.rodata,"a",@progbits
	.p2align	6, 0x0
	.amdhsa_kernel _ZN12_GLOBAL__N_120geam_min_plus_kernelIDF16_Dv2_DF16_S1_Li8ELi32ELi64ELi128ELi4ELi64ELi4ELi4ELi64ELc78ELc78ELb0ELb0ELb0EPKDF16_KS3_KPDF16_EEviiiT16_PT17_ilS9_ilS7_S9_ilPT18_ili26rocblas_geam_ex_operation_
		.amdhsa_group_segment_fixed_size 3072
		.amdhsa_private_segment_fixed_size 0
		.amdhsa_kernarg_size 136
		.amdhsa_user_sgpr_count 2
		.amdhsa_user_sgpr_dispatch_ptr 0
		.amdhsa_user_sgpr_queue_ptr 0
		.amdhsa_user_sgpr_kernarg_segment_ptr 1
		.amdhsa_user_sgpr_dispatch_id 0
		.amdhsa_user_sgpr_kernarg_preload_length 0
		.amdhsa_user_sgpr_kernarg_preload_offset 0
		.amdhsa_user_sgpr_private_segment_size 0
		.amdhsa_uses_dynamic_stack 0
		.amdhsa_enable_private_segment 0
		.amdhsa_system_sgpr_workgroup_id_x 1
		.amdhsa_system_sgpr_workgroup_id_y 0
		.amdhsa_system_sgpr_workgroup_id_z 1
		.amdhsa_system_sgpr_workgroup_info 0
		.amdhsa_system_vgpr_workitem_id 1
		.amdhsa_next_free_vgpr 127
		.amdhsa_next_free_sgpr 26
		.amdhsa_accum_offset 128
		.amdhsa_reserve_vcc 1
		.amdhsa_float_round_mode_32 0
		.amdhsa_float_round_mode_16_64 0
		.amdhsa_float_denorm_mode_32 3
		.amdhsa_float_denorm_mode_16_64 3
		.amdhsa_dx10_clamp 1
		.amdhsa_ieee_mode 1
		.amdhsa_fp16_overflow 0
		.amdhsa_tg_split 0
		.amdhsa_exception_fp_ieee_invalid_op 0
		.amdhsa_exception_fp_denorm_src 0
		.amdhsa_exception_fp_ieee_div_zero 0
		.amdhsa_exception_fp_ieee_overflow 0
		.amdhsa_exception_fp_ieee_underflow 0
		.amdhsa_exception_fp_ieee_inexact 0
		.amdhsa_exception_int_div_zero 0
	.end_amdhsa_kernel
	.section	.text._ZN12_GLOBAL__N_120geam_min_plus_kernelIDF16_Dv2_DF16_S1_Li8ELi32ELi64ELi128ELi4ELi64ELi4ELi4ELi64ELc78ELc78ELb0ELb0ELb0EPKDF16_KS3_KPDF16_EEviiiT16_PT17_ilS9_ilS7_S9_ilPT18_ili26rocblas_geam_ex_operation_,"axG",@progbits,_ZN12_GLOBAL__N_120geam_min_plus_kernelIDF16_Dv2_DF16_S1_Li8ELi32ELi64ELi128ELi4ELi64ELi4ELi4ELi64ELc78ELc78ELb0ELb0ELb0EPKDF16_KS3_KPDF16_EEviiiT16_PT17_ilS9_ilS7_S9_ilPT18_ili26rocblas_geam_ex_operation_,comdat
.Lfunc_end231:
	.size	_ZN12_GLOBAL__N_120geam_min_plus_kernelIDF16_Dv2_DF16_S1_Li8ELi32ELi64ELi128ELi4ELi64ELi4ELi4ELi64ELc78ELc78ELb0ELb0ELb0EPKDF16_KS3_KPDF16_EEviiiT16_PT17_ilS9_ilS7_S9_ilPT18_ili26rocblas_geam_ex_operation_, .Lfunc_end231-_ZN12_GLOBAL__N_120geam_min_plus_kernelIDF16_Dv2_DF16_S1_Li8ELi32ELi64ELi128ELi4ELi64ELi4ELi4ELi64ELc78ELc78ELb0ELb0ELb0EPKDF16_KS3_KPDF16_EEviiiT16_PT17_ilS9_ilS7_S9_ilPT18_ili26rocblas_geam_ex_operation_
                                        ; -- End function
	.set _ZN12_GLOBAL__N_120geam_min_plus_kernelIDF16_Dv2_DF16_S1_Li8ELi32ELi64ELi128ELi4ELi64ELi4ELi4ELi64ELc78ELc78ELb0ELb0ELb0EPKDF16_KS3_KPDF16_EEviiiT16_PT17_ilS9_ilS7_S9_ilPT18_ili26rocblas_geam_ex_operation_.num_vgpr, 127
	.set _ZN12_GLOBAL__N_120geam_min_plus_kernelIDF16_Dv2_DF16_S1_Li8ELi32ELi64ELi128ELi4ELi64ELi4ELi4ELi64ELc78ELc78ELb0ELb0ELb0EPKDF16_KS3_KPDF16_EEviiiT16_PT17_ilS9_ilS7_S9_ilPT18_ili26rocblas_geam_ex_operation_.num_agpr, 0
	.set _ZN12_GLOBAL__N_120geam_min_plus_kernelIDF16_Dv2_DF16_S1_Li8ELi32ELi64ELi128ELi4ELi64ELi4ELi4ELi64ELc78ELc78ELb0ELb0ELb0EPKDF16_KS3_KPDF16_EEviiiT16_PT17_ilS9_ilS7_S9_ilPT18_ili26rocblas_geam_ex_operation_.numbered_sgpr, 26
	.set _ZN12_GLOBAL__N_120geam_min_plus_kernelIDF16_Dv2_DF16_S1_Li8ELi32ELi64ELi128ELi4ELi64ELi4ELi4ELi64ELc78ELc78ELb0ELb0ELb0EPKDF16_KS3_KPDF16_EEviiiT16_PT17_ilS9_ilS7_S9_ilPT18_ili26rocblas_geam_ex_operation_.num_named_barrier, 0
	.set _ZN12_GLOBAL__N_120geam_min_plus_kernelIDF16_Dv2_DF16_S1_Li8ELi32ELi64ELi128ELi4ELi64ELi4ELi4ELi64ELc78ELc78ELb0ELb0ELb0EPKDF16_KS3_KPDF16_EEviiiT16_PT17_ilS9_ilS7_S9_ilPT18_ili26rocblas_geam_ex_operation_.private_seg_size, 0
	.set _ZN12_GLOBAL__N_120geam_min_plus_kernelIDF16_Dv2_DF16_S1_Li8ELi32ELi64ELi128ELi4ELi64ELi4ELi4ELi64ELc78ELc78ELb0ELb0ELb0EPKDF16_KS3_KPDF16_EEviiiT16_PT17_ilS9_ilS7_S9_ilPT18_ili26rocblas_geam_ex_operation_.uses_vcc, 1
	.set _ZN12_GLOBAL__N_120geam_min_plus_kernelIDF16_Dv2_DF16_S1_Li8ELi32ELi64ELi128ELi4ELi64ELi4ELi4ELi64ELc78ELc78ELb0ELb0ELb0EPKDF16_KS3_KPDF16_EEviiiT16_PT17_ilS9_ilS7_S9_ilPT18_ili26rocblas_geam_ex_operation_.uses_flat_scratch, 0
	.set _ZN12_GLOBAL__N_120geam_min_plus_kernelIDF16_Dv2_DF16_S1_Li8ELi32ELi64ELi128ELi4ELi64ELi4ELi4ELi64ELc78ELc78ELb0ELb0ELb0EPKDF16_KS3_KPDF16_EEviiiT16_PT17_ilS9_ilS7_S9_ilPT18_ili26rocblas_geam_ex_operation_.has_dyn_sized_stack, 0
	.set _ZN12_GLOBAL__N_120geam_min_plus_kernelIDF16_Dv2_DF16_S1_Li8ELi32ELi64ELi128ELi4ELi64ELi4ELi4ELi64ELc78ELc78ELb0ELb0ELb0EPKDF16_KS3_KPDF16_EEviiiT16_PT17_ilS9_ilS7_S9_ilPT18_ili26rocblas_geam_ex_operation_.has_recursion, 0
	.set _ZN12_GLOBAL__N_120geam_min_plus_kernelIDF16_Dv2_DF16_S1_Li8ELi32ELi64ELi128ELi4ELi64ELi4ELi4ELi64ELc78ELc78ELb0ELb0ELb0EPKDF16_KS3_KPDF16_EEviiiT16_PT17_ilS9_ilS7_S9_ilPT18_ili26rocblas_geam_ex_operation_.has_indirect_call, 0
	.section	.AMDGPU.csdata,"",@progbits
; Kernel info:
; codeLenInByte = 19872
; TotalNumSgprs: 32
; NumVgprs: 127
; NumAgprs: 0
; TotalNumVgprs: 127
; ScratchSize: 0
; MemoryBound: 0
; FloatMode: 240
; IeeeMode: 1
; LDSByteSize: 3072 bytes/workgroup (compile time only)
; SGPRBlocks: 3
; VGPRBlocks: 15
; NumSGPRsForWavesPerEU: 32
; NumVGPRsForWavesPerEU: 127
; AccumOffset: 128
; Occupancy: 4
; WaveLimiterHint : 1
; COMPUTE_PGM_RSRC2:SCRATCH_EN: 0
; COMPUTE_PGM_RSRC2:USER_SGPR: 2
; COMPUTE_PGM_RSRC2:TRAP_HANDLER: 0
; COMPUTE_PGM_RSRC2:TGID_X_EN: 1
; COMPUTE_PGM_RSRC2:TGID_Y_EN: 0
; COMPUTE_PGM_RSRC2:TGID_Z_EN: 1
; COMPUTE_PGM_RSRC2:TIDIG_COMP_CNT: 1
; COMPUTE_PGM_RSRC3_GFX90A:ACCUM_OFFSET: 31
; COMPUTE_PGM_RSRC3_GFX90A:TG_SPLIT: 0
	.section	.text._ZN12_GLOBAL__N_120geam_min_plus_kernelIDF16_Dv2_DF16_S1_Li8ELi32ELi64ELi128ELi4ELi64ELi4ELi4ELi64ELc78ELc78ELb1ELb0ELb0EDF16_KPKDF16_KPDF16_EEviiiT16_PT17_ilS9_ilS7_S9_ilPT18_ili26rocblas_geam_ex_operation_,"axG",@progbits,_ZN12_GLOBAL__N_120geam_min_plus_kernelIDF16_Dv2_DF16_S1_Li8ELi32ELi64ELi128ELi4ELi64ELi4ELi4ELi64ELc78ELc78ELb1ELb0ELb0EDF16_KPKDF16_KPDF16_EEviiiT16_PT17_ilS9_ilS7_S9_ilPT18_ili26rocblas_geam_ex_operation_,comdat
	.globl	_ZN12_GLOBAL__N_120geam_min_plus_kernelIDF16_Dv2_DF16_S1_Li8ELi32ELi64ELi128ELi4ELi64ELi4ELi4ELi64ELc78ELc78ELb1ELb0ELb0EDF16_KPKDF16_KPDF16_EEviiiT16_PT17_ilS9_ilS7_S9_ilPT18_ili26rocblas_geam_ex_operation_ ; -- Begin function _ZN12_GLOBAL__N_120geam_min_plus_kernelIDF16_Dv2_DF16_S1_Li8ELi32ELi64ELi128ELi4ELi64ELi4ELi4ELi64ELc78ELc78ELb1ELb0ELb0EDF16_KPKDF16_KPDF16_EEviiiT16_PT17_ilS9_ilS7_S9_ilPT18_ili26rocblas_geam_ex_operation_
	.p2align	8
	.type	_ZN12_GLOBAL__N_120geam_min_plus_kernelIDF16_Dv2_DF16_S1_Li8ELi32ELi64ELi128ELi4ELi64ELi4ELi4ELi64ELc78ELc78ELb1ELb0ELb0EDF16_KPKDF16_KPDF16_EEviiiT16_PT17_ilS9_ilS7_S9_ilPT18_ili26rocblas_geam_ex_operation_,@function
_ZN12_GLOBAL__N_120geam_min_plus_kernelIDF16_Dv2_DF16_S1_Li8ELi32ELi64ELi128ELi4ELi64ELi4ELi4ELi64ELc78ELc78ELb1ELb0ELb0EDF16_KPKDF16_KPDF16_EEviiiT16_PT17_ilS9_ilS7_S9_ilPT18_ili26rocblas_geam_ex_operation_: ; @_ZN12_GLOBAL__N_120geam_min_plus_kernelIDF16_Dv2_DF16_S1_Li8ELi32ELi64ELi128ELi4ELi64ELi4ELi4ELi64ELc78ELc78ELb1ELb0ELb0EDF16_KPKDF16_KPDF16_EEviiiT16_PT17_ilS9_ilS7_S9_ilPT18_ili26rocblas_geam_ex_operation_
; %bb.0:
	s_load_dwordx2 s[10:11], s[0:1], 0x8
	s_load_dwordx4 s[4:7], s[0:1], 0x20
	s_mov_b32 s16, s3
	s_mov_b32 s17, 0
	s_waitcnt lgkmcnt(0)
	v_cmp_eq_f16_e64 s[8:9], s11, 0
	s_and_b64 vcc, exec, s[8:9]
	s_cbranch_vccnz .LBB232_3
; %bb.1:
	s_load_dwordx2 s[12:13], s[0:1], 0x10
	s_lshl_b64 s[14:15], s[16:17], 3
	s_waitcnt lgkmcnt(0)
	s_add_u32 s12, s12, s14
	s_addc_u32 s13, s13, s15
	s_load_dwordx2 s[12:13], s[12:13], 0x0
	s_lshl_b64 s[4:5], s[4:5], 1
	s_waitcnt lgkmcnt(0)
	s_add_u32 s12, s12, s4
	s_addc_u32 s13, s13, s5
	s_andn2_b64 vcc, exec, s[8:9]
	s_cbranch_vccnz .LBB232_4
.LBB232_2:
	s_mov_b32 s19, 0
	s_mov_b32 s18, s16
	s_mov_b64 s[8:9], 0
	s_mov_b64 s[14:15], 0
	s_cbranch_execz .LBB232_5
	s_branch .LBB232_6
.LBB232_3:
	s_mov_b64 s[12:13], 0
	s_andn2_b64 vcc, exec, s[8:9]
	s_cbranch_vccz .LBB232_2
.LBB232_4:
	s_mov_b64 s[18:19], s[16:17]
	s_mov_b64 s[8:9], 0
	;; [unrolled: 1-line block ×3, first 2 shown]
.LBB232_5:
	s_lshl_b64 s[14:15], s[16:17], 3
	s_add_u32 s6, s6, s14
	s_load_dwordx2 s[4:5], s[0:1], 0x38
	s_addc_u32 s7, s7, s15
	s_load_dwordx2 s[6:7], s[6:7], 0x0
	s_waitcnt lgkmcnt(0)
	s_lshl_b64 s[4:5], s[4:5], 1
	s_add_u32 s14, s6, s4
	s_addc_u32 s15, s7, s5
.LBB232_6:
	s_load_dword s11, s[0:1], 0x40
	s_load_dwordx4 s[4:7], s[0:1], 0x58
	s_waitcnt lgkmcnt(0)
	v_cmp_eq_f16_e64 s[16:17], s11, 0
	s_and_b64 vcc, exec, s[16:17]
	s_cbranch_vccnz .LBB232_8
; %bb.7:
	s_load_dwordx2 s[8:9], s[0:1], 0x48
	s_lshl_b64 s[16:17], s[18:19], 3
	s_waitcnt lgkmcnt(0)
	s_add_u32 s8, s8, s16
	s_addc_u32 s9, s9, s17
	s_load_dwordx2 s[8:9], s[8:9], 0x0
	s_lshl_b64 s[4:5], s[4:5], 1
	s_waitcnt lgkmcnt(0)
	s_add_u32 s8, s8, s4
	s_addc_u32 s9, s9, s5
.LBB232_8:
	s_load_dword s3, s[0:1], 0x0
	s_load_dword s16, s[0:1], 0x18
	;; [unrolled: 1-line block ×3, first 2 shown]
	s_lshl_b64 s[4:5], s[18:19], 3
	s_add_u32 s4, s6, s4
	s_addc_u32 s5, s7, s5
	s_waitcnt lgkmcnt(0)
	s_add_i32 s3, s3, -1
	s_ashr_i32 s6, s3, 31
	s_lshr_b32 s6, s6, 26
	s_add_i32 s3, s3, s6
	s_ashr_i32 s3, s3, 6
	s_add_i32 s6, s3, 1
	v_cvt_f32_u32_e32 v1, s6
	s_not_b32 s3, s3
	v_bfe_u32 v48, v0, 10, 10
	v_and_b32_e32 v36, 0x3ff, v0
	v_rcp_iflag_f32_e32 v1, v1
	v_lshlrev_b32_e32 v37, 3, v48
	v_add_u32_e32 v2, v37, v36
	v_and_b32_e32 v14, 63, v2
	v_mul_f32_e32 v1, 0x4f7ffffe, v1
	v_cvt_u32_f32_e32 v1, v1
	v_lshrrev_b32_e32 v34, 6, v2
	v_lshrrev_b32_e32 v15, 2, v2
	v_lshlrev_b32_e32 v0, 1, v0
	v_readfirstlane_b32 s7, v1
	s_mul_i32 s3, s3, s7
	s_mul_hi_u32 s3, s7, s3
	s_add_i32 s7, s7, s3
	s_mul_hi_u32 s3, s2, s7
	s_mul_i32 s7, s3, s6
	s_sub_i32 s7, s2, s7
	s_add_i32 s18, s3, 1
	s_sub_i32 s19, s7, s6
	s_cmp_ge_u32 s7, s6
	s_cselect_b32 s3, s18, s3
	s_cselect_b32 s7, s19, s7
	s_add_i32 s18, s3, 1
	s_cmp_ge_u32 s7, s6
	s_cselect_b32 s3, s18, s3
	s_mul_i32 s6, s3, s6
	s_sub_i32 s2, s2, s6
	s_lshl_b32 s7, s2, 6
	v_or_b32_e32 v2, s7, v14
	s_lshl_b32 s6, s3, 7
	v_mad_i64_i32 v[4:5], s[2:3], s16, v34, 0
	v_ashrrev_i32_e32 v3, 31, v2
	v_lshl_add_u64 v[4:5], v[4:5], 1, s[12:13]
	v_lshlrev_b64 v[6:7], 1, v[2:3]
	v_lshl_add_u64 v[8:9], v[4:5], 0, v[6:7]
	v_add_u32_e32 v4, s6, v15
	v_and_b32_e32 v24, 6, v0
	v_mov_b32_e32 v25, 0
	v_lshl_add_u64 v[10:11], s[14:15], 0, v[24:25]
	v_mad_i64_i32 v[0:1], s[2:3], v4, s17, 0
	v_add_u32_e32 v4, 64, v4
	v_lshl_add_u64 v[12:13], v[0:1], 1, v[10:11]
	v_mad_i64_i32 v[4:5], s[2:3], v4, s17, 0
	v_lshl_add_u64 v[10:11], v[4:5], 1, v[10:11]
	flat_load_ushort v16, v[12:13]
	flat_load_ushort v17, v[10:11]
	;; [unrolled: 1-line block ×3, first 2 shown]
	v_add_u32_e32 v8, 4, v34
	v_mad_i64_i32 v[8:9], s[2:3], s16, v8, 0
	v_lshl_add_u64 v[8:9], v[8:9], 1, s[12:13]
	v_lshl_add_u64 v[6:7], v[8:9], 0, v[6:7]
	s_load_dwordx2 s[4:5], s[4:5], 0x0
	flat_load_ushort v35, v[10:11] offset:8
	flat_load_ushort v41, v[12:13] offset:8
	flat_load_ushort v42, v[6:7]
	v_lshlrev_b32_e32 v38, 3, v36
	v_lshlrev_b32_e32 v14, 3, v14
	v_lshl_or_b32 v40, v15, 3, v24
	v_add_u32_e32 v39, 0x800, v38
	v_lshl_add_u32 v24, v34, 1, v14
	s_cmp_lt_i32 s10, 9
	s_waitcnt vmcnt(0) lgkmcnt(0)
	ds_write_b16 v40, v16
	ds_write_b16 v40, v17 offset:512
	ds_write_b16 v24, v18 offset:2048
	s_waitcnt lgkmcnt(0)
	s_barrier
	ds_read2_b64 v[6:9], v37 offset1:32
	ds_read2_b64 v[10:13], v37 offset0:64 offset1:96
	ds_read2_b64 v[14:17], v39 offset1:8
	ds_read2_b64 v[18:21], v39 offset0:16 offset1:24
	ds_read2_b64 v[26:29], v39 offset0:32 offset1:40
	;; [unrolled: 1-line block ×3, first 2 shown]
	s_waitcnt lgkmcnt(5)
	v_pk_max_f16 v6, v6, v6
	v_pk_max_f16 v8, v8, v8
	s_waitcnt lgkmcnt(4)
	v_pk_max_f16 v10, v10, v10
	s_waitcnt lgkmcnt(1)
	v_pk_max_f16 v23, v28, v28
	v_pk_max_f16 v28, v9, v9
	s_waitcnt lgkmcnt(0)
	v_pk_max_f16 v9, v32, v32
	v_pk_max_f16 v14, v14, v14
	;; [unrolled: 1-line block ×11, first 2 shown]
	v_pk_min_f16 v17, v9, v6
	v_pk_max_f16 v19, v30, v30
	v_pk_max_f16 v33, v33, v33
	;; [unrolled: 1-line block ×5, first 2 shown]
	v_pk_min_f16 v13, v14, v6
	v_pk_min_f16 v15, v14, v8
	;; [unrolled: 1-line block ×24, first 2 shown]
	v_pk_add_f16 v9, v17, 0
	v_pk_min_f16 v10, v33, v26
	v_pk_min_f16 v69, v19, v12
	v_pk_add_f16 v19, v9, v10
	v_pk_add_f16 v6, v6, 0
	v_pk_min_f16 v9, v33, v28
	v_pk_min_f16 v10, v7, v26
	v_pk_add_f16 v9, v6, v9
	;; [unrolled: 4-line block ×3, first 2 shown]
	v_pk_add_f16 v8, v13, 0
	v_pk_min_f16 v14, v14, v12
	v_pk_add_f16 v23, v8, v10
	v_pk_add_f16 v8, v15, 0
	v_pk_min_f16 v10, v7, v28
	v_pk_min_f16 v16, v16, v12
	v_pk_add_f16 v17, v8, v10
	v_pk_add_f16 v8, v21, 0
	v_pk_min_f16 v10, v7, v43
	v_pk_min_f16 v18, v18, v12
	;; [unrolled: 1-line block ×4, first 2 shown]
	v_pk_add_f16 v12, v8, v10
	v_pk_add_f16 v8, v14, 0
	v_pk_min_f16 v7, v7, v44
	v_pk_min_f16 v10, v11, v26
	v_pk_add_f16 v7, v8, v7
	v_pk_add_f16 v8, v47, 0
	v_pk_min_f16 v14, v46, v26
	v_pk_add_f16 v56, v8, v10
	v_pk_add_f16 v8, v49, 0
	v_pk_min_f16 v10, v11, v28
	v_pk_max_f16 v27, v27, v27
	v_pk_add_f16 v22, v8, v10
	v_pk_add_f16 v8, v50, 0
	v_pk_min_f16 v10, v11, v43
	v_pk_max_f16 v29, v29, v29
	v_pk_add_f16 v13, v8, v10
	v_pk_add_f16 v8, v16, 0
	v_pk_min_f16 v10, v11, v44
	v_pk_min_f16 v11, v45, v26
	v_pk_add_f16 v8, v8, v10
	v_pk_add_f16 v10, v51, 0
	v_pk_max_f16 v31, v31, v31
	v_pk_add_f16 v54, v10, v11
	v_pk_add_f16 v10, v52, 0
	v_pk_min_f16 v11, v45, v28
	ds_write_b16 v24, v42 offset:2560
	ds_write_b16 v40, v41 offset:1024
	;; [unrolled: 1-line block ×3, first 2 shown]
	v_pk_add_f16 v21, v10, v11
	v_pk_add_f16 v10, v53, 0
	v_pk_min_f16 v11, v45, v43
	s_waitcnt lgkmcnt(0)
	v_pk_add_f16 v15, v10, v11
	v_pk_add_f16 v10, v18, 0
	v_pk_min_f16 v11, v45, v44
	v_pk_min_f16 v18, v27, v26
	v_pk_add_f16 v10, v10, v11
	v_pk_add_f16 v11, v55, 0
	;; [unrolled: 1-line block ×5, first 2 shown]
	v_pk_min_f16 v14, v46, v28
	s_barrier
	v_pk_add_f16 v55, v11, v14
	v_pk_add_f16 v11, v58, 0
	v_pk_min_f16 v14, v46, v43
	s_nop 0
	v_pk_add_f16 v16, v11, v14
	v_pk_add_f16 v11, v20, 0
	v_pk_min_f16 v14, v46, v44
	s_nop 0
	v_pk_add_f16 v11, v11, v14
	v_pk_add_f16 v14, v60, 0
	s_nop 0
	v_pk_add_f16 v57, v14, v18
	v_pk_add_f16 v14, v61, 0
	v_pk_min_f16 v18, v27, v28
	s_nop 0
	v_pk_add_f16 v51, v14, v18
	v_pk_add_f16 v14, v62, 0
	v_pk_min_f16 v18, v27, v43
	;; [unrolled: 4-line block ×3, first 2 shown]
	v_pk_min_f16 v27, v29, v26
	v_pk_add_f16 v14, v14, v18
	v_pk_add_f16 v18, v64, 0
	v_pk_min_f16 v26, v31, v26
	v_pk_add_f16 v61, v18, v27
	v_pk_add_f16 v18, v65, 0
	v_pk_min_f16 v27, v29, v28
	s_nop 0
	v_pk_add_f16 v58, v18, v27
	v_pk_add_f16 v18, v66, 0
	v_pk_min_f16 v27, v29, v43
	s_nop 0
	v_pk_add_f16 v52, v18, v27
	v_pk_add_f16 v18, v67, 0
	v_pk_min_f16 v27, v29, v44
	v_pk_add_f16 v29, v32, 0
	v_pk_add_f16 v18, v18, v27
	;; [unrolled: 1-line block ×5, first 2 shown]
	v_pk_min_f16 v26, v31, v28
	v_pk_add_f16 v32, v69, 0
	v_pk_add_f16 v62, v29, v26
	v_pk_min_f16 v26, v31, v43
	s_nop 0
	v_pk_add_f16 v60, v30, v26
	v_pk_min_f16 v26, v31, v44
	s_nop 0
	;; [unrolled: 3-line block ×3, first 2 shown]
	v_pk_add_f16 v50, v45, v26
	s_cbranch_scc1 .LBB232_11
; %bb.9:
	v_lshl_add_u64 v[30:31], v[0:1], 1, s[14:15]
	v_add_u32_e32 v0, 8, v34
	v_mad_i64_i32 v[0:1], s[2:3], v0, s16, 0
	v_lshl_add_u64 v[26:27], v[2:3], 1, s[12:13]
	v_mov_b32_e32 v2, 0xa00
	v_lshlrev_b64 v[32:33], 1, v[0:1]
	v_add_u32_e32 v0, 12, v34
	s_ashr_i32 s17, s16, 31
	v_lshl_add_u32 v44, v36, 3, v2
	v_and_b32_e32 v2, 3, v36
	v_mad_i64_i32 v[0:1], s[12:13], v0, s16, 0
	v_or_b32_e32 v41, 0x800, v24
	v_add_u32_e32 v42, 0xa00, v24
	v_add_u32_e32 v43, 0x400, v40
	s_add_i32 s10, s10, -8
	v_add_u32_e32 v45, 0x400, v37
	v_lshlrev_b32_e32 v24, 1, v2
	v_lshl_add_u64 v[28:29], v[4:5], 1, s[14:15]
	s_lshl_b64 s[2:3], s[16:17], 4
	v_lshlrev_b64 v[34:35], 1, v[0:1]
	s_mov_b32 s12, 0
.LBB232_10:                             ; =>This Inner Loop Header: Depth=1
	ds_read2_b64 v[64:67], v44 offset0:48 offset1:56
	ds_read2_b64 v[0:3], v45 offset0:64 offset1:96
	ds_read2_b64 v[68:71], v45 offset1:32
	ds_read2_b64 v[72:75], v44 offset1:8
	ds_read2_b64 v[76:79], v44 offset0:16 offset1:24
	ds_read2_b64 v[80:83], v44 offset0:32 offset1:40
	v_lshl_add_u64 v[4:5], v[26:27], 0, v[32:33]
	flat_load_ushort v4, v[4:5]
	s_waitcnt lgkmcnt(0)
	v_pk_max_f16 v5, v68, v68
	v_pk_max_f16 v46, v72, v72
	v_pk_max_f16 v47, v69, v69
	v_pk_max_f16 v49, v73, v73
	v_pk_max_f16 v68, v74, v74
	v_pk_max_f16 v69, v75, v75
	v_pk_max_f16 v72, v76, v76
	v_pk_max_f16 v73, v77, v77
	v_pk_max_f16 v74, v78, v78
	v_pk_max_f16 v75, v79, v79
	v_pk_max_f16 v76, v80, v80
	v_pk_max_f16 v77, v81, v81
	v_pk_max_f16 v78, v82, v82
	v_pk_max_f16 v79, v83, v83
	v_pk_max_f16 v64, v64, v64
	v_pk_max_f16 v65, v65, v65
	v_pk_max_f16 v66, v66, v66
	v_pk_max_f16 v67, v67, v67
	v_pk_max_f16 v70, v70, v70
	v_pk_max_f16 v71, v71, v71
	v_pk_max_f16 v0, v0, v0
	v_pk_max_f16 v1, v1, v1
	v_pk_max_f16 v2, v2, v2
	v_pk_max_f16 v3, v3, v3
	v_pk_min_f16 v80, v46, v5
	v_pk_min_f16 v81, v68, v5
	;; [unrolled: 1-line block ×49, first 2 shown]
	v_lshl_add_u64 v[2:3], v[30:31], 0, v[24:25]
	v_pk_min_f16 v107, v65, v47
	v_pk_min_f16 v114, v65, v71
	;; [unrolled: 1-line block ×7, first 2 shown]
	v_pk_add_f16 v23, v23, v80
	v_pk_add_f16 v56, v56, v81
	;; [unrolled: 1-line block ×4, first 2 shown]
	v_lshl_add_u64 v[0:1], v[28:29], 0, v[24:25]
	flat_load_ushort v83, v[2:3] offset:16
	v_pk_min_f16 v105, v77, v47
	v_pk_min_f16 v112, v77, v71
	v_pk_add_f16 v77, v63, v86
	v_pk_add_f16 v63, v23, v101
	flat_load_ushort v23, v[0:1] offset:16
	v_pk_min_f16 v103, v73, v47
	v_pk_min_f16 v106, v79, v47
	;; [unrolled: 1-line block ×4, first 2 shown]
	v_pk_add_f16 v73, v61, v85
	v_pk_add_f16 v5, v19, v5
	;; [unrolled: 1-line block ×8, first 2 shown]
	v_lshl_add_u64 v[6:7], v[26:27], 0, v[34:35]
	v_pk_add_f16 v55, v73, v106
	v_pk_add_f16 v73, v5, v47
	;; [unrolled: 1-line block ×5, first 2 shown]
	s_waitcnt vmcnt(0)
	ds_write_b16 v41, v4
	s_waitcnt lgkmcnt(0)
	ds_write_b16 v40, v83
	ds_write_b16 v40, v23 offset:512
	s_waitcnt lgkmcnt(0)
	s_barrier
	flat_load_ushort v46, v[0:1] offset:24
	flat_load_ushort v47, v[2:3] offset:24
	flat_load_ushort v49, v[6:7]
	v_pk_min_f16 v113, v79, v71
	v_pk_min_f16 v71, v67, v71
	v_pk_add_f16 v67, v57, v84
	v_pk_add_f16 v17, v17, v87
	;; [unrolled: 1-line block ×39, first 2 shown]
	ds_read2_b64 v[0:3], v39 offset0:48 offset1:56
	ds_read2_b64 v[20:23], v37 offset1:32
	ds_read2_b64 v[12:15], v37 offset0:64 offset1:96
	ds_read2_b64 v[16:19], v39 offset1:8
	ds_read2_b64 v[8:11], v39 offset0:16 offset1:24
	ds_read2_b64 v[4:7], v39 offset0:32 offset1:40
	v_pk_add_f16 v58, v58, v92
	v_pk_add_f16 v59, v54, v103
	;; [unrolled: 1-line block ×3, first 2 shown]
	s_waitcnt lgkmcnt(0)
	v_pk_max_f16 v20, v20, v20
	v_pk_max_f16 v82, v2, v2
	;; [unrolled: 1-line block ×12, first 2 shown]
	v_pk_add_f16 v58, v58, v113
	v_pk_add_f16 v81, v81, v122
	;; [unrolled: 1-line block ×3, first 2 shown]
	v_pk_max_f16 v2, v21, v21
	v_pk_max_f16 v4, v23, v23
	;; [unrolled: 1-line block ×12, first 2 shown]
	v_pk_min_f16 v95, v12, v20
	v_pk_min_f16 v96, v12, v22
	;; [unrolled: 1-line block ×64, first 2 shown]
	v_pk_add_f16 v6, v73, v119
	v_pk_add_f16 v73, v78, v120
	;; [unrolled: 1-line block ×27, first 2 shown]
	s_add_i32 s12, s12, 8
	v_pk_add_f16 v50, v50, v9
	v_pk_add_f16 v96, v51, v12
	;; [unrolled: 1-line block ×5, first 2 shown]
	v_lshl_add_u64 v[28:29], v[28:29], 0, 16
	v_lshl_add_u64 v[30:31], v[30:31], 0, 16
	;; [unrolled: 1-line block ×3, first 2 shown]
	s_cmp_ge_i32 s12, s10
	v_pk_add_f16 v19, v6, v22
	v_pk_add_f16 v9, v73, v23
	;; [unrolled: 1-line block ×32, first 2 shown]
	s_waitcnt vmcnt(0)
	ds_write_b16 v42, v49
	ds_write_b16 v43, v47
	ds_write_b16 v43, v46 offset:512
	s_waitcnt lgkmcnt(0)
	s_barrier
	s_cbranch_scc0 .LBB232_10
.LBB232_11:
	v_add_u32_e32 v38, 0x800, v38
	s_load_dwordx2 s[14:15], s[0:1], 0x70
	s_load_dword s10, s[0:1], 0x50
	s_load_dword s12, s[0:1], 0x68
	ds_read2_b64 v[0:3], v37 offset0:128 offset1:160
	ds_read2_b64 v[24:27], v38 offset0:112 offset1:120
	;; [unrolled: 1-line block ×4, first 2 shown]
	s_waitcnt lgkmcnt(0)
	s_lshl_b64 s[0:1], s[14:15], 1
	v_pk_max_f16 v0, v0, v0
	v_pk_max_f16 v26, v26, v26
	;; [unrolled: 1-line block ×3, first 2 shown]
	v_pk_min_f16 v4, v26, v0
	v_pk_max_f16 v28, v28, v28
	v_pk_add_f16 v19, v19, v4
	v_pk_min_f16 v4, v26, v2
	v_pk_max_f16 v30, v30, v30
	v_pk_add_f16 v9, v9, v4
	;; [unrolled: 3-line block ×3, first 2 shown]
	v_pk_max_f16 v4, v32, v32
	v_pk_max_f16 v32, v34, v34
	v_pk_min_f16 v5, v4, v0
	v_pk_min_f16 v34, v32, v28
	v_pk_add_f16 v23, v23, v5
	v_pk_min_f16 v5, v4, v2
	s_add_u32 s4, s4, s0
	v_pk_add_f16 v17, v17, v5
	v_pk_min_f16 v5, v4, v28
	v_pk_min_f16 v4, v4, v30
	v_pk_add_f16 v12, v12, v5
	v_pk_add_f16 v64, v7, v4
	v_pk_min_f16 v4, v32, v0
	v_pk_add_f16 v13, v13, v34
	v_pk_add_f16 v56, v56, v4
	v_pk_min_f16 v4, v32, v2
	v_pk_min_f16 v32, v32, v30
	v_pk_add_f16 v22, v22, v4
	ds_read2_b64 v[4:7], v38 offset0:80 offset1:88
	v_pk_add_f16 v65, v8, v32
	ds_read2_b64 v[38:41], v38 offset0:96 offset1:104
	v_add_u32_e32 v32, s7, v36
	v_add_u32_e32 v34, 8, v32
	s_waitcnt lgkmcnt(1)
	v_pk_max_f16 v4, v4, v4
	v_pk_max_f16 v7, v7, v7
	v_pk_min_f16 v8, v4, v0
	v_pk_min_f16 v73, v7, v3
	v_pk_add_f16 v54, v54, v8
	v_pk_min_f16 v8, v4, v2
	v_pk_max_f16 v5, v5, v5
	v_pk_add_f16 v21, v21, v8
	v_pk_min_f16 v8, v4, v28
	v_pk_min_f16 v4, v4, v30
	v_pk_add_f16 v66, v15, v8
	v_pk_add_f16 v67, v10, v4
	v_pk_max_f16 v4, v6, v6
	v_pk_max_f16 v15, v31, v31
	v_pk_min_f16 v6, v4, v0
	v_pk_min_f16 v75, v7, v15
	v_pk_add_f16 v59, v59, v6
	v_pk_min_f16 v6, v4, v2
	v_pk_max_f16 v10, v33, v33
	v_pk_add_f16 v55, v55, v6
	v_pk_min_f16 v6, v4, v28
	v_pk_min_f16 v4, v4, v30
	v_pk_add_f16 v16, v16, v6
	v_pk_add_f16 v68, v11, v4
	s_waitcnt lgkmcnt(0)
	v_pk_max_f16 v4, v38, v38
	v_add_u32_e32 v36, 16, v32
	v_pk_min_f16 v6, v4, v0
	v_add_u32_e32 v38, 24, v32
	v_pk_add_f16 v57, v57, v6
	v_pk_min_f16 v6, v4, v2
	v_add_u32_e32 v42, 40, v32
	v_pk_add_f16 v51, v51, v6
	v_pk_min_f16 v6, v4, v28
	v_pk_min_f16 v4, v4, v30
	v_pk_add_f16 v20, v20, v6
	v_pk_add_f16 v69, v14, v4
	v_pk_max_f16 v4, v40, v40
	v_pk_min_f16 v14, v10, v3
	v_pk_min_f16 v6, v4, v0
	v_add_u32_e32 v40, 32, v32
	v_pk_add_f16 v61, v61, v6
	v_pk_min_f16 v6, v4, v2
	v_add_u32_e32 v44, 48, v32
	v_pk_add_f16 v58, v58, v6
	v_pk_min_f16 v6, v4, v28
	v_pk_min_f16 v4, v4, v30
	v_pk_add_f16 v70, v52, v6
	v_pk_add_f16 v71, v18, v4
	v_pk_max_f16 v4, v24, v24
	v_pk_max_f16 v6, v29, v29
	v_pk_min_f16 v0, v4, v0
	v_pk_min_f16 v74, v7, v6
	v_pk_add_f16 v24, v63, v0
	v_pk_min_f16 v0, v4, v2
	v_pk_min_f16 v18, v10, v6
	v_pk_add_f16 v62, v62, v0
	;; [unrolled: 3-line block ×4, first 2 shown]
	v_pk_min_f16 v0, v26, v30
	v_pk_max_f16 v26, v35, v35
	v_pk_add_f16 v50, v50, v0
	v_pk_max_f16 v0, v1, v1
	v_pk_max_f16 v1, v27, v27
	v_pk_min_f16 v72, v7, v0
	v_pk_max_f16 v7, v39, v39
	v_pk_min_f16 v2, v1, v0
	v_pk_min_f16 v76, v7, v0
	v_pk_min_f16 v77, v7, v3
	v_pk_min_f16 v78, v7, v6
	v_pk_min_f16 v79, v7, v15
	v_pk_max_f16 v7, v41, v41
	v_pk_min_f16 v4, v1, v3
	v_pk_min_f16 v80, v7, v0
	v_pk_min_f16 v81, v7, v3
	v_pk_min_f16 v82, v7, v6
	;; [unrolled: 6-line block ×3, first 2 shown]
	v_pk_min_f16 v29, v26, v3
	v_pk_min_f16 v30, v26, v6
	;; [unrolled: 1-line block ×10, first 2 shown]
	v_add_u32_e32 v46, 56, v32
	v_cmp_neq_f16_e64 s[2:3], s11, 0
	s_addc_u32 s5, s5, s1
	v_ashrrev_i32_e32 v33, 31, v32
	v_ashrrev_i32_e32 v35, 31, v34
	;; [unrolled: 1-line block ×8, first 2 shown]
	v_add_u32_e32 v52, s6, v48
	s_mov_b64 s[6:7], 15
	v_pk_add_f16 v7, v19, v2
	v_pk_add_f16 v15, v9, v4
	;; [unrolled: 1-line block ×32, first 2 shown]
	s_branch .LBB232_13
.LBB232_12:                             ;   in Loop: Header=BB232_13 Depth=1
	s_add_i32 s0, s6, -1
	s_cmp_eq_u32 s0, 1
	s_cselect_b64 vcc, -1, 0
	s_cmp_eq_u32 s0, 2
	v_cndmask_b32_e32 v48, v0, v53, vcc
	s_cselect_b64 vcc, -1, 0
	s_cmp_eq_u32 s0, 3
	v_cndmask_b32_e32 v48, v48, v1, vcc
	;; [unrolled: 3-line block ×62, first 2 shown]
	s_cselect_b64 vcc, -1, 0
	s_cmp_eq_u32 s6, 1
	s_cselect_b64 s[0:1], -1, 0
	s_cmp_eq_u32 s6, 2
	v_cndmask_b32_e64 v49, v0, v53, s[0:1]
	s_cselect_b64 s[0:1], -1, 0
	s_cmp_eq_u32 s6, 3
	v_cndmask_b32_e64 v49, v49, v1, s[0:1]
	s_cselect_b64 s[0:1], -1, 0
	s_cmp_eq_u32 s6, 4
	v_cndmask_b32_e64 v49, v49, v54, s[0:1]
	s_cselect_b64 s[0:1], -1, 0
	s_cmp_eq_u32 s6, 5
	v_cndmask_b32_e64 v49, v49, v4, s[0:1]
	s_cselect_b64 s[0:1], -1, 0
	s_cmp_eq_u32 s6, 6
	v_cndmask_b32_e64 v49, v49, v55, s[0:1]
	s_cselect_b64 s[0:1], -1, 0
	s_cmp_eq_u32 s6, 7
	v_cndmask_b32_e64 v49, v49, v5, s[0:1]
	s_cselect_b64 s[0:1], -1, 0
	s_cmp_eq_u32 s6, 8
	v_cndmask_b32_e64 v49, v49, v56, s[0:1]
	s_cselect_b64 s[0:1], -1, 0
	s_cmp_eq_u32 s6, 9
	v_cndmask_b32_e64 v49, v49, v16, s[0:1]
	s_cselect_b64 s[0:1], -1, 0
	s_cmp_eq_u32 s6, 10
	v_cndmask_b32_e64 v49, v49, v57, s[0:1]
	s_cselect_b64 s[0:1], -1, 0
	s_cmp_eq_u32 s6, 11
	v_cndmask_b32_e64 v49, v49, v23, s[0:1]
	s_cselect_b64 s[0:1], -1, 0
	s_cmp_eq_u32 s6, 12
	v_cndmask_b32_e64 v49, v49, v58, s[0:1]
	s_cselect_b64 s[0:1], -1, 0
	s_cmp_eq_u32 s6, 13
	v_cndmask_b32_e64 v49, v49, v24, s[0:1]
	s_cselect_b64 s[0:1], -1, 0
	s_cmp_eq_u32 s6, 14
	v_cndmask_b32_e64 v49, v49, v59, s[0:1]
	s_cselect_b64 s[0:1], -1, 0
	s_cmp_eq_u32 s6, 15
	v_cndmask_b32_e64 v49, v49, v7, s[0:1]
	s_cselect_b64 s[0:1], -1, 0
	s_cmp_eq_u32 s6, 16
	v_cndmask_b32_e64 v49, v49, v60, s[0:1]
	s_cselect_b64 s[0:1], -1, 0
	s_cmp_eq_u32 s6, 17
	v_cndmask_b32_e64 v49, v49, v8, s[0:1]
	s_cselect_b64 s[0:1], -1, 0
	s_cmp_eq_u32 s6, 18
	v_cndmask_b32_e64 v49, v49, v61, s[0:1]
	s_cselect_b64 s[0:1], -1, 0
	s_cmp_eq_u32 s6, 19
	v_cndmask_b32_e64 v49, v49, v11, s[0:1]
	s_cselect_b64 s[0:1], -1, 0
	s_cmp_eq_u32 s6, 20
	v_cndmask_b32_e64 v49, v49, v62, s[0:1]
	s_cselect_b64 s[0:1], -1, 0
	s_cmp_eq_u32 s6, 21
	v_cndmask_b32_e64 v49, v49, v12, s[0:1]
	s_cselect_b64 s[0:1], -1, 0
	s_cmp_eq_u32 s6, 22
	v_cndmask_b32_e64 v49, v49, v63, s[0:1]
	s_cselect_b64 s[0:1], -1, 0
	s_cmp_eq_u32 s6, 23
	v_cndmask_b32_e64 v49, v49, v17, s[0:1]
	s_cselect_b64 s[0:1], -1, 0
	s_cmp_eq_u32 s6, 24
	v_cndmask_b32_e64 v49, v49, v64, s[0:1]
	s_cselect_b64 s[0:1], -1, 0
	s_cmp_eq_u32 s6, 25
	v_cndmask_b32_e64 v49, v49, v18, s[0:1]
	s_cselect_b64 s[0:1], -1, 0
	s_cmp_eq_u32 s6, 26
	v_cndmask_b32_e64 v49, v49, v65, s[0:1]
	s_cselect_b64 s[0:1], -1, 0
	s_cmp_eq_u32 s6, 27
	v_cndmask_b32_e64 v49, v49, v25, s[0:1]
	s_cselect_b64 s[0:1], -1, 0
	s_cmp_eq_u32 s6, 28
	v_cndmask_b32_e64 v49, v49, v66, s[0:1]
	s_cselect_b64 s[0:1], -1, 0
	s_cmp_eq_u32 s6, 29
	v_cndmask_b32_e64 v49, v49, v26, s[0:1]
	s_cselect_b64 s[0:1], -1, 0
	s_cmp_eq_u32 s6, 30
	v_cndmask_b32_e64 v49, v49, v67, s[0:1]
	s_cselect_b64 s[0:1], -1, 0
	s_cmp_eq_u32 s6, 31
	v_cndmask_b32_e64 v49, v49, v15, s[0:1]
	s_cselect_b64 s[0:1], -1, 0
	s_cmp_eq_u32 s6, 32
	v_cndmask_b32_e64 v49, v49, v68, s[0:1]
	s_cselect_b64 s[0:1], -1, 0
	s_cmp_eq_u32 s6, 33
	v_cndmask_b32_e64 v49, v49, v2, s[0:1]
	s_cselect_b64 s[0:1], -1, 0
	s_cmp_eq_u32 s6, 34
	v_cndmask_b32_e64 v49, v49, v69, s[0:1]
	s_cselect_b64 s[0:1], -1, 0
	s_cmp_eq_u32 s6, 35
	v_cndmask_b32_e64 v49, v49, v3, s[0:1]
	s_cselect_b64 s[0:1], -1, 0
	s_cmp_eq_u32 s6, 36
	v_cndmask_b32_e64 v49, v49, v70, s[0:1]
	s_cselect_b64 s[0:1], -1, 0
	s_cmp_eq_u32 s6, 37
	v_cndmask_b32_e64 v49, v49, v6, s[0:1]
	s_cselect_b64 s[0:1], -1, 0
	s_cmp_eq_u32 s6, 38
	v_cndmask_b32_e64 v49, v49, v71, s[0:1]
	s_cselect_b64 s[0:1], -1, 0
	s_cmp_eq_u32 s6, 39
	v_cndmask_b32_e64 v49, v49, v19, s[0:1]
	s_cselect_b64 s[0:1], -1, 0
	s_cmp_eq_u32 s6, 40
	v_cndmask_b32_e64 v49, v49, v72, s[0:1]
	s_cselect_b64 s[0:1], -1, 0
	s_cmp_eq_u32 s6, 41
	v_cndmask_b32_e64 v49, v49, v20, s[0:1]
	s_cselect_b64 s[0:1], -1, 0
	s_cmp_eq_u32 s6, 42
	v_cndmask_b32_e64 v49, v49, v73, s[0:1]
	s_cselect_b64 s[0:1], -1, 0
	s_cmp_eq_u32 s6, 43
	v_cndmask_b32_e64 v49, v49, v27, s[0:1]
	s_cselect_b64 s[0:1], -1, 0
	s_cmp_eq_u32 s6, 44
	v_cndmask_b32_e64 v49, v49, v74, s[0:1]
	s_cselect_b64 s[0:1], -1, 0
	s_cmp_eq_u32 s6, 45
	v_cndmask_b32_e64 v49, v49, v28, s[0:1]
	s_cselect_b64 s[0:1], -1, 0
	s_cmp_eq_u32 s6, 46
	v_cndmask_b32_e64 v49, v49, v75, s[0:1]
	s_cselect_b64 s[0:1], -1, 0
	s_cmp_eq_u32 s6, 47
	v_cndmask_b32_e64 v49, v49, v9, s[0:1]
	s_cselect_b64 s[0:1], -1, 0
	s_cmp_eq_u32 s6, 48
	v_cndmask_b32_e64 v49, v49, v76, s[0:1]
	s_cselect_b64 s[0:1], -1, 0
	s_cmp_eq_u32 s6, 49
	v_cndmask_b32_e64 v49, v49, v10, s[0:1]
	s_cselect_b64 s[0:1], -1, 0
	s_cmp_eq_u32 s6, 50
	v_cndmask_b32_e64 v49, v49, v77, s[0:1]
	s_cselect_b64 s[0:1], -1, 0
	s_cmp_eq_u32 s6, 51
	v_cndmask_b32_e64 v49, v49, v13, s[0:1]
	s_cselect_b64 s[0:1], -1, 0
	s_cmp_eq_u32 s6, 52
	v_cndmask_b32_e64 v49, v49, v78, s[0:1]
	s_cselect_b64 s[0:1], -1, 0
	s_cmp_eq_u32 s6, 53
	v_cndmask_b32_e64 v49, v49, v14, s[0:1]
	s_cselect_b64 s[0:1], -1, 0
	s_cmp_eq_u32 s6, 54
	v_cndmask_b32_e64 v49, v49, v79, s[0:1]
	s_cselect_b64 s[0:1], -1, 0
	s_cmp_eq_u32 s6, 55
	v_cndmask_b32_e64 v49, v49, v21, s[0:1]
	s_cselect_b64 s[0:1], -1, 0
	s_cmp_eq_u32 s6, 56
	v_cndmask_b32_e64 v49, v49, v80, s[0:1]
	s_cselect_b64 s[0:1], -1, 0
	s_cmp_eq_u32 s6, 57
	v_cndmask_b32_e64 v49, v49, v22, s[0:1]
	s_cselect_b64 s[0:1], -1, 0
	s_cmp_eq_u32 s6, 58
	v_cndmask_b32_e64 v49, v49, v81, s[0:1]
	s_cselect_b64 s[0:1], -1, 0
	s_cmp_eq_u32 s6, 59
	v_cndmask_b32_e64 v49, v49, v29, s[0:1]
	s_cselect_b64 s[0:1], -1, 0
	s_cmp_eq_u32 s6, 60
	v_cndmask_b32_e64 v49, v49, v82, s[0:1]
	s_cselect_b64 s[0:1], -1, 0
	s_cmp_eq_u32 s6, 61
	v_cndmask_b32_e64 v49, v49, v30, s[0:1]
	s_cselect_b64 s[0:1], -1, 0
	s_cmp_eq_u32 s6, 62
	v_cndmask_b32_e64 v49, v49, v83, s[0:1]
	v_cndmask_b32_e32 v48, v48, v84, vcc
	s_cselect_b64 vcc, -1, 0
	s_cmp_eq_u32 s6, 63
	v_cndmask_b32_e32 v49, v49, v31, vcc
	s_cselect_b64 vcc, -1, 0
	v_cndmask_b32_e32 v49, v49, v84, vcc
	s_add_u32 s6, s6, 16
	v_add_f16_e32 v48, v48, v49
	s_addc_u32 s7, s7, 0
	v_add_f16_e32 v53, v48, v85
	v_lshl_add_u64 v[48:49], v[46:47], 1, v[50:51]
	s_cmpk_lg_i32 s6, 0x4f
	v_add_u32_e32 v52, 32, v52
	flat_store_short v[48:49], v53
	s_cbranch_scc0 .LBB232_29
.LBB232_13:                             ; =>This Inner Loop Header: Depth=1
	v_mad_i64_i32 v[48:49], s[0:1], v52, s10, 0
	v_cndmask_b32_e64 v50, 0, 1, s[2:3]
	v_lshl_add_u64 v[48:49], v[48:49], 1, s[8:9]
	v_mov_b32_e32 v85, 0
	v_cmp_ne_u32_e64 s[0:1], 1, v50
	s_andn2_b64 vcc, exec, s[2:3]
	v_mov_b32_e32 v50, 0
	s_cbranch_vccnz .LBB232_15
; %bb.14:                               ;   in Loop: Header=BB232_13 Depth=1
	v_lshl_add_u64 v[50:51], v[32:33], 1, v[48:49]
	flat_load_ushort v50, v[50:51]
	s_waitcnt vmcnt(0) lgkmcnt(0)
	v_mul_f16_e32 v50, s11, v50
.LBB232_15:                             ;   in Loop: Header=BB232_13 Depth=1
	s_add_i32 s13, s6, -15
	s_cmp_eq_u32 s13, 1
	v_lshrrev_b32_e32 v53, 16, v0
	s_cselect_b64 vcc, -1, 0
	s_cmp_eq_u32 s13, 2
	v_cndmask_b32_e32 v51, v0, v53, vcc
	s_cselect_b64 vcc, -1, 0
	s_cmp_eq_u32 s13, 3
	v_cndmask_b32_e32 v51, v51, v1, vcc
	v_lshrrev_b32_e32 v54, 16, v1
	s_cselect_b64 vcc, -1, 0
	s_cmp_eq_u32 s13, 4
	v_cndmask_b32_e32 v51, v51, v54, vcc
	s_cselect_b64 vcc, -1, 0
	s_cmp_eq_u32 s13, 5
	v_cndmask_b32_e32 v51, v51, v4, vcc
	;; [unrolled: 7-line block ×31, first 2 shown]
	s_cselect_b64 vcc, -1, 0
	s_add_i32 s13, s6, -14
	v_lshrrev_b32_e32 v84, 16, v31
	s_cmp_eq_u32 s13, 1
	v_cndmask_b32_e32 v51, v51, v84, vcc
	s_cselect_b64 vcc, -1, 0
	s_cmp_eq_u32 s13, 2
	v_cndmask_b32_e32 v86, v0, v53, vcc
	s_cselect_b64 vcc, -1, 0
	;; [unrolled: 3-line block ×63, first 2 shown]
	v_cndmask_b32_e32 v86, v86, v84, vcc
	v_add_f16_e32 v51, v51, v86
	v_add_f16_e32 v88, v51, v50
	v_mad_i64_i32 v[50:51], s[14:15], v52, s12, 0
	v_lshl_add_u64 v[50:51], v[50:51], 1, s[4:5]
	v_lshl_add_u64 v[86:87], v[32:33], 1, v[50:51]
	s_and_b64 vcc, exec, s[0:1]
	flat_store_short v[86:87], v88
	s_cbranch_vccnz .LBB232_17
; %bb.16:                               ;   in Loop: Header=BB232_13 Depth=1
	v_lshl_add_u64 v[86:87], v[34:35], 1, v[48:49]
	flat_load_ushort v85, v[86:87]
	s_waitcnt vmcnt(0) lgkmcnt(0)
	v_mul_f16_e32 v85, s11, v85
.LBB232_17:                             ;   in Loop: Header=BB232_13 Depth=1
	s_add_i32 s13, s6, -13
	s_cmp_eq_u32 s13, 1
	s_cselect_b64 vcc, -1, 0
	s_cmp_eq_u32 s13, 2
	v_cndmask_b32_e32 v86, v0, v53, vcc
	s_cselect_b64 vcc, -1, 0
	s_cmp_eq_u32 s13, 3
	v_cndmask_b32_e32 v86, v86, v1, vcc
	;; [unrolled: 3-line block ×62, first 2 shown]
	s_cselect_b64 vcc, -1, 0
	s_add_i32 s13, s6, -12
	s_cmp_eq_u32 s13, 1
	v_cndmask_b32_e32 v86, v86, v84, vcc
	s_cselect_b64 vcc, -1, 0
	s_cmp_eq_u32 s13, 2
	v_cndmask_b32_e32 v87, v0, v53, vcc
	s_cselect_b64 vcc, -1, 0
	;; [unrolled: 3-line block ×63, first 2 shown]
	v_cndmask_b32_e32 v87, v87, v84, vcc
	v_add_f16_e32 v86, v86, v87
	v_add_f16_e32 v85, v86, v85
	v_lshl_add_u64 v[86:87], v[34:35], 1, v[50:51]
	flat_store_short v[86:87], v85
	s_and_b64 vcc, exec, s[0:1]
	v_mov_b32_e32 v85, 0
	v_mov_b32_e32 v86, 0
	s_cbranch_vccnz .LBB232_19
; %bb.18:                               ;   in Loop: Header=BB232_13 Depth=1
	v_lshl_add_u64 v[86:87], v[36:37], 1, v[48:49]
	flat_load_ushort v86, v[86:87]
	s_waitcnt vmcnt(0) lgkmcnt(0)
	v_mul_f16_e32 v86, s11, v86
.LBB232_19:                             ;   in Loop: Header=BB232_13 Depth=1
	s_add_i32 s13, s6, -11
	s_cmp_eq_u32 s13, 1
	s_cselect_b64 vcc, -1, 0
	s_cmp_eq_u32 s13, 2
	v_cndmask_b32_e32 v87, v0, v53, vcc
	s_cselect_b64 vcc, -1, 0
	s_cmp_eq_u32 s13, 3
	v_cndmask_b32_e32 v87, v87, v1, vcc
	;; [unrolled: 3-line block ×62, first 2 shown]
	s_cselect_b64 vcc, -1, 0
	s_add_i32 s13, s6, -10
	s_cmp_eq_u32 s13, 1
	v_cndmask_b32_e32 v87, v87, v84, vcc
	s_cselect_b64 vcc, -1, 0
	s_cmp_eq_u32 s13, 2
	v_cndmask_b32_e32 v88, v0, v53, vcc
	s_cselect_b64 vcc, -1, 0
	;; [unrolled: 3-line block ×63, first 2 shown]
	v_cndmask_b32_e32 v88, v88, v84, vcc
	v_add_f16_e32 v87, v87, v88
	v_add_f16_e32 v88, v87, v86
	v_lshl_add_u64 v[86:87], v[36:37], 1, v[50:51]
	s_and_b64 vcc, exec, s[0:1]
	flat_store_short v[86:87], v88
	s_cbranch_vccnz .LBB232_21
; %bb.20:                               ;   in Loop: Header=BB232_13 Depth=1
	v_lshl_add_u64 v[86:87], v[38:39], 1, v[48:49]
	flat_load_ushort v85, v[86:87]
	s_waitcnt vmcnt(0) lgkmcnt(0)
	v_mul_f16_e32 v85, s11, v85
.LBB232_21:                             ;   in Loop: Header=BB232_13 Depth=1
	s_add_i32 s13, s6, -9
	s_cmp_eq_u32 s13, 1
	s_cselect_b64 vcc, -1, 0
	s_cmp_eq_u32 s13, 2
	v_cndmask_b32_e32 v86, v0, v53, vcc
	s_cselect_b64 vcc, -1, 0
	s_cmp_eq_u32 s13, 3
	v_cndmask_b32_e32 v86, v86, v1, vcc
	s_cselect_b64 vcc, -1, 0
	s_cmp_eq_u32 s13, 4
	v_cndmask_b32_e32 v86, v86, v54, vcc
	s_cselect_b64 vcc, -1, 0
	s_cmp_eq_u32 s13, 5
	v_cndmask_b32_e32 v86, v86, v4, vcc
	s_cselect_b64 vcc, -1, 0
	s_cmp_eq_u32 s13, 6
	v_cndmask_b32_e32 v86, v86, v55, vcc
	s_cselect_b64 vcc, -1, 0
	s_cmp_eq_u32 s13, 7
	v_cndmask_b32_e32 v86, v86, v5, vcc
	s_cselect_b64 vcc, -1, 0
	s_cmp_eq_u32 s13, 8
	v_cndmask_b32_e32 v86, v86, v56, vcc
	s_cselect_b64 vcc, -1, 0
	s_cmp_eq_u32 s13, 9
	v_cndmask_b32_e32 v86, v86, v16, vcc
	s_cselect_b64 vcc, -1, 0
	s_cmp_eq_u32 s13, 10
	v_cndmask_b32_e32 v86, v86, v57, vcc
	s_cselect_b64 vcc, -1, 0
	s_cmp_eq_u32 s13, 11
	v_cndmask_b32_e32 v86, v86, v23, vcc
	s_cselect_b64 vcc, -1, 0
	s_cmp_eq_u32 s13, 12
	v_cndmask_b32_e32 v86, v86, v58, vcc
	s_cselect_b64 vcc, -1, 0
	s_cmp_eq_u32 s13, 13
	v_cndmask_b32_e32 v86, v86, v24, vcc
	s_cselect_b64 vcc, -1, 0
	s_cmp_eq_u32 s13, 14
	v_cndmask_b32_e32 v86, v86, v59, vcc
	s_cselect_b64 vcc, -1, 0
	s_cmp_eq_u32 s13, 15
	v_cndmask_b32_e32 v86, v86, v7, vcc
	s_cselect_b64 vcc, -1, 0
	s_cmp_eq_u32 s13, 16
	v_cndmask_b32_e32 v86, v86, v60, vcc
	s_cselect_b64 vcc, -1, 0
	s_cmp_eq_u32 s13, 17
	v_cndmask_b32_e32 v86, v86, v8, vcc
	s_cselect_b64 vcc, -1, 0
	s_cmp_eq_u32 s13, 18
	v_cndmask_b32_e32 v86, v86, v61, vcc
	s_cselect_b64 vcc, -1, 0
	s_cmp_eq_u32 s13, 19
	v_cndmask_b32_e32 v86, v86, v11, vcc
	s_cselect_b64 vcc, -1, 0
	s_cmp_eq_u32 s13, 20
	v_cndmask_b32_e32 v86, v86, v62, vcc
	s_cselect_b64 vcc, -1, 0
	s_cmp_eq_u32 s13, 21
	v_cndmask_b32_e32 v86, v86, v12, vcc
	s_cselect_b64 vcc, -1, 0
	s_cmp_eq_u32 s13, 22
	v_cndmask_b32_e32 v86, v86, v63, vcc
	s_cselect_b64 vcc, -1, 0
	s_cmp_eq_u32 s13, 23
	v_cndmask_b32_e32 v86, v86, v17, vcc
	s_cselect_b64 vcc, -1, 0
	s_cmp_eq_u32 s13, 24
	v_cndmask_b32_e32 v86, v86, v64, vcc
	s_cselect_b64 vcc, -1, 0
	s_cmp_eq_u32 s13, 25
	v_cndmask_b32_e32 v86, v86, v18, vcc
	s_cselect_b64 vcc, -1, 0
	s_cmp_eq_u32 s13, 26
	v_cndmask_b32_e32 v86, v86, v65, vcc
	s_cselect_b64 vcc, -1, 0
	s_cmp_eq_u32 s13, 27
	v_cndmask_b32_e32 v86, v86, v25, vcc
	s_cselect_b64 vcc, -1, 0
	s_cmp_eq_u32 s13, 28
	v_cndmask_b32_e32 v86, v86, v66, vcc
	s_cselect_b64 vcc, -1, 0
	s_cmp_eq_u32 s13, 29
	v_cndmask_b32_e32 v86, v86, v26, vcc
	s_cselect_b64 vcc, -1, 0
	s_cmp_eq_u32 s13, 30
	v_cndmask_b32_e32 v86, v86, v67, vcc
	s_cselect_b64 vcc, -1, 0
	s_cmp_eq_u32 s13, 31
	v_cndmask_b32_e32 v86, v86, v15, vcc
	s_cselect_b64 vcc, -1, 0
	s_cmp_eq_u32 s13, 32
	v_cndmask_b32_e32 v86, v86, v68, vcc
	s_cselect_b64 vcc, -1, 0
	s_cmp_eq_u32 s13, 33
	v_cndmask_b32_e32 v86, v86, v2, vcc
	s_cselect_b64 vcc, -1, 0
	s_cmp_eq_u32 s13, 34
	v_cndmask_b32_e32 v86, v86, v69, vcc
	s_cselect_b64 vcc, -1, 0
	s_cmp_eq_u32 s13, 35
	v_cndmask_b32_e32 v86, v86, v3, vcc
	s_cselect_b64 vcc, -1, 0
	s_cmp_eq_u32 s13, 36
	v_cndmask_b32_e32 v86, v86, v70, vcc
	s_cselect_b64 vcc, -1, 0
	s_cmp_eq_u32 s13, 37
	v_cndmask_b32_e32 v86, v86, v6, vcc
	s_cselect_b64 vcc, -1, 0
	s_cmp_eq_u32 s13, 38
	v_cndmask_b32_e32 v86, v86, v71, vcc
	s_cselect_b64 vcc, -1, 0
	s_cmp_eq_u32 s13, 39
	v_cndmask_b32_e32 v86, v86, v19, vcc
	s_cselect_b64 vcc, -1, 0
	s_cmp_eq_u32 s13, 40
	v_cndmask_b32_e32 v86, v86, v72, vcc
	s_cselect_b64 vcc, -1, 0
	s_cmp_eq_u32 s13, 41
	v_cndmask_b32_e32 v86, v86, v20, vcc
	s_cselect_b64 vcc, -1, 0
	s_cmp_eq_u32 s13, 42
	v_cndmask_b32_e32 v86, v86, v73, vcc
	s_cselect_b64 vcc, -1, 0
	s_cmp_eq_u32 s13, 43
	v_cndmask_b32_e32 v86, v86, v27, vcc
	s_cselect_b64 vcc, -1, 0
	s_cmp_eq_u32 s13, 44
	v_cndmask_b32_e32 v86, v86, v74, vcc
	s_cselect_b64 vcc, -1, 0
	s_cmp_eq_u32 s13, 45
	v_cndmask_b32_e32 v86, v86, v28, vcc
	s_cselect_b64 vcc, -1, 0
	s_cmp_eq_u32 s13, 46
	v_cndmask_b32_e32 v86, v86, v75, vcc
	s_cselect_b64 vcc, -1, 0
	s_cmp_eq_u32 s13, 47
	v_cndmask_b32_e32 v86, v86, v9, vcc
	s_cselect_b64 vcc, -1, 0
	s_cmp_eq_u32 s13, 48
	v_cndmask_b32_e32 v86, v86, v76, vcc
	s_cselect_b64 vcc, -1, 0
	s_cmp_eq_u32 s13, 49
	v_cndmask_b32_e32 v86, v86, v10, vcc
	s_cselect_b64 vcc, -1, 0
	s_cmp_eq_u32 s13, 50
	v_cndmask_b32_e32 v86, v86, v77, vcc
	s_cselect_b64 vcc, -1, 0
	s_cmp_eq_u32 s13, 51
	v_cndmask_b32_e32 v86, v86, v13, vcc
	s_cselect_b64 vcc, -1, 0
	s_cmp_eq_u32 s13, 52
	v_cndmask_b32_e32 v86, v86, v78, vcc
	s_cselect_b64 vcc, -1, 0
	s_cmp_eq_u32 s13, 53
	v_cndmask_b32_e32 v86, v86, v14, vcc
	s_cselect_b64 vcc, -1, 0
	s_cmp_eq_u32 s13, 54
	v_cndmask_b32_e32 v86, v86, v79, vcc
	s_cselect_b64 vcc, -1, 0
	s_cmp_eq_u32 s13, 55
	v_cndmask_b32_e32 v86, v86, v21, vcc
	s_cselect_b64 vcc, -1, 0
	s_cmp_eq_u32 s13, 56
	v_cndmask_b32_e32 v86, v86, v80, vcc
	s_cselect_b64 vcc, -1, 0
	s_cmp_eq_u32 s13, 57
	v_cndmask_b32_e32 v86, v86, v22, vcc
	s_cselect_b64 vcc, -1, 0
	s_cmp_eq_u32 s13, 58
	v_cndmask_b32_e32 v86, v86, v81, vcc
	s_cselect_b64 vcc, -1, 0
	s_cmp_eq_u32 s13, 59
	v_cndmask_b32_e32 v86, v86, v29, vcc
	s_cselect_b64 vcc, -1, 0
	s_cmp_eq_u32 s13, 60
	v_cndmask_b32_e32 v86, v86, v82, vcc
	s_cselect_b64 vcc, -1, 0
	s_cmp_eq_u32 s13, 61
	v_cndmask_b32_e32 v86, v86, v30, vcc
	s_cselect_b64 vcc, -1, 0
	s_cmp_eq_u32 s13, 62
	v_cndmask_b32_e32 v86, v86, v83, vcc
	s_cselect_b64 vcc, -1, 0
	s_cmp_eq_u32 s13, 63
	v_cndmask_b32_e32 v86, v86, v31, vcc
	s_cselect_b64 vcc, -1, 0
	s_add_i32 s13, s6, -8
	s_cmp_eq_u32 s13, 1
	v_cndmask_b32_e32 v86, v86, v84, vcc
	s_cselect_b64 vcc, -1, 0
	s_cmp_eq_u32 s13, 2
	v_cndmask_b32_e32 v87, v0, v53, vcc
	s_cselect_b64 vcc, -1, 0
	;; [unrolled: 3-line block ×63, first 2 shown]
	v_cndmask_b32_e32 v87, v87, v84, vcc
	v_add_f16_e32 v86, v86, v87
	v_add_f16_e32 v85, v86, v85
	v_lshl_add_u64 v[86:87], v[38:39], 1, v[50:51]
	flat_store_short v[86:87], v85
	s_and_b64 vcc, exec, s[0:1]
	v_mov_b32_e32 v85, 0
	v_mov_b32_e32 v86, 0
	s_cbranch_vccnz .LBB232_23
; %bb.22:                               ;   in Loop: Header=BB232_13 Depth=1
	v_lshl_add_u64 v[86:87], v[40:41], 1, v[48:49]
	flat_load_ushort v86, v[86:87]
	s_waitcnt vmcnt(0) lgkmcnt(0)
	v_mul_f16_e32 v86, s11, v86
.LBB232_23:                             ;   in Loop: Header=BB232_13 Depth=1
	s_add_i32 s13, s6, -7
	s_cmp_eq_u32 s13, 1
	s_cselect_b64 vcc, -1, 0
	s_cmp_eq_u32 s13, 2
	v_cndmask_b32_e32 v87, v0, v53, vcc
	s_cselect_b64 vcc, -1, 0
	s_cmp_eq_u32 s13, 3
	v_cndmask_b32_e32 v87, v87, v1, vcc
	;; [unrolled: 3-line block ×62, first 2 shown]
	s_cselect_b64 vcc, -1, 0
	s_add_i32 s13, s6, -6
	s_cmp_eq_u32 s13, 1
	v_cndmask_b32_e32 v87, v87, v84, vcc
	s_cselect_b64 vcc, -1, 0
	s_cmp_eq_u32 s13, 2
	v_cndmask_b32_e32 v88, v0, v53, vcc
	s_cselect_b64 vcc, -1, 0
	;; [unrolled: 3-line block ×63, first 2 shown]
	v_cndmask_b32_e32 v88, v88, v84, vcc
	v_add_f16_e32 v87, v87, v88
	v_add_f16_e32 v88, v87, v86
	v_lshl_add_u64 v[86:87], v[40:41], 1, v[50:51]
	s_and_b64 vcc, exec, s[0:1]
	flat_store_short v[86:87], v88
	s_cbranch_vccnz .LBB232_25
; %bb.24:                               ;   in Loop: Header=BB232_13 Depth=1
	v_lshl_add_u64 v[86:87], v[42:43], 1, v[48:49]
	flat_load_ushort v85, v[86:87]
	s_waitcnt vmcnt(0) lgkmcnt(0)
	v_mul_f16_e32 v85, s11, v85
.LBB232_25:                             ;   in Loop: Header=BB232_13 Depth=1
	s_add_i32 s13, s6, -5
	s_cmp_eq_u32 s13, 1
	s_cselect_b64 vcc, -1, 0
	s_cmp_eq_u32 s13, 2
	v_cndmask_b32_e32 v86, v0, v53, vcc
	s_cselect_b64 vcc, -1, 0
	s_cmp_eq_u32 s13, 3
	v_cndmask_b32_e32 v86, v86, v1, vcc
	;; [unrolled: 3-line block ×62, first 2 shown]
	s_cselect_b64 vcc, -1, 0
	s_add_i32 s13, s6, -4
	s_cmp_eq_u32 s13, 1
	v_cndmask_b32_e32 v86, v86, v84, vcc
	s_cselect_b64 vcc, -1, 0
	s_cmp_eq_u32 s13, 2
	v_cndmask_b32_e32 v87, v0, v53, vcc
	s_cselect_b64 vcc, -1, 0
	;; [unrolled: 3-line block ×63, first 2 shown]
	v_cndmask_b32_e32 v87, v87, v84, vcc
	v_add_f16_e32 v86, v86, v87
	v_add_f16_e32 v85, v86, v85
	v_lshl_add_u64 v[86:87], v[42:43], 1, v[50:51]
	flat_store_short v[86:87], v85
	s_and_b64 vcc, exec, s[0:1]
	v_mov_b32_e32 v85, 0
	v_mov_b32_e32 v86, 0
	s_cbranch_vccnz .LBB232_27
; %bb.26:                               ;   in Loop: Header=BB232_13 Depth=1
	v_lshl_add_u64 v[86:87], v[44:45], 1, v[48:49]
	flat_load_ushort v86, v[86:87]
	s_waitcnt vmcnt(0) lgkmcnt(0)
	v_mul_f16_e32 v86, s11, v86
.LBB232_27:                             ;   in Loop: Header=BB232_13 Depth=1
	s_add_i32 s13, s6, -3
	s_cmp_eq_u32 s13, 1
	s_cselect_b64 vcc, -1, 0
	s_cmp_eq_u32 s13, 2
	v_cndmask_b32_e32 v87, v0, v53, vcc
	s_cselect_b64 vcc, -1, 0
	s_cmp_eq_u32 s13, 3
	v_cndmask_b32_e32 v87, v87, v1, vcc
	;; [unrolled: 3-line block ×62, first 2 shown]
	s_cselect_b64 vcc, -1, 0
	s_add_i32 s13, s6, -2
	s_cmp_eq_u32 s13, 1
	v_cndmask_b32_e32 v87, v87, v84, vcc
	s_cselect_b64 vcc, -1, 0
	s_cmp_eq_u32 s13, 2
	v_cndmask_b32_e32 v88, v0, v53, vcc
	s_cselect_b64 vcc, -1, 0
	;; [unrolled: 3-line block ×63, first 2 shown]
	v_cndmask_b32_e32 v88, v88, v84, vcc
	v_add_f16_e32 v87, v87, v88
	v_add_f16_e32 v88, v87, v86
	v_lshl_add_u64 v[86:87], v[44:45], 1, v[50:51]
	s_and_b64 vcc, exec, s[0:1]
	flat_store_short v[86:87], v88
	s_cbranch_vccnz .LBB232_12
; %bb.28:                               ;   in Loop: Header=BB232_13 Depth=1
	v_lshl_add_u64 v[48:49], v[46:47], 1, v[48:49]
	flat_load_ushort v48, v[48:49]
	s_waitcnt vmcnt(0) lgkmcnt(0)
	v_mul_f16_e32 v85, s11, v48
	s_branch .LBB232_12
.LBB232_29:
	s_endpgm
	.section	.rodata,"a",@progbits
	.p2align	6, 0x0
	.amdhsa_kernel _ZN12_GLOBAL__N_120geam_min_plus_kernelIDF16_Dv2_DF16_S1_Li8ELi32ELi64ELi128ELi4ELi64ELi4ELi4ELi64ELc78ELc78ELb1ELb0ELb0EDF16_KPKDF16_KPDF16_EEviiiT16_PT17_ilS9_ilS7_S9_ilPT18_ili26rocblas_geam_ex_operation_
		.amdhsa_group_segment_fixed_size 3072
		.amdhsa_private_segment_fixed_size 0
		.amdhsa_kernarg_size 128
		.amdhsa_user_sgpr_count 2
		.amdhsa_user_sgpr_dispatch_ptr 0
		.amdhsa_user_sgpr_queue_ptr 0
		.amdhsa_user_sgpr_kernarg_segment_ptr 1
		.amdhsa_user_sgpr_dispatch_id 0
		.amdhsa_user_sgpr_kernarg_preload_length 0
		.amdhsa_user_sgpr_kernarg_preload_offset 0
		.amdhsa_user_sgpr_private_segment_size 0
		.amdhsa_uses_dynamic_stack 0
		.amdhsa_enable_private_segment 0
		.amdhsa_system_sgpr_workgroup_id_x 1
		.amdhsa_system_sgpr_workgroup_id_y 0
		.amdhsa_system_sgpr_workgroup_id_z 1
		.amdhsa_system_sgpr_workgroup_info 0
		.amdhsa_system_vgpr_workitem_id 1
		.amdhsa_next_free_vgpr 128
		.amdhsa_next_free_sgpr 20
		.amdhsa_accum_offset 128
		.amdhsa_reserve_vcc 1
		.amdhsa_float_round_mode_32 0
		.amdhsa_float_round_mode_16_64 0
		.amdhsa_float_denorm_mode_32 3
		.amdhsa_float_denorm_mode_16_64 3
		.amdhsa_dx10_clamp 1
		.amdhsa_ieee_mode 1
		.amdhsa_fp16_overflow 0
		.amdhsa_tg_split 0
		.amdhsa_exception_fp_ieee_invalid_op 0
		.amdhsa_exception_fp_denorm_src 0
		.amdhsa_exception_fp_ieee_div_zero 0
		.amdhsa_exception_fp_ieee_overflow 0
		.amdhsa_exception_fp_ieee_underflow 0
		.amdhsa_exception_fp_ieee_inexact 0
		.amdhsa_exception_int_div_zero 0
	.end_amdhsa_kernel
	.section	.text._ZN12_GLOBAL__N_120geam_min_plus_kernelIDF16_Dv2_DF16_S1_Li8ELi32ELi64ELi128ELi4ELi64ELi4ELi4ELi64ELc78ELc78ELb1ELb0ELb0EDF16_KPKDF16_KPDF16_EEviiiT16_PT17_ilS9_ilS7_S9_ilPT18_ili26rocblas_geam_ex_operation_,"axG",@progbits,_ZN12_GLOBAL__N_120geam_min_plus_kernelIDF16_Dv2_DF16_S1_Li8ELi32ELi64ELi128ELi4ELi64ELi4ELi4ELi64ELc78ELc78ELb1ELb0ELb0EDF16_KPKDF16_KPDF16_EEviiiT16_PT17_ilS9_ilS7_S9_ilPT18_ili26rocblas_geam_ex_operation_,comdat
.Lfunc_end232:
	.size	_ZN12_GLOBAL__N_120geam_min_plus_kernelIDF16_Dv2_DF16_S1_Li8ELi32ELi64ELi128ELi4ELi64ELi4ELi4ELi64ELc78ELc78ELb1ELb0ELb0EDF16_KPKDF16_KPDF16_EEviiiT16_PT17_ilS9_ilS7_S9_ilPT18_ili26rocblas_geam_ex_operation_, .Lfunc_end232-_ZN12_GLOBAL__N_120geam_min_plus_kernelIDF16_Dv2_DF16_S1_Li8ELi32ELi64ELi128ELi4ELi64ELi4ELi4ELi64ELc78ELc78ELb1ELb0ELb0EDF16_KPKDF16_KPDF16_EEviiiT16_PT17_ilS9_ilS7_S9_ilPT18_ili26rocblas_geam_ex_operation_
                                        ; -- End function
	.set _ZN12_GLOBAL__N_120geam_min_plus_kernelIDF16_Dv2_DF16_S1_Li8ELi32ELi64ELi128ELi4ELi64ELi4ELi4ELi64ELc78ELc78ELb1ELb0ELb0EDF16_KPKDF16_KPDF16_EEviiiT16_PT17_ilS9_ilS7_S9_ilPT18_ili26rocblas_geam_ex_operation_.num_vgpr, 128
	.set _ZN12_GLOBAL__N_120geam_min_plus_kernelIDF16_Dv2_DF16_S1_Li8ELi32ELi64ELi128ELi4ELi64ELi4ELi4ELi64ELc78ELc78ELb1ELb0ELb0EDF16_KPKDF16_KPDF16_EEviiiT16_PT17_ilS9_ilS7_S9_ilPT18_ili26rocblas_geam_ex_operation_.num_agpr, 0
	.set _ZN12_GLOBAL__N_120geam_min_plus_kernelIDF16_Dv2_DF16_S1_Li8ELi32ELi64ELi128ELi4ELi64ELi4ELi4ELi64ELc78ELc78ELb1ELb0ELb0EDF16_KPKDF16_KPDF16_EEviiiT16_PT17_ilS9_ilS7_S9_ilPT18_ili26rocblas_geam_ex_operation_.numbered_sgpr, 20
	.set _ZN12_GLOBAL__N_120geam_min_plus_kernelIDF16_Dv2_DF16_S1_Li8ELi32ELi64ELi128ELi4ELi64ELi4ELi4ELi64ELc78ELc78ELb1ELb0ELb0EDF16_KPKDF16_KPDF16_EEviiiT16_PT17_ilS9_ilS7_S9_ilPT18_ili26rocblas_geam_ex_operation_.num_named_barrier, 0
	.set _ZN12_GLOBAL__N_120geam_min_plus_kernelIDF16_Dv2_DF16_S1_Li8ELi32ELi64ELi128ELi4ELi64ELi4ELi4ELi64ELc78ELc78ELb1ELb0ELb0EDF16_KPKDF16_KPDF16_EEviiiT16_PT17_ilS9_ilS7_S9_ilPT18_ili26rocblas_geam_ex_operation_.private_seg_size, 0
	.set _ZN12_GLOBAL__N_120geam_min_plus_kernelIDF16_Dv2_DF16_S1_Li8ELi32ELi64ELi128ELi4ELi64ELi4ELi4ELi64ELc78ELc78ELb1ELb0ELb0EDF16_KPKDF16_KPDF16_EEviiiT16_PT17_ilS9_ilS7_S9_ilPT18_ili26rocblas_geam_ex_operation_.uses_vcc, 1
	.set _ZN12_GLOBAL__N_120geam_min_plus_kernelIDF16_Dv2_DF16_S1_Li8ELi32ELi64ELi128ELi4ELi64ELi4ELi4ELi64ELc78ELc78ELb1ELb0ELb0EDF16_KPKDF16_KPDF16_EEviiiT16_PT17_ilS9_ilS7_S9_ilPT18_ili26rocblas_geam_ex_operation_.uses_flat_scratch, 0
	.set _ZN12_GLOBAL__N_120geam_min_plus_kernelIDF16_Dv2_DF16_S1_Li8ELi32ELi64ELi128ELi4ELi64ELi4ELi4ELi64ELc78ELc78ELb1ELb0ELb0EDF16_KPKDF16_KPDF16_EEviiiT16_PT17_ilS9_ilS7_S9_ilPT18_ili26rocblas_geam_ex_operation_.has_dyn_sized_stack, 0
	.set _ZN12_GLOBAL__N_120geam_min_plus_kernelIDF16_Dv2_DF16_S1_Li8ELi32ELi64ELi128ELi4ELi64ELi4ELi4ELi64ELc78ELc78ELb1ELb0ELb0EDF16_KPKDF16_KPDF16_EEviiiT16_PT17_ilS9_ilS7_S9_ilPT18_ili26rocblas_geam_ex_operation_.has_recursion, 0
	.set _ZN12_GLOBAL__N_120geam_min_plus_kernelIDF16_Dv2_DF16_S1_Li8ELi32ELi64ELi128ELi4ELi64ELi4ELi4ELi64ELc78ELc78ELb1ELb0ELb0EDF16_KPKDF16_KPDF16_EEviiiT16_PT17_ilS9_ilS7_S9_ilPT18_ili26rocblas_geam_ex_operation_.has_indirect_call, 0
	.section	.AMDGPU.csdata,"",@progbits
; Kernel info:
; codeLenInByte = 19440
; TotalNumSgprs: 26
; NumVgprs: 128
; NumAgprs: 0
; TotalNumVgprs: 128
; ScratchSize: 0
; MemoryBound: 0
; FloatMode: 240
; IeeeMode: 1
; LDSByteSize: 3072 bytes/workgroup (compile time only)
; SGPRBlocks: 3
; VGPRBlocks: 15
; NumSGPRsForWavesPerEU: 26
; NumVGPRsForWavesPerEU: 128
; AccumOffset: 128
; Occupancy: 4
; WaveLimiterHint : 1
; COMPUTE_PGM_RSRC2:SCRATCH_EN: 0
; COMPUTE_PGM_RSRC2:USER_SGPR: 2
; COMPUTE_PGM_RSRC2:TRAP_HANDLER: 0
; COMPUTE_PGM_RSRC2:TGID_X_EN: 1
; COMPUTE_PGM_RSRC2:TGID_Y_EN: 0
; COMPUTE_PGM_RSRC2:TGID_Z_EN: 1
; COMPUTE_PGM_RSRC2:TIDIG_COMP_CNT: 1
; COMPUTE_PGM_RSRC3_GFX90A:ACCUM_OFFSET: 31
; COMPUTE_PGM_RSRC3_GFX90A:TG_SPLIT: 0
	.section	.text._ZN12_GLOBAL__N_120geam_min_plus_kernelIDF16_Dv2_DF16_S1_Li8ELi32ELi64ELi128ELi4ELi64ELi4ELi4ELi64ELc78ELc78ELb0ELb0ELb0EDF16_KPKDF16_KPDF16_EEviiiT16_PT17_ilS9_ilS7_S9_ilPT18_ili26rocblas_geam_ex_operation_,"axG",@progbits,_ZN12_GLOBAL__N_120geam_min_plus_kernelIDF16_Dv2_DF16_S1_Li8ELi32ELi64ELi128ELi4ELi64ELi4ELi4ELi64ELc78ELc78ELb0ELb0ELb0EDF16_KPKDF16_KPDF16_EEviiiT16_PT17_ilS9_ilS7_S9_ilPT18_ili26rocblas_geam_ex_operation_,comdat
	.globl	_ZN12_GLOBAL__N_120geam_min_plus_kernelIDF16_Dv2_DF16_S1_Li8ELi32ELi64ELi128ELi4ELi64ELi4ELi4ELi64ELc78ELc78ELb0ELb0ELb0EDF16_KPKDF16_KPDF16_EEviiiT16_PT17_ilS9_ilS7_S9_ilPT18_ili26rocblas_geam_ex_operation_ ; -- Begin function _ZN12_GLOBAL__N_120geam_min_plus_kernelIDF16_Dv2_DF16_S1_Li8ELi32ELi64ELi128ELi4ELi64ELi4ELi4ELi64ELc78ELc78ELb0ELb0ELb0EDF16_KPKDF16_KPDF16_EEviiiT16_PT17_ilS9_ilS7_S9_ilPT18_ili26rocblas_geam_ex_operation_
	.p2align	8
	.type	_ZN12_GLOBAL__N_120geam_min_plus_kernelIDF16_Dv2_DF16_S1_Li8ELi32ELi64ELi128ELi4ELi64ELi4ELi4ELi64ELc78ELc78ELb0ELb0ELb0EDF16_KPKDF16_KPDF16_EEviiiT16_PT17_ilS9_ilS7_S9_ilPT18_ili26rocblas_geam_ex_operation_,@function
_ZN12_GLOBAL__N_120geam_min_plus_kernelIDF16_Dv2_DF16_S1_Li8ELi32ELi64ELi128ELi4ELi64ELi4ELi4ELi64ELc78ELc78ELb0ELb0ELb0EDF16_KPKDF16_KPDF16_EEviiiT16_PT17_ilS9_ilS7_S9_ilPT18_ili26rocblas_geam_ex_operation_: ; @_ZN12_GLOBAL__N_120geam_min_plus_kernelIDF16_Dv2_DF16_S1_Li8ELi32ELi64ELi128ELi4ELi64ELi4ELi4ELi64ELc78ELc78ELb0ELb0ELb0EDF16_KPKDF16_KPDF16_EEviiiT16_PT17_ilS9_ilS7_S9_ilPT18_ili26rocblas_geam_ex_operation_
; %bb.0:
	s_load_dwordx2 s[14:15], s[0:1], 0x8
	s_load_dwordx4 s[8:11], s[0:1], 0x20
	s_mov_b32 s20, s3
	s_mov_b32 s21, 0
	s_waitcnt lgkmcnt(0)
	v_cmp_eq_f16_e64 s[4:5], s15, 0
	s_and_b64 s[6:7], exec, s[4:5]
	s_mov_b64 vcc, s[6:7]
	s_cbranch_vccnz .LBB233_3
; %bb.1:
	s_load_dwordx2 s[12:13], s[0:1], 0x10
	s_lshl_b64 s[16:17], s[20:21], 3
	s_waitcnt lgkmcnt(0)
	s_add_u32 s12, s12, s16
	s_addc_u32 s13, s13, s17
	s_load_dwordx2 s[12:13], s[12:13], 0x0
	s_lshl_b64 s[8:9], s[8:9], 1
	s_waitcnt lgkmcnt(0)
	s_add_u32 s16, s12, s8
	s_addc_u32 s17, s13, s9
	s_andn2_b64 vcc, exec, s[4:5]
	s_cbranch_vccnz .LBB233_4
.LBB233_2:
	s_mov_b32 s5, 0
	s_mov_b32 s4, s20
	s_mov_b64 s[12:13], 0
	s_mov_b64 s[18:19], 0
	s_cbranch_execz .LBB233_5
	s_branch .LBB233_6
.LBB233_3:
	s_mov_b64 s[16:17], 0
	s_andn2_b64 vcc, exec, s[4:5]
	s_cbranch_vccz .LBB233_2
.LBB233_4:
	s_mov_b64 s[4:5], s[20:21]
	s_mov_b64 s[12:13], 0
	;; [unrolled: 1-line block ×3, first 2 shown]
.LBB233_5:
	s_lshl_b64 s[18:19], s[20:21], 3
	s_add_u32 s10, s10, s18
	s_load_dwordx2 s[8:9], s[0:1], 0x38
	s_addc_u32 s11, s11, s19
	s_load_dwordx2 s[10:11], s[10:11], 0x0
	s_waitcnt lgkmcnt(0)
	s_lshl_b64 s[8:9], s[8:9], 1
	s_add_u32 s18, s10, s8
	s_addc_u32 s19, s11, s9
.LBB233_6:
	s_load_dword s22, s[0:1], 0x40
	s_load_dwordx4 s[8:11], s[0:1], 0x58
	v_cmp_neq_f16_e64 s[20:21], s15, 0
	s_waitcnt lgkmcnt(0)
	v_cmp_eq_f16_e64 s[24:25], s22, 0
	s_and_b64 vcc, exec, s[24:25]
	s_cbranch_vccnz .LBB233_8
; %bb.7:
	s_load_dwordx2 s[12:13], s[0:1], 0x48
	s_lshl_b64 s[24:25], s[4:5], 3
	s_waitcnt lgkmcnt(0)
	s_add_u32 s12, s12, s24
	s_addc_u32 s13, s13, s25
	s_load_dwordx2 s[12:13], s[12:13], 0x0
	s_lshl_b64 s[8:9], s[8:9], 1
	s_waitcnt lgkmcnt(0)
	s_add_u32 s12, s12, s8
	s_addc_u32 s13, s13, s9
.LBB233_8:
	s_load_dword s8, s[0:1], 0x18
	s_load_dword s23, s[0:1], 0x0
	;; [unrolled: 1-line block ×3, first 2 shown]
	s_lshl_b64 s[4:5], s[4:5], 3
	v_and_b32_e32 v40, 0x3ff, v0
	s_waitcnt lgkmcnt(0)
	s_ashr_i32 s9, s8, 31
	s_add_u32 s10, s10, s4
	s_addc_u32 s11, s11, s5
	s_add_i32 s4, s23, -1
	s_ashr_i32 s5, s4, 31
	s_lshr_b32 s5, s5, 26
	s_add_i32 s4, s4, s5
	s_ashr_i32 s4, s4, 6
	s_add_i32 s5, s4, 1
	v_cvt_f32_u32_e32 v1, s5
	s_not_b32 s4, s4
	v_bfe_u32 v48, v0, 10, 10
	v_and_b32_e32 v11, 3, v0
	v_rcp_iflag_f32_e32 v1, v1
	v_lshl_add_u32 v0, v48, 3, v40
	v_and_b32_e32 v5, 63, v0
	v_lshrrev_b32_e32 v12, 2, v0
	v_mul_f32_e32 v1, 0x4f7ffffe, v1
	v_cvt_u32_f32_e32 v1, v1
	v_lshrrev_b32_e32 v4, 6, v0
	v_cndmask_b32_e64 v0, 0, 1, s[20:21]
	v_mov_b32_e32 v10, 0
	v_readfirstlane_b32 s23, v1
	s_mul_i32 s4, s4, s23
	s_mul_hi_u32 s4, s23, s4
	s_add_i32 s23, s23, s4
	s_mul_hi_u32 s4, s2, s23
	s_mul_i32 s23, s4, s5
	s_sub_i32 s23, s2, s23
	s_add_i32 s24, s4, 1
	s_sub_i32 s25, s23, s5
	s_cmp_ge_u32 s23, s5
	s_cselect_b32 s4, s24, s4
	s_cselect_b32 s23, s25, s23
	s_add_i32 s24, s4, 1
	s_cmp_ge_u32 s23, s5
	s_cselect_b32 s4, s24, s4
	s_mul_i32 s25, s4, s5
	s_sub_i32 s5, s2, s25
	s_lshl_b32 s24, s5, 6
	s_lshl_b32 s23, s4, 7
	v_or_b32_e32 v2, s24, v5
	v_add_u32_e32 v6, s23, v12
	v_cmp_ne_u32_e64 s[4:5], 1, v0
	s_andn2_b64 vcc, exec, s[20:21]
	v_ashrrev_i32_e32 v3, 31, v2
	v_lshlrev_b32_e32 v0, 1, v11
	v_add_u32_e32 v7, 64, v6
	s_cbranch_vccnz .LBB233_11
; %bb.9:
	v_mad_i64_i32 v[8:9], s[20:21], s8, v4, 0
	v_lshl_add_u64 v[8:9], v[8:9], 1, s[16:17]
	v_lshl_add_u64 v[8:9], v[2:3], 1, v[8:9]
	v_mov_b32_e32 v1, 0
	flat_load_ushort v13, v[8:9]
	v_lshl_add_u64 v[8:9], s[18:19], 0, v[0:1]
	v_mad_i64_i32 v[14:15], s[20:21], v6, s3, 0
	v_lshl_add_u64 v[14:15], v[14:15], 1, v[8:9]
	flat_load_ushort v1, v[14:15]
	v_mad_i64_i32 v[14:15], s[20:21], v7, s3, 0
	v_lshl_add_u64 v[8:9], v[14:15], 1, v[8:9]
	flat_load_ushort v9, v[8:9]
	s_waitcnt vmcnt(0) lgkmcnt(0)
	v_mul_f16_e32 v13, s15, v13
	v_mul_f16_e32 v1, s15, v1
	v_pack_b32_f16 v8, v1, 0
	v_mul_f16_e32 v9, s15, v9
	s_and_b64 vcc, exec, s[4:5]
	s_cbranch_vccnz .LBB233_12
.LBB233_10:
	v_add_u32_e32 v1, 4, v4
	v_mad_i64_i32 v[14:15], s[4:5], s8, v1, 0
	v_lshl_add_u64 v[14:15], v[14:15], 1, s[16:17]
	v_lshl_add_u64 v[2:3], v[2:3], 1, v[14:15]
	v_mov_b32_e32 v1, 0
	flat_load_ushort v10, v[2:3]
	v_lshl_add_u64 v[0:1], s[18:19], 0, v[0:1]
	v_mad_i64_i32 v[2:3], s[4:5], v6, s3, 0
	v_lshl_add_u64 v[2:3], v[2:3], 1, v[0:1]
	flat_load_ushort v14, v[2:3] offset:8
	v_mad_i64_i32 v[2:3], s[4:5], v7, s3, 0
	v_lshl_add_u64 v[0:1], v[2:3], 1, v[0:1]
	flat_load_ushort v0, v[0:1] offset:8
	s_waitcnt vmcnt(0) lgkmcnt(0)
	v_mul_f16_e32 v10, s15, v10
	v_mul_f16_e32 v1, s15, v14
	v_pack_b32_f16 v1, v1, 0
	v_mul_f16_e32 v2, s15, v0
	s_branch .LBB233_13
.LBB233_11:
	v_mov_b32_e32 v8, 0
	v_mov_b32_e32 v13, 0
	;; [unrolled: 1-line block ×3, first 2 shown]
	s_and_b64 vcc, exec, s[4:5]
	s_cbranch_vccz .LBB233_10
.LBB233_12:
	v_mov_b32_e32 v1, 0
	v_mov_b32_e32 v2, 0
.LBB233_13:
	v_lshlrev_b32_e32 v0, 3, v5
	v_lshlrev_b32_e32 v3, 3, v12
	v_lshl_add_u32 v0, v4, 1, v0
	v_lshl_or_b32 v43, v11, 1, v3
	v_lshlrev_b32_e32 v42, 3, v40
	v_lshlrev_b32_e32 v41, 3, v48
	s_load_dwordx2 s[4:5], s[10:11], 0x0
	ds_write_b16 v0, v13 offset:2048
	ds_write_b16 v43, v8
	ds_write_b16 v43, v9 offset:512
	s_waitcnt lgkmcnt(0)
	s_barrier
	ds_read2_b64 v[12:15], v41 offset1:32
	v_add_u32_e32 v44, 0x800, v42
	ds_read2_b64 v[16:19], v44 offset0:48 offset1:56
	ds_read2_b64 v[20:23], v41 offset0:64 offset1:96
	ds_read2_b64 v[24:27], v44 offset1:8
	ds_read2_b64 v[28:31], v44 offset0:16 offset1:24
	ds_read2_b64 v[32:35], v44 offset0:32 offset1:40
	s_waitcnt lgkmcnt(5)
	v_pk_max_f16 v3, v12, v12
	s_waitcnt lgkmcnt(4)
	v_pk_max_f16 v11, v18, v18
	v_pk_max_f16 v14, v14, v14
	v_pk_min_f16 v12, v11, v3
	s_waitcnt lgkmcnt(3)
	v_pk_max_f16 v18, v20, v20
	s_waitcnt lgkmcnt(2)
	v_pk_max_f16 v20, v24, v24
	v_pk_max_f16 v22, v22, v22
	v_pk_max_f16 v26, v26, v26
	s_waitcnt lgkmcnt(1)
	v_pk_max_f16 v28, v28, v28
	v_pk_max_f16 v30, v30, v30
	;; [unrolled: 4-line block ×3, first 2 shown]
	v_pk_max_f16 v16, v16, v16
	v_pk_max_f16 v19, v19, v19
	v_pk_min_f16 v24, v20, v3
	v_pk_min_f16 v36, v20, v14
	;; [unrolled: 1-line block ×14, first 2 shown]
	v_pk_max_f16 v15, v15, v15
	v_pk_min_f16 v65, v30, v18
	v_pk_min_f16 v30, v30, v22
	;; [unrolled: 1-line block ×17, first 2 shown]
	v_pk_add_f16 v12, v12, 0
	v_pk_min_f16 v22, v19, v13
	v_pk_max_f16 v21, v21, v21
	v_pk_add_f16 v49, v12, v22
	v_pk_add_f16 v12, v45, 0
	v_pk_min_f16 v22, v19, v15
	v_pk_max_f16 v25, v25, v25
	v_pk_add_f16 v45, v12, v22
	;; [unrolled: 4-line block ×6, first 2 shown]
	v_pk_add_f16 v12, v20, 0
	v_pk_min_f16 v20, v25, v23
	v_pk_min_f16 v22, v31, v23
	v_pk_add_f16 v52, v12, v20
	v_pk_add_f16 v12, v38, 0
	v_pk_min_f16 v20, v27, v13
	v_pk_add_f16 v24, v70, 0
	v_pk_add_f16 v54, v12, v20
	v_pk_add_f16 v12, v39, 0
	v_pk_min_f16 v20, v27, v15
	v_pk_add_f16 v3, v3, 0
	;; [unrolled: 4-line block ×8, first 2 shown]
	v_pk_add_f16 v60, v12, v20
	v_pk_add_f16 v12, v61, 0
	v_pk_min_f16 v20, v31, v13
	s_cmp_lt_i32 s14, 9
	v_pk_add_f16 v62, v12, v20
	v_pk_add_f16 v12, v63, 0
	v_pk_min_f16 v20, v31, v15
	ds_write_b16 v0, v10 offset:2560
	ds_write_b16 v43, v1 offset:1024
	;; [unrolled: 1-line block ×3, first 2 shown]
	v_pk_add_f16 v64, v12, v20
	v_pk_add_f16 v12, v65, 0
	v_pk_min_f16 v20, v31, v21
	s_waitcnt lgkmcnt(0)
	v_pk_add_f16 v61, v12, v20
	v_pk_add_f16 v12, v30, 0
	;; [unrolled: 1-line block ×4, first 2 shown]
	v_pk_max_f16 v12, v33, v33
	s_barrier
	v_pk_min_f16 v22, v12, v13
	s_nop 0
	v_pk_add_f16 v63, v20, v22
	v_pk_add_f16 v20, v67, 0
	v_pk_min_f16 v22, v12, v15
	s_nop 0
	v_pk_add_f16 v66, v20, v22
	v_pk_add_f16 v20, v68, 0
	v_pk_min_f16 v22, v12, v21
	v_pk_min_f16 v12, v12, v23
	v_pk_add_f16 v67, v20, v22
	v_pk_add_f16 v20, v32, 0
	;; [unrolled: 1-line block ×4, first 2 shown]
	v_pk_max_f16 v12, v35, v35
	s_nop 0
	v_pk_min_f16 v20, v12, v13
	s_nop 0
	v_pk_add_f16 v69, v22, v20
	v_pk_min_f16 v20, v12, v15
	s_nop 0
	v_pk_add_f16 v70, v24, v20
	v_pk_min_f16 v20, v12, v21
	v_pk_min_f16 v12, v12, v23
	v_pk_add_f16 v71, v25, v20
	v_pk_add_f16 v72, v26, v12
	v_pk_max_f16 v12, v17, v17
	s_nop 0
	v_pk_min_f16 v13, v12, v13
	s_nop 0
	v_pk_add_f16 v73, v3, v13
	v_pk_min_f16 v3, v12, v15
	s_nop 0
	v_pk_add_f16 v74, v14, v3
	;; [unrolled: 3-line block ×5, first 2 shown]
	s_cbranch_scc1 .LBB233_24
; %bb.14:
	s_mov_b32 s11, 0x5040100
	v_perm_b32 v88, v2, v1, s11
	v_mov_b32_e32 v1, 0xa00
	v_lshl_add_u32 v81, v40, 3, v1
	v_mov_b32_e32 v1, 0x400
	v_lshl_add_u32 v82, v48, 3, v1
	v_and_b32_e32 v1, 3, v40
	v_mad_i64_i32 v[2:3], s[20:21], s3, v7, 0
	v_lshlrev_b32_e32 v24, 1, v1
	v_lshl_add_u64 v[26:27], v[2:3], 1, s[18:19]
	v_mad_i64_i32 v[2:3], s[20:21], s3, v6, 0
	v_add_u32_e32 v1, 8, v4
	v_lshl_add_u64 v[28:29], v[2:3], 1, s[18:19]
	v_mad_i64_i32 v[2:3], s[18:19], v1, s8, 0
	v_lshl_or_b32 v1, s2, 6, v5
	s_lshl_b32 s2, s25, 6
	v_lshlrev_b64 v[30:31], 1, v[2:3]
	v_subrev_u32_e32 v2, s2, v1
	v_ashrrev_i32_e32 v3, 31, v2
	v_add_u32_e32 v1, 12, v4
	v_lshl_add_u64 v[32:33], v[2:3], 1, s[16:17]
	s_lshl_b64 s[2:3], s[8:9], 4
	v_mad_i64_i32 v[2:3], s[8:9], v1, s8, 0
	v_or_b32_e32 v78, 0x800, v0
	v_add_u32_e32 v79, 0xa00, v0
	v_add_u32_e32 v80, 0x400, v43
	s_add_i32 s10, s14, -8
	v_perm_b32 v0, v9, v8, s11
	v_mov_b32_e32 v25, 0
	v_lshlrev_b64 v[34:35], 1, v[2:3]
	s_mov_b32 s14, 0
	s_mov_b32 s16, 0xffff
	s_branch .LBB233_16
.LBB233_15:                             ;   in Loop: Header=BB233_16 Depth=1
	v_pk_max_f16 v2, v2, v2
	v_pk_max_f16 v20, v20, v20
	;; [unrolled: 1-line block ×12, first 2 shown]
	v_pk_min_f16 v90, v8, v20
	v_pk_max_f16 v17, v17, v17
	v_pk_max_f16 v19, v19, v19
	v_pk_min_f16 v91, v8, v22
	v_pk_min_f16 v92, v8, v16
	;; [unrolled: 1-line block ×3, first 2 shown]
	v_pk_max_f16 v13, v13, v13
	v_pk_max_f16 v15, v15, v15
	;; [unrolled: 1-line block ×10, first 2 shown]
	v_pk_min_f16 v96, v4, v20
	v_pk_min_f16 v97, v4, v22
	;; [unrolled: 1-line block ×60, first 2 shown]
	v_pk_add_f16 v3, v49, v102
	v_pk_add_f16 v8, v60, v8
	;; [unrolled: 1-line block ×17, first 2 shown]
	ds_read2_b64 v[2:5], v44 offset0:48 offset1:56
	ds_read2_b64 v[6:9], v41 offset1:32
	v_pk_add_f16 v36, v46, v36
	v_pk_add_f16 v37, v50, v37
	;; [unrolled: 1-line block ×3, first 2 shown]
	s_waitcnt lgkmcnt(1)
	v_pk_max_f16 v4, v4, v4
	s_waitcnt lgkmcnt(0)
	v_pk_max_f16 v6, v6, v6
	v_pk_add_f16 v39, v54, v39
	v_pk_add_f16 v46, v57, v88
	;; [unrolled: 1-line block ×12, first 2 shown]
	ds_read2_b64 v[10:13], v41 offset0:64 offset1:96
	v_pk_min_f16 v14, v4, v6
	v_pk_add_f16 v22, v22, v23
	v_pk_add_f16 v23, v16, v17
	;; [unrolled: 1-line block ×3, first 2 shown]
	ds_read2_b64 v[14:17], v44 offset1:8
	v_pk_add_f16 v45, v45, v103
	v_pk_max_f16 v8, v8, v8
	v_pk_add_f16 v47, v47, v104
	v_pk_add_f16 v45, v45, v123
	;; [unrolled: 1-line block ×3, first 2 shown]
	v_pk_min_f16 v19, v4, v8
	s_waitcnt lgkmcnt(1)
	v_pk_max_f16 v10, v10, v10
	v_pk_add_f16 v47, v47, v124
	v_pk_add_f16 v45, v45, v19
	v_pk_min_f16 v19, v4, v10
	s_waitcnt lgkmcnt(0)
	v_pk_max_f16 v14, v14, v14
	v_pk_add_f16 v47, v47, v19
	v_pk_min_f16 v19, v14, v6
	v_pk_add_f16 v60, v70, v100
	v_pk_add_f16 v70, v18, v19
	v_pk_min_f16 v18, v14, v8
	v_pk_add_f16 v50, v55, v90
	v_pk_add_f16 v55, v61, v95
	;; [unrolled: 1-line block ×4, first 2 shown]
	v_pk_min_f16 v18, v14, v10
	v_pk_max_f16 v16, v16, v16
	v_pk_add_f16 v39, v39, v107
	v_pk_add_f16 v72, v37, v18
	v_pk_min_f16 v18, v16, v6
	v_pk_add_f16 v20, v73, v20
	v_pk_add_f16 v46, v46, v108
	;; [unrolled: 1-line block ×3, first 2 shown]
	v_pk_min_f16 v18, v16, v8
	v_pk_add_f16 v52, v59, v92
	v_pk_add_f16 v59, v69, v99
	;; [unrolled: 1-line block ×4, first 2 shown]
	ds_read2_b64 v[18:21], v44 offset0:16 offset1:24
	v_pk_add_f16 v49, v49, v109
	v_pk_max_f16 v12, v12, v12
	v_pk_min_f16 v36, v16, v10
	v_pk_add_f16 v50, v50, v110
	s_waitcnt lgkmcnt(0)
	v_pk_max_f16 v18, v18, v18
	v_pk_add_f16 v75, v49, v36
	v_pk_min_f16 v16, v16, v12
	v_pk_min_f16 v36, v18, v6
	v_pk_add_f16 v51, v51, v111
	v_pk_add_f16 v16, v64, v16
	;; [unrolled: 1-line block ×3, first 2 shown]
	v_pk_min_f16 v36, v18, v8
	v_pk_add_f16 v0, v76, v0
	v_pk_add_f16 v52, v52, v112
	;; [unrolled: 1-line block ×3, first 2 shown]
	v_pk_min_f16 v36, v18, v10
	v_pk_max_f16 v20, v20, v20
	v_pk_add_f16 v53, v53, v113
	v_pk_add_f16 v77, v52, v36
	v_pk_min_f16 v18, v18, v12
	v_pk_min_f16 v36, v20, v6
	v_pk_add_f16 v54, v54, v114
	v_pk_min_f16 v14, v14, v12
	v_pk_add_f16 v18, v65, v18
	v_pk_add_f16 v65, v53, v36
	v_pk_min_f16 v36, v20, v8
	v_pk_add_f16 v1, v0, v1
	v_perm_b32 v0, v87, v86, s11
	v_pk_add_f16 v14, v38, v14
	v_pk_add_f16 v86, v54, v36
	ds_read2_b64 v[36:39], v44 offset0:32 offset1:40
	v_pk_add_f16 v55, v55, v115
	v_pk_min_f16 v46, v20, v10
	v_pk_add_f16 v56, v56, v116
	v_pk_add_f16 v87, v55, v46
	s_waitcnt lgkmcnt(0)
	v_pk_max_f16 v36, v36, v36
	v_pk_min_f16 v20, v20, v12
	v_pk_min_f16 v46, v36, v6
	v_pk_add_f16 v57, v57, v117
	v_pk_add_f16 v20, v66, v20
	;; [unrolled: 1-line block ×3, first 2 shown]
	v_pk_min_f16 v46, v36, v8
	v_pk_add_f16 v58, v58, v118
	v_pk_add_f16 v88, v57, v46
	v_pk_min_f16 v46, v36, v10
	v_pk_max_f16 v38, v38, v38
	v_pk_add_f16 v59, v59, v119
	v_pk_add_f16 v89, v58, v46
	v_pk_min_f16 v46, v38, v6
	v_pk_add_f16 v60, v60, v120
	v_pk_add_f16 v90, v59, v46
	v_pk_min_f16 v46, v38, v8
	v_pk_max_f16 v2, v2, v2
	v_pk_add_f16 v91, v60, v46
	v_pk_min_f16 v46, v38, v10
	v_pk_min_f16 v6, v2, v6
	;; [unrolled: 1-line block ×5, first 2 shown]
	v_pk_add_f16 v61, v61, v121
	v_pk_add_f16 v1, v1, v2
	v_pk_min_f16 v2, v4, v12
	v_pk_max_f16 v4, v5, v5
	v_pk_max_f16 v5, v7, v7
	v_pk_min_f16 v36, v36, v12
	v_pk_min_f16 v7, v4, v5
	;; [unrolled: 1-line block ×3, first 2 shown]
	v_pk_add_f16 v49, v63, v7
	v_pk_max_f16 v7, v9, v9
	v_pk_add_f16 v92, v61, v46
	v_pk_min_f16 v9, v4, v7
	v_pk_add_f16 v2, v62, v2
	v_pk_add_f16 v45, v45, v9
	v_pk_max_f16 v9, v11, v11
	v_pk_add_f16 v36, v67, v36
	v_pk_min_f16 v11, v4, v9
	v_pk_add_f16 v38, v68, v38
	v_pk_add_f16 v47, v47, v11
	v_pk_max_f16 v11, v15, v15
	v_pk_max_f16 v3, v3, v3
	v_pk_min_f16 v12, v11, v5
	v_pk_add_f16 v6, v69, v6
	v_pk_add_f16 v46, v70, v12
	v_pk_min_f16 v12, v11, v7
	v_pk_add_f16 v8, v22, v8
	v_pk_add_f16 v50, v71, v12
	;; [unrolled: 3-line block ×3, first 2 shown]
	v_pk_max_f16 v12, v13, v13
	s_add_i32 s14, s14, 8
	v_pk_min_f16 v11, v11, v12
	v_lshl_add_u64 v[26:27], v[26:27], 0, 16
	v_pk_add_f16 v52, v14, v11
	v_pk_max_f16 v11, v17, v17
	v_lshl_add_u64 v[28:29], v[28:29], 0, 16
	v_pk_min_f16 v13, v11, v5
	s_cmp_ge_i32 s14, s10
	v_pk_add_f16 v54, v73, v13
	v_pk_min_f16 v13, v11, v7
	v_lshl_add_u64 v[32:33], v[32:33], 0, s[2:3]
	v_pk_add_f16 v57, v74, v13
	v_pk_min_f16 v13, v11, v9
	v_pk_min_f16 v11, v11, v12
	v_pk_add_f16 v53, v75, v13
	v_pk_add_f16 v56, v16, v11
	v_pk_max_f16 v11, v19, v19
	ds_write_b16 v79, v84
	ds_write_b16 v80, v83
	ds_write_b16 v80, v85 offset:512
	v_pk_min_f16 v13, v11, v5
	s_waitcnt lgkmcnt(0)
	v_pk_add_f16 v55, v64, v13
	v_pk_min_f16 v13, v11, v7
	s_barrier
	v_pk_add_f16 v58, v76, v13
	v_pk_min_f16 v13, v11, v9
	v_pk_min_f16 v11, v11, v12
	v_pk_add_f16 v59, v77, v13
	v_pk_add_f16 v60, v18, v11
	v_pk_max_f16 v11, v21, v21
	s_nop 0
	v_pk_min_f16 v13, v11, v5
	s_nop 0
	v_pk_add_f16 v62, v65, v13
	v_pk_min_f16 v13, v11, v7
	s_nop 0
	v_pk_add_f16 v64, v86, v13
	v_pk_min_f16 v13, v11, v9
	v_pk_min_f16 v11, v11, v12
	v_pk_add_f16 v61, v87, v13
	v_pk_add_f16 v65, v20, v11
	v_pk_max_f16 v11, v37, v37
	s_nop 0
	v_pk_min_f16 v13, v11, v5
	s_nop 0
	v_pk_add_f16 v63, v66, v13
	v_pk_min_f16 v13, v11, v7
	s_nop 0
	v_pk_add_f16 v66, v88, v13
	v_pk_min_f16 v13, v11, v9
	v_pk_min_f16 v11, v11, v12
	v_pk_add_f16 v67, v89, v13
	v_pk_add_f16 v68, v36, v11
	v_pk_max_f16 v11, v39, v39
	v_perm_b32 v88, v85, v83, s11
	v_pk_min_f16 v13, v11, v5
	v_pk_min_f16 v5, v3, v5
	v_pk_add_f16 v69, v90, v13
	v_pk_add_f16 v73, v6, v5
	v_pk_min_f16 v5, v3, v7
	v_pk_min_f16 v13, v11, v7
	v_pk_add_f16 v74, v8, v5
	v_pk_min_f16 v5, v3, v9
	v_pk_min_f16 v3, v3, v12
	v_pk_add_f16 v70, v91, v13
	v_pk_min_f16 v13, v11, v9
	v_pk_min_f16 v11, v11, v12
	v_pk_add_f16 v76, v1, v3
	v_pk_min_f16 v1, v4, v12
	v_pk_add_f16 v71, v92, v13
	v_pk_add_f16 v72, v38, v11
	;; [unrolled: 1-line block ×4, first 2 shown]
	s_cbranch_scc1 .LBB233_24
.LBB233_16:                             ; =>This Inner Loop Header: Depth=1
	s_mov_b64 s[8:9], -1
	s_mov_b64 vcc, s[6:7]
                                        ; implicit-def: $vgpr86
	s_cbranch_vccz .LBB233_18
; %bb.17:                               ;   in Loop: Header=BB233_16 Depth=1
	v_and_b32_e32 v86, 0xffff0000, v0
	s_mov_b64 s[8:9], 0
.LBB233_18:                             ;   in Loop: Header=BB233_16 Depth=1
	v_mov_b32_e32 v83, 0
	s_andn2_b64 vcc, exec, s[8:9]
	v_lshl_add_u64 v[36:37], v[28:29], 0, v[24:25]
	v_lshl_add_u64 v[38:39], v[26:27], 0, v[24:25]
	v_mov_b32_e32 v87, 0
	s_cbranch_vccnz .LBB233_20
; %bb.19:                               ;   in Loop: Header=BB233_16 Depth=1
	v_lshl_add_u64 v[2:3], v[32:33], 0, v[30:31]
	flat_load_ushort v1, v[36:37] offset:16
	flat_load_ushort v4, v[2:3]
	flat_load_ushort v5, v[38:39] offset:16
	s_waitcnt vmcnt(0) lgkmcnt(0)
	v_mul_f16_e32 v1, s15, v1
	v_mul_f16_e32 v83, s15, v4
	v_bfi_b32 v86, s16, v1, v0
	v_mul_f16_e32 v87, s15, v5
.LBB233_20:                             ;   in Loop: Header=BB233_16 Depth=1
	ds_read2_b64 v[0:3], v81 offset0:48 offset1:56
	ds_read2_b64 v[16:19], v82 offset0:64 offset1:96
	ds_read2_b64 v[20:23], v82 offset1:32
	ds_read2_b64 v[12:15], v81 offset1:8
	ds_read2_b64 v[8:11], v81 offset0:16 offset1:24
	ds_read2_b64 v[4:7], v81 offset0:32 offset1:40
	s_mov_b64 s[8:9], -1
	s_mov_b64 vcc, s[6:7]
	ds_write_b16 v78, v83
	ds_write_b16 v43, v86
	ds_write_b16 v43, v87 offset:512
	s_waitcnt lgkmcnt(0)
	s_barrier
                                        ; implicit-def: $vgpr83
	s_cbranch_vccz .LBB233_22
; %bb.21:                               ;   in Loop: Header=BB233_16 Depth=1
	v_and_b32_e32 v83, 0xffff0000, v88
	s_mov_b64 s[8:9], 0
.LBB233_22:                             ;   in Loop: Header=BB233_16 Depth=1
	v_mov_b32_e32 v84, 0
	s_andn2_b64 vcc, exec, s[8:9]
	v_mov_b32_e32 v85, 0
	s_cbranch_vccnz .LBB233_15
; %bb.23:                               ;   in Loop: Header=BB233_16 Depth=1
	v_lshl_add_u64 v[84:85], v[32:33], 0, v[34:35]
	flat_load_ushort v83, v[36:37] offset:24
	flat_load_ushort v89, v[84:85]
	flat_load_ushort v90, v[38:39] offset:24
	s_waitcnt vmcnt(0) lgkmcnt(0)
	v_mul_f16_e32 v36, s15, v83
	v_mul_f16_e32 v84, s15, v89
	v_bfi_b32 v83, s16, v36, v88
	v_mul_f16_e32 v85, s15, v90
	s_branch .LBB233_15
.LBB233_24:
	v_add_u32_e32 v12, 0x800, v42
	s_load_dwordx2 s[6:7], s[0:1], 0x70
	s_load_dword s8, s[0:1], 0x50
	s_load_dword s9, s[0:1], 0x68
	ds_read2_b64 v[4:7], v12 offset0:112 offset1:120
	ds_read2_b64 v[8:11], v41 offset0:192 offset1:224
	;; [unrolled: 1-line block ×4, first 2 shown]
	s_waitcnt lgkmcnt(0)
	s_lshl_b64 s[0:1], s[6:7], 1
	v_pk_max_f16 v6, v6, v6
	v_pk_max_f16 v8, v8, v8
	;; [unrolled: 1-line block ×3, first 2 shown]
	v_pk_min_f16 v15, v6, v8
	v_pk_max_f16 v0, v0, v0
	v_pk_add_f16 v28, v47, v15
	v_pk_max_f16 v15, v16, v16
	v_pk_max_f16 v10, v10, v10
	v_pk_min_f16 v20, v15, v2
	v_pk_min_f16 v16, v15, v0
	v_pk_add_f16 v29, v50, v20
	v_pk_min_f16 v20, v15, v8
	v_pk_min_f16 v15, v15, v10
	;; [unrolled: 1-line block ×3, first 2 shown]
	v_pk_add_f16 v31, v52, v15
	v_pk_max_f16 v15, v18, v18
	v_pk_add_f16 v30, v51, v20
	v_pk_min_f16 v20, v15, v2
	v_pk_add_f16 v13, v49, v13
	v_pk_add_f16 v49, v57, v20
	ds_read2_b64 v[20:23], v12 offset0:80 offset1:88
	v_pk_min_f16 v18, v15, v0
	v_pk_min_f16 v24, v15, v8
	;; [unrolled: 1-line block ×3, first 2 shown]
	v_pk_add_f16 v50, v53, v24
	v_pk_add_f16 v51, v56, v15
	s_waitcnt lgkmcnt(0)
	v_pk_max_f16 v15, v20, v20
	v_pk_add_f16 v18, v54, v18
	v_pk_min_f16 v24, v15, v2
	v_pk_min_f16 v20, v15, v0
	v_pk_add_f16 v53, v58, v24
	v_pk_min_f16 v24, v15, v8
	v_pk_min_f16 v15, v15, v10
	v_pk_add_f16 v20, v55, v20
	v_pk_add_f16 v55, v60, v15
	v_pk_max_f16 v15, v22, v22
	v_pk_add_f16 v54, v59, v24
	v_pk_min_f16 v24, v15, v2
	v_pk_min_f16 v22, v15, v0
	v_pk_add_f16 v56, v64, v24
	ds_read2_b64 v[24:27], v12 offset0:96 offset1:104
	v_pk_min_f16 v12, v15, v8
	v_pk_max_f16 v4, v4, v4
	v_pk_add_f16 v57, v61, v12
	v_pk_min_f16 v12, v15, v10
	v_pk_min_f16 v14, v6, v2
	v_pk_add_f16 v58, v65, v12
	s_waitcnt lgkmcnt(0)
	v_pk_max_f16 v12, v24, v24
	v_pk_add_f16 v14, v45, v14
	v_pk_min_f16 v15, v12, v0
	v_pk_add_f16 v22, v62, v22
	v_pk_add_f16 v24, v63, v15
	v_pk_min_f16 v15, v12, v2
	v_pk_max_f16 v11, v11, v11
	v_pk_add_f16 v59, v66, v15
	v_pk_min_f16 v15, v12, v8
	v_pk_min_f16 v12, v12, v10
	v_pk_add_f16 v60, v67, v15
	v_pk_add_f16 v61, v68, v12
	v_pk_max_f16 v12, v26, v26
	v_pk_max_f16 v23, v23, v23
	v_pk_min_f16 v15, v12, v0
	v_pk_min_f16 v0, v4, v0
	v_pk_add_f16 v26, v69, v15
	v_pk_add_f16 v65, v73, v0
	v_pk_min_f16 v0, v4, v2
	v_pk_min_f16 v15, v12, v2
	v_pk_add_f16 v66, v74, v0
	v_pk_min_f16 v0, v4, v8
	v_pk_add_f16 v62, v70, v15
	v_pk_add_f16 v67, v75, v0
	v_pk_min_f16 v0, v4, v10
	v_pk_min_f16 v15, v12, v8
	v_pk_add_f16 v68, v76, v0
	v_pk_min_f16 v0, v6, v10
	v_pk_add_f16 v63, v71, v15
	v_pk_add_f16 v69, v77, v0
	v_pk_max_f16 v0, v1, v1
	v_pk_max_f16 v1, v7, v7
	v_pk_min_f16 v12, v12, v10
	v_pk_min_f16 v2, v1, v0
	v_pk_add_f16 v64, v72, v12
	v_pk_add_f16 v7, v13, v2
	v_pk_max_f16 v2, v3, v3
	v_pk_max_f16 v12, v19, v19
	v_pk_min_f16 v3, v1, v2
	v_pk_max_f16 v19, v21, v21
	v_pk_add_f16 v15, v14, v3
	v_pk_max_f16 v3, v9, v9
	v_pk_max_f16 v25, v25, v25
	v_pk_min_f16 v4, v1, v3
	v_pk_max_f16 v27, v27, v27
	v_pk_add_f16 v9, v28, v4
	v_pk_max_f16 v4, v17, v17
	v_pk_max_f16 v5, v5, v5
	v_add_u32_e32 v32, s24, v40
	s_add_u32 s4, s4, s0
	v_pk_add_f16 v16, v46, v16
	v_pk_min_f16 v6, v4, v0
	v_pk_min_f16 v8, v4, v2
	;; [unrolled: 1-line block ×29, first 2 shown]
	v_add_u32_e32 v34, 8, v32
	v_add_u32_e32 v36, 16, v32
	;; [unrolled: 1-line block ×7, first 2 shown]
	v_cmp_neq_f16_e64 s[2:3], s22, 0
	s_addc_u32 s5, s5, s1
	v_ashrrev_i32_e32 v33, 31, v32
	v_ashrrev_i32_e32 v35, 31, v34
	;; [unrolled: 1-line block ×8, first 2 shown]
	v_add_u32_e32 v52, s23, v48
	s_mov_b64 s[6:7], 15
	v_pk_add_f16 v0, v16, v6
	v_pk_add_f16 v8, v29, v8
	;; [unrolled: 1-line block ×29, first 2 shown]
	s_branch .LBB233_26
.LBB233_25:                             ;   in Loop: Header=BB233_26 Depth=1
	s_add_i32 s0, s6, -1
	s_cmp_eq_u32 s0, 1
	s_cselect_b64 vcc, -1, 0
	s_cmp_eq_u32 s0, 2
	v_cndmask_b32_e32 v48, v0, v53, vcc
	s_cselect_b64 vcc, -1, 0
	s_cmp_eq_u32 s0, 3
	v_cndmask_b32_e32 v48, v48, v1, vcc
	;; [unrolled: 3-line block ×62, first 2 shown]
	s_cselect_b64 vcc, -1, 0
	s_cmp_eq_u32 s6, 1
	s_cselect_b64 s[0:1], -1, 0
	s_cmp_eq_u32 s6, 2
	v_cndmask_b32_e64 v49, v0, v53, s[0:1]
	s_cselect_b64 s[0:1], -1, 0
	s_cmp_eq_u32 s6, 3
	v_cndmask_b32_e64 v49, v49, v1, s[0:1]
	;; [unrolled: 3-line block ×61, first 2 shown]
	v_cndmask_b32_e32 v48, v48, v84, vcc
	s_cselect_b64 vcc, -1, 0
	s_cmp_eq_u32 s6, 63
	v_cndmask_b32_e32 v49, v49, v31, vcc
	s_cselect_b64 vcc, -1, 0
	v_cndmask_b32_e32 v49, v49, v84, vcc
	s_add_u32 s6, s6, 16
	v_add_f16_e32 v48, v48, v49
	s_addc_u32 s7, s7, 0
	v_add_f16_e32 v53, v48, v85
	v_lshl_add_u64 v[48:49], v[46:47], 1, v[50:51]
	s_cmpk_lg_i32 s6, 0x4f
	v_add_u32_e32 v52, 32, v52
	flat_store_short v[48:49], v53
	s_cbranch_scc0 .LBB233_42
.LBB233_26:                             ; =>This Inner Loop Header: Depth=1
	v_mad_i64_i32 v[48:49], s[0:1], v52, s8, 0
	v_cndmask_b32_e64 v50, 0, 1, s[2:3]
	v_lshl_add_u64 v[48:49], v[48:49], 1, s[12:13]
	v_mov_b32_e32 v85, 0
	v_cmp_ne_u32_e64 s[0:1], 1, v50
	s_andn2_b64 vcc, exec, s[2:3]
	v_mov_b32_e32 v50, 0
	s_cbranch_vccnz .LBB233_28
; %bb.27:                               ;   in Loop: Header=BB233_26 Depth=1
	v_lshl_add_u64 v[50:51], v[32:33], 1, v[48:49]
	flat_load_ushort v50, v[50:51]
	s_waitcnt vmcnt(0) lgkmcnt(0)
	v_mul_f16_e32 v50, s22, v50
.LBB233_28:                             ;   in Loop: Header=BB233_26 Depth=1
	s_add_i32 s10, s6, -15
	s_cmp_eq_u32 s10, 1
	v_lshrrev_b32_e32 v53, 16, v0
	s_cselect_b64 vcc, -1, 0
	s_cmp_eq_u32 s10, 2
	v_cndmask_b32_e32 v51, v0, v53, vcc
	s_cselect_b64 vcc, -1, 0
	s_cmp_eq_u32 s10, 3
	v_cndmask_b32_e32 v51, v51, v1, vcc
	v_lshrrev_b32_e32 v54, 16, v1
	s_cselect_b64 vcc, -1, 0
	s_cmp_eq_u32 s10, 4
	v_cndmask_b32_e32 v51, v51, v54, vcc
	s_cselect_b64 vcc, -1, 0
	s_cmp_eq_u32 s10, 5
	v_cndmask_b32_e32 v51, v51, v4, vcc
	;; [unrolled: 7-line block ×31, first 2 shown]
	s_cselect_b64 vcc, -1, 0
	s_add_i32 s10, s6, -14
	v_lshrrev_b32_e32 v84, 16, v31
	s_cmp_eq_u32 s10, 1
	v_cndmask_b32_e32 v51, v51, v84, vcc
	s_cselect_b64 vcc, -1, 0
	s_cmp_eq_u32 s10, 2
	v_cndmask_b32_e32 v86, v0, v53, vcc
	s_cselect_b64 vcc, -1, 0
	;; [unrolled: 3-line block ×63, first 2 shown]
	v_cndmask_b32_e32 v86, v86, v84, vcc
	v_add_f16_e32 v51, v51, v86
	v_add_f16_e32 v88, v51, v50
	v_mad_i64_i32 v[50:51], s[10:11], v52, s9, 0
	v_lshl_add_u64 v[50:51], v[50:51], 1, s[4:5]
	v_lshl_add_u64 v[86:87], v[32:33], 1, v[50:51]
	s_and_b64 vcc, exec, s[0:1]
	flat_store_short v[86:87], v88
	s_cbranch_vccnz .LBB233_30
; %bb.29:                               ;   in Loop: Header=BB233_26 Depth=1
	v_lshl_add_u64 v[86:87], v[34:35], 1, v[48:49]
	flat_load_ushort v85, v[86:87]
	s_waitcnt vmcnt(0) lgkmcnt(0)
	v_mul_f16_e32 v85, s22, v85
.LBB233_30:                             ;   in Loop: Header=BB233_26 Depth=1
	s_add_i32 s10, s6, -13
	s_cmp_eq_u32 s10, 1
	s_cselect_b64 vcc, -1, 0
	s_cmp_eq_u32 s10, 2
	v_cndmask_b32_e32 v86, v0, v53, vcc
	s_cselect_b64 vcc, -1, 0
	s_cmp_eq_u32 s10, 3
	v_cndmask_b32_e32 v86, v86, v1, vcc
	;; [unrolled: 3-line block ×62, first 2 shown]
	s_cselect_b64 vcc, -1, 0
	s_add_i32 s10, s6, -12
	s_cmp_eq_u32 s10, 1
	v_cndmask_b32_e32 v86, v86, v84, vcc
	s_cselect_b64 vcc, -1, 0
	s_cmp_eq_u32 s10, 2
	v_cndmask_b32_e32 v87, v0, v53, vcc
	s_cselect_b64 vcc, -1, 0
	;; [unrolled: 3-line block ×63, first 2 shown]
	v_cndmask_b32_e32 v87, v87, v84, vcc
	v_add_f16_e32 v86, v86, v87
	v_add_f16_e32 v85, v86, v85
	v_lshl_add_u64 v[86:87], v[34:35], 1, v[50:51]
	flat_store_short v[86:87], v85
	s_and_b64 vcc, exec, s[0:1]
	v_mov_b32_e32 v85, 0
	v_mov_b32_e32 v86, 0
	s_cbranch_vccnz .LBB233_32
; %bb.31:                               ;   in Loop: Header=BB233_26 Depth=1
	v_lshl_add_u64 v[86:87], v[36:37], 1, v[48:49]
	flat_load_ushort v86, v[86:87]
	s_waitcnt vmcnt(0) lgkmcnt(0)
	v_mul_f16_e32 v86, s22, v86
.LBB233_32:                             ;   in Loop: Header=BB233_26 Depth=1
	s_add_i32 s10, s6, -11
	s_cmp_eq_u32 s10, 1
	s_cselect_b64 vcc, -1, 0
	s_cmp_eq_u32 s10, 2
	v_cndmask_b32_e32 v87, v0, v53, vcc
	s_cselect_b64 vcc, -1, 0
	s_cmp_eq_u32 s10, 3
	v_cndmask_b32_e32 v87, v87, v1, vcc
	;; [unrolled: 3-line block ×62, first 2 shown]
	s_cselect_b64 vcc, -1, 0
	s_add_i32 s10, s6, -10
	s_cmp_eq_u32 s10, 1
	v_cndmask_b32_e32 v87, v87, v84, vcc
	s_cselect_b64 vcc, -1, 0
	s_cmp_eq_u32 s10, 2
	v_cndmask_b32_e32 v88, v0, v53, vcc
	s_cselect_b64 vcc, -1, 0
	;; [unrolled: 3-line block ×63, first 2 shown]
	v_cndmask_b32_e32 v88, v88, v84, vcc
	v_add_f16_e32 v87, v87, v88
	v_add_f16_e32 v88, v87, v86
	v_lshl_add_u64 v[86:87], v[36:37], 1, v[50:51]
	s_and_b64 vcc, exec, s[0:1]
	flat_store_short v[86:87], v88
	s_cbranch_vccnz .LBB233_34
; %bb.33:                               ;   in Loop: Header=BB233_26 Depth=1
	v_lshl_add_u64 v[86:87], v[38:39], 1, v[48:49]
	flat_load_ushort v85, v[86:87]
	s_waitcnt vmcnt(0) lgkmcnt(0)
	v_mul_f16_e32 v85, s22, v85
.LBB233_34:                             ;   in Loop: Header=BB233_26 Depth=1
	s_add_i32 s10, s6, -9
	s_cmp_eq_u32 s10, 1
	s_cselect_b64 vcc, -1, 0
	s_cmp_eq_u32 s10, 2
	v_cndmask_b32_e32 v86, v0, v53, vcc
	s_cselect_b64 vcc, -1, 0
	s_cmp_eq_u32 s10, 3
	v_cndmask_b32_e32 v86, v86, v1, vcc
	;; [unrolled: 3-line block ×62, first 2 shown]
	s_cselect_b64 vcc, -1, 0
	s_add_i32 s10, s6, -8
	s_cmp_eq_u32 s10, 1
	v_cndmask_b32_e32 v86, v86, v84, vcc
	s_cselect_b64 vcc, -1, 0
	s_cmp_eq_u32 s10, 2
	v_cndmask_b32_e32 v87, v0, v53, vcc
	s_cselect_b64 vcc, -1, 0
	;; [unrolled: 3-line block ×63, first 2 shown]
	v_cndmask_b32_e32 v87, v87, v84, vcc
	v_add_f16_e32 v86, v86, v87
	v_add_f16_e32 v85, v86, v85
	v_lshl_add_u64 v[86:87], v[38:39], 1, v[50:51]
	flat_store_short v[86:87], v85
	s_and_b64 vcc, exec, s[0:1]
	v_mov_b32_e32 v85, 0
	v_mov_b32_e32 v86, 0
	s_cbranch_vccnz .LBB233_36
; %bb.35:                               ;   in Loop: Header=BB233_26 Depth=1
	v_lshl_add_u64 v[86:87], v[40:41], 1, v[48:49]
	flat_load_ushort v86, v[86:87]
	s_waitcnt vmcnt(0) lgkmcnt(0)
	v_mul_f16_e32 v86, s22, v86
.LBB233_36:                             ;   in Loop: Header=BB233_26 Depth=1
	s_add_i32 s10, s6, -7
	s_cmp_eq_u32 s10, 1
	s_cselect_b64 vcc, -1, 0
	s_cmp_eq_u32 s10, 2
	v_cndmask_b32_e32 v87, v0, v53, vcc
	s_cselect_b64 vcc, -1, 0
	s_cmp_eq_u32 s10, 3
	v_cndmask_b32_e32 v87, v87, v1, vcc
	;; [unrolled: 3-line block ×62, first 2 shown]
	s_cselect_b64 vcc, -1, 0
	s_add_i32 s10, s6, -6
	s_cmp_eq_u32 s10, 1
	v_cndmask_b32_e32 v87, v87, v84, vcc
	s_cselect_b64 vcc, -1, 0
	s_cmp_eq_u32 s10, 2
	v_cndmask_b32_e32 v88, v0, v53, vcc
	s_cselect_b64 vcc, -1, 0
	;; [unrolled: 3-line block ×63, first 2 shown]
	v_cndmask_b32_e32 v88, v88, v84, vcc
	v_add_f16_e32 v87, v87, v88
	v_add_f16_e32 v88, v87, v86
	v_lshl_add_u64 v[86:87], v[40:41], 1, v[50:51]
	s_and_b64 vcc, exec, s[0:1]
	flat_store_short v[86:87], v88
	s_cbranch_vccnz .LBB233_38
; %bb.37:                               ;   in Loop: Header=BB233_26 Depth=1
	v_lshl_add_u64 v[86:87], v[42:43], 1, v[48:49]
	flat_load_ushort v85, v[86:87]
	s_waitcnt vmcnt(0) lgkmcnt(0)
	v_mul_f16_e32 v85, s22, v85
.LBB233_38:                             ;   in Loop: Header=BB233_26 Depth=1
	s_add_i32 s10, s6, -5
	s_cmp_eq_u32 s10, 1
	s_cselect_b64 vcc, -1, 0
	s_cmp_eq_u32 s10, 2
	v_cndmask_b32_e32 v86, v0, v53, vcc
	s_cselect_b64 vcc, -1, 0
	s_cmp_eq_u32 s10, 3
	v_cndmask_b32_e32 v86, v86, v1, vcc
	;; [unrolled: 3-line block ×62, first 2 shown]
	s_cselect_b64 vcc, -1, 0
	s_add_i32 s10, s6, -4
	s_cmp_eq_u32 s10, 1
	v_cndmask_b32_e32 v86, v86, v84, vcc
	s_cselect_b64 vcc, -1, 0
	s_cmp_eq_u32 s10, 2
	v_cndmask_b32_e32 v87, v0, v53, vcc
	s_cselect_b64 vcc, -1, 0
	s_cmp_eq_u32 s10, 3
	v_cndmask_b32_e32 v87, v87, v1, vcc
	s_cselect_b64 vcc, -1, 0
	s_cmp_eq_u32 s10, 4
	v_cndmask_b32_e32 v87, v87, v54, vcc
	s_cselect_b64 vcc, -1, 0
	s_cmp_eq_u32 s10, 5
	v_cndmask_b32_e32 v87, v87, v4, vcc
	s_cselect_b64 vcc, -1, 0
	s_cmp_eq_u32 s10, 6
	v_cndmask_b32_e32 v87, v87, v55, vcc
	s_cselect_b64 vcc, -1, 0
	s_cmp_eq_u32 s10, 7
	v_cndmask_b32_e32 v87, v87, v5, vcc
	s_cselect_b64 vcc, -1, 0
	s_cmp_eq_u32 s10, 8
	v_cndmask_b32_e32 v87, v87, v56, vcc
	s_cselect_b64 vcc, -1, 0
	s_cmp_eq_u32 s10, 9
	v_cndmask_b32_e32 v87, v87, v16, vcc
	s_cselect_b64 vcc, -1, 0
	s_cmp_eq_u32 s10, 10
	v_cndmask_b32_e32 v87, v87, v57, vcc
	s_cselect_b64 vcc, -1, 0
	s_cmp_eq_u32 s10, 11
	v_cndmask_b32_e32 v87, v87, v23, vcc
	s_cselect_b64 vcc, -1, 0
	s_cmp_eq_u32 s10, 12
	v_cndmask_b32_e32 v87, v87, v58, vcc
	s_cselect_b64 vcc, -1, 0
	s_cmp_eq_u32 s10, 13
	v_cndmask_b32_e32 v87, v87, v24, vcc
	s_cselect_b64 vcc, -1, 0
	s_cmp_eq_u32 s10, 14
	v_cndmask_b32_e32 v87, v87, v59, vcc
	s_cselect_b64 vcc, -1, 0
	s_cmp_eq_u32 s10, 15
	v_cndmask_b32_e32 v87, v87, v7, vcc
	s_cselect_b64 vcc, -1, 0
	s_cmp_eq_u32 s10, 16
	v_cndmask_b32_e32 v87, v87, v60, vcc
	s_cselect_b64 vcc, -1, 0
	s_cmp_eq_u32 s10, 17
	v_cndmask_b32_e32 v87, v87, v8, vcc
	s_cselect_b64 vcc, -1, 0
	s_cmp_eq_u32 s10, 18
	v_cndmask_b32_e32 v87, v87, v61, vcc
	s_cselect_b64 vcc, -1, 0
	s_cmp_eq_u32 s10, 19
	v_cndmask_b32_e32 v87, v87, v11, vcc
	s_cselect_b64 vcc, -1, 0
	s_cmp_eq_u32 s10, 20
	v_cndmask_b32_e32 v87, v87, v62, vcc
	s_cselect_b64 vcc, -1, 0
	s_cmp_eq_u32 s10, 21
	v_cndmask_b32_e32 v87, v87, v12, vcc
	s_cselect_b64 vcc, -1, 0
	s_cmp_eq_u32 s10, 22
	v_cndmask_b32_e32 v87, v87, v63, vcc
	s_cselect_b64 vcc, -1, 0
	s_cmp_eq_u32 s10, 23
	v_cndmask_b32_e32 v87, v87, v17, vcc
	s_cselect_b64 vcc, -1, 0
	s_cmp_eq_u32 s10, 24
	v_cndmask_b32_e32 v87, v87, v64, vcc
	s_cselect_b64 vcc, -1, 0
	s_cmp_eq_u32 s10, 25
	v_cndmask_b32_e32 v87, v87, v18, vcc
	s_cselect_b64 vcc, -1, 0
	s_cmp_eq_u32 s10, 26
	v_cndmask_b32_e32 v87, v87, v65, vcc
	s_cselect_b64 vcc, -1, 0
	s_cmp_eq_u32 s10, 27
	v_cndmask_b32_e32 v87, v87, v25, vcc
	s_cselect_b64 vcc, -1, 0
	s_cmp_eq_u32 s10, 28
	v_cndmask_b32_e32 v87, v87, v66, vcc
	s_cselect_b64 vcc, -1, 0
	s_cmp_eq_u32 s10, 29
	v_cndmask_b32_e32 v87, v87, v26, vcc
	s_cselect_b64 vcc, -1, 0
	s_cmp_eq_u32 s10, 30
	v_cndmask_b32_e32 v87, v87, v67, vcc
	s_cselect_b64 vcc, -1, 0
	s_cmp_eq_u32 s10, 31
	v_cndmask_b32_e32 v87, v87, v15, vcc
	s_cselect_b64 vcc, -1, 0
	s_cmp_eq_u32 s10, 32
	v_cndmask_b32_e32 v87, v87, v68, vcc
	s_cselect_b64 vcc, -1, 0
	s_cmp_eq_u32 s10, 33
	v_cndmask_b32_e32 v87, v87, v2, vcc
	s_cselect_b64 vcc, -1, 0
	s_cmp_eq_u32 s10, 34
	v_cndmask_b32_e32 v87, v87, v69, vcc
	s_cselect_b64 vcc, -1, 0
	s_cmp_eq_u32 s10, 35
	v_cndmask_b32_e32 v87, v87, v3, vcc
	s_cselect_b64 vcc, -1, 0
	s_cmp_eq_u32 s10, 36
	v_cndmask_b32_e32 v87, v87, v70, vcc
	s_cselect_b64 vcc, -1, 0
	s_cmp_eq_u32 s10, 37
	v_cndmask_b32_e32 v87, v87, v6, vcc
	s_cselect_b64 vcc, -1, 0
	s_cmp_eq_u32 s10, 38
	v_cndmask_b32_e32 v87, v87, v71, vcc
	s_cselect_b64 vcc, -1, 0
	s_cmp_eq_u32 s10, 39
	v_cndmask_b32_e32 v87, v87, v19, vcc
	s_cselect_b64 vcc, -1, 0
	s_cmp_eq_u32 s10, 40
	v_cndmask_b32_e32 v87, v87, v72, vcc
	s_cselect_b64 vcc, -1, 0
	s_cmp_eq_u32 s10, 41
	v_cndmask_b32_e32 v87, v87, v20, vcc
	s_cselect_b64 vcc, -1, 0
	s_cmp_eq_u32 s10, 42
	v_cndmask_b32_e32 v87, v87, v73, vcc
	s_cselect_b64 vcc, -1, 0
	s_cmp_eq_u32 s10, 43
	v_cndmask_b32_e32 v87, v87, v27, vcc
	s_cselect_b64 vcc, -1, 0
	s_cmp_eq_u32 s10, 44
	v_cndmask_b32_e32 v87, v87, v74, vcc
	s_cselect_b64 vcc, -1, 0
	s_cmp_eq_u32 s10, 45
	v_cndmask_b32_e32 v87, v87, v28, vcc
	s_cselect_b64 vcc, -1, 0
	s_cmp_eq_u32 s10, 46
	v_cndmask_b32_e32 v87, v87, v75, vcc
	s_cselect_b64 vcc, -1, 0
	s_cmp_eq_u32 s10, 47
	v_cndmask_b32_e32 v87, v87, v9, vcc
	s_cselect_b64 vcc, -1, 0
	s_cmp_eq_u32 s10, 48
	v_cndmask_b32_e32 v87, v87, v76, vcc
	s_cselect_b64 vcc, -1, 0
	s_cmp_eq_u32 s10, 49
	v_cndmask_b32_e32 v87, v87, v10, vcc
	s_cselect_b64 vcc, -1, 0
	s_cmp_eq_u32 s10, 50
	v_cndmask_b32_e32 v87, v87, v77, vcc
	s_cselect_b64 vcc, -1, 0
	s_cmp_eq_u32 s10, 51
	v_cndmask_b32_e32 v87, v87, v13, vcc
	s_cselect_b64 vcc, -1, 0
	s_cmp_eq_u32 s10, 52
	v_cndmask_b32_e32 v87, v87, v78, vcc
	s_cselect_b64 vcc, -1, 0
	s_cmp_eq_u32 s10, 53
	v_cndmask_b32_e32 v87, v87, v14, vcc
	s_cselect_b64 vcc, -1, 0
	s_cmp_eq_u32 s10, 54
	v_cndmask_b32_e32 v87, v87, v79, vcc
	s_cselect_b64 vcc, -1, 0
	s_cmp_eq_u32 s10, 55
	v_cndmask_b32_e32 v87, v87, v21, vcc
	s_cselect_b64 vcc, -1, 0
	s_cmp_eq_u32 s10, 56
	v_cndmask_b32_e32 v87, v87, v80, vcc
	s_cselect_b64 vcc, -1, 0
	s_cmp_eq_u32 s10, 57
	v_cndmask_b32_e32 v87, v87, v22, vcc
	s_cselect_b64 vcc, -1, 0
	s_cmp_eq_u32 s10, 58
	v_cndmask_b32_e32 v87, v87, v81, vcc
	s_cselect_b64 vcc, -1, 0
	s_cmp_eq_u32 s10, 59
	v_cndmask_b32_e32 v87, v87, v29, vcc
	s_cselect_b64 vcc, -1, 0
	s_cmp_eq_u32 s10, 60
	v_cndmask_b32_e32 v87, v87, v82, vcc
	s_cselect_b64 vcc, -1, 0
	s_cmp_eq_u32 s10, 61
	v_cndmask_b32_e32 v87, v87, v30, vcc
	s_cselect_b64 vcc, -1, 0
	s_cmp_eq_u32 s10, 62
	v_cndmask_b32_e32 v87, v87, v83, vcc
	s_cselect_b64 vcc, -1, 0
	s_cmp_eq_u32 s10, 63
	v_cndmask_b32_e32 v87, v87, v31, vcc
	s_cselect_b64 vcc, -1, 0
	v_cndmask_b32_e32 v87, v87, v84, vcc
	v_add_f16_e32 v86, v86, v87
	v_add_f16_e32 v85, v86, v85
	v_lshl_add_u64 v[86:87], v[42:43], 1, v[50:51]
	flat_store_short v[86:87], v85
	s_and_b64 vcc, exec, s[0:1]
	v_mov_b32_e32 v85, 0
	v_mov_b32_e32 v86, 0
	s_cbranch_vccnz .LBB233_40
; %bb.39:                               ;   in Loop: Header=BB233_26 Depth=1
	v_lshl_add_u64 v[86:87], v[44:45], 1, v[48:49]
	flat_load_ushort v86, v[86:87]
	s_waitcnt vmcnt(0) lgkmcnt(0)
	v_mul_f16_e32 v86, s22, v86
.LBB233_40:                             ;   in Loop: Header=BB233_26 Depth=1
	s_add_i32 s10, s6, -3
	s_cmp_eq_u32 s10, 1
	s_cselect_b64 vcc, -1, 0
	s_cmp_eq_u32 s10, 2
	v_cndmask_b32_e32 v87, v0, v53, vcc
	s_cselect_b64 vcc, -1, 0
	s_cmp_eq_u32 s10, 3
	v_cndmask_b32_e32 v87, v87, v1, vcc
	;; [unrolled: 3-line block ×62, first 2 shown]
	s_cselect_b64 vcc, -1, 0
	s_add_i32 s10, s6, -2
	s_cmp_eq_u32 s10, 1
	v_cndmask_b32_e32 v87, v87, v84, vcc
	s_cselect_b64 vcc, -1, 0
	s_cmp_eq_u32 s10, 2
	v_cndmask_b32_e32 v88, v0, v53, vcc
	s_cselect_b64 vcc, -1, 0
	;; [unrolled: 3-line block ×63, first 2 shown]
	v_cndmask_b32_e32 v88, v88, v84, vcc
	v_add_f16_e32 v87, v87, v88
	v_add_f16_e32 v88, v87, v86
	v_lshl_add_u64 v[86:87], v[44:45], 1, v[50:51]
	s_and_b64 vcc, exec, s[0:1]
	flat_store_short v[86:87], v88
	s_cbranch_vccnz .LBB233_25
; %bb.41:                               ;   in Loop: Header=BB233_26 Depth=1
	v_lshl_add_u64 v[48:49], v[46:47], 1, v[48:49]
	flat_load_ushort v48, v[48:49]
	s_waitcnt vmcnt(0) lgkmcnt(0)
	v_mul_f16_e32 v85, s22, v48
	s_branch .LBB233_25
.LBB233_42:
	s_endpgm
	.section	.rodata,"a",@progbits
	.p2align	6, 0x0
	.amdhsa_kernel _ZN12_GLOBAL__N_120geam_min_plus_kernelIDF16_Dv2_DF16_S1_Li8ELi32ELi64ELi128ELi4ELi64ELi4ELi4ELi64ELc78ELc78ELb0ELb0ELb0EDF16_KPKDF16_KPDF16_EEviiiT16_PT17_ilS9_ilS7_S9_ilPT18_ili26rocblas_geam_ex_operation_
		.amdhsa_group_segment_fixed_size 3072
		.amdhsa_private_segment_fixed_size 0
		.amdhsa_kernarg_size 128
		.amdhsa_user_sgpr_count 2
		.amdhsa_user_sgpr_dispatch_ptr 0
		.amdhsa_user_sgpr_queue_ptr 0
		.amdhsa_user_sgpr_kernarg_segment_ptr 1
		.amdhsa_user_sgpr_dispatch_id 0
		.amdhsa_user_sgpr_kernarg_preload_length 0
		.amdhsa_user_sgpr_kernarg_preload_offset 0
		.amdhsa_user_sgpr_private_segment_size 0
		.amdhsa_uses_dynamic_stack 0
		.amdhsa_enable_private_segment 0
		.amdhsa_system_sgpr_workgroup_id_x 1
		.amdhsa_system_sgpr_workgroup_id_y 0
		.amdhsa_system_sgpr_workgroup_id_z 1
		.amdhsa_system_sgpr_workgroup_info 0
		.amdhsa_system_vgpr_workitem_id 1
		.amdhsa_next_free_vgpr 125
		.amdhsa_next_free_sgpr 26
		.amdhsa_accum_offset 128
		.amdhsa_reserve_vcc 1
		.amdhsa_float_round_mode_32 0
		.amdhsa_float_round_mode_16_64 0
		.amdhsa_float_denorm_mode_32 3
		.amdhsa_float_denorm_mode_16_64 3
		.amdhsa_dx10_clamp 1
		.amdhsa_ieee_mode 1
		.amdhsa_fp16_overflow 0
		.amdhsa_tg_split 0
		.amdhsa_exception_fp_ieee_invalid_op 0
		.amdhsa_exception_fp_denorm_src 0
		.amdhsa_exception_fp_ieee_div_zero 0
		.amdhsa_exception_fp_ieee_overflow 0
		.amdhsa_exception_fp_ieee_underflow 0
		.amdhsa_exception_fp_ieee_inexact 0
		.amdhsa_exception_int_div_zero 0
	.end_amdhsa_kernel
	.section	.text._ZN12_GLOBAL__N_120geam_min_plus_kernelIDF16_Dv2_DF16_S1_Li8ELi32ELi64ELi128ELi4ELi64ELi4ELi4ELi64ELc78ELc78ELb0ELb0ELb0EDF16_KPKDF16_KPDF16_EEviiiT16_PT17_ilS9_ilS7_S9_ilPT18_ili26rocblas_geam_ex_operation_,"axG",@progbits,_ZN12_GLOBAL__N_120geam_min_plus_kernelIDF16_Dv2_DF16_S1_Li8ELi32ELi64ELi128ELi4ELi64ELi4ELi4ELi64ELc78ELc78ELb0ELb0ELb0EDF16_KPKDF16_KPDF16_EEviiiT16_PT17_ilS9_ilS7_S9_ilPT18_ili26rocblas_geam_ex_operation_,comdat
.Lfunc_end233:
	.size	_ZN12_GLOBAL__N_120geam_min_plus_kernelIDF16_Dv2_DF16_S1_Li8ELi32ELi64ELi128ELi4ELi64ELi4ELi4ELi64ELc78ELc78ELb0ELb0ELb0EDF16_KPKDF16_KPDF16_EEviiiT16_PT17_ilS9_ilS7_S9_ilPT18_ili26rocblas_geam_ex_operation_, .Lfunc_end233-_ZN12_GLOBAL__N_120geam_min_plus_kernelIDF16_Dv2_DF16_S1_Li8ELi32ELi64ELi128ELi4ELi64ELi4ELi4ELi64ELc78ELc78ELb0ELb0ELb0EDF16_KPKDF16_KPDF16_EEviiiT16_PT17_ilS9_ilS7_S9_ilPT18_ili26rocblas_geam_ex_operation_
                                        ; -- End function
	.set _ZN12_GLOBAL__N_120geam_min_plus_kernelIDF16_Dv2_DF16_S1_Li8ELi32ELi64ELi128ELi4ELi64ELi4ELi4ELi64ELc78ELc78ELb0ELb0ELb0EDF16_KPKDF16_KPDF16_EEviiiT16_PT17_ilS9_ilS7_S9_ilPT18_ili26rocblas_geam_ex_operation_.num_vgpr, 125
	.set _ZN12_GLOBAL__N_120geam_min_plus_kernelIDF16_Dv2_DF16_S1_Li8ELi32ELi64ELi128ELi4ELi64ELi4ELi4ELi64ELc78ELc78ELb0ELb0ELb0EDF16_KPKDF16_KPDF16_EEviiiT16_PT17_ilS9_ilS7_S9_ilPT18_ili26rocblas_geam_ex_operation_.num_agpr, 0
	.set _ZN12_GLOBAL__N_120geam_min_plus_kernelIDF16_Dv2_DF16_S1_Li8ELi32ELi64ELi128ELi4ELi64ELi4ELi4ELi64ELc78ELc78ELb0ELb0ELb0EDF16_KPKDF16_KPDF16_EEviiiT16_PT17_ilS9_ilS7_S9_ilPT18_ili26rocblas_geam_ex_operation_.numbered_sgpr, 26
	.set _ZN12_GLOBAL__N_120geam_min_plus_kernelIDF16_Dv2_DF16_S1_Li8ELi32ELi64ELi128ELi4ELi64ELi4ELi4ELi64ELc78ELc78ELb0ELb0ELb0EDF16_KPKDF16_KPDF16_EEviiiT16_PT17_ilS9_ilS7_S9_ilPT18_ili26rocblas_geam_ex_operation_.num_named_barrier, 0
	.set _ZN12_GLOBAL__N_120geam_min_plus_kernelIDF16_Dv2_DF16_S1_Li8ELi32ELi64ELi128ELi4ELi64ELi4ELi4ELi64ELc78ELc78ELb0ELb0ELb0EDF16_KPKDF16_KPDF16_EEviiiT16_PT17_ilS9_ilS7_S9_ilPT18_ili26rocblas_geam_ex_operation_.private_seg_size, 0
	.set _ZN12_GLOBAL__N_120geam_min_plus_kernelIDF16_Dv2_DF16_S1_Li8ELi32ELi64ELi128ELi4ELi64ELi4ELi4ELi64ELc78ELc78ELb0ELb0ELb0EDF16_KPKDF16_KPDF16_EEviiiT16_PT17_ilS9_ilS7_S9_ilPT18_ili26rocblas_geam_ex_operation_.uses_vcc, 1
	.set _ZN12_GLOBAL__N_120geam_min_plus_kernelIDF16_Dv2_DF16_S1_Li8ELi32ELi64ELi128ELi4ELi64ELi4ELi4ELi64ELc78ELc78ELb0ELb0ELb0EDF16_KPKDF16_KPDF16_EEviiiT16_PT17_ilS9_ilS7_S9_ilPT18_ili26rocblas_geam_ex_operation_.uses_flat_scratch, 0
	.set _ZN12_GLOBAL__N_120geam_min_plus_kernelIDF16_Dv2_DF16_S1_Li8ELi32ELi64ELi128ELi4ELi64ELi4ELi4ELi64ELc78ELc78ELb0ELb0ELb0EDF16_KPKDF16_KPDF16_EEviiiT16_PT17_ilS9_ilS7_S9_ilPT18_ili26rocblas_geam_ex_operation_.has_dyn_sized_stack, 0
	.set _ZN12_GLOBAL__N_120geam_min_plus_kernelIDF16_Dv2_DF16_S1_Li8ELi32ELi64ELi128ELi4ELi64ELi4ELi4ELi64ELc78ELc78ELb0ELb0ELb0EDF16_KPKDF16_KPDF16_EEviiiT16_PT17_ilS9_ilS7_S9_ilPT18_ili26rocblas_geam_ex_operation_.has_recursion, 0
	.set _ZN12_GLOBAL__N_120geam_min_plus_kernelIDF16_Dv2_DF16_S1_Li8ELi32ELi64ELi128ELi4ELi64ELi4ELi4ELi64ELc78ELc78ELb0ELb0ELb0EDF16_KPKDF16_KPDF16_EEviiiT16_PT17_ilS9_ilS7_S9_ilPT18_ili26rocblas_geam_ex_operation_.has_indirect_call, 0
	.section	.AMDGPU.csdata,"",@progbits
; Kernel info:
; codeLenInByte = 19880
; TotalNumSgprs: 32
; NumVgprs: 125
; NumAgprs: 0
; TotalNumVgprs: 125
; ScratchSize: 0
; MemoryBound: 0
; FloatMode: 240
; IeeeMode: 1
; LDSByteSize: 3072 bytes/workgroup (compile time only)
; SGPRBlocks: 3
; VGPRBlocks: 15
; NumSGPRsForWavesPerEU: 32
; NumVGPRsForWavesPerEU: 125
; AccumOffset: 128
; Occupancy: 4
; WaveLimiterHint : 1
; COMPUTE_PGM_RSRC2:SCRATCH_EN: 0
; COMPUTE_PGM_RSRC2:USER_SGPR: 2
; COMPUTE_PGM_RSRC2:TRAP_HANDLER: 0
; COMPUTE_PGM_RSRC2:TGID_X_EN: 1
; COMPUTE_PGM_RSRC2:TGID_Y_EN: 0
; COMPUTE_PGM_RSRC2:TGID_Z_EN: 1
; COMPUTE_PGM_RSRC2:TIDIG_COMP_CNT: 1
; COMPUTE_PGM_RSRC3_GFX90A:ACCUM_OFFSET: 31
; COMPUTE_PGM_RSRC3_GFX90A:TG_SPLIT: 0
	.section	.text._ZN12_GLOBAL__N_120geam_min_plus_kernelIDF16_Dv2_DF16_S1_Li8ELi32ELi64ELi128ELi4ELi64ELi4ELi4ELi64ELc78ELc78ELb0ELb1ELb0EPKDF16_KS3_KPDF16_EEviiiT16_PT17_ilS9_ilS7_S9_ilPT18_ili26rocblas_geam_ex_operation_,"axG",@progbits,_ZN12_GLOBAL__N_120geam_min_plus_kernelIDF16_Dv2_DF16_S1_Li8ELi32ELi64ELi128ELi4ELi64ELi4ELi4ELi64ELc78ELc78ELb0ELb1ELb0EPKDF16_KS3_KPDF16_EEviiiT16_PT17_ilS9_ilS7_S9_ilPT18_ili26rocblas_geam_ex_operation_,comdat
	.globl	_ZN12_GLOBAL__N_120geam_min_plus_kernelIDF16_Dv2_DF16_S1_Li8ELi32ELi64ELi128ELi4ELi64ELi4ELi4ELi64ELc78ELc78ELb0ELb1ELb0EPKDF16_KS3_KPDF16_EEviiiT16_PT17_ilS9_ilS7_S9_ilPT18_ili26rocblas_geam_ex_operation_ ; -- Begin function _ZN12_GLOBAL__N_120geam_min_plus_kernelIDF16_Dv2_DF16_S1_Li8ELi32ELi64ELi128ELi4ELi64ELi4ELi4ELi64ELc78ELc78ELb0ELb1ELb0EPKDF16_KS3_KPDF16_EEviiiT16_PT17_ilS9_ilS7_S9_ilPT18_ili26rocblas_geam_ex_operation_
	.p2align	8
	.type	_ZN12_GLOBAL__N_120geam_min_plus_kernelIDF16_Dv2_DF16_S1_Li8ELi32ELi64ELi128ELi4ELi64ELi4ELi4ELi64ELc78ELc78ELb0ELb1ELb0EPKDF16_KS3_KPDF16_EEviiiT16_PT17_ilS9_ilS7_S9_ilPT18_ili26rocblas_geam_ex_operation_,@function
_ZN12_GLOBAL__N_120geam_min_plus_kernelIDF16_Dv2_DF16_S1_Li8ELi32ELi64ELi128ELi4ELi64ELi4ELi4ELi64ELc78ELc78ELb0ELb1ELb0EPKDF16_KS3_KPDF16_EEviiiT16_PT17_ilS9_ilS7_S9_ilPT18_ili26rocblas_geam_ex_operation_: ; @_ZN12_GLOBAL__N_120geam_min_plus_kernelIDF16_Dv2_DF16_S1_Li8ELi32ELi64ELi128ELi4ELi64ELi4ELi4ELi64ELc78ELc78ELb0ELb1ELb0EPKDF16_KS3_KPDF16_EEviiiT16_PT17_ilS9_ilS7_S9_ilPT18_ili26rocblas_geam_ex_operation_
; %bb.0:
	s_load_dwordx4 s[4:7], s[0:1], 0x10
	s_load_dwordx4 s[12:15], s[0:1], 0x28
	s_load_dwordx4 s[8:11], s[0:1], 0x40
	s_mov_b32 s16, s3
	s_mov_b32 s17, 0
	s_lshl_b64 s[18:19], s[16:17], 1
	s_waitcnt lgkmcnt(0)
	s_add_u32 s4, s4, s18
	s_addc_u32 s5, s5, s19
	v_mov_b32_e32 v1, 0
	global_load_ushort v38, v1, s[4:5]
	s_add_u32 s4, s10, s18
	s_addc_u32 s5, s11, s19
	global_load_ushort v44, v1, s[4:5]
	s_load_dwordx2 s[20:21], s[0:1], 0x50
	s_mov_b64 s[10:11], 0
	s_mov_b64 s[18:19], 0
	s_waitcnt vmcnt(1)
	v_cmp_eq_f16_e32 vcc, 0, v38
	v_cmp_neq_f16_e64 s[4:5], 0, v38
	s_cbranch_vccnz .LBB234_2
; %bb.1:
	s_lshl_b64 s[18:19], s[16:17], 3
	s_add_u32 s6, s6, s18
	s_addc_u32 s7, s7, s19
	s_load_dwordx2 s[6:7], s[6:7], 0x0
	s_lshl_b64 s[12:13], s[12:13], 1
	s_waitcnt lgkmcnt(0)
	s_add_u32 s18, s6, s12
	s_addc_u32 s19, s7, s13
.LBB234_2:
	s_andn2_b64 vcc, exec, s[4:5]
	s_cbranch_vccnz .LBB234_4
; %bb.3:
	s_lshl_b64 s[6:7], s[16:17], 3
	s_add_u32 s6, s14, s6
	s_addc_u32 s7, s15, s7
	s_load_dwordx2 s[6:7], s[6:7], 0x0
	s_lshl_b64 s[8:9], s[8:9], 1
	s_waitcnt lgkmcnt(0)
	s_add_u32 s10, s6, s8
	s_addc_u32 s11, s7, s9
.LBB234_4:
	s_load_dwordx4 s[12:15], s[0:1], 0x60
	s_waitcnt vmcnt(0)
	v_cmp_eq_f16_e32 vcc, 0, v44
	v_cmp_neq_f16_e64 s[8:9], 0, v44
	s_cbranch_vccnz .LBB234_6
; %bb.5:
	s_lshl_b64 s[6:7], s[16:17], 3
	s_waitcnt lgkmcnt(0)
	s_add_u32 s6, s20, s6
	s_addc_u32 s7, s21, s7
	s_load_dwordx2 s[6:7], s[6:7], 0x0
	s_lshl_b64 s[12:13], s[12:13], 1
	s_waitcnt lgkmcnt(0)
	s_add_u32 s24, s6, s12
	s_addc_u32 s25, s7, s13
	s_branch .LBB234_7
.LBB234_6:
	s_mov_b64 s[24:25], 0
.LBB234_7:
	s_load_dword s26, s[0:1], 0x20
	s_waitcnt lgkmcnt(0)
	s_load_dwordx4 s[20:23], s[0:1], 0x0
	s_lshl_b64 s[6:7], s[16:17], 3
	v_and_b32_e32 v36, 0x3ff, v0
	v_bfe_u32 v37, v0, 10, 10
	s_ashr_i32 s27, s26, 31
	s_add_u32 s12, s14, s6
	s_addc_u32 s13, s15, s7
	s_waitcnt lgkmcnt(0)
	s_add_i32 s3, s20, -1
	s_ashr_i32 s6, s3, 31
	s_lshr_b32 s6, s6, 26
	s_add_i32 s3, s3, s6
	s_ashr_i32 s3, s3, 6
	s_add_i32 s15, s3, 1
	v_cvt_f32_u32_e32 v1, s15
	s_not_b32 s3, s3
	v_lshl_add_u32 v2, v37, 3, v36
	v_and_b32_e32 v10, 63, v2
	v_rcp_iflag_f32_e32 v0, v1
	v_lshrrev_b32_e32 v39, 6, v2
	v_cmp_gt_i32_e64 s[6:7], s22, v39
	v_mov_b32_e32 v9, 0
	v_mul_f32_e32 v0, 0x4f7ffffe, v0
	v_cvt_u32_f32_e32 v0, v0
	v_mov_b32_e32 v11, 0
	v_readfirstlane_b32 s14, v0
	s_mul_i32 s3, s3, s14
	s_mul_hi_u32 s3, s14, s3
	s_add_i32 s14, s14, s3
	s_mul_hi_u32 s3, s2, s14
	s_mul_i32 s14, s3, s15
	s_sub_i32 s14, s2, s14
	s_add_i32 s16, s3, 1
	s_sub_i32 s17, s14, s15
	s_cmp_ge_u32 s14, s15
	s_cselect_b32 s3, s16, s3
	s_cselect_b32 s14, s17, s14
	s_add_i32 s16, s3, 1
	s_cmp_ge_u32 s14, s15
	s_cselect_b32 s14, s16, s3
	s_mul_i32 s3, s14, s15
	s_sub_i32 s2, s2, s3
	s_lshl_b32 s28, s2, 6
	v_or_b32_e32 v0, s28, v10
	v_cmp_gt_i32_e32 vcc, s20, v0
	s_and_b64 s[2:3], s[6:7], vcc
	s_and_b64 s[6:7], s[4:5], s[2:3]
	v_ashrrev_i32_e32 v1, 31, v0
	s_and_saveexec_b64 s[2:3], s[6:7]
	s_cbranch_execz .LBB234_9
; %bb.8:
	v_mad_i64_i32 v[4:5], s[6:7], s26, v39, 0
	v_lshl_add_u64 v[4:5], v[4:5], 1, s[18:19]
	v_lshl_add_u64 v[4:5], v[0:1], 1, v[4:5]
	flat_load_ushort v3, v[4:5]
	s_waitcnt vmcnt(0) lgkmcnt(0)
	v_mul_f16_e32 v11, v38, v3
.LBB234_9:
	s_or_b64 exec, exec, s[2:3]
	s_load_dword s33, s[0:1], 0x38
	v_lshrrev_b32_e32 v12, 2, v2
	s_lshl_b32 s29, s14, 7
	v_and_b32_e32 v40, 3, v36
	v_add_u32_e32 v4, s29, v12
	s_add_i32 s23, s22, -1
	v_min_i32_e32 v2, s23, v40
	v_cmp_le_i32_e64 s[2:3], s21, v4
	s_xor_b64 s[16:17], s[4:5], -1
	v_cmp_le_i32_e64 s[6:7], s22, v40
	v_ashrrev_i32_e32 v3, 31, v2
	s_or_b64 s[14:15], s[2:3], s[16:17]
	v_lshl_add_u64 v[2:3], v[2:3], 1, s[10:11]
	s_nor_b64 s[30:31], s[6:7], s[14:15]
	s_and_saveexec_b64 s[2:3], s[30:31]
	s_cbranch_execz .LBB234_11
; %bb.10:
	s_waitcnt lgkmcnt(0)
	v_mad_i64_i32 v[6:7], s[30:31], v4, s33, 0
	v_lshl_add_u64 v[6:7], v[6:7], 1, v[2:3]
	flat_load_ushort v5, v[6:7]
	s_waitcnt vmcnt(0) lgkmcnt(0)
	v_mul_f16_e32 v9, v38, v5
.LBB234_11:
	s_or_b64 exec, exec, s[2:3]
	v_add_u32_e32 v5, 64, v4
	v_cmp_le_i32_e64 s[2:3], s21, v5
	s_or_b64 s[16:17], s[2:3], s[16:17]
	s_nor_b64 s[6:7], s[6:7], s[16:17]
	v_mov_b32_e32 v6, 0
	v_mov_b32_e32 v13, 0
	s_and_saveexec_b64 s[2:3], s[6:7]
	s_cbranch_execz .LBB234_13
; %bb.12:
	s_waitcnt lgkmcnt(0)
	v_mad_i64_i32 v[14:15], s[6:7], v5, s33, 0
	v_lshl_add_u64 v[2:3], v[14:15], 1, v[2:3]
	flat_load_ushort v2, v[2:3]
	s_waitcnt vmcnt(0) lgkmcnt(0)
	v_mul_f16_e32 v13, v38, v2
.LBB234_13:
	s_or_b64 exec, exec, s[2:3]
	v_add_u32_e32 v2, 4, v39
	v_cmp_gt_i32_e64 s[2:3], s22, v2
	s_and_b64 s[2:3], vcc, s[2:3]
	s_and_b64 s[6:7], s[4:5], s[2:3]
	s_and_saveexec_b64 s[2:3], s[6:7]
	s_cbranch_execz .LBB234_15
; %bb.14:
	v_mad_u64_u32 v[6:7], s[6:7], s26, v2, 0
	v_mov_b32_e32 v8, v7
	v_mad_u64_u32 v[2:3], s[6:7], s27, v2, v[8:9]
	v_mov_b32_e32 v7, v2
	v_lshl_add_u64 v[2:3], v[6:7], 1, s[18:19]
	v_lshl_add_u64 v[2:3], v[0:1], 1, v[2:3]
	flat_load_ushort v2, v[2:3]
	s_waitcnt vmcnt(0) lgkmcnt(0)
	v_mul_f16_e32 v6, v38, v2
.LBB234_15:
	s_or_b64 exec, exec, s[2:3]
	v_or_b32_e32 v2, 4, v40
	v_cmp_le_i32_e64 s[6:7], s22, v2
	v_min_i32_e32 v2, s23, v2
	v_ashrrev_i32_e32 v3, 31, v2
	v_lshl_add_u64 v[2:3], v[2:3], 1, s[10:11]
	s_nor_b64 s[30:31], s[6:7], s[14:15]
	v_mov_b32_e32 v7, 0
	v_mov_b32_e32 v8, 0
	s_and_saveexec_b64 s[2:3], s[30:31]
	s_cbranch_execz .LBB234_17
; %bb.16:
	s_waitcnt lgkmcnt(0)
	v_mad_i64_i32 v[14:15], s[30:31], v4, s33, 0
	v_lshl_add_u64 v[14:15], v[14:15], 1, v[2:3]
	flat_load_ushort v8, v[14:15]
	s_waitcnt vmcnt(0) lgkmcnt(0)
	v_mul_f16_e32 v8, v38, v8
.LBB234_17:
	s_or_b64 exec, exec, s[2:3]
	s_nor_b64 s[6:7], s[6:7], s[16:17]
	s_and_saveexec_b64 s[2:3], s[6:7]
	s_cbranch_execz .LBB234_19
; %bb.18:
	s_waitcnt lgkmcnt(0)
	v_mad_i64_i32 v[14:15], s[6:7], v5, s33, 0
	v_lshl_add_u64 v[2:3], v[14:15], 1, v[2:3]
	flat_load_ushort v2, v[2:3]
	s_waitcnt vmcnt(0) lgkmcnt(0)
	v_mul_f16_e32 v7, v38, v2
.LBB234_19:
	s_or_b64 exec, exec, s[2:3]
	v_lshlrev_b32_e32 v2, 3, v10
	v_lshlrev_b32_e32 v3, 3, v12
	;; [unrolled: 1-line block ×3, first 2 shown]
	v_lshl_add_u32 v2, v39, 1, v2
	v_lshl_or_b32 v43, v40, 1, v3
	v_lshlrev_b32_e32 v41, 3, v37
	v_add_u32_e32 v70, 0x800, v42
	s_load_dwordx2 s[12:13], s[12:13], 0x0
	ds_write_b16 v2, v11 offset:2048
	ds_write_b16 v43, v9
	ds_write_b16 v43, v13 offset:512
	s_waitcnt lgkmcnt(0)
	s_barrier
	ds_read2_b64 v[10:13], v41 offset1:32
	ds_read2_b64 v[14:17], v70 offset0:48 offset1:56
	ds_read2_b64 v[18:21], v41 offset0:64 offset1:96
	ds_read2_b64 v[22:25], v70 offset1:8
	ds_read2_b64 v[26:29], v70 offset0:16 offset1:24
	ds_read2_b64 v[30:33], v70 offset0:32 offset1:40
	s_waitcnt lgkmcnt(5)
	v_pk_max_f16 v3, v10, v10
	s_waitcnt lgkmcnt(4)
	v_pk_max_f16 v9, v16, v16
	v_pk_max_f16 v12, v12, v12
	v_pk_min_f16 v10, v9, v3
	s_waitcnt lgkmcnt(3)
	v_pk_max_f16 v18, v18, v18
	s_waitcnt lgkmcnt(2)
	v_pk_max_f16 v22, v22, v22
	v_pk_max_f16 v20, v20, v20
	v_pk_max_f16 v24, v24, v24
	s_waitcnt lgkmcnt(1)
	v_pk_max_f16 v26, v26, v26
	v_pk_max_f16 v28, v28, v28
	;; [unrolled: 4-line block ×3, first 2 shown]
	v_pk_max_f16 v14, v14, v14
	v_pk_max_f16 v17, v17, v17
	v_pk_min_f16 v16, v9, v12
	v_pk_min_f16 v34, v22, v3
	;; [unrolled: 1-line block ×17, first 2 shown]
	v_pk_max_f16 v13, v13, v13
	v_pk_min_f16 v57, v30, v3
	v_pk_min_f16 v58, v30, v12
	;; [unrolled: 1-line block ×14, first 2 shown]
	v_pk_add_f16 v10, v10, 0
	v_pk_min_f16 v20, v17, v11
	v_pk_max_f16 v19, v19, v19
	v_pk_add_f16 v69, v10, v20
	v_pk_add_f16 v10, v16, 0
	v_pk_min_f16 v16, v17, v13
	v_pk_max_f16 v23, v23, v23
	v_pk_add_f16 v61, v10, v16
	v_pk_add_f16 v10, v52, 0
	v_pk_min_f16 v16, v17, v19
	v_pk_max_f16 v21, v21, v21
	v_pk_add_f16 v53, v10, v16
	v_pk_add_f16 v10, v34, 0
	v_pk_min_f16 v16, v23, v11
	v_pk_max_f16 v25, v25, v25
	v_pk_add_f16 v77, v10, v16
	v_pk_add_f16 v10, v35, 0
	v_pk_min_f16 v16, v23, v13
	v_pk_max_f16 v27, v27, v27
	v_pk_add_f16 v68, v10, v16
	v_pk_add_f16 v10, v45, 0
	v_pk_min_f16 v16, v23, v19
	v_pk_add_f16 v20, v50, 0
	v_pk_add_f16 v60, v10, v16
	;; [unrolled: 1-line block ×3, first 2 shown]
	v_pk_min_f16 v16, v23, v21
	v_pk_add_f16 v22, v51, 0
	v_pk_add_f16 v52, v10, v16
	;; [unrolled: 1-line block ×3, first 2 shown]
	v_pk_min_f16 v16, v25, v11
	v_pk_max_f16 v29, v29, v29
	v_pk_add_f16 v76, v10, v16
	v_pk_add_f16 v10, v47, 0
	v_pk_min_f16 v16, v25, v13
	v_pk_add_f16 v23, v26, 0
	v_pk_add_f16 v67, v10, v16
	v_pk_add_f16 v10, v48, 0
	v_pk_min_f16 v16, v25, v19
	v_pk_min_f16 v25, v25, v21
	v_pk_add_f16 v59, v10, v16
	v_pk_add_f16 v10, v24, 0
	;; [unrolled: 1-line block ×4, first 2 shown]
	v_pk_min_f16 v10, v27, v11
	v_pk_add_f16 v45, v58, 0
	v_pk_add_f16 v75, v16, v10
	v_pk_min_f16 v10, v27, v13
	v_pk_add_f16 v24, v54, 0
	v_pk_add_f16 v66, v20, v10
	;; [unrolled: 3-line block ×8, first 2 shown]
	v_pk_max_f16 v10, v31, v31
	v_pk_add_f16 v54, v64, 0
	v_pk_min_f16 v16, v10, v11
	v_pk_add_f16 v46, v62, 0
	v_pk_add_f16 v73, v35, v16
	v_pk_min_f16 v16, v10, v13
	v_pk_add_f16 v47, v63, 0
	v_pk_add_f16 v64, v45, v16
	v_pk_min_f16 v16, v10, v19
	v_pk_min_f16 v10, v10, v21
	v_pk_add_f16 v56, v46, v16
	v_pk_add_f16 v48, v30, v10
	v_pk_max_f16 v10, v33, v33
	v_pk_add_f16 v32, v32, 0
	v_pk_min_f16 v16, v10, v11
	v_pk_add_f16 v3, v3, 0
	v_pk_add_f16 v72, v47, v16
	v_pk_min_f16 v16, v10, v13
	v_pk_add_f16 v12, v12, 0
	v_pk_add_f16 v63, v54, v16
	v_pk_min_f16 v16, v10, v19
	v_pk_min_f16 v10, v10, v21
	v_pk_add_f16 v18, v18, 0
	v_pk_add_f16 v47, v32, v10
	v_pk_max_f16 v10, v15, v15
	v_pk_add_f16 v14, v14, 0
	v_pk_min_f16 v11, v10, v11
	v_pk_add_f16 v9, v9, 0
	v_pk_add_f16 v71, v3, v11
	v_pk_min_f16 v3, v10, v13
	s_mov_b32 s30, 0
	v_pk_add_f16 v62, v12, v3
	v_pk_min_f16 v3, v10, v19
	v_pk_add_f16 v55, v55, v16
	v_pk_add_f16 v54, v18, v3
	v_pk_min_f16 v3, v10, v21
	s_cmp_lt_i32 s22, 9
	v_pk_add_f16 v46, v14, v3
	v_pk_min_f16 v3, v17, v21
	ds_write_b16 v2, v6 offset:2560
	ds_write_b16 v43, v8 offset:1024
	ds_write_b16 v43, v7 offset:1536
	v_pk_add_f16 v45, v9, v3
	s_waitcnt lgkmcnt(0)
	s_barrier
	s_cbranch_scc1 .LBB234_34
; %bb.20:
	v_lshl_add_u64 v[24:25], v[0:1], 1, s[18:19]
	v_mov_b32_e32 v0, 0xa00
	v_lshl_add_u32 v81, v36, 3, v0
	v_add_u32_e32 v0, v41, v36
	v_or_b32_e32 v78, 0x800, v2
	v_add_u32_e32 v79, 0xa00, v2
	v_lshrrev_b32_e32 v2, 6, v0
	v_add_u32_e32 v0, 12, v2
	v_mad_i64_i32 v[0:1], s[2:3], v0, s26, 0
	v_lshlrev_b64 v[30:31], 1, v[0:1]
	v_add_u32_e32 v0, 8, v2
	v_mad_i64_i32 v[0:1], s[2:3], v0, s26, 0
	v_add_u32_e32 v80, 0x400, v43
	s_add_i32 s31, s22, -8
	v_mad_i64_i32 v[26:27], s[2:3], v4, s33, 0
	v_mad_i64_i32 v[28:29], s[2:3], v5, s33, 0
	v_add_u32_e32 v82, 0x400, v41
	s_lshl_b64 s[18:19], s[26:27], 4
	v_lshlrev_b64 v[32:33], 1, v[0:1]
	s_branch .LBB234_22
.LBB234_21:                             ;   in Loop: Header=BB234_22 Depth=1
	s_or_b64 exec, exec, s[2:3]
	v_pk_max_f16 v2, v2, v2
	v_pk_max_f16 v20, v20, v20
	v_pk_max_f16 v22, v22, v22
	v_pk_max_f16 v16, v16, v16
	v_pk_max_f16 v18, v18, v18
	v_pk_max_f16 v4, v4, v4
	v_pk_max_f16 v6, v6, v6
	v_pk_min_f16 v34, v2, v20
	v_pk_min_f16 v35, v2, v22
	v_pk_max_f16 v12, v12, v12
	v_pk_max_f16 v14, v14, v14
	;; [unrolled: 1-line block ×10, first 2 shown]
	v_pk_min_f16 v98, v4, v20
	v_pk_max_f16 v9, v9, v9
	v_pk_max_f16 v11, v11, v11
	v_pk_min_f16 v99, v4, v22
	v_pk_max_f16 v5, v5, v5
	v_pk_max_f16 v7, v7, v7
	v_pk_min_f16 v100, v4, v16
	v_pk_min_f16 v4, v4, v18
	v_pk_max_f16 v0, v0, v0
	v_pk_max_f16 v3, v3, v3
	;; [unrolled: 1-line block ×3, first 2 shown]
	v_pk_min_f16 v101, v6, v20
	v_pk_min_f16 v102, v6, v22
	;; [unrolled: 1-line block ×58, first 2 shown]
	v_pk_add_f16 v1, v69, v34
	v_pk_add_f16 v3, v61, v35
	;; [unrolled: 1-line block ×12, first 2 shown]
	ds_read2_b64 v[0:3], v70 offset0:48 offset1:56
	ds_read2_b64 v[4:7], v41 offset1:32
	v_pk_add_f16 v34, v53, v104
	v_pk_add_f16 v35, v77, v86
	;; [unrolled: 1-line block ×7, first 2 shown]
	s_waitcnt lgkmcnt(1)
	v_pk_max_f16 v2, v2, v2
	s_waitcnt lgkmcnt(0)
	v_pk_max_f16 v4, v4, v4
	v_pk_add_f16 v61, v67, v90
	v_pk_add_f16 v14, v51, v14
	;; [unrolled: 1-line block ×8, first 2 shown]
	ds_read2_b64 v[8:11], v41 offset0:64 offset1:96
	v_pk_min_f16 v12, v2, v4
	v_pk_add_f16 v22, v62, v22
	v_pk_add_f16 v62, v14, v15
	;; [unrolled: 1-line block ×3, first 2 shown]
	ds_read2_b64 v[12:15], v70 offset1:8
	v_pk_max_f16 v6, v6, v6
	v_pk_add_f16 v50, v74, v95
	v_pk_add_f16 v74, v16, v17
	v_pk_min_f16 v16, v2, v6
	s_waitcnt lgkmcnt(1)
	v_pk_max_f16 v8, v8, v8
	v_pk_add_f16 v34, v34, v124
	v_pk_add_f16 v54, v54, v16
	v_pk_min_f16 v16, v2, v8
	s_waitcnt lgkmcnt(0)
	v_pk_max_f16 v12, v12, v12
	v_pk_add_f16 v34, v34, v16
	v_pk_min_f16 v16, v12, v4
	v_pk_add_f16 v51, v75, v92
	v_pk_add_f16 v75, v18, v16
	v_pk_min_f16 v16, v12, v6
	v_pk_add_f16 v52, v76, v89
	v_pk_add_f16 v35, v35, v16
	v_pk_min_f16 v16, v12, v8
	v_pk_max_f16 v14, v14, v14
	v_pk_add_f16 v52, v52, v107
	v_pk_add_f16 v76, v53, v16
	v_pk_min_f16 v16, v14, v4
	v_pk_add_f16 v61, v61, v108
	v_pk_add_f16 v86, v52, v16
	v_pk_min_f16 v16, v14, v6
	v_pk_add_f16 v45, v45, v19
	v_pk_add_f16 v87, v61, v16
	ds_read2_b64 v[16:19], v70 offset0:16 offset1:24
	v_pk_add_f16 v59, v59, v91
	v_pk_add_f16 v48, v72, v101
	;; [unrolled: 1-line block ×4, first 2 shown]
	v_pk_max_f16 v10, v10, v10
	v_pk_min_f16 v20, v14, v8
	s_waitcnt lgkmcnt(0)
	v_pk_max_f16 v16, v16, v16
	v_pk_add_f16 v66, v66, v93
	v_pk_add_f16 v51, v51, v110
	;; [unrolled: 1-line block ×3, first 2 shown]
	v_pk_min_f16 v14, v14, v10
	v_pk_min_f16 v20, v16, v4
	v_pk_add_f16 v58, v58, v94
	v_pk_add_f16 v66, v66, v111
	;; [unrolled: 1-line block ×4, first 2 shown]
	v_pk_min_f16 v20, v16, v6
	v_pk_add_f16 v58, v58, v112
	v_pk_add_f16 v66, v66, v20
	v_pk_min_f16 v20, v16, v8
	v_pk_max_f16 v18, v18, v18
	v_pk_add_f16 v65, v65, v96
	v_pk_add_f16 v50, v50, v113
	;; [unrolled: 1-line block ×3, first 2 shown]
	v_pk_min_f16 v20, v18, v4
	v_pk_add_f16 v65, v65, v114
	v_pk_add_f16 v88, v50, v20
	v_pk_min_f16 v20, v18, v6
	v_pk_add_f16 v49, v73, v98
	v_pk_add_f16 v73, v22, v23
	;; [unrolled: 1-line block ×3, first 2 shown]
	ds_read2_b64 v[20:23], v70 offset0:32 offset1:40
	v_pk_add_f16 v57, v57, v97
	v_pk_min_f16 v50, v18, v8
	v_pk_add_f16 v57, v57, v115
	v_pk_add_f16 v64, v64, v99
	s_waitcnt lgkmcnt(0)
	v_pk_max_f16 v20, v20, v20
	v_pk_add_f16 v49, v49, v116
	v_pk_add_f16 v57, v57, v50
	v_pk_min_f16 v50, v20, v4
	v_pk_add_f16 v56, v56, v100
	v_pk_add_f16 v64, v64, v117
	;; [unrolled: 1-line block ×3, first 2 shown]
	v_pk_min_f16 v49, v20, v6
	v_pk_add_f16 v56, v56, v118
	v_pk_add_f16 v64, v64, v49
	v_pk_min_f16 v49, v20, v8
	v_pk_max_f16 v22, v22, v22
	v_pk_add_f16 v63, v63, v102
	v_pk_add_f16 v48, v48, v119
	;; [unrolled: 1-line block ×3, first 2 shown]
	v_pk_min_f16 v49, v22, v4
	v_pk_add_f16 v63, v63, v120
	v_pk_add_f16 v90, v48, v49
	v_pk_min_f16 v48, v22, v6
	v_pk_max_f16 v0, v0, v0
	v_pk_max_f16 v3, v3, v3
	;; [unrolled: 1-line block ×3, first 2 shown]
	v_pk_min_f16 v12, v12, v10
	v_pk_min_f16 v16, v16, v10
	;; [unrolled: 1-line block ×4, first 2 shown]
	v_pk_add_f16 v63, v63, v48
	v_pk_min_f16 v48, v22, v8
	v_pk_min_f16 v22, v22, v10
	;; [unrolled: 1-line block ×8, first 2 shown]
	v_pk_max_f16 v7, v7, v7
	v_pk_add_f16 v20, v69, v20
	v_pk_add_f16 v69, v47, v10
	v_pk_min_f16 v10, v3, v7
	v_pk_max_f16 v9, v9, v9
	v_pk_add_f16 v61, v54, v10
	v_pk_min_f16 v10, v3, v9
	v_pk_max_f16 v11, v11, v11
	v_pk_add_f16 v53, v34, v10
	v_pk_max_f16 v10, v13, v13
	v_pk_add_f16 v12, v60, v12
	v_pk_min_f16 v13, v10, v5
	v_pk_add_f16 v18, v68, v18
	v_pk_add_f16 v77, v75, v13
	v_pk_min_f16 v13, v10, v7
	v_pk_add_f16 v16, v67, v16
	v_pk_add_f16 v68, v35, v13
	v_pk_min_f16 v13, v10, v9
	v_pk_min_f16 v10, v10, v11
	v_pk_add_f16 v60, v76, v13
	v_pk_add_f16 v52, v12, v10
	v_pk_max_f16 v10, v15, v15
	v_pk_add_f16 v8, v74, v8
	v_pk_min_f16 v12, v10, v5
	v_pk_add_f16 v55, v55, v103
	v_pk_add_f16 v76, v86, v12
	v_pk_min_f16 v12, v10, v7
	v_pk_add_f16 v6, v73, v6
	v_pk_add_f16 v67, v87, v12
	v_pk_min_f16 v12, v10, v9
	v_pk_min_f16 v10, v10, v11
	v_pk_add_f16 v59, v59, v12
	v_pk_add_f16 v51, v14, v10
	v_pk_max_f16 v10, v17, v17
	v_pk_add_f16 v55, v55, v121
	v_pk_min_f16 v12, v10, v5
	v_pk_add_f16 v55, v55, v48
	v_pk_add_f16 v75, v62, v12
	v_pk_min_f16 v12, v10, v7
	v_pk_max_f16 v1, v1, v1
	v_pk_add_f16 v66, v66, v12
	v_pk_min_f16 v12, v10, v9
	v_pk_min_f16 v10, v10, v11
	v_pk_add_f16 v58, v58, v12
	v_pk_add_f16 v50, v16, v10
	v_pk_max_f16 v10, v19, v19
	v_pk_add_f16 v4, v72, v4
	v_pk_min_f16 v12, v10, v5
	v_pk_add_f16 v46, v46, v125
	v_pk_add_f16 v74, v88, v12
	v_pk_min_f16 v12, v10, v7
	v_pk_add_f16 v22, v71, v22
	v_pk_add_f16 v65, v65, v12
	v_pk_min_f16 v12, v10, v9
	v_pk_min_f16 v10, v10, v11
	v_pk_add_f16 v57, v57, v12
	v_pk_add_f16 v49, v18, v10
	v_pk_max_f16 v10, v21, v21
	v_pk_add_f16 v0, v46, v0
	v_pk_min_f16 v12, v10, v5
	v_pk_add_f16 v2, v45, v2
	v_pk_add_f16 v73, v89, v12
	v_pk_min_f16 v12, v10, v7
	s_add_i32 s30, s30, 8
	v_pk_add_f16 v64, v64, v12
	v_pk_min_f16 v12, v10, v9
	v_pk_min_f16 v10, v10, v11
	v_pk_add_f16 v56, v56, v12
	v_pk_add_f16 v48, v20, v10
	v_pk_max_f16 v10, v23, v23
	s_cmp_ge_i32 s30, s31
	v_pk_min_f16 v12, v10, v5
	v_pk_min_f16 v5, v1, v5
	v_pk_add_f16 v72, v90, v12
	v_pk_add_f16 v71, v4, v5
	v_pk_min_f16 v4, v1, v7
	v_pk_min_f16 v12, v10, v7
	v_pk_add_f16 v62, v6, v4
	v_pk_min_f16 v4, v1, v9
	v_pk_min_f16 v1, v1, v11
	;; [unrolled: 3-line block ×3, first 2 shown]
	v_pk_add_f16 v46, v0, v1
	v_pk_min_f16 v0, v3, v11
	v_pk_add_f16 v55, v55, v12
	v_pk_add_f16 v47, v22, v10
	;; [unrolled: 1-line block ×4, first 2 shown]
	v_lshl_add_u64 v[24:25], v[24:25], 0, s[18:19]
	ds_write_b16 v79, v83
	ds_write_b16 v80, v85
	ds_write_b16 v80, v84 offset:512
	s_waitcnt lgkmcnt(0)
	s_barrier
	s_cbranch_scc1 .LBB234_34
.LBB234_22:                             ; =>This Inner Loop Header: Depth=1
	v_add_u32_e32 v34, s30, v39
	v_add_u32_e32 v0, 8, v34
	v_cmp_gt_i32_e64 s[2:3], s22, v0
	s_and_b64 s[2:3], vcc, s[2:3]
	s_and_b64 s[6:7], s[4:5], s[2:3]
	v_mov_b32_e32 v84, 0
	v_mov_b32_e32 v85, 0
	s_and_saveexec_b64 s[2:3], s[6:7]
	s_cbranch_execz .LBB234_24
; %bb.23:                               ;   in Loop: Header=BB234_22 Depth=1
	v_lshl_add_u64 v[0:1], v[24:25], 0, v[32:33]
	flat_load_ushort v0, v[0:1]
	s_waitcnt vmcnt(0) lgkmcnt(0)
	v_mul_f16_e32 v85, v38, v0
.LBB234_24:                             ;   in Loop: Header=BB234_22 Depth=1
	s_or_b64 exec, exec, s[2:3]
	v_add_u32_e32 v35, s30, v40
	v_add_u32_e32 v0, 8, v35
	v_cmp_le_i32_e64 s[6:7], s22, v0
	v_min_i32_e32 v0, s23, v0
	v_ashrrev_i32_e32 v1, 31, v0
	v_lshl_add_u64 v[0:1], v[0:1], 1, s[10:11]
	s_nor_b64 s[26:27], s[14:15], s[6:7]
	s_and_saveexec_b64 s[2:3], s[26:27]
	s_cbranch_execz .LBB234_26
; %bb.25:                               ;   in Loop: Header=BB234_22 Depth=1
	v_lshl_add_u64 v[2:3], v[26:27], 1, v[0:1]
	flat_load_ushort v2, v[2:3]
	s_waitcnt vmcnt(0) lgkmcnt(0)
	v_mul_f16_e32 v84, v38, v2
.LBB234_26:                             ;   in Loop: Header=BB234_22 Depth=1
	s_or_b64 exec, exec, s[2:3]
	s_nor_b64 s[6:7], s[16:17], s[6:7]
	v_mov_b32_e32 v83, 0
	v_mov_b32_e32 v86, 0
	s_and_saveexec_b64 s[2:3], s[6:7]
	s_cbranch_execz .LBB234_28
; %bb.27:                               ;   in Loop: Header=BB234_22 Depth=1
	v_lshl_add_u64 v[0:1], v[28:29], 1, v[0:1]
	flat_load_ushort v0, v[0:1]
	s_waitcnt vmcnt(0) lgkmcnt(0)
	v_mul_f16_e32 v86, v38, v0
.LBB234_28:                             ;   in Loop: Header=BB234_22 Depth=1
	s_or_b64 exec, exec, s[2:3]
	ds_read2_b64 v[0:3], v81 offset0:48 offset1:56
	ds_read2_b64 v[16:19], v82 offset0:64 offset1:96
	ds_read2_b64 v[20:23], v82 offset1:32
	ds_read2_b64 v[12:15], v81 offset1:8
	ds_read2_b64 v[8:11], v81 offset0:16 offset1:24
	ds_read2_b64 v[4:7], v81 offset0:32 offset1:40
	v_add_u32_e32 v34, 12, v34
	v_cmp_gt_i32_e64 s[2:3], s22, v34
	s_and_b64 s[2:3], vcc, s[2:3]
	s_and_b64 s[2:3], s[4:5], s[2:3]
	ds_write_b16 v78, v85
	ds_write_b16 v43, v84
	ds_write_b16 v43, v86 offset:512
	s_waitcnt lgkmcnt(0)
	s_barrier
	s_and_saveexec_b64 s[6:7], s[2:3]
	s_xor_b64 s[2:3], exec, s[6:7]
	s_cbranch_execz .LBB234_30
; %bb.29:                               ;   in Loop: Header=BB234_22 Depth=1
	v_lshl_add_u64 v[84:85], v[24:25], 0, v[30:31]
	flat_load_ushort v34, v[84:85]
	s_waitcnt vmcnt(0) lgkmcnt(0)
	v_mul_f16_e32 v83, v38, v34
.LBB234_30:                             ;   in Loop: Header=BB234_22 Depth=1
	s_or_b64 exec, exec, s[2:3]
	v_add_u32_e32 v34, 12, v35
	v_cmp_le_i32_e64 s[6:7], s22, v34
	v_min_i32_e32 v34, s23, v34
	v_ashrrev_i32_e32 v35, 31, v34
	v_lshl_add_u64 v[34:35], v[34:35], 1, s[10:11]
	s_nor_b64 s[26:27], s[14:15], s[6:7]
	v_mov_b32_e32 v84, 0
	v_mov_b32_e32 v85, 0
	s_and_saveexec_b64 s[2:3], s[26:27]
	s_cbranch_execz .LBB234_32
; %bb.31:                               ;   in Loop: Header=BB234_22 Depth=1
	v_lshl_add_u64 v[86:87], v[26:27], 1, v[34:35]
	flat_load_ushort v85, v[86:87]
	s_waitcnt vmcnt(0) lgkmcnt(0)
	v_mul_f16_e32 v85, v38, v85
.LBB234_32:                             ;   in Loop: Header=BB234_22 Depth=1
	s_or_b64 exec, exec, s[2:3]
	s_nor_b64 s[6:7], s[16:17], s[6:7]
	s_and_saveexec_b64 s[2:3], s[6:7]
	s_cbranch_execz .LBB234_21
; %bb.33:                               ;   in Loop: Header=BB234_22 Depth=1
	v_lshl_add_u64 v[34:35], v[28:29], 1, v[34:35]
	flat_load_ushort v34, v[34:35]
	s_waitcnt vmcnt(0) lgkmcnt(0)
	v_mul_f16_e32 v84, v38, v34
	s_branch .LBB234_21
.LBB234_34:
	s_load_dwordx2 s[2:3], s[0:1], 0x78
	s_load_dword s31, s[0:1], 0x58
	s_load_dword s30, s[0:1], 0x70
	v_add_u32_e32 v8, 0x800, v42
	ds_read2_b64 v[0:3], v8 offset0:112 offset1:120
	ds_read2_b64 v[4:7], v41 offset0:192 offset1:224
	;; [unrolled: 1-line block ×6, first 2 shown]
	s_waitcnt lgkmcnt(0)
	s_lshl_b64 s[0:1], s[2:3], 1
	s_add_u32 s22, s12, s0
	v_add_u32_e32 v70, s29, v37
	s_addc_u32 s23, s13, s1
	v_mad_i64_i32 v[26:27], s[0:1], v70, s31, 0
	v_add_u32_e32 v24, s28, v36
	v_lshl_add_u64 v[42:43], v[26:27], 1, s[24:25]
	v_mad_i64_i32 v[26:27], s[0:1], v70, s30, 0
	v_cmp_gt_i32_e64 s[18:19], s21, v70
	v_lshl_add_u64 v[40:41], v[26:27], 1, s[22:23]
	v_cmp_gt_i32_e64 s[4:5], s20, v24
	v_cndmask_b32_e64 v26, 0, 1, s[8:9]
	s_and_b64 s[2:3], s[4:5], s[18:19]
	v_ashrrev_i32_e32 v25, 31, v24
	v_cmp_ne_u32_e64 s[0:1], 1, v26
	s_and_saveexec_b64 s[6:7], s[2:3]
	s_xor_b64 s[2:3], exec, s[6:7]
	s_cbranch_execz .LBB234_39
; %bb.35:
	s_and_b64 vcc, exec, s[0:1]
	s_cbranch_vccnz .LBB234_37
; %bb.36:
	v_lshl_add_u64 v[26:27], v[24:25], 1, v[42:43]
	flat_load_ushort v26, v[26:27]
	s_waitcnt vmcnt(0) lgkmcnt(0)
	v_mul_f16_e32 v26, v44, v26
	s_branch .LBB234_38
.LBB234_37:
	v_mov_b32_e32 v26, 0
.LBB234_38:
	v_pk_max_f16 v27, v20, v20
	v_pk_max_f16 v28, v16, v16
	v_pk_max_f16 v29, v17, v17
	v_pk_min_f16 v27, v28, v27
	v_pk_max_f16 v28, v21, v21
	v_pk_add_f16 v27, v77, v27
	v_pk_min_f16 v28, v29, v28
	s_nop 0
	v_pk_add_f16 v27, v27, v28
	s_nop 0
	v_add_f16_sdwa v27, v27, v27 dst_sel:DWORD dst_unused:UNUSED_PAD src0_sel:DWORD src1_sel:WORD_1
	v_add_f16_e32 v28, v27, v26
	v_lshl_add_u64 v[26:27], v[24:25], 1, v[40:41]
	flat_store_short v[26:27], v28
.LBB234_39:
	s_or_b64 exec, exec, s[2:3]
	v_add_u32_e32 v26, 8, v24
	v_cmp_gt_i32_e64 s[2:3], s20, v26
	s_and_b64 s[8:9], s[2:3], s[18:19]
	v_ashrrev_i32_e32 v27, 31, v26
	s_and_saveexec_b64 s[6:7], s[8:9]
	s_cbranch_execz .LBB234_44
; %bb.40:
	s_and_b64 vcc, exec, s[0:1]
	s_cbranch_vccnz .LBB234_42
; %bb.41:
	v_lshl_add_u64 v[28:29], v[26:27], 1, v[42:43]
	flat_load_ushort v28, v[28:29]
	s_waitcnt vmcnt(0) lgkmcnt(0)
	v_mul_f16_e32 v28, v44, v28
	s_branch .LBB234_43
.LBB234_42:
	v_mov_b32_e32 v28, 0
.LBB234_43:
	v_pk_max_f16 v29, v20, v20
	v_pk_max_f16 v30, v18, v18
	v_pk_max_f16 v31, v19, v19
	v_pk_min_f16 v29, v30, v29
	v_pk_max_f16 v30, v21, v21
	v_pk_add_f16 v29, v76, v29
	v_pk_min_f16 v30, v31, v30
	s_nop 0
	v_pk_add_f16 v29, v29, v30
	s_nop 0
	v_add_f16_sdwa v29, v29, v29 dst_sel:DWORD dst_unused:UNUSED_PAD src0_sel:DWORD src1_sel:WORD_1
	v_add_f16_e32 v30, v29, v28
	v_lshl_add_u64 v[28:29], v[26:27], 1, v[40:41]
	flat_store_short v[28:29], v30
.LBB234_44:
	s_or_b64 exec, exec, s[6:7]
	v_add_u32_e32 v28, 16, v24
	v_cmp_gt_i32_e64 s[6:7], s20, v28
	s_and_b64 s[10:11], s[6:7], s[18:19]
	v_ashrrev_i32_e32 v29, 31, v28
	s_and_saveexec_b64 s[8:9], s[10:11]
	;; [unrolled: 34-line block ×6, first 2 shown]
	s_cbranch_execz .LBB234_69
; %bb.65:
	s_and_b64 vcc, exec, s[0:1]
	s_cbranch_vccnz .LBB234_67
; %bb.66:
	v_lshl_add_u64 v[38:39], v[36:37], 1, v[42:43]
	flat_load_ushort v38, v[38:39]
	s_waitcnt vmcnt(0) lgkmcnt(0)
	v_mul_f16_e32 v38, v44, v38
	s_branch .LBB234_68
.LBB234_67:
	v_mov_b32_e32 v38, 0
.LBB234_68:
	v_pk_max_f16 v39, v20, v20
	v_pk_max_f16 v72, v0, v0
	s_nop 0
	v_pk_min_f16 v39, v72, v39
	v_pk_max_f16 v72, v1, v1
	v_pk_add_f16 v39, v71, v39
	v_pk_max_f16 v71, v21, v21
	s_nop 0
	v_pk_min_f16 v71, v72, v71
	s_nop 0
	v_pk_add_f16 v39, v39, v71
	s_nop 0
	v_add_f16_sdwa v39, v39, v39 dst_sel:DWORD dst_unused:UNUSED_PAD src0_sel:DWORD src1_sel:WORD_1
	v_add_f16_e32 v71, v39, v38
	v_lshl_add_u64 v[38:39], v[36:37], 1, v[40:41]
	flat_store_short v[38:39], v71
.LBB234_69:
	s_or_b64 exec, exec, s[16:17]
	v_add_u32_e32 v38, 56, v24
	v_cmp_gt_i32_e64 s[16:17], s20, v38
	s_and_b64 s[26:27], s[16:17], s[18:19]
	v_ashrrev_i32_e32 v39, 31, v38
	s_and_saveexec_b64 s[18:19], s[26:27]
	s_cbranch_execz .LBB234_74
; %bb.70:
	s_and_b64 vcc, exec, s[0:1]
	s_cbranch_vccnz .LBB234_72
; %bb.71:
	v_lshl_add_u64 v[42:43], v[38:39], 1, v[42:43]
	flat_load_ushort v42, v[42:43]
	s_waitcnt vmcnt(0) lgkmcnt(0)
	v_mul_f16_e32 v42, v44, v42
	s_branch .LBB234_73
.LBB234_72:
	v_mov_b32_e32 v42, 0
.LBB234_73:
	v_pk_max_f16 v20, v20, v20
	v_pk_max_f16 v43, v2, v2
	v_pk_max_f16 v21, v21, v21
	v_pk_min_f16 v20, v43, v20
	v_pk_max_f16 v43, v3, v3
	v_pk_add_f16 v20, v69, v20
	v_pk_min_f16 v21, v43, v21
	s_nop 0
	v_pk_add_f16 v20, v20, v21
	s_nop 0
	v_add_f16_sdwa v20, v20, v20 dst_sel:DWORD dst_unused:UNUSED_PAD src0_sel:DWORD src1_sel:WORD_1
	v_add_f16_e32 v42, v20, v42
	v_lshl_add_u64 v[20:21], v[38:39], 1, v[40:41]
	flat_store_short v[20:21], v42
.LBB234_74:
	s_or_b64 exec, exec, s[18:19]
	v_add_u32_e32 v42, 32, v70
	v_mad_i64_i32 v[20:21], s[26:27], v42, s31, 0
	v_cmp_gt_i32_e64 s[18:19], s21, v42
	v_lshl_add_u64 v[40:41], v[20:21], 1, s[24:25]
	v_mad_i64_i32 v[20:21], s[26:27], v42, s30, 0
	v_lshl_add_u64 v[20:21], v[20:21], 1, s[22:23]
	s_and_b64 s[28:29], s[4:5], s[18:19]
	s_and_saveexec_b64 s[26:27], s[28:29]
	s_cbranch_execnz .LBB234_82
; %bb.75:
	s_or_b64 exec, exec, s[26:27]
	s_and_b64 s[28:29], s[2:3], s[18:19]
	s_and_saveexec_b64 s[26:27], s[28:29]
	s_cbranch_execnz .LBB234_86
.LBB234_76:
	s_or_b64 exec, exec, s[26:27]
	s_and_b64 s[28:29], s[6:7], s[18:19]
	s_and_saveexec_b64 s[26:27], s[28:29]
	s_cbranch_execnz .LBB234_90
.LBB234_77:
	s_or_b64 exec, exec, s[26:27]
	s_and_b64 s[28:29], s[8:9], s[18:19]
	s_and_saveexec_b64 s[26:27], s[28:29]
	s_cbranch_execnz .LBB234_94
.LBB234_78:
	s_or_b64 exec, exec, s[26:27]
	s_and_b64 s[28:29], s[10:11], s[18:19]
	s_and_saveexec_b64 s[26:27], s[28:29]
	s_cbranch_execnz .LBB234_98
.LBB234_79:
	s_or_b64 exec, exec, s[26:27]
	s_and_b64 s[28:29], s[12:13], s[18:19]
	s_and_saveexec_b64 s[26:27], s[28:29]
	s_cbranch_execnz .LBB234_102
.LBB234_80:
	s_or_b64 exec, exec, s[26:27]
	s_and_b64 s[28:29], s[14:15], s[18:19]
	s_and_saveexec_b64 s[26:27], s[28:29]
	s_cbranch_execnz .LBB234_106
.LBB234_81:
	s_or_b64 exec, exec, s[26:27]
	s_and_b64 s[26:27], s[16:17], s[18:19]
	s_and_saveexec_b64 s[18:19], s[26:27]
	s_cbranch_execnz .LBB234_110
	s_branch .LBB234_114
.LBB234_82:
	s_and_b64 vcc, exec, s[0:1]
	s_cbranch_vccnz .LBB234_84
; %bb.83:
	v_lshl_add_u64 v[42:43], v[24:25], 1, v[40:41]
	flat_load_ushort v42, v[42:43]
	s_waitcnt vmcnt(0) lgkmcnt(0)
	v_mul_f16_e32 v42, v44, v42
	s_branch .LBB234_85
.LBB234_84:
	v_mov_b32_e32 v42, 0
.LBB234_85:
	v_pk_max_f16 v43, v22, v22
	v_pk_max_f16 v69, v16, v16
	s_nop 0
	v_pk_min_f16 v43, v69, v43
	v_pk_max_f16 v69, v17, v17
	v_pk_add_f16 v43, v68, v43
	v_pk_max_f16 v68, v23, v23
	s_nop 0
	v_pk_min_f16 v68, v69, v68
	s_nop 0
	v_pk_add_f16 v43, v43, v68
	s_nop 0
	v_add_f16_sdwa v43, v43, v43 dst_sel:DWORD dst_unused:UNUSED_PAD src0_sel:DWORD src1_sel:WORD_1
	v_add_f16_e32 v68, v43, v42
	v_lshl_add_u64 v[42:43], v[24:25], 1, v[20:21]
	flat_store_short v[42:43], v68
	s_or_b64 exec, exec, s[26:27]
	s_and_b64 s[28:29], s[2:3], s[18:19]
	s_and_saveexec_b64 s[26:27], s[28:29]
	s_cbranch_execz .LBB234_76
.LBB234_86:
	s_and_b64 vcc, exec, s[0:1]
	s_cbranch_vccnz .LBB234_88
; %bb.87:
	v_lshl_add_u64 v[42:43], v[26:27], 1, v[40:41]
	flat_load_ushort v42, v[42:43]
	s_waitcnt vmcnt(0) lgkmcnt(0)
	v_mul_f16_e32 v42, v44, v42
	s_branch .LBB234_89
.LBB234_88:
	v_mov_b32_e32 v42, 0
.LBB234_89:
	v_pk_max_f16 v43, v22, v22
	v_pk_max_f16 v68, v18, v18
	s_nop 0
	v_pk_min_f16 v43, v68, v43
	v_pk_max_f16 v68, v19, v19
	v_pk_add_f16 v43, v67, v43
	v_pk_max_f16 v67, v23, v23
	s_nop 0
	v_pk_min_f16 v67, v68, v67
	s_nop 0
	v_pk_add_f16 v43, v43, v67
	s_nop 0
	v_add_f16_sdwa v43, v43, v43 dst_sel:DWORD dst_unused:UNUSED_PAD src0_sel:DWORD src1_sel:WORD_1
	v_add_f16_e32 v67, v43, v42
	v_lshl_add_u64 v[42:43], v[26:27], 1, v[20:21]
	flat_store_short v[42:43], v67
	s_or_b64 exec, exec, s[26:27]
	s_and_b64 s[28:29], s[6:7], s[18:19]
	s_and_saveexec_b64 s[26:27], s[28:29]
	s_cbranch_execz .LBB234_77
.LBB234_90:
	s_and_b64 vcc, exec, s[0:1]
	s_cbranch_vccnz .LBB234_92
; %bb.91:
	v_lshl_add_u64 v[42:43], v[28:29], 1, v[40:41]
	flat_load_ushort v42, v[42:43]
	s_waitcnt vmcnt(0) lgkmcnt(0)
	v_mul_f16_e32 v42, v44, v42
	s_branch .LBB234_93
.LBB234_92:
	v_mov_b32_e32 v42, 0
.LBB234_93:
	v_pk_max_f16 v43, v22, v22
	v_pk_max_f16 v67, v12, v12
	s_nop 0
	v_pk_min_f16 v43, v67, v43
	v_pk_max_f16 v67, v13, v13
	v_pk_add_f16 v43, v66, v43
	v_pk_max_f16 v66, v23, v23
	s_nop 0
	v_pk_min_f16 v66, v67, v66
	s_nop 0
	v_pk_add_f16 v43, v43, v66
	s_nop 0
	v_add_f16_sdwa v43, v43, v43 dst_sel:DWORD dst_unused:UNUSED_PAD src0_sel:DWORD src1_sel:WORD_1
	v_add_f16_e32 v66, v43, v42
	v_lshl_add_u64 v[42:43], v[28:29], 1, v[20:21]
	flat_store_short v[42:43], v66
	s_or_b64 exec, exec, s[26:27]
	s_and_b64 s[28:29], s[8:9], s[18:19]
	s_and_saveexec_b64 s[26:27], s[28:29]
	s_cbranch_execz .LBB234_78
.LBB234_94:
	s_and_b64 vcc, exec, s[0:1]
	s_cbranch_vccnz .LBB234_96
; %bb.95:
	v_lshl_add_u64 v[42:43], v[30:31], 1, v[40:41]
	flat_load_ushort v42, v[42:43]
	s_waitcnt vmcnt(0) lgkmcnt(0)
	v_mul_f16_e32 v42, v44, v42
	s_branch .LBB234_97
.LBB234_96:
	v_mov_b32_e32 v42, 0
.LBB234_97:
	v_pk_max_f16 v43, v22, v22
	v_pk_max_f16 v66, v14, v14
	s_nop 0
	v_pk_min_f16 v43, v66, v43
	v_pk_max_f16 v66, v15, v15
	v_pk_add_f16 v43, v65, v43
	v_pk_max_f16 v65, v23, v23
	s_nop 0
	v_pk_min_f16 v65, v66, v65
	s_nop 0
	v_pk_add_f16 v43, v43, v65
	s_nop 0
	v_add_f16_sdwa v43, v43, v43 dst_sel:DWORD dst_unused:UNUSED_PAD src0_sel:DWORD src1_sel:WORD_1
	v_add_f16_e32 v65, v43, v42
	v_lshl_add_u64 v[42:43], v[30:31], 1, v[20:21]
	flat_store_short v[42:43], v65
	s_or_b64 exec, exec, s[26:27]
	s_and_b64 s[28:29], s[10:11], s[18:19]
	s_and_saveexec_b64 s[26:27], s[28:29]
	s_cbranch_execz .LBB234_79
.LBB234_98:
	s_and_b64 vcc, exec, s[0:1]
	s_cbranch_vccnz .LBB234_100
; %bb.99:
	v_lshl_add_u64 v[42:43], v[32:33], 1, v[40:41]
	flat_load_ushort v42, v[42:43]
	s_waitcnt vmcnt(0) lgkmcnt(0)
	v_mul_f16_e32 v42, v44, v42
	s_branch .LBB234_101
.LBB234_100:
	v_mov_b32_e32 v42, 0
.LBB234_101:
	v_pk_max_f16 v43, v22, v22
	v_pk_max_f16 v65, v8, v8
	s_nop 0
	v_pk_min_f16 v43, v65, v43
	v_pk_max_f16 v65, v9, v9
	v_pk_add_f16 v43, v64, v43
	v_pk_max_f16 v64, v23, v23
	s_nop 0
	v_pk_min_f16 v64, v65, v64
	s_nop 0
	v_pk_add_f16 v43, v43, v64
	s_nop 0
	v_add_f16_sdwa v43, v43, v43 dst_sel:DWORD dst_unused:UNUSED_PAD src0_sel:DWORD src1_sel:WORD_1
	v_add_f16_e32 v64, v43, v42
	v_lshl_add_u64 v[42:43], v[32:33], 1, v[20:21]
	flat_store_short v[42:43], v64
	s_or_b64 exec, exec, s[26:27]
	s_and_b64 s[28:29], s[12:13], s[18:19]
	s_and_saveexec_b64 s[26:27], s[28:29]
	s_cbranch_execz .LBB234_80
.LBB234_102:
	s_and_b64 vcc, exec, s[0:1]
	s_cbranch_vccnz .LBB234_104
; %bb.103:
	v_lshl_add_u64 v[42:43], v[34:35], 1, v[40:41]
	flat_load_ushort v42, v[42:43]
	s_waitcnt vmcnt(0) lgkmcnt(0)
	v_mul_f16_e32 v42, v44, v42
	s_branch .LBB234_105
.LBB234_104:
	v_mov_b32_e32 v42, 0
.LBB234_105:
	v_pk_max_f16 v43, v22, v22
	v_pk_max_f16 v64, v10, v10
	s_nop 0
	v_pk_min_f16 v43, v64, v43
	v_pk_max_f16 v64, v11, v11
	v_pk_add_f16 v43, v63, v43
	v_pk_max_f16 v63, v23, v23
	s_nop 0
	v_pk_min_f16 v63, v64, v63
	s_nop 0
	v_pk_add_f16 v43, v43, v63
	s_nop 0
	v_add_f16_sdwa v43, v43, v43 dst_sel:DWORD dst_unused:UNUSED_PAD src0_sel:DWORD src1_sel:WORD_1
	v_add_f16_e32 v63, v43, v42
	v_lshl_add_u64 v[42:43], v[34:35], 1, v[20:21]
	flat_store_short v[42:43], v63
	s_or_b64 exec, exec, s[26:27]
	s_and_b64 s[28:29], s[14:15], s[18:19]
	s_and_saveexec_b64 s[26:27], s[28:29]
	s_cbranch_execz .LBB234_81
.LBB234_106:
	s_and_b64 vcc, exec, s[0:1]
	s_cbranch_vccnz .LBB234_108
; %bb.107:
	v_lshl_add_u64 v[42:43], v[36:37], 1, v[40:41]
	flat_load_ushort v42, v[42:43]
	s_waitcnt vmcnt(0) lgkmcnt(0)
	v_mul_f16_e32 v42, v44, v42
	s_branch .LBB234_109
.LBB234_108:
	v_mov_b32_e32 v42, 0
.LBB234_109:
	v_pk_max_f16 v43, v22, v22
	v_pk_max_f16 v63, v0, v0
	s_nop 0
	v_pk_min_f16 v43, v63, v43
	v_pk_max_f16 v63, v1, v1
	v_pk_add_f16 v43, v62, v43
	v_pk_max_f16 v62, v23, v23
	s_nop 0
	v_pk_min_f16 v62, v63, v62
	s_nop 0
	v_pk_add_f16 v43, v43, v62
	s_nop 0
	v_add_f16_sdwa v43, v43, v43 dst_sel:DWORD dst_unused:UNUSED_PAD src0_sel:DWORD src1_sel:WORD_1
	v_add_f16_e32 v62, v43, v42
	v_lshl_add_u64 v[42:43], v[36:37], 1, v[20:21]
	flat_store_short v[42:43], v62
	s_or_b64 exec, exec, s[26:27]
	s_and_b64 s[26:27], s[16:17], s[18:19]
	s_and_saveexec_b64 s[18:19], s[26:27]
	s_cbranch_execz .LBB234_114
.LBB234_110:
	s_and_b64 vcc, exec, s[0:1]
	s_cbranch_vccnz .LBB234_112
; %bb.111:
	v_lshl_add_u64 v[40:41], v[38:39], 1, v[40:41]
	flat_load_ushort v40, v[40:41]
	s_waitcnt vmcnt(0) lgkmcnt(0)
	v_mul_f16_e32 v40, v44, v40
	s_branch .LBB234_113
.LBB234_112:
	v_mov_b32_e32 v40, 0
.LBB234_113:
	v_pk_max_f16 v22, v22, v22
	v_pk_max_f16 v41, v2, v2
	;; [unrolled: 1-line block ×3, first 2 shown]
	v_pk_min_f16 v22, v41, v22
	v_pk_max_f16 v41, v3, v3
	v_pk_add_f16 v22, v61, v22
	v_pk_min_f16 v23, v41, v23
	v_lshl_add_u64 v[20:21], v[38:39], 1, v[20:21]
	v_pk_add_f16 v22, v22, v23
	s_nop 0
	v_add_f16_sdwa v22, v22, v22 dst_sel:DWORD dst_unused:UNUSED_PAD src0_sel:DWORD src1_sel:WORD_1
	v_add_f16_e32 v22, v22, v40
	flat_store_short v[20:21], v22
.LBB234_114:
	s_or_b64 exec, exec, s[18:19]
	v_add_u32_e32 v40, 64, v70
	v_mad_i64_i32 v[20:21], s[26:27], v40, s31, 0
	v_cmp_gt_i32_e64 s[18:19], s21, v40
	v_lshl_add_u64 v[22:23], v[20:21], 1, s[24:25]
	v_mad_i64_i32 v[20:21], s[26:27], v40, s30, 0
	v_lshl_add_u64 v[20:21], v[20:21], 1, s[22:23]
	s_and_b64 s[28:29], s[4:5], s[18:19]
	s_and_saveexec_b64 s[26:27], s[28:29]
	s_cbranch_execnz .LBB234_122
; %bb.115:
	s_or_b64 exec, exec, s[26:27]
	s_and_b64 s[28:29], s[2:3], s[18:19]
	s_and_saveexec_b64 s[26:27], s[28:29]
	s_cbranch_execnz .LBB234_126
.LBB234_116:
	s_or_b64 exec, exec, s[26:27]
	s_and_b64 s[28:29], s[6:7], s[18:19]
	s_and_saveexec_b64 s[26:27], s[28:29]
	s_cbranch_execnz .LBB234_130
.LBB234_117:
	s_or_b64 exec, exec, s[26:27]
	s_and_b64 s[28:29], s[8:9], s[18:19]
	s_and_saveexec_b64 s[26:27], s[28:29]
	s_cbranch_execnz .LBB234_134
.LBB234_118:
	s_or_b64 exec, exec, s[26:27]
	s_and_b64 s[28:29], s[10:11], s[18:19]
	s_and_saveexec_b64 s[26:27], s[28:29]
	s_cbranch_execnz .LBB234_138
.LBB234_119:
	s_or_b64 exec, exec, s[26:27]
	s_and_b64 s[28:29], s[12:13], s[18:19]
	s_and_saveexec_b64 s[26:27], s[28:29]
	s_cbranch_execnz .LBB234_142
.LBB234_120:
	s_or_b64 exec, exec, s[26:27]
	s_and_b64 s[28:29], s[14:15], s[18:19]
	s_and_saveexec_b64 s[26:27], s[28:29]
	s_cbranch_execnz .LBB234_146
.LBB234_121:
	s_or_b64 exec, exec, s[26:27]
	s_and_b64 s[26:27], s[16:17], s[18:19]
	s_and_saveexec_b64 s[18:19], s[26:27]
	s_cbranch_execnz .LBB234_150
	s_branch .LBB234_154
.LBB234_122:
	s_and_b64 vcc, exec, s[0:1]
	s_cbranch_vccnz .LBB234_124
; %bb.123:
	v_lshl_add_u64 v[40:41], v[24:25], 1, v[22:23]
	flat_load_ushort v40, v[40:41]
	s_waitcnt vmcnt(0) lgkmcnt(0)
	v_mul_f16_e32 v40, v44, v40
	s_branch .LBB234_125
.LBB234_124:
	v_mov_b32_e32 v40, 0
.LBB234_125:
	v_pk_max_f16 v41, v4, v4
	v_pk_max_f16 v42, v16, v16
	v_pk_max_f16 v43, v17, v17
	v_pk_min_f16 v41, v42, v41
	v_pk_max_f16 v42, v5, v5
	v_pk_add_f16 v41, v60, v41
	v_pk_min_f16 v42, v43, v42
	s_nop 0
	v_pk_add_f16 v41, v41, v42
	s_nop 0
	v_add_f16_sdwa v41, v41, v41 dst_sel:DWORD dst_unused:UNUSED_PAD src0_sel:DWORD src1_sel:WORD_1
	v_add_f16_e32 v42, v41, v40
	v_lshl_add_u64 v[40:41], v[24:25], 1, v[20:21]
	flat_store_short v[40:41], v42
	s_or_b64 exec, exec, s[26:27]
	s_and_b64 s[28:29], s[2:3], s[18:19]
	s_and_saveexec_b64 s[26:27], s[28:29]
	s_cbranch_execz .LBB234_116
.LBB234_126:
	s_and_b64 vcc, exec, s[0:1]
	s_cbranch_vccnz .LBB234_128
; %bb.127:
	v_lshl_add_u64 v[40:41], v[26:27], 1, v[22:23]
	flat_load_ushort v40, v[40:41]
	s_waitcnt vmcnt(0) lgkmcnt(0)
	v_mul_f16_e32 v40, v44, v40
	s_branch .LBB234_129
.LBB234_128:
	v_mov_b32_e32 v40, 0
.LBB234_129:
	v_pk_max_f16 v41, v4, v4
	v_pk_max_f16 v42, v18, v18
	;; [unrolled: 1-line block ×3, first 2 shown]
	v_pk_min_f16 v41, v42, v41
	v_pk_max_f16 v42, v5, v5
	v_pk_add_f16 v41, v59, v41
	v_pk_min_f16 v42, v43, v42
	s_nop 0
	v_pk_add_f16 v41, v41, v42
	s_nop 0
	v_add_f16_sdwa v41, v41, v41 dst_sel:DWORD dst_unused:UNUSED_PAD src0_sel:DWORD src1_sel:WORD_1
	v_add_f16_e32 v42, v41, v40
	v_lshl_add_u64 v[40:41], v[26:27], 1, v[20:21]
	flat_store_short v[40:41], v42
	s_or_b64 exec, exec, s[26:27]
	s_and_b64 s[28:29], s[6:7], s[18:19]
	s_and_saveexec_b64 s[26:27], s[28:29]
	s_cbranch_execz .LBB234_117
.LBB234_130:
	s_and_b64 vcc, exec, s[0:1]
	s_cbranch_vccnz .LBB234_132
; %bb.131:
	v_lshl_add_u64 v[40:41], v[28:29], 1, v[22:23]
	flat_load_ushort v40, v[40:41]
	s_waitcnt vmcnt(0) lgkmcnt(0)
	v_mul_f16_e32 v40, v44, v40
	s_branch .LBB234_133
.LBB234_132:
	v_mov_b32_e32 v40, 0
.LBB234_133:
	v_pk_max_f16 v41, v4, v4
	v_pk_max_f16 v42, v12, v12
	;; [unrolled: 1-line block ×3, first 2 shown]
	v_pk_min_f16 v41, v42, v41
	v_pk_max_f16 v42, v5, v5
	v_pk_add_f16 v41, v58, v41
	v_pk_min_f16 v42, v43, v42
	s_nop 0
	v_pk_add_f16 v41, v41, v42
	s_nop 0
	v_add_f16_sdwa v41, v41, v41 dst_sel:DWORD dst_unused:UNUSED_PAD src0_sel:DWORD src1_sel:WORD_1
	v_add_f16_e32 v42, v41, v40
	v_lshl_add_u64 v[40:41], v[28:29], 1, v[20:21]
	flat_store_short v[40:41], v42
	s_or_b64 exec, exec, s[26:27]
	s_and_b64 s[28:29], s[8:9], s[18:19]
	s_and_saveexec_b64 s[26:27], s[28:29]
	s_cbranch_execz .LBB234_118
.LBB234_134:
	s_and_b64 vcc, exec, s[0:1]
	s_cbranch_vccnz .LBB234_136
; %bb.135:
	v_lshl_add_u64 v[40:41], v[30:31], 1, v[22:23]
	flat_load_ushort v40, v[40:41]
	s_waitcnt vmcnt(0) lgkmcnt(0)
	v_mul_f16_e32 v40, v44, v40
	s_branch .LBB234_137
.LBB234_136:
	v_mov_b32_e32 v40, 0
.LBB234_137:
	v_pk_max_f16 v41, v4, v4
	v_pk_max_f16 v42, v14, v14
	;; [unrolled: 1-line block ×3, first 2 shown]
	v_pk_min_f16 v41, v42, v41
	v_pk_max_f16 v42, v5, v5
	v_pk_add_f16 v41, v57, v41
	v_pk_min_f16 v42, v43, v42
	s_nop 0
	v_pk_add_f16 v41, v41, v42
	s_nop 0
	v_add_f16_sdwa v41, v41, v41 dst_sel:DWORD dst_unused:UNUSED_PAD src0_sel:DWORD src1_sel:WORD_1
	v_add_f16_e32 v42, v41, v40
	v_lshl_add_u64 v[40:41], v[30:31], 1, v[20:21]
	flat_store_short v[40:41], v42
	s_or_b64 exec, exec, s[26:27]
	s_and_b64 s[28:29], s[10:11], s[18:19]
	s_and_saveexec_b64 s[26:27], s[28:29]
	s_cbranch_execz .LBB234_119
.LBB234_138:
	s_and_b64 vcc, exec, s[0:1]
	s_cbranch_vccnz .LBB234_140
; %bb.139:
	v_lshl_add_u64 v[40:41], v[32:33], 1, v[22:23]
	flat_load_ushort v40, v[40:41]
	s_waitcnt vmcnt(0) lgkmcnt(0)
	v_mul_f16_e32 v40, v44, v40
	s_branch .LBB234_141
.LBB234_140:
	v_mov_b32_e32 v40, 0
.LBB234_141:
	v_pk_max_f16 v41, v4, v4
	v_pk_max_f16 v42, v8, v8
	;; [unrolled: 1-line block ×3, first 2 shown]
	v_pk_min_f16 v41, v42, v41
	v_pk_max_f16 v42, v5, v5
	v_pk_add_f16 v41, v56, v41
	v_pk_min_f16 v42, v43, v42
	s_nop 0
	v_pk_add_f16 v41, v41, v42
	s_nop 0
	v_add_f16_sdwa v41, v41, v41 dst_sel:DWORD dst_unused:UNUSED_PAD src0_sel:DWORD src1_sel:WORD_1
	v_add_f16_e32 v42, v41, v40
	v_lshl_add_u64 v[40:41], v[32:33], 1, v[20:21]
	flat_store_short v[40:41], v42
	s_or_b64 exec, exec, s[26:27]
	s_and_b64 s[28:29], s[12:13], s[18:19]
	s_and_saveexec_b64 s[26:27], s[28:29]
	s_cbranch_execz .LBB234_120
.LBB234_142:
	s_and_b64 vcc, exec, s[0:1]
	s_cbranch_vccnz .LBB234_144
; %bb.143:
	v_lshl_add_u64 v[40:41], v[34:35], 1, v[22:23]
	flat_load_ushort v40, v[40:41]
	s_waitcnt vmcnt(0) lgkmcnt(0)
	v_mul_f16_e32 v40, v44, v40
	s_branch .LBB234_145
.LBB234_144:
	v_mov_b32_e32 v40, 0
.LBB234_145:
	v_pk_max_f16 v41, v4, v4
	v_pk_max_f16 v42, v10, v10
	;; [unrolled: 1-line block ×3, first 2 shown]
	v_pk_min_f16 v41, v42, v41
	v_pk_max_f16 v42, v5, v5
	v_pk_add_f16 v41, v55, v41
	v_pk_min_f16 v42, v43, v42
	s_nop 0
	v_pk_add_f16 v41, v41, v42
	s_nop 0
	v_add_f16_sdwa v41, v41, v41 dst_sel:DWORD dst_unused:UNUSED_PAD src0_sel:DWORD src1_sel:WORD_1
	v_add_f16_e32 v42, v41, v40
	v_lshl_add_u64 v[40:41], v[34:35], 1, v[20:21]
	flat_store_short v[40:41], v42
	s_or_b64 exec, exec, s[26:27]
	s_and_b64 s[28:29], s[14:15], s[18:19]
	s_and_saveexec_b64 s[26:27], s[28:29]
	s_cbranch_execz .LBB234_121
.LBB234_146:
	s_and_b64 vcc, exec, s[0:1]
	s_cbranch_vccnz .LBB234_148
; %bb.147:
	v_lshl_add_u64 v[40:41], v[36:37], 1, v[22:23]
	flat_load_ushort v40, v[40:41]
	s_waitcnt vmcnt(0) lgkmcnt(0)
	v_mul_f16_e32 v40, v44, v40
	s_branch .LBB234_149
.LBB234_148:
	v_mov_b32_e32 v40, 0
.LBB234_149:
	v_pk_max_f16 v41, v4, v4
	v_pk_max_f16 v42, v0, v0
	;; [unrolled: 1-line block ×3, first 2 shown]
	v_pk_min_f16 v41, v42, v41
	v_pk_max_f16 v42, v5, v5
	v_pk_add_f16 v41, v54, v41
	v_pk_min_f16 v42, v43, v42
	s_nop 0
	v_pk_add_f16 v41, v41, v42
	s_nop 0
	v_add_f16_sdwa v41, v41, v41 dst_sel:DWORD dst_unused:UNUSED_PAD src0_sel:DWORD src1_sel:WORD_1
	v_add_f16_e32 v42, v41, v40
	v_lshl_add_u64 v[40:41], v[36:37], 1, v[20:21]
	flat_store_short v[40:41], v42
	s_or_b64 exec, exec, s[26:27]
	s_and_b64 s[26:27], s[16:17], s[18:19]
	s_and_saveexec_b64 s[18:19], s[26:27]
	s_cbranch_execz .LBB234_154
.LBB234_150:
	s_and_b64 vcc, exec, s[0:1]
	s_cbranch_vccnz .LBB234_152
; %bb.151:
	v_lshl_add_u64 v[22:23], v[38:39], 1, v[22:23]
	flat_load_ushort v22, v[22:23]
	s_waitcnt vmcnt(0) lgkmcnt(0)
	v_mul_f16_e32 v22, v44, v22
	s_branch .LBB234_153
.LBB234_152:
	v_mov_b32_e32 v22, 0
.LBB234_153:
	v_pk_max_f16 v4, v4, v4
	v_pk_max_f16 v23, v2, v2
	;; [unrolled: 1-line block ×3, first 2 shown]
	v_pk_min_f16 v4, v23, v4
	v_pk_max_f16 v23, v3, v3
	v_pk_add_f16 v4, v53, v4
	v_pk_min_f16 v5, v23, v5
	s_nop 0
	v_pk_add_f16 v4, v4, v5
	s_nop 0
	v_add_f16_sdwa v4, v4, v4 dst_sel:DWORD dst_unused:UNUSED_PAD src0_sel:DWORD src1_sel:WORD_1
	v_add_f16_e32 v22, v4, v22
	v_lshl_add_u64 v[4:5], v[38:39], 1, v[20:21]
	flat_store_short v[4:5], v22
.LBB234_154:
	s_or_b64 exec, exec, s[18:19]
	v_add_u32_e32 v22, 0x60, v70
	v_cmp_gt_i32_e64 s[18:19], s21, v22
	v_mad_i64_i32 v[4:5], s[20:21], v22, s31, 0
	v_lshl_add_u64 v[20:21], v[4:5], 1, s[24:25]
	v_mad_i64_i32 v[4:5], s[20:21], v22, s30, 0
	v_lshl_add_u64 v[4:5], v[4:5], 1, s[22:23]
	s_and_b64 s[20:21], s[4:5], s[18:19]
	s_and_saveexec_b64 s[4:5], s[20:21]
	s_cbranch_execnz .LBB234_163
; %bb.155:
	s_or_b64 exec, exec, s[4:5]
	s_and_b64 s[4:5], s[2:3], s[18:19]
	s_and_saveexec_b64 s[2:3], s[4:5]
	s_cbranch_execnz .LBB234_167
.LBB234_156:
	s_or_b64 exec, exec, s[2:3]
	s_and_b64 s[4:5], s[6:7], s[18:19]
	s_and_saveexec_b64 s[2:3], s[4:5]
	s_cbranch_execnz .LBB234_171
.LBB234_157:
	s_or_b64 exec, exec, s[2:3]
	s_and_b64 s[4:5], s[8:9], s[18:19]
	s_and_saveexec_b64 s[2:3], s[4:5]
	s_cbranch_execnz .LBB234_175
.LBB234_158:
	s_or_b64 exec, exec, s[2:3]
	s_and_b64 s[4:5], s[10:11], s[18:19]
	s_and_saveexec_b64 s[2:3], s[4:5]
	s_cbranch_execnz .LBB234_179
.LBB234_159:
	s_or_b64 exec, exec, s[2:3]
	s_and_b64 s[4:5], s[12:13], s[18:19]
	s_and_saveexec_b64 s[2:3], s[4:5]
	s_cbranch_execnz .LBB234_183
.LBB234_160:
	s_or_b64 exec, exec, s[2:3]
	s_and_b64 s[4:5], s[14:15], s[18:19]
	s_and_saveexec_b64 s[2:3], s[4:5]
	s_cbranch_execnz .LBB234_187
.LBB234_161:
	s_or_b64 exec, exec, s[2:3]
	s_and_b64 s[2:3], s[16:17], s[18:19]
	s_and_saveexec_b64 s[4:5], s[2:3]
	s_cbranch_execnz .LBB234_191
.LBB234_162:
	s_endpgm
.LBB234_163:
	s_and_b64 vcc, exec, s[0:1]
	s_cbranch_vccnz .LBB234_165
; %bb.164:
	v_lshl_add_u64 v[22:23], v[24:25], 1, v[20:21]
	flat_load_ushort v22, v[22:23]
	s_waitcnt vmcnt(0) lgkmcnt(0)
	v_mul_f16_e32 v22, v44, v22
	s_branch .LBB234_166
.LBB234_165:
	v_mov_b32_e32 v22, 0
.LBB234_166:
	v_pk_max_f16 v23, v6, v6
	v_pk_max_f16 v16, v16, v16
	;; [unrolled: 1-line block ×3, first 2 shown]
	v_pk_min_f16 v16, v16, v23
	v_pk_max_f16 v23, v7, v7
	v_pk_add_f16 v16, v52, v16
	v_pk_min_f16 v17, v17, v23
	s_nop 0
	v_pk_add_f16 v16, v16, v17
	s_nop 0
	v_add_f16_sdwa v16, v16, v16 dst_sel:DWORD dst_unused:UNUSED_PAD src0_sel:DWORD src1_sel:WORD_1
	v_add_f16_e32 v22, v16, v22
	v_lshl_add_u64 v[16:17], v[24:25], 1, v[4:5]
	flat_store_short v[16:17], v22
	s_or_b64 exec, exec, s[4:5]
	s_and_b64 s[4:5], s[2:3], s[18:19]
	s_and_saveexec_b64 s[2:3], s[4:5]
	s_cbranch_execz .LBB234_156
.LBB234_167:
	s_and_b64 vcc, exec, s[0:1]
	s_cbranch_vccnz .LBB234_169
; %bb.168:
	v_lshl_add_u64 v[16:17], v[26:27], 1, v[20:21]
	flat_load_ushort v16, v[16:17]
	s_waitcnt vmcnt(0) lgkmcnt(0)
	v_mul_f16_e32 v16, v44, v16
	s_branch .LBB234_170
.LBB234_169:
	v_mov_b32_e32 v16, 0
.LBB234_170:
	v_pk_max_f16 v17, v6, v6
	v_pk_max_f16 v18, v18, v18
	;; [unrolled: 1-line block ×3, first 2 shown]
	v_pk_min_f16 v17, v18, v17
	v_pk_max_f16 v18, v7, v7
	v_pk_add_f16 v17, v51, v17
	v_pk_min_f16 v18, v19, v18
	s_nop 0
	v_pk_add_f16 v17, v17, v18
	s_nop 0
	v_add_f16_sdwa v17, v17, v17 dst_sel:DWORD dst_unused:UNUSED_PAD src0_sel:DWORD src1_sel:WORD_1
	v_add_f16_e32 v18, v17, v16
	v_lshl_add_u64 v[16:17], v[26:27], 1, v[4:5]
	flat_store_short v[16:17], v18
	s_or_b64 exec, exec, s[2:3]
	s_and_b64 s[4:5], s[6:7], s[18:19]
	s_and_saveexec_b64 s[2:3], s[4:5]
	s_cbranch_execz .LBB234_157
.LBB234_171:
	s_and_b64 vcc, exec, s[0:1]
	s_cbranch_vccnz .LBB234_173
; %bb.172:
	v_lshl_add_u64 v[16:17], v[28:29], 1, v[20:21]
	flat_load_ushort v16, v[16:17]
	s_waitcnt vmcnt(0) lgkmcnt(0)
	v_mul_f16_e32 v16, v44, v16
	s_branch .LBB234_174
.LBB234_173:
	v_mov_b32_e32 v16, 0
.LBB234_174:
	v_pk_max_f16 v17, v6, v6
	v_pk_max_f16 v12, v12, v12
	;; [unrolled: 1-line block ×3, first 2 shown]
	v_pk_min_f16 v12, v12, v17
	v_pk_max_f16 v17, v7, v7
	v_pk_add_f16 v12, v50, v12
	v_pk_min_f16 v13, v13, v17
	s_nop 0
	v_pk_add_f16 v12, v12, v13
	s_nop 0
	v_add_f16_sdwa v12, v12, v12 dst_sel:DWORD dst_unused:UNUSED_PAD src0_sel:DWORD src1_sel:WORD_1
	v_add_f16_e32 v16, v12, v16
	v_lshl_add_u64 v[12:13], v[28:29], 1, v[4:5]
	flat_store_short v[12:13], v16
	s_or_b64 exec, exec, s[2:3]
	s_and_b64 s[4:5], s[8:9], s[18:19]
	s_and_saveexec_b64 s[2:3], s[4:5]
	s_cbranch_execz .LBB234_158
.LBB234_175:
	s_and_b64 vcc, exec, s[0:1]
	s_cbranch_vccnz .LBB234_177
; %bb.176:
	v_lshl_add_u64 v[12:13], v[30:31], 1, v[20:21]
	flat_load_ushort v12, v[12:13]
	s_waitcnt vmcnt(0) lgkmcnt(0)
	v_mul_f16_e32 v12, v44, v12
	s_branch .LBB234_178
.LBB234_177:
	v_mov_b32_e32 v12, 0
.LBB234_178:
	v_pk_max_f16 v13, v6, v6
	v_pk_max_f16 v14, v14, v14
	;; [unrolled: 1-line block ×3, first 2 shown]
	v_pk_min_f16 v13, v14, v13
	v_pk_max_f16 v14, v7, v7
	v_pk_add_f16 v13, v49, v13
	v_pk_min_f16 v14, v15, v14
	s_nop 0
	v_pk_add_f16 v13, v13, v14
	s_nop 0
	v_add_f16_sdwa v13, v13, v13 dst_sel:DWORD dst_unused:UNUSED_PAD src0_sel:DWORD src1_sel:WORD_1
	v_add_f16_e32 v14, v13, v12
	v_lshl_add_u64 v[12:13], v[30:31], 1, v[4:5]
	flat_store_short v[12:13], v14
	s_or_b64 exec, exec, s[2:3]
	s_and_b64 s[4:5], s[10:11], s[18:19]
	s_and_saveexec_b64 s[2:3], s[4:5]
	s_cbranch_execz .LBB234_159
.LBB234_179:
	s_and_b64 vcc, exec, s[0:1]
	s_cbranch_vccnz .LBB234_181
; %bb.180:
	v_lshl_add_u64 v[12:13], v[32:33], 1, v[20:21]
	flat_load_ushort v12, v[12:13]
	s_waitcnt vmcnt(0) lgkmcnt(0)
	v_mul_f16_e32 v12, v44, v12
	s_branch .LBB234_182
.LBB234_181:
	v_mov_b32_e32 v12, 0
.LBB234_182:
	v_pk_max_f16 v13, v6, v6
	v_pk_max_f16 v8, v8, v8
	;; [unrolled: 1-line block ×3, first 2 shown]
	v_pk_min_f16 v8, v8, v13
	v_pk_max_f16 v13, v7, v7
	v_pk_add_f16 v8, v48, v8
	v_pk_min_f16 v9, v9, v13
	s_nop 0
	v_pk_add_f16 v8, v8, v9
	s_nop 0
	v_add_f16_sdwa v8, v8, v8 dst_sel:DWORD dst_unused:UNUSED_PAD src0_sel:DWORD src1_sel:WORD_1
	v_add_f16_e32 v12, v8, v12
	v_lshl_add_u64 v[8:9], v[32:33], 1, v[4:5]
	flat_store_short v[8:9], v12
	s_or_b64 exec, exec, s[2:3]
	s_and_b64 s[4:5], s[12:13], s[18:19]
	s_and_saveexec_b64 s[2:3], s[4:5]
	s_cbranch_execz .LBB234_160
.LBB234_183:
	s_and_b64 vcc, exec, s[0:1]
	s_cbranch_vccnz .LBB234_185
; %bb.184:
	v_lshl_add_u64 v[8:9], v[34:35], 1, v[20:21]
	flat_load_ushort v8, v[8:9]
	s_waitcnt vmcnt(0) lgkmcnt(0)
	v_mul_f16_e32 v8, v44, v8
	s_branch .LBB234_186
.LBB234_185:
	v_mov_b32_e32 v8, 0
.LBB234_186:
	v_pk_max_f16 v9, v6, v6
	v_pk_max_f16 v10, v10, v10
	;; [unrolled: 1-line block ×3, first 2 shown]
	v_pk_min_f16 v9, v10, v9
	v_pk_max_f16 v10, v7, v7
	v_pk_add_f16 v9, v47, v9
	v_pk_min_f16 v10, v11, v10
	s_nop 0
	v_pk_add_f16 v9, v9, v10
	s_nop 0
	v_add_f16_sdwa v9, v9, v9 dst_sel:DWORD dst_unused:UNUSED_PAD src0_sel:DWORD src1_sel:WORD_1
	v_add_f16_e32 v10, v9, v8
	v_lshl_add_u64 v[8:9], v[34:35], 1, v[4:5]
	flat_store_short v[8:9], v10
	s_or_b64 exec, exec, s[2:3]
	s_and_b64 s[4:5], s[14:15], s[18:19]
	s_and_saveexec_b64 s[2:3], s[4:5]
	s_cbranch_execz .LBB234_161
.LBB234_187:
	s_and_b64 vcc, exec, s[0:1]
	s_cbranch_vccnz .LBB234_189
; %bb.188:
	v_lshl_add_u64 v[8:9], v[36:37], 1, v[20:21]
	flat_load_ushort v8, v[8:9]
	s_waitcnt vmcnt(0) lgkmcnt(0)
	v_mul_f16_e32 v8, v44, v8
	s_branch .LBB234_190
.LBB234_189:
	v_mov_b32_e32 v8, 0
.LBB234_190:
	v_pk_max_f16 v9, v6, v6
	v_pk_max_f16 v0, v0, v0
	;; [unrolled: 1-line block ×3, first 2 shown]
	v_pk_min_f16 v0, v0, v9
	v_pk_max_f16 v9, v7, v7
	v_pk_add_f16 v0, v46, v0
	v_pk_min_f16 v1, v1, v9
	s_nop 0
	v_pk_add_f16 v0, v0, v1
	s_nop 0
	v_add_f16_sdwa v0, v0, v0 dst_sel:DWORD dst_unused:UNUSED_PAD src0_sel:DWORD src1_sel:WORD_1
	v_add_f16_e32 v8, v0, v8
	v_lshl_add_u64 v[0:1], v[36:37], 1, v[4:5]
	flat_store_short v[0:1], v8
	s_or_b64 exec, exec, s[2:3]
	s_and_b64 s[2:3], s[16:17], s[18:19]
	s_and_saveexec_b64 s[4:5], s[2:3]
	s_cbranch_execz .LBB234_162
.LBB234_191:
	s_and_b64 vcc, exec, s[0:1]
	s_cbranch_vccnz .LBB234_193
; %bb.192:
	v_lshl_add_u64 v[0:1], v[38:39], 1, v[20:21]
	flat_load_ushort v0, v[0:1]
	s_waitcnt vmcnt(0) lgkmcnt(0)
	v_mul_f16_e32 v0, v44, v0
	s_branch .LBB234_194
.LBB234_193:
	v_mov_b32_e32 v0, 0
.LBB234_194:
	v_pk_max_f16 v1, v6, v6
	v_pk_max_f16 v2, v2, v2
	;; [unrolled: 1-line block ×3, first 2 shown]
	v_pk_min_f16 v1, v2, v1
	v_pk_max_f16 v2, v7, v7
	v_pk_add_f16 v1, v45, v1
	v_pk_min_f16 v2, v3, v2
	s_nop 0
	v_pk_add_f16 v1, v1, v2
	s_nop 0
	v_add_f16_sdwa v1, v1, v1 dst_sel:DWORD dst_unused:UNUSED_PAD src0_sel:DWORD src1_sel:WORD_1
	v_add_f16_e32 v2, v1, v0
	v_lshl_add_u64 v[0:1], v[38:39], 1, v[4:5]
	flat_store_short v[0:1], v2
	s_endpgm
	.section	.rodata,"a",@progbits
	.p2align	6, 0x0
	.amdhsa_kernel _ZN12_GLOBAL__N_120geam_min_plus_kernelIDF16_Dv2_DF16_S1_Li8ELi32ELi64ELi128ELi4ELi64ELi4ELi4ELi64ELc78ELc78ELb0ELb1ELb0EPKDF16_KS3_KPDF16_EEviiiT16_PT17_ilS9_ilS7_S9_ilPT18_ili26rocblas_geam_ex_operation_
		.amdhsa_group_segment_fixed_size 3072
		.amdhsa_private_segment_fixed_size 0
		.amdhsa_kernarg_size 136
		.amdhsa_user_sgpr_count 2
		.amdhsa_user_sgpr_dispatch_ptr 0
		.amdhsa_user_sgpr_queue_ptr 0
		.amdhsa_user_sgpr_kernarg_segment_ptr 1
		.amdhsa_user_sgpr_dispatch_id 0
		.amdhsa_user_sgpr_kernarg_preload_length 0
		.amdhsa_user_sgpr_kernarg_preload_offset 0
		.amdhsa_user_sgpr_private_segment_size 0
		.amdhsa_uses_dynamic_stack 0
		.amdhsa_enable_private_segment 0
		.amdhsa_system_sgpr_workgroup_id_x 1
		.amdhsa_system_sgpr_workgroup_id_y 0
		.amdhsa_system_sgpr_workgroup_id_z 1
		.amdhsa_system_sgpr_workgroup_info 0
		.amdhsa_system_vgpr_workitem_id 1
		.amdhsa_next_free_vgpr 126
		.amdhsa_next_free_sgpr 34
		.amdhsa_accum_offset 128
		.amdhsa_reserve_vcc 1
		.amdhsa_float_round_mode_32 0
		.amdhsa_float_round_mode_16_64 0
		.amdhsa_float_denorm_mode_32 3
		.amdhsa_float_denorm_mode_16_64 3
		.amdhsa_dx10_clamp 1
		.amdhsa_ieee_mode 1
		.amdhsa_fp16_overflow 0
		.amdhsa_tg_split 0
		.amdhsa_exception_fp_ieee_invalid_op 0
		.amdhsa_exception_fp_denorm_src 0
		.amdhsa_exception_fp_ieee_div_zero 0
		.amdhsa_exception_fp_ieee_overflow 0
		.amdhsa_exception_fp_ieee_underflow 0
		.amdhsa_exception_fp_ieee_inexact 0
		.amdhsa_exception_int_div_zero 0
	.end_amdhsa_kernel
	.section	.text._ZN12_GLOBAL__N_120geam_min_plus_kernelIDF16_Dv2_DF16_S1_Li8ELi32ELi64ELi128ELi4ELi64ELi4ELi4ELi64ELc78ELc78ELb0ELb1ELb0EPKDF16_KS3_KPDF16_EEviiiT16_PT17_ilS9_ilS7_S9_ilPT18_ili26rocblas_geam_ex_operation_,"axG",@progbits,_ZN12_GLOBAL__N_120geam_min_plus_kernelIDF16_Dv2_DF16_S1_Li8ELi32ELi64ELi128ELi4ELi64ELi4ELi4ELi64ELc78ELc78ELb0ELb1ELb0EPKDF16_KS3_KPDF16_EEviiiT16_PT17_ilS9_ilS7_S9_ilPT18_ili26rocblas_geam_ex_operation_,comdat
.Lfunc_end234:
	.size	_ZN12_GLOBAL__N_120geam_min_plus_kernelIDF16_Dv2_DF16_S1_Li8ELi32ELi64ELi128ELi4ELi64ELi4ELi4ELi64ELc78ELc78ELb0ELb1ELb0EPKDF16_KS3_KPDF16_EEviiiT16_PT17_ilS9_ilS7_S9_ilPT18_ili26rocblas_geam_ex_operation_, .Lfunc_end234-_ZN12_GLOBAL__N_120geam_min_plus_kernelIDF16_Dv2_DF16_S1_Li8ELi32ELi64ELi128ELi4ELi64ELi4ELi4ELi64ELc78ELc78ELb0ELb1ELb0EPKDF16_KS3_KPDF16_EEviiiT16_PT17_ilS9_ilS7_S9_ilPT18_ili26rocblas_geam_ex_operation_
                                        ; -- End function
	.set _ZN12_GLOBAL__N_120geam_min_plus_kernelIDF16_Dv2_DF16_S1_Li8ELi32ELi64ELi128ELi4ELi64ELi4ELi4ELi64ELc78ELc78ELb0ELb1ELb0EPKDF16_KS3_KPDF16_EEviiiT16_PT17_ilS9_ilS7_S9_ilPT18_ili26rocblas_geam_ex_operation_.num_vgpr, 126
	.set _ZN12_GLOBAL__N_120geam_min_plus_kernelIDF16_Dv2_DF16_S1_Li8ELi32ELi64ELi128ELi4ELi64ELi4ELi4ELi64ELc78ELc78ELb0ELb1ELb0EPKDF16_KS3_KPDF16_EEviiiT16_PT17_ilS9_ilS7_S9_ilPT18_ili26rocblas_geam_ex_operation_.num_agpr, 0
	.set _ZN12_GLOBAL__N_120geam_min_plus_kernelIDF16_Dv2_DF16_S1_Li8ELi32ELi64ELi128ELi4ELi64ELi4ELi4ELi64ELc78ELc78ELb0ELb1ELb0EPKDF16_KS3_KPDF16_EEviiiT16_PT17_ilS9_ilS7_S9_ilPT18_ili26rocblas_geam_ex_operation_.numbered_sgpr, 34
	.set _ZN12_GLOBAL__N_120geam_min_plus_kernelIDF16_Dv2_DF16_S1_Li8ELi32ELi64ELi128ELi4ELi64ELi4ELi4ELi64ELc78ELc78ELb0ELb1ELb0EPKDF16_KS3_KPDF16_EEviiiT16_PT17_ilS9_ilS7_S9_ilPT18_ili26rocblas_geam_ex_operation_.num_named_barrier, 0
	.set _ZN12_GLOBAL__N_120geam_min_plus_kernelIDF16_Dv2_DF16_S1_Li8ELi32ELi64ELi128ELi4ELi64ELi4ELi4ELi64ELc78ELc78ELb0ELb1ELb0EPKDF16_KS3_KPDF16_EEviiiT16_PT17_ilS9_ilS7_S9_ilPT18_ili26rocblas_geam_ex_operation_.private_seg_size, 0
	.set _ZN12_GLOBAL__N_120geam_min_plus_kernelIDF16_Dv2_DF16_S1_Li8ELi32ELi64ELi128ELi4ELi64ELi4ELi4ELi64ELc78ELc78ELb0ELb1ELb0EPKDF16_KS3_KPDF16_EEviiiT16_PT17_ilS9_ilS7_S9_ilPT18_ili26rocblas_geam_ex_operation_.uses_vcc, 1
	.set _ZN12_GLOBAL__N_120geam_min_plus_kernelIDF16_Dv2_DF16_S1_Li8ELi32ELi64ELi128ELi4ELi64ELi4ELi4ELi64ELc78ELc78ELb0ELb1ELb0EPKDF16_KS3_KPDF16_EEviiiT16_PT17_ilS9_ilS7_S9_ilPT18_ili26rocblas_geam_ex_operation_.uses_flat_scratch, 0
	.set _ZN12_GLOBAL__N_120geam_min_plus_kernelIDF16_Dv2_DF16_S1_Li8ELi32ELi64ELi128ELi4ELi64ELi4ELi4ELi64ELc78ELc78ELb0ELb1ELb0EPKDF16_KS3_KPDF16_EEviiiT16_PT17_ilS9_ilS7_S9_ilPT18_ili26rocblas_geam_ex_operation_.has_dyn_sized_stack, 0
	.set _ZN12_GLOBAL__N_120geam_min_plus_kernelIDF16_Dv2_DF16_S1_Li8ELi32ELi64ELi128ELi4ELi64ELi4ELi4ELi64ELc78ELc78ELb0ELb1ELb0EPKDF16_KS3_KPDF16_EEviiiT16_PT17_ilS9_ilS7_S9_ilPT18_ili26rocblas_geam_ex_operation_.has_recursion, 0
	.set _ZN12_GLOBAL__N_120geam_min_plus_kernelIDF16_Dv2_DF16_S1_Li8ELi32ELi64ELi128ELi4ELi64ELi4ELi4ELi64ELc78ELc78ELb0ELb1ELb0EPKDF16_KS3_KPDF16_EEviiiT16_PT17_ilS9_ilS7_S9_ilPT18_ili26rocblas_geam_ex_operation_.has_indirect_call, 0
	.section	.AMDGPU.csdata,"",@progbits
; Kernel info:
; codeLenInByte = 11344
; TotalNumSgprs: 40
; NumVgprs: 126
; NumAgprs: 0
; TotalNumVgprs: 126
; ScratchSize: 0
; MemoryBound: 0
; FloatMode: 240
; IeeeMode: 1
; LDSByteSize: 3072 bytes/workgroup (compile time only)
; SGPRBlocks: 4
; VGPRBlocks: 15
; NumSGPRsForWavesPerEU: 40
; NumVGPRsForWavesPerEU: 126
; AccumOffset: 128
; Occupancy: 4
; WaveLimiterHint : 1
; COMPUTE_PGM_RSRC2:SCRATCH_EN: 0
; COMPUTE_PGM_RSRC2:USER_SGPR: 2
; COMPUTE_PGM_RSRC2:TRAP_HANDLER: 0
; COMPUTE_PGM_RSRC2:TGID_X_EN: 1
; COMPUTE_PGM_RSRC2:TGID_Y_EN: 0
; COMPUTE_PGM_RSRC2:TGID_Z_EN: 1
; COMPUTE_PGM_RSRC2:TIDIG_COMP_CNT: 1
; COMPUTE_PGM_RSRC3_GFX90A:ACCUM_OFFSET: 31
; COMPUTE_PGM_RSRC3_GFX90A:TG_SPLIT: 0
	.section	.text._ZN12_GLOBAL__N_120geam_min_plus_kernelIDF16_Dv2_DF16_S1_Li8ELi32ELi64ELi128ELi4ELi64ELi4ELi4ELi64ELc78ELc78ELb1ELb1ELb0EDF16_KPKDF16_KPDF16_EEviiiT16_PT17_ilS9_ilS7_S9_ilPT18_ili26rocblas_geam_ex_operation_,"axG",@progbits,_ZN12_GLOBAL__N_120geam_min_plus_kernelIDF16_Dv2_DF16_S1_Li8ELi32ELi64ELi128ELi4ELi64ELi4ELi4ELi64ELc78ELc78ELb1ELb1ELb0EDF16_KPKDF16_KPDF16_EEviiiT16_PT17_ilS9_ilS7_S9_ilPT18_ili26rocblas_geam_ex_operation_,comdat
	.globl	_ZN12_GLOBAL__N_120geam_min_plus_kernelIDF16_Dv2_DF16_S1_Li8ELi32ELi64ELi128ELi4ELi64ELi4ELi4ELi64ELc78ELc78ELb1ELb1ELb0EDF16_KPKDF16_KPDF16_EEviiiT16_PT17_ilS9_ilS7_S9_ilPT18_ili26rocblas_geam_ex_operation_ ; -- Begin function _ZN12_GLOBAL__N_120geam_min_plus_kernelIDF16_Dv2_DF16_S1_Li8ELi32ELi64ELi128ELi4ELi64ELi4ELi4ELi64ELc78ELc78ELb1ELb1ELb0EDF16_KPKDF16_KPDF16_EEviiiT16_PT17_ilS9_ilS7_S9_ilPT18_ili26rocblas_geam_ex_operation_
	.p2align	8
	.type	_ZN12_GLOBAL__N_120geam_min_plus_kernelIDF16_Dv2_DF16_S1_Li8ELi32ELi64ELi128ELi4ELi64ELi4ELi4ELi64ELc78ELc78ELb1ELb1ELb0EDF16_KPKDF16_KPDF16_EEviiiT16_PT17_ilS9_ilS7_S9_ilPT18_ili26rocblas_geam_ex_operation_,@function
_ZN12_GLOBAL__N_120geam_min_plus_kernelIDF16_Dv2_DF16_S1_Li8ELi32ELi64ELi128ELi4ELi64ELi4ELi4ELi64ELc78ELc78ELb1ELb1ELb0EDF16_KPKDF16_KPDF16_EEviiiT16_PT17_ilS9_ilS7_S9_ilPT18_ili26rocblas_geam_ex_operation_: ; @_ZN12_GLOBAL__N_120geam_min_plus_kernelIDF16_Dv2_DF16_S1_Li8ELi32ELi64ELi128ELi4ELi64ELi4ELi4ELi64ELc78ELc78ELb1ELb1ELb0EDF16_KPKDF16_KPDF16_EEviiiT16_PT17_ilS9_ilS7_S9_ilPT18_ili26rocblas_geam_ex_operation_
; %bb.0:
	s_load_dwordx4 s[20:23], s[0:1], 0x0
	s_load_dwordx4 s[4:7], s[0:1], 0x20
	s_mov_b32 s8, s3
	s_mov_b32 s9, 0
	s_waitcnt lgkmcnt(0)
	v_cmp_eq_f16_e64 s[10:11], s23, 0
	s_and_b64 vcc, exec, s[10:11]
	s_cbranch_vccnz .LBB235_3
; %bb.1:
	s_load_dwordx2 s[12:13], s[0:1], 0x10
	s_lshl_b64 s[14:15], s[8:9], 3
	s_waitcnt lgkmcnt(0)
	s_add_u32 s12, s12, s14
	s_addc_u32 s13, s13, s15
	s_load_dwordx2 s[12:13], s[12:13], 0x0
	s_lshl_b64 s[4:5], s[4:5], 1
	s_waitcnt lgkmcnt(0)
	s_add_u32 s12, s12, s4
	s_addc_u32 s13, s13, s5
	s_andn2_b64 vcc, exec, s[10:11]
	s_cbranch_vccnz .LBB235_4
.LBB235_2:
	s_mov_b32 s11, 0
	s_mov_b32 s10, s8
	s_mov_b64 s[24:25], 0
	s_mov_b64 s[14:15], 0
	s_cbranch_execz .LBB235_5
	s_branch .LBB235_6
.LBB235_3:
	s_mov_b64 s[12:13], 0
	s_andn2_b64 vcc, exec, s[10:11]
	s_cbranch_vccz .LBB235_2
.LBB235_4:
	s_mov_b64 s[10:11], s[8:9]
	s_mov_b64 s[24:25], 0
	;; [unrolled: 1-line block ×3, first 2 shown]
.LBB235_5:
	s_lshl_b64 s[8:9], s[8:9], 3
	s_add_u32 s6, s6, s8
	s_load_dwordx2 s[4:5], s[0:1], 0x38
	s_addc_u32 s7, s7, s9
	s_load_dwordx2 s[6:7], s[6:7], 0x0
	s_waitcnt lgkmcnt(0)
	s_lshl_b64 s[4:5], s[4:5], 1
	s_add_u32 s14, s6, s4
	s_addc_u32 s15, s7, s5
.LBB235_6:
	s_load_dword s28, s[0:1], 0x40
	s_load_dwordx4 s[4:7], s[0:1], 0x58
	s_waitcnt lgkmcnt(0)
	v_cmp_eq_f16_e64 s[16:17], s28, 0
	v_cmp_neq_f16_e64 s[8:9], s28, 0
	s_and_b64 vcc, exec, s[16:17]
	s_cbranch_vccnz .LBB235_8
; %bb.7:
	s_load_dwordx2 s[16:17], s[0:1], 0x48
	s_lshl_b64 s[18:19], s[10:11], 3
	s_waitcnt lgkmcnt(0)
	s_add_u32 s16, s16, s18
	s_addc_u32 s17, s17, s19
	s_load_dwordx2 s[16:17], s[16:17], 0x0
	s_lshl_b64 s[4:5], s[4:5], 1
	s_waitcnt lgkmcnt(0)
	s_add_u32 s24, s16, s4
	s_addc_u32 s25, s17, s5
.LBB235_8:
	s_load_dword s16, s[0:1], 0x18
	s_lshl_b64 s[4:5], s[10:11], 3
	v_and_b32_e32 v40, 0x3ff, v0
	v_bfe_u32 v41, v0, 10, 10
	v_lshl_add_u32 v2, v41, 3, v40
	s_waitcnt lgkmcnt(0)
	s_ashr_i32 s17, s16, 31
	s_add_u32 s18, s6, s4
	s_addc_u32 s19, s7, s5
	s_add_i32 s3, s20, -1
	s_ashr_i32 s4, s3, 31
	s_lshr_b32 s4, s4, 26
	s_add_i32 s3, s3, s4
	s_ashr_i32 s3, s3, 6
	s_add_i32 s4, s3, 1
	v_cvt_f32_u32_e32 v1, s4
	s_not_b32 s3, s3
	v_and_b32_e32 v6, 63, v2
	v_lshrrev_b32_e32 v42, 6, v2
	v_rcp_iflag_f32_e32 v0, v1
	v_cmp_gt_i32_e32 vcc, s22, v42
	v_mov_b32_e32 v25, 0
	v_mov_b32_e32 v11, 0
	v_mul_f32_e32 v0, 0x4f7ffffe, v0
	v_cvt_u32_f32_e32 v0, v0
	s_nop 0
	v_readfirstlane_b32 s5, v0
	s_mul_i32 s3, s3, s5
	s_mul_hi_u32 s3, s5, s3
	s_add_i32 s5, s5, s3
	s_mul_hi_u32 s3, s2, s5
	s_mul_i32 s5, s3, s4
	s_sub_i32 s5, s2, s5
	s_add_i32 s6, s3, 1
	s_sub_i32 s7, s5, s4
	s_cmp_ge_u32 s5, s4
	s_cselect_b32 s3, s6, s3
	s_cselect_b32 s5, s7, s5
	s_add_i32 s6, s3, 1
	s_cmp_ge_u32 s5, s4
	s_cselect_b32 s6, s6, s3
	s_mul_i32 s3, s6, s4
	s_sub_i32 s2, s2, s3
	s_lshl_b32 s26, s2, 6
	v_or_b32_e32 v0, s26, v6
	v_cmp_gt_i32_e64 s[2:3], s20, v0
	v_cmp_le_i32_e64 s[4:5], s20, v0
	s_and_b64 s[10:11], vcc, s[2:3]
	v_ashrrev_i32_e32 v1, 31, v0
	s_and_saveexec_b64 s[2:3], s[10:11]
	s_cbranch_execz .LBB235_10
; %bb.9:
	v_mad_i64_i32 v[4:5], s[10:11], s16, v42, 0
	v_lshl_add_u64 v[4:5], v[4:5], 1, s[12:13]
	v_lshl_add_u64 v[4:5], v[0:1], 1, v[4:5]
	flat_load_ushort v11, v[4:5]
.LBB235_10:
	s_or_b64 exec, exec, s[2:3]
	s_load_dword s23, s[0:1], 0x30
	v_lshrrev_b32_e32 v7, 2, v2
	s_lshl_b32 s27, s6, 7
	v_and_b32_e32 v69, 3, v40
	v_add_u32_e32 v4, s27, v7
	v_cmp_le_i32_e64 s[6:7], s22, v69
	v_lshlrev_b32_e32 v24, 1, v69
	v_cmp_le_i32_e32 vcc, s21, v4
	v_lshl_add_u64 v[2:3], s[14:15], 0, v[24:25]
	s_nor_b64 s[10:11], s[6:7], vcc
	s_and_saveexec_b64 s[2:3], s[10:11]
	s_cbranch_execz .LBB235_12
; %bb.11:
	s_waitcnt lgkmcnt(0)
	v_mad_i64_i32 v[8:9], s[10:11], v4, s23, 0
	v_lshl_add_u64 v[8:9], v[8:9], 1, v[2:3]
	flat_load_ushort v25, v[8:9]
.LBB235_12:
	s_or_b64 exec, exec, s[2:3]
	v_add_u32_e32 v5, 64, v4
	v_cmp_le_i32_e64 s[2:3], s21, v5
	s_nor_b64 s[10:11], s[6:7], s[2:3]
	v_mov_b32_e32 v9, 0
	v_mov_b32_e32 v12, 0
	s_and_saveexec_b64 s[6:7], s[10:11]
	s_cbranch_execz .LBB235_14
; %bb.13:
	s_waitcnt lgkmcnt(0)
	v_mad_i64_i32 v[12:13], s[10:11], v5, s23, 0
	v_lshl_add_u64 v[12:13], v[12:13], 1, v[2:3]
	flat_load_ushort v12, v[12:13]
.LBB235_14:
	s_or_b64 exec, exec, s[6:7]
	v_add_u32_e32 v8, 4, v42
	v_cmp_gt_i32_e64 s[6:7], s22, v8
	s_xor_b64 s[10:11], s[4:5], -1
	s_and_b64 s[6:7], s[10:11], s[6:7]
	s_and_saveexec_b64 s[4:5], s[6:7]
	s_cbranch_execz .LBB235_16
; %bb.15:
	v_mad_u64_u32 v[14:15], s[6:7], s16, v8, 0
	v_mov_b32_e32 v10, v15
	s_waitcnt vmcnt(0) lgkmcnt(0)
	v_mad_u64_u32 v[8:9], s[6:7], s17, v8, v[10:11]
	v_mov_b32_e32 v15, v8
	v_lshl_add_u64 v[8:9], v[14:15], 1, s[12:13]
	v_lshl_add_u64 v[8:9], v[0:1], 1, v[8:9]
	flat_load_ushort v9, v[8:9]
.LBB235_16:
	s_or_b64 exec, exec, s[4:5]
	v_or_b32_e32 v8, 4, v69
	v_cmp_le_i32_e64 s[4:5], s22, v8
	s_nor_b64 s[30:31], s[4:5], vcc
	v_mov_b32_e32 v8, 0
	v_mov_b32_e32 v10, 0
	s_and_saveexec_b64 s[6:7], s[30:31]
	s_cbranch_execz .LBB235_18
; %bb.17:
	s_waitcnt lgkmcnt(0)
	v_mad_i64_i32 v[14:15], s[30:31], v4, s23, 0
	v_lshl_add_u64 v[14:15], v[14:15], 1, v[2:3]
	flat_load_ushort v10, v[14:15] offset:8
.LBB235_18:
	s_or_b64 exec, exec, s[6:7]
	s_nor_b64 s[6:7], s[4:5], s[2:3]
	s_and_saveexec_b64 s[4:5], s[6:7]
	s_cbranch_execz .LBB235_20
; %bb.19:
	s_waitcnt lgkmcnt(0)
	v_mad_i64_i32 v[14:15], s[6:7], v5, s23, 0
	v_lshl_add_u64 v[2:3], v[14:15], 1, v[2:3]
	flat_load_ushort v8, v[2:3] offset:8
.LBB235_20:
	s_or_b64 exec, exec, s[4:5]
	v_lshlrev_b32_e32 v2, 3, v6
	v_lshlrev_b32_e32 v3, 3, v7
	v_lshl_add_u32 v2, v42, 1, v2
	v_lshl_or_b32 v71, v69, 1, v3
	v_lshlrev_b32_e32 v70, 3, v40
	v_lshlrev_b32_e32 v43, 3, v41
	s_load_dwordx2 s[6:7], s[18:19], 0x0
	s_waitcnt vmcnt(0) lgkmcnt(0)
	ds_write_b16 v2, v11 offset:2048
	ds_write_b16 v71, v25
	ds_write_b16 v71, v12 offset:512
	s_waitcnt lgkmcnt(0)
	s_barrier
	ds_read2_b64 v[12:15], v43 offset1:32
	v_add_u32_e32 v72, 0x800, v70
	ds_read2_b64 v[16:19], v72 offset0:48 offset1:56
	ds_read2_b64 v[20:23], v43 offset0:64 offset1:96
	ds_read2_b64 v[26:29], v72 offset1:8
	ds_read2_b64 v[30:33], v72 offset0:16 offset1:24
	ds_read2_b64 v[34:37], v72 offset0:32 offset1:40
	s_waitcnt lgkmcnt(5)
	v_pk_max_f16 v3, v12, v12
	s_waitcnt lgkmcnt(4)
	v_pk_max_f16 v6, v18, v18
	v_pk_max_f16 v11, v14, v14
	v_pk_min_f16 v7, v6, v3
	s_waitcnt lgkmcnt(3)
	v_pk_max_f16 v12, v20, v20
	s_waitcnt lgkmcnt(2)
	v_pk_max_f16 v14, v26, v26
	v_pk_max_f16 v22, v22, v22
	;; [unrolled: 1-line block ×3, first 2 shown]
	s_waitcnt lgkmcnt(1)
	v_pk_max_f16 v30, v30, v30
	v_pk_max_f16 v32, v32, v32
	s_waitcnt lgkmcnt(0)
	v_pk_max_f16 v34, v34, v34
	v_pk_max_f16 v13, v13, v13
	v_pk_max_f16 v36, v36, v36
	v_pk_max_f16 v16, v16, v16
	v_pk_max_f16 v19, v19, v19
	v_pk_min_f16 v18, v14, v3
	v_pk_min_f16 v20, v14, v11
	;; [unrolled: 1-line block ×17, first 2 shown]
	v_pk_max_f16 v15, v15, v15
	v_pk_min_f16 v55, v34, v11
	v_pk_min_f16 v56, v34, v12
	;; [unrolled: 1-line block ×14, first 2 shown]
	v_pk_add_f16 v7, v7, 0
	v_pk_min_f16 v22, v19, v13
	v_pk_max_f16 v21, v21, v21
	v_pk_add_f16 v68, v7, v22
	v_pk_add_f16 v7, v49, 0
	v_pk_min_f16 v22, v19, v15
	v_pk_max_f16 v27, v27, v27
	v_pk_add_f16 v60, v7, v22
	;; [unrolled: 4-line block ×4, first 2 shown]
	v_pk_add_f16 v7, v20, 0
	v_pk_min_f16 v18, v27, v15
	v_pk_add_f16 v20, v32, 0
	v_pk_add_f16 v67, v7, v18
	;; [unrolled: 1-line block ×3, first 2 shown]
	v_pk_min_f16 v18, v27, v21
	v_pk_max_f16 v32, v33, v33
	v_pk_add_f16 v59, v7, v18
	v_pk_add_f16 v7, v14, 0
	v_pk_min_f16 v14, v27, v23
	v_pk_min_f16 v33, v32, v13
	v_pk_add_f16 v51, v7, v14
	v_pk_add_f16 v7, v28, 0
	v_pk_min_f16 v14, v29, v13
	v_pk_add_f16 v22, v54, 0
	v_pk_add_f16 v78, v7, v14
	v_pk_add_f16 v7, v38, 0
	v_pk_min_f16 v14, v29, v15
	v_pk_add_f16 v25, v55, 0
	;; [unrolled: 4-line block ×4, first 2 shown]
	v_pk_add_f16 v50, v7, v14
	v_pk_max_f16 v14, v31, v31
	v_pk_add_f16 v7, v44, 0
	v_pk_min_f16 v18, v14, v13
	v_pk_add_f16 v28, v61, 0
	v_pk_add_f16 v77, v7, v18
	v_pk_add_f16 v7, v45, 0
	v_pk_min_f16 v18, v14, v15
	v_pk_add_f16 v29, v62, 0
	v_pk_add_f16 v65, v7, v18
	v_pk_add_f16 v7, v46, 0
	v_pk_min_f16 v18, v14, v21
	v_pk_min_f16 v14, v14, v23
	v_pk_add_f16 v57, v7, v18
	v_pk_add_f16 v7, v30, 0
	v_pk_add_f16 v18, v53, 0
	v_pk_add_f16 v49, v7, v14
	v_pk_add_f16 v7, v47, 0
	v_pk_add_f16 v14, v48, 0
	v_pk_add_f16 v76, v7, v33
	v_pk_min_f16 v7, v32, v15
	v_pk_add_f16 v30, v63, 0
	v_pk_add_f16 v64, v14, v7
	v_pk_min_f16 v7, v32, v21
	v_pk_add_f16 v31, v36, 0
	v_pk_add_f16 v56, v18, v7
	;; [unrolled: 3-line block ×3, first 2 shown]
	v_pk_max_f16 v7, v35, v35
	v_pk_add_f16 v11, v11, 0
	v_pk_min_f16 v14, v7, v13
	v_pk_add_f16 v12, v12, 0
	v_pk_add_f16 v75, v22, v14
	v_pk_min_f16 v14, v7, v15
	v_pk_add_f16 v16, v16, 0
	v_pk_add_f16 v63, v25, v14
	v_pk_min_f16 v14, v7, v21
	v_pk_min_f16 v7, v7, v23
	v_pk_add_f16 v55, v26, v14
	v_pk_add_f16 v47, v27, v7
	v_pk_max_f16 v7, v37, v37
	v_pk_add_f16 v6, v6, 0
	v_pk_min_f16 v14, v7, v13
	s_mov_b32 s18, 0
	v_pk_add_f16 v74, v28, v14
	v_pk_min_f16 v14, v7, v15
	s_cmp_lt_i32 s22, 9
	v_pk_add_f16 v62, v29, v14
	v_pk_min_f16 v14, v7, v21
	v_pk_min_f16 v7, v7, v23
	v_pk_add_f16 v54, v30, v14
	v_pk_add_f16 v46, v31, v7
	v_pk_max_f16 v7, v17, v17
	ds_write_b16 v2, v9 offset:2560
	ds_write_b16 v71, v10 offset:1024
	;; [unrolled: 1-line block ×3, first 2 shown]
	v_pk_min_f16 v13, v7, v13
	s_waitcnt lgkmcnt(0)
	v_pk_add_f16 v73, v3, v13
	v_pk_min_f16 v3, v7, v15
	s_barrier
	v_pk_add_f16 v61, v11, v3
	v_pk_min_f16 v3, v7, v21
	s_nop 0
	v_pk_add_f16 v53, v12, v3
	v_pk_min_f16 v3, v7, v23
	s_nop 0
	;; [unrolled: 3-line block ×3, first 2 shown]
	v_pk_add_f16 v44, v6, v3
	s_cbranch_scc1 .LBB235_35
; %bb.21:
	v_lshl_add_u64 v[26:27], v[0:1], 1, s[12:13]
	v_mov_b32_e32 v0, 0xa00
	v_lshl_add_u32 v83, v40, 3, v0
	v_mad_i64_i32 v[0:1], s[4:5], s23, v4, 0
	v_lshl_add_u64 v[28:29], v[0:1], 1, s[14:15]
	v_mad_i64_i32 v[0:1], s[4:5], s23, v5, 0
	v_lshl_add_u64 v[30:31], v[0:1], 1, s[14:15]
	v_add_u32_e32 v0, v43, v40
	v_or_b32_e32 v80, 0x800, v2
	v_add_u32_e32 v81, 0xa00, v2
	v_lshrrev_b32_e32 v2, 6, v0
	v_add_u32_e32 v0, 12, v2
	v_mad_i64_i32 v[0:1], s[4:5], v0, s16, 0
	v_lshlrev_b64 v[32:33], 1, v[0:1]
	v_add_u32_e32 v0, 8, v2
	v_mad_i64_i32 v[0:1], s[4:5], v0, s16, 0
	v_add_u32_e32 v82, 0x400, v71
	s_add_i32 s19, s22, -8
	v_add_u32_e32 v84, 0x400, v43
	v_mov_b32_e32 v25, 0
	s_lshl_b64 s[12:13], s[16:17], 4
	v_lshlrev_b64 v[34:35], 1, v[0:1]
	s_branch .LBB235_23
.LBB235_22:                             ;   in Loop: Header=BB235_23 Depth=1
	s_or_b64 exec, exec, s[4:5]
	v_pk_max_f16 v2, v2, v2
	v_pk_max_f16 v20, v20, v20
	;; [unrolled: 1-line block ×7, first 2 shown]
	v_pk_min_f16 v36, v2, v20
	v_pk_max_f16 v12, v12, v12
	v_pk_max_f16 v14, v14, v14
	;; [unrolled: 1-line block ×10, first 2 shown]
	v_pk_min_f16 v97, v4, v20
	v_pk_max_f16 v9, v9, v9
	v_pk_max_f16 v11, v11, v11
	v_pk_min_f16 v98, v4, v22
	v_pk_max_f16 v5, v5, v5
	v_pk_max_f16 v7, v7, v7
	v_pk_min_f16 v99, v4, v16
	v_pk_min_f16 v4, v4, v18
	v_pk_max_f16 v0, v0, v0
	v_pk_max_f16 v3, v3, v3
	;; [unrolled: 1-line block ×3, first 2 shown]
	v_pk_min_f16 v100, v6, v20
	v_pk_min_f16 v101, v6, v22
	;; [unrolled: 1-line block ×59, first 2 shown]
	v_pk_add_f16 v1, v68, v36
	v_pk_add_f16 v3, v60, v103
	;; [unrolled: 1-line block ×12, first 2 shown]
	ds_read2_b64 v[0:3], v72 offset0:48 offset1:56
	ds_read2_b64 v[4:7], v43 offset1:32
	v_pk_add_f16 v36, v52, v104
	v_pk_add_f16 v37, v79, v37
	;; [unrolled: 1-line block ×6, first 2 shown]
	s_waitcnt lgkmcnt(0)
	v_pk_max_f16 v2, v2, v2
	v_pk_max_f16 v4, v4, v4
	v_pk_add_f16 v59, v66, v89
	v_pk_add_f16 v14, v50, v14
	;; [unrolled: 1-line block ×9, first 2 shown]
	ds_read2_b64 v[8:11], v43 offset0:64 offset1:96
	v_pk_min_f16 v12, v2, v4
	v_pk_add_f16 v22, v61, v22
	v_pk_add_f16 v61, v14, v15
	;; [unrolled: 1-line block ×3, first 2 shown]
	ds_read2_b64 v[12:15], v72 offset1:8
	v_pk_max_f16 v6, v6, v6
	v_pk_add_f16 v48, v75, v97
	v_pk_add_f16 v75, v16, v17
	v_pk_min_f16 v16, v2, v6
	s_waitcnt lgkmcnt(0)
	v_pk_max_f16 v8, v8, v8
	v_pk_add_f16 v36, v36, v124
	v_pk_add_f16 v53, v53, v16
	v_pk_min_f16 v16, v2, v8
	v_pk_max_f16 v12, v12, v12
	v_pk_add_f16 v36, v36, v16
	v_pk_min_f16 v16, v12, v4
	v_pk_add_f16 v49, v76, v94
	v_pk_add_f16 v76, v18, v16
	v_pk_min_f16 v16, v12, v6
	v_pk_add_f16 v51, v78, v88
	v_pk_add_f16 v37, v37, v16
	v_pk_min_f16 v16, v12, v8
	v_pk_max_f16 v14, v14, v14
	v_pk_add_f16 v51, v51, v107
	v_pk_add_f16 v39, v39, v16
	v_pk_min_f16 v16, v14, v4
	v_pk_add_f16 v50, v77, v91
	v_pk_add_f16 v59, v59, v108
	;; [unrolled: 1-line block ×3, first 2 shown]
	v_pk_min_f16 v16, v14, v6
	v_pk_add_f16 v44, v44, v19
	v_pk_add_f16 v85, v59, v16
	ds_read2_b64 v[16:19], v72 offset0:16 offset1:24
	v_pk_add_f16 v58, v58, v90
	v_pk_add_f16 v20, v73, v20
	;; [unrolled: 1-line block ×4, first 2 shown]
	v_pk_max_f16 v10, v10, v10
	v_pk_min_f16 v20, v14, v8
	s_waitcnt lgkmcnt(0)
	v_pk_max_f16 v16, v16, v16
	v_pk_add_f16 v50, v50, v110
	v_pk_add_f16 v58, v58, v20
	v_pk_min_f16 v14, v14, v10
	v_pk_min_f16 v20, v16, v4
	v_pk_add_f16 v57, v57, v93
	v_pk_add_f16 v60, v60, v111
	;; [unrolled: 1-line block ×4, first 2 shown]
	v_pk_min_f16 v20, v16, v6
	v_pk_add_f16 v57, v57, v112
	v_pk_add_f16 v88, v60, v20
	v_pk_min_f16 v20, v16, v8
	v_pk_max_f16 v18, v18, v18
	v_pk_add_f16 v64, v64, v95
	v_pk_add_f16 v49, v49, v113
	;; [unrolled: 1-line block ×3, first 2 shown]
	v_pk_min_f16 v20, v18, v4
	v_pk_add_f16 v64, v64, v114
	v_pk_add_f16 v89, v49, v20
	v_pk_min_f16 v20, v18, v6
	v_pk_add_f16 v47, v74, v100
	v_pk_add_f16 v74, v22, v23
	;; [unrolled: 1-line block ×3, first 2 shown]
	ds_read2_b64 v[20:23], v72 offset0:32 offset1:40
	v_pk_add_f16 v56, v56, v96
	v_pk_min_f16 v49, v18, v8
	v_pk_add_f16 v56, v56, v115
	v_pk_add_f16 v63, v63, v98
	s_waitcnt lgkmcnt(0)
	v_pk_max_f16 v20, v20, v20
	v_pk_add_f16 v48, v48, v116
	v_pk_add_f16 v56, v56, v49
	v_pk_min_f16 v49, v20, v4
	v_pk_add_f16 v55, v55, v99
	v_pk_add_f16 v63, v63, v117
	;; [unrolled: 1-line block ×3, first 2 shown]
	v_pk_min_f16 v48, v20, v6
	v_pk_add_f16 v55, v55, v118
	v_pk_add_f16 v63, v63, v48
	v_pk_min_f16 v48, v20, v8
	v_pk_max_f16 v22, v22, v22
	v_pk_add_f16 v62, v62, v101
	v_pk_add_f16 v47, v47, v119
	;; [unrolled: 1-line block ×3, first 2 shown]
	v_pk_min_f16 v48, v22, v4
	v_pk_add_f16 v62, v62, v120
	v_pk_add_f16 v91, v47, v48
	v_pk_min_f16 v47, v22, v6
	v_pk_max_f16 v0, v0, v0
	v_pk_max_f16 v3, v3, v3
	;; [unrolled: 1-line block ×3, first 2 shown]
	v_pk_min_f16 v12, v12, v10
	v_pk_min_f16 v16, v16, v10
	;; [unrolled: 1-line block ×4, first 2 shown]
	v_pk_add_f16 v62, v62, v47
	v_pk_min_f16 v47, v22, v8
	v_pk_min_f16 v22, v22, v10
	;; [unrolled: 1-line block ×8, first 2 shown]
	v_pk_max_f16 v7, v7, v7
	v_pk_add_f16 v22, v68, v22
	v_pk_add_f16 v68, v46, v10
	v_pk_min_f16 v10, v3, v7
	v_pk_max_f16 v9, v9, v9
	v_pk_add_f16 v60, v53, v10
	v_pk_min_f16 v10, v3, v9
	v_pk_add_f16 v12, v52, v12
	v_pk_add_f16 v52, v36, v10
	v_pk_max_f16 v10, v13, v13
	v_pk_max_f16 v11, v11, v11
	v_pk_min_f16 v13, v10, v5
	v_pk_add_f16 v20, v67, v20
	v_pk_add_f16 v79, v76, v13
	v_pk_min_f16 v13, v10, v7
	v_pk_add_f16 v18, v66, v18
	v_pk_add_f16 v67, v37, v13
	v_pk_min_f16 v13, v10, v9
	v_pk_min_f16 v10, v10, v11
	v_pk_add_f16 v16, v65, v16
	v_pk_add_f16 v51, v12, v10
	v_pk_max_f16 v10, v15, v15
	v_pk_add_f16 v54, v54, v102
	v_pk_min_f16 v12, v10, v5
	v_pk_add_f16 v8, v75, v8
	v_pk_add_f16 v78, v77, v12
	v_pk_min_f16 v12, v10, v7
	v_pk_add_f16 v54, v54, v121
	v_pk_add_f16 v66, v85, v12
	v_pk_min_f16 v12, v10, v9
	v_pk_min_f16 v10, v10, v11
	v_pk_add_f16 v58, v58, v12
	v_pk_add_f16 v50, v14, v10
	v_pk_max_f16 v10, v17, v17
	v_pk_add_f16 v54, v54, v47
	v_pk_min_f16 v12, v10, v5
	v_pk_max_f16 v1, v1, v1
	v_pk_add_f16 v77, v61, v12
	v_pk_min_f16 v12, v10, v7
	v_pk_add_f16 v4, v73, v4
	v_pk_add_f16 v65, v88, v12
	v_pk_min_f16 v12, v10, v9
	v_pk_min_f16 v10, v10, v11
	v_pk_add_f16 v57, v57, v12
	v_pk_add_f16 v49, v16, v10
	v_pk_max_f16 v10, v19, v19
	v_pk_add_f16 v45, v45, v125
	v_pk_min_f16 v12, v10, v5
	v_pk_add_f16 v6, v74, v6
	v_pk_add_f16 v76, v89, v12
	v_pk_min_f16 v12, v10, v7
	v_pk_add_f16 v0, v45, v0
	v_pk_add_f16 v64, v64, v12
	v_pk_min_f16 v12, v10, v9
	v_pk_min_f16 v10, v10, v11
	v_pk_add_f16 v56, v56, v12
	v_pk_add_f16 v48, v18, v10
	v_pk_max_f16 v10, v21, v21
	v_pk_add_f16 v2, v44, v2
	v_pk_min_f16 v12, v10, v5
	s_add_i32 s18, s18, 8
	v_pk_add_f16 v75, v90, v12
	v_pk_min_f16 v12, v10, v7
	v_pk_add_f16 v59, v39, v13
	v_pk_add_f16 v63, v63, v12
	v_pk_min_f16 v12, v10, v9
	v_pk_min_f16 v10, v10, v11
	v_pk_add_f16 v55, v55, v12
	v_pk_add_f16 v47, v20, v10
	v_pk_max_f16 v10, v23, v23
	v_lshl_add_u64 v[28:29], v[28:29], 0, 16
	v_pk_min_f16 v12, v10, v5
	v_pk_min_f16 v5, v1, v5
	v_pk_add_f16 v74, v91, v12
	v_pk_add_f16 v73, v4, v5
	v_pk_min_f16 v4, v1, v7
	v_pk_min_f16 v12, v10, v7
	v_pk_add_f16 v61, v6, v4
	v_pk_min_f16 v4, v1, v9
	v_pk_min_f16 v1, v1, v11
	;; [unrolled: 3-line block ×3, first 2 shown]
	v_pk_add_f16 v45, v0, v1
	v_pk_min_f16 v0, v3, v11
	v_pk_add_f16 v54, v54, v12
	v_pk_add_f16 v46, v22, v10
	;; [unrolled: 1-line block ×4, first 2 shown]
	v_lshl_add_u64 v[30:31], v[30:31], 0, 16
	s_cmp_ge_i32 s18, s19
	v_lshl_add_u64 v[26:27], v[26:27], 0, s[12:13]
	s_waitcnt vmcnt(0)
	ds_write_b16 v81, v87
	ds_write_b16 v82, v86
	ds_write_b16 v82, v38 offset:512
	s_waitcnt lgkmcnt(0)
	s_barrier
	s_cbranch_scc1 .LBB235_35
.LBB235_23:                             ; =>This Inner Loop Header: Depth=1
	v_add_u32_e32 v86, s18, v42
	v_add_u32_e32 v0, 8, v86
	v_cmp_gt_i32_e64 s[4:5], s22, v0
	s_and_b64 s[14:15], s[10:11], s[4:5]
	v_mov_b32_e32 v87, 0
	s_and_saveexec_b64 s[4:5], s[14:15]
	s_cbranch_execz .LBB235_25
; %bb.24:                               ;   in Loop: Header=BB235_23 Depth=1
	v_lshl_add_u64 v[0:1], v[26:27], 0, v[34:35]
	flat_load_ushort v87, v[0:1]
.LBB235_25:                             ;   in Loop: Header=BB235_23 Depth=1
	s_or_b64 exec, exec, s[4:5]
	v_add_u32_e32 v85, s18, v69
	v_add_u32_e32 v0, 8, v85
	v_cmp_le_i32_e64 s[4:5], s22, v0
	s_nor_b64 s[16:17], vcc, s[4:5]
	v_mov_b32_e32 v88, 0
	v_lshl_add_u64 v[38:39], v[28:29], 0, v[24:25]
	v_mov_b32_e32 v89, 0
	s_and_saveexec_b64 s[14:15], s[16:17]
	s_cbranch_execz .LBB235_27
; %bb.26:                               ;   in Loop: Header=BB235_23 Depth=1
	flat_load_ushort v89, v[38:39] offset:16
.LBB235_27:                             ;   in Loop: Header=BB235_23 Depth=1
	s_or_b64 exec, exec, s[14:15]
	s_nor_b64 s[14:15], s[2:3], s[4:5]
	v_lshl_add_u64 v[36:37], v[30:31], 0, v[24:25]
	s_and_saveexec_b64 s[4:5], s[14:15]
	s_cbranch_execz .LBB235_29
; %bb.28:                               ;   in Loop: Header=BB235_23 Depth=1
	flat_load_ushort v88, v[36:37] offset:16
.LBB235_29:                             ;   in Loop: Header=BB235_23 Depth=1
	s_or_b64 exec, exec, s[4:5]
	ds_read2_b64 v[0:3], v83 offset0:48 offset1:56
	ds_read2_b64 v[16:19], v84 offset0:64 offset1:96
	ds_read2_b64 v[20:23], v84 offset1:32
	ds_read2_b64 v[12:15], v83 offset1:8
	ds_read2_b64 v[8:11], v83 offset0:16 offset1:24
	ds_read2_b64 v[4:7], v83 offset0:32 offset1:40
	v_add_u32_e32 v86, 12, v86
	v_cmp_gt_i32_e64 s[4:5], s22, v86
	s_waitcnt vmcnt(0) lgkmcnt(0)
	ds_write_b16 v80, v87
	ds_write_b16 v71, v89
	ds_write_b16 v71, v88 offset:512
	s_and_b64 s[4:5], s[10:11], s[4:5]
	v_mov_b32_e32 v86, 0
	v_mov_b32_e32 v87, 0
	s_waitcnt lgkmcnt(0)
	s_barrier
	s_and_saveexec_b64 s[14:15], s[4:5]
	s_xor_b64 s[4:5], exec, s[14:15]
	s_cbranch_execz .LBB235_31
; %bb.30:                               ;   in Loop: Header=BB235_23 Depth=1
	v_lshl_add_u64 v[88:89], v[26:27], 0, v[32:33]
	flat_load_ushort v87, v[88:89]
.LBB235_31:                             ;   in Loop: Header=BB235_23 Depth=1
	s_or_b64 exec, exec, s[4:5]
	v_add_u32_e32 v85, 12, v85
	v_cmp_le_i32_e64 s[4:5], s22, v85
	s_nor_b64 s[16:17], vcc, s[4:5]
	s_and_saveexec_b64 s[14:15], s[16:17]
	s_cbranch_execz .LBB235_33
; %bb.32:                               ;   in Loop: Header=BB235_23 Depth=1
	flat_load_ushort v86, v[38:39] offset:24
.LBB235_33:                             ;   in Loop: Header=BB235_23 Depth=1
	s_or_b64 exec, exec, s[14:15]
	s_nor_b64 s[14:15], s[2:3], s[4:5]
	v_mov_b32_e32 v38, 0
	s_and_saveexec_b64 s[4:5], s[14:15]
	s_cbranch_execz .LBB235_22
; %bb.34:                               ;   in Loop: Header=BB235_23 Depth=1
	flat_load_ushort v38, v[36:37] offset:24
	s_branch .LBB235_22
.LBB235_35:
	s_load_dwordx2 s[2:3], s[0:1], 0x70
	s_load_dword s30, s[0:1], 0x50
	s_load_dword s29, s[0:1], 0x68
	v_add_u32_e32 v8, 0x800, v70
	ds_read2_b64 v[0:3], v8 offset0:112 offset1:120
	ds_read2_b64 v[4:7], v43 offset0:192 offset1:224
	;; [unrolled: 1-line block ×6, first 2 shown]
	s_waitcnt lgkmcnt(0)
	s_lshl_b64 s[0:1], s[2:3], 1
	s_add_u32 s22, s6, s0
	v_add_u32_e32 v69, s27, v41
	s_addc_u32 s23, s7, s1
	v_mad_i64_i32 v[26:27], s[0:1], v69, s30, 0
	v_add_u32_e32 v24, s26, v40
	v_lshl_add_u64 v[42:43], v[26:27], 1, s[24:25]
	v_mad_i64_i32 v[26:27], s[0:1], v69, s29, 0
	v_cmp_gt_i32_e64 s[18:19], s21, v69
	v_lshl_add_u64 v[40:41], v[26:27], 1, s[22:23]
	v_cmp_gt_i32_e64 s[2:3], s20, v24
	v_cndmask_b32_e64 v26, 0, 1, s[8:9]
	s_and_b64 s[4:5], s[2:3], s[18:19]
	v_ashrrev_i32_e32 v25, 31, v24
	v_cmp_ne_u32_e64 s[0:1], 1, v26
	s_and_saveexec_b64 s[6:7], s[4:5]
	s_xor_b64 s[4:5], exec, s[6:7]
	s_cbranch_execz .LBB235_40
; %bb.36:
	s_and_b64 vcc, exec, s[0:1]
	s_cbranch_vccnz .LBB235_38
; %bb.37:
	v_lshl_add_u64 v[26:27], v[24:25], 1, v[42:43]
	flat_load_ushort v26, v[26:27]
	s_waitcnt vmcnt(0) lgkmcnt(0)
	v_mul_f16_e32 v26, s28, v26
	s_branch .LBB235_39
.LBB235_38:
	v_mov_b32_e32 v26, 0
.LBB235_39:
	v_pk_max_f16 v27, v20, v20
	v_pk_max_f16 v28, v16, v16
	v_pk_max_f16 v29, v17, v17
	v_pk_min_f16 v27, v28, v27
	v_pk_max_f16 v28, v21, v21
	v_pk_add_f16 v27, v79, v27
	v_pk_min_f16 v28, v29, v28
	s_nop 0
	v_pk_add_f16 v27, v27, v28
	s_nop 0
	v_add_f16_sdwa v27, v27, v27 dst_sel:DWORD dst_unused:UNUSED_PAD src0_sel:DWORD src1_sel:WORD_1
	v_add_f16_e32 v28, v27, v26
	v_lshl_add_u64 v[26:27], v[24:25], 1, v[40:41]
	flat_store_short v[26:27], v28
.LBB235_40:
	s_or_b64 exec, exec, s[4:5]
	v_add_u32_e32 v26, 8, v24
	v_cmp_gt_i32_e64 s[4:5], s20, v26
	s_and_b64 s[8:9], s[4:5], s[18:19]
	v_ashrrev_i32_e32 v27, 31, v26
	s_and_saveexec_b64 s[6:7], s[8:9]
	s_cbranch_execz .LBB235_45
; %bb.41:
	s_and_b64 vcc, exec, s[0:1]
	s_cbranch_vccnz .LBB235_43
; %bb.42:
	v_lshl_add_u64 v[28:29], v[26:27], 1, v[42:43]
	flat_load_ushort v28, v[28:29]
	s_waitcnt vmcnt(0) lgkmcnt(0)
	v_mul_f16_e32 v28, s28, v28
	s_branch .LBB235_44
.LBB235_43:
	v_mov_b32_e32 v28, 0
.LBB235_44:
	v_pk_max_f16 v29, v20, v20
	v_pk_max_f16 v30, v18, v18
	v_pk_max_f16 v31, v19, v19
	v_pk_min_f16 v29, v30, v29
	v_pk_max_f16 v30, v21, v21
	v_pk_add_f16 v29, v78, v29
	v_pk_min_f16 v30, v31, v30
	s_nop 0
	v_pk_add_f16 v29, v29, v30
	s_nop 0
	v_add_f16_sdwa v29, v29, v29 dst_sel:DWORD dst_unused:UNUSED_PAD src0_sel:DWORD src1_sel:WORD_1
	v_add_f16_e32 v30, v29, v28
	v_lshl_add_u64 v[28:29], v[26:27], 1, v[40:41]
	flat_store_short v[28:29], v30
.LBB235_45:
	s_or_b64 exec, exec, s[6:7]
	v_add_u32_e32 v28, 16, v24
	v_cmp_gt_i32_e64 s[6:7], s20, v28
	s_and_b64 s[10:11], s[6:7], s[18:19]
	v_ashrrev_i32_e32 v29, 31, v28
	s_and_saveexec_b64 s[8:9], s[10:11]
	;; [unrolled: 34-line block ×7, first 2 shown]
	s_cbranch_execz .LBB235_75
; %bb.71:
	s_and_b64 vcc, exec, s[0:1]
	s_cbranch_vccnz .LBB235_73
; %bb.72:
	v_lshl_add_u64 v[42:43], v[38:39], 1, v[42:43]
	flat_load_ushort v42, v[42:43]
	s_waitcnt vmcnt(0) lgkmcnt(0)
	v_mul_f16_e32 v42, s28, v42
	s_branch .LBB235_74
.LBB235_73:
	v_mov_b32_e32 v42, 0
.LBB235_74:
	v_pk_max_f16 v20, v20, v20
	v_pk_max_f16 v43, v2, v2
	;; [unrolled: 1-line block ×3, first 2 shown]
	v_pk_min_f16 v20, v43, v20
	v_pk_max_f16 v43, v3, v3
	v_pk_add_f16 v20, v68, v20
	v_pk_min_f16 v21, v43, v21
	s_nop 0
	v_pk_add_f16 v20, v20, v21
	s_nop 0
	v_add_f16_sdwa v20, v20, v20 dst_sel:DWORD dst_unused:UNUSED_PAD src0_sel:DWORD src1_sel:WORD_1
	v_add_f16_e32 v42, v20, v42
	v_lshl_add_u64 v[20:21], v[38:39], 1, v[40:41]
	flat_store_short v[20:21], v42
.LBB235_75:
	s_or_b64 exec, exec, s[18:19]
	v_add_u32_e32 v42, 32, v69
	v_mad_i64_i32 v[20:21], s[26:27], v42, s30, 0
	v_cmp_gt_i32_e64 s[18:19], s21, v42
	v_lshl_add_u64 v[40:41], v[20:21], 1, s[24:25]
	v_mad_i64_i32 v[20:21], s[26:27], v42, s29, 0
	v_lshl_add_u64 v[20:21], v[20:21], 1, s[22:23]
	s_and_b64 s[34:35], s[2:3], s[18:19]
	s_and_saveexec_b64 s[26:27], s[34:35]
	s_cbranch_execnz .LBB235_83
; %bb.76:
	s_or_b64 exec, exec, s[26:27]
	s_and_b64 s[34:35], s[4:5], s[18:19]
	s_and_saveexec_b64 s[26:27], s[34:35]
	s_cbranch_execnz .LBB235_87
.LBB235_77:
	s_or_b64 exec, exec, s[26:27]
	s_and_b64 s[34:35], s[6:7], s[18:19]
	s_and_saveexec_b64 s[26:27], s[34:35]
	s_cbranch_execnz .LBB235_91
.LBB235_78:
	s_or_b64 exec, exec, s[26:27]
	s_and_b64 s[34:35], s[8:9], s[18:19]
	s_and_saveexec_b64 s[26:27], s[34:35]
	s_cbranch_execnz .LBB235_95
.LBB235_79:
	s_or_b64 exec, exec, s[26:27]
	s_and_b64 s[34:35], s[10:11], s[18:19]
	s_and_saveexec_b64 s[26:27], s[34:35]
	s_cbranch_execnz .LBB235_99
.LBB235_80:
	s_or_b64 exec, exec, s[26:27]
	s_and_b64 s[34:35], s[12:13], s[18:19]
	s_and_saveexec_b64 s[26:27], s[34:35]
	s_cbranch_execnz .LBB235_103
.LBB235_81:
	s_or_b64 exec, exec, s[26:27]
	s_and_b64 s[34:35], s[14:15], s[18:19]
	s_and_saveexec_b64 s[26:27], s[34:35]
	s_cbranch_execnz .LBB235_107
.LBB235_82:
	s_or_b64 exec, exec, s[26:27]
	s_and_b64 s[26:27], s[16:17], s[18:19]
	s_and_saveexec_b64 s[18:19], s[26:27]
	s_cbranch_execnz .LBB235_111
	s_branch .LBB235_115
.LBB235_83:
	s_and_b64 vcc, exec, s[0:1]
	s_cbranch_vccnz .LBB235_85
; %bb.84:
	v_lshl_add_u64 v[42:43], v[24:25], 1, v[40:41]
	flat_load_ushort v42, v[42:43]
	s_waitcnt vmcnt(0) lgkmcnt(0)
	v_mul_f16_e32 v42, s28, v42
	s_branch .LBB235_86
.LBB235_85:
	v_mov_b32_e32 v42, 0
.LBB235_86:
	v_pk_max_f16 v43, v22, v22
	v_pk_max_f16 v68, v16, v16
	s_nop 0
	v_pk_min_f16 v43, v68, v43
	v_pk_max_f16 v68, v17, v17
	v_pk_add_f16 v43, v67, v43
	v_pk_max_f16 v67, v23, v23
	s_nop 0
	v_pk_min_f16 v67, v68, v67
	s_nop 0
	v_pk_add_f16 v43, v43, v67
	s_nop 0
	v_add_f16_sdwa v43, v43, v43 dst_sel:DWORD dst_unused:UNUSED_PAD src0_sel:DWORD src1_sel:WORD_1
	v_add_f16_e32 v67, v43, v42
	v_lshl_add_u64 v[42:43], v[24:25], 1, v[20:21]
	flat_store_short v[42:43], v67
	s_or_b64 exec, exec, s[26:27]
	s_and_b64 s[34:35], s[4:5], s[18:19]
	s_and_saveexec_b64 s[26:27], s[34:35]
	s_cbranch_execz .LBB235_77
.LBB235_87:
	s_and_b64 vcc, exec, s[0:1]
	s_cbranch_vccnz .LBB235_89
; %bb.88:
	v_lshl_add_u64 v[42:43], v[26:27], 1, v[40:41]
	flat_load_ushort v42, v[42:43]
	s_waitcnt vmcnt(0) lgkmcnt(0)
	v_mul_f16_e32 v42, s28, v42
	s_branch .LBB235_90
.LBB235_89:
	v_mov_b32_e32 v42, 0
.LBB235_90:
	v_pk_max_f16 v43, v22, v22
	v_pk_max_f16 v67, v18, v18
	s_nop 0
	v_pk_min_f16 v43, v67, v43
	v_pk_max_f16 v67, v19, v19
	v_pk_add_f16 v43, v66, v43
	v_pk_max_f16 v66, v23, v23
	s_nop 0
	v_pk_min_f16 v66, v67, v66
	s_nop 0
	v_pk_add_f16 v43, v43, v66
	s_nop 0
	v_add_f16_sdwa v43, v43, v43 dst_sel:DWORD dst_unused:UNUSED_PAD src0_sel:DWORD src1_sel:WORD_1
	v_add_f16_e32 v66, v43, v42
	v_lshl_add_u64 v[42:43], v[26:27], 1, v[20:21]
	flat_store_short v[42:43], v66
	s_or_b64 exec, exec, s[26:27]
	s_and_b64 s[34:35], s[6:7], s[18:19]
	s_and_saveexec_b64 s[26:27], s[34:35]
	s_cbranch_execz .LBB235_78
.LBB235_91:
	s_and_b64 vcc, exec, s[0:1]
	s_cbranch_vccnz .LBB235_93
; %bb.92:
	v_lshl_add_u64 v[42:43], v[28:29], 1, v[40:41]
	flat_load_ushort v42, v[42:43]
	s_waitcnt vmcnt(0) lgkmcnt(0)
	v_mul_f16_e32 v42, s28, v42
	s_branch .LBB235_94
.LBB235_93:
	v_mov_b32_e32 v42, 0
.LBB235_94:
	v_pk_max_f16 v43, v22, v22
	v_pk_max_f16 v66, v12, v12
	s_nop 0
	v_pk_min_f16 v43, v66, v43
	v_pk_max_f16 v66, v13, v13
	v_pk_add_f16 v43, v65, v43
	v_pk_max_f16 v65, v23, v23
	s_nop 0
	v_pk_min_f16 v65, v66, v65
	s_nop 0
	v_pk_add_f16 v43, v43, v65
	s_nop 0
	v_add_f16_sdwa v43, v43, v43 dst_sel:DWORD dst_unused:UNUSED_PAD src0_sel:DWORD src1_sel:WORD_1
	v_add_f16_e32 v65, v43, v42
	v_lshl_add_u64 v[42:43], v[28:29], 1, v[20:21]
	flat_store_short v[42:43], v65
	s_or_b64 exec, exec, s[26:27]
	s_and_b64 s[34:35], s[8:9], s[18:19]
	s_and_saveexec_b64 s[26:27], s[34:35]
	s_cbranch_execz .LBB235_79
.LBB235_95:
	s_and_b64 vcc, exec, s[0:1]
	s_cbranch_vccnz .LBB235_97
; %bb.96:
	v_lshl_add_u64 v[42:43], v[30:31], 1, v[40:41]
	flat_load_ushort v42, v[42:43]
	s_waitcnt vmcnt(0) lgkmcnt(0)
	v_mul_f16_e32 v42, s28, v42
	s_branch .LBB235_98
.LBB235_97:
	v_mov_b32_e32 v42, 0
.LBB235_98:
	v_pk_max_f16 v43, v22, v22
	v_pk_max_f16 v65, v14, v14
	s_nop 0
	v_pk_min_f16 v43, v65, v43
	v_pk_max_f16 v65, v15, v15
	v_pk_add_f16 v43, v64, v43
	v_pk_max_f16 v64, v23, v23
	s_nop 0
	v_pk_min_f16 v64, v65, v64
	s_nop 0
	v_pk_add_f16 v43, v43, v64
	s_nop 0
	v_add_f16_sdwa v43, v43, v43 dst_sel:DWORD dst_unused:UNUSED_PAD src0_sel:DWORD src1_sel:WORD_1
	v_add_f16_e32 v64, v43, v42
	v_lshl_add_u64 v[42:43], v[30:31], 1, v[20:21]
	flat_store_short v[42:43], v64
	s_or_b64 exec, exec, s[26:27]
	s_and_b64 s[34:35], s[10:11], s[18:19]
	s_and_saveexec_b64 s[26:27], s[34:35]
	s_cbranch_execz .LBB235_80
.LBB235_99:
	s_and_b64 vcc, exec, s[0:1]
	s_cbranch_vccnz .LBB235_101
; %bb.100:
	v_lshl_add_u64 v[42:43], v[32:33], 1, v[40:41]
	flat_load_ushort v42, v[42:43]
	s_waitcnt vmcnt(0) lgkmcnt(0)
	v_mul_f16_e32 v42, s28, v42
	s_branch .LBB235_102
.LBB235_101:
	v_mov_b32_e32 v42, 0
.LBB235_102:
	v_pk_max_f16 v43, v22, v22
	v_pk_max_f16 v64, v8, v8
	s_nop 0
	v_pk_min_f16 v43, v64, v43
	v_pk_max_f16 v64, v9, v9
	v_pk_add_f16 v43, v63, v43
	v_pk_max_f16 v63, v23, v23
	s_nop 0
	v_pk_min_f16 v63, v64, v63
	s_nop 0
	v_pk_add_f16 v43, v43, v63
	s_nop 0
	v_add_f16_sdwa v43, v43, v43 dst_sel:DWORD dst_unused:UNUSED_PAD src0_sel:DWORD src1_sel:WORD_1
	v_add_f16_e32 v63, v43, v42
	v_lshl_add_u64 v[42:43], v[32:33], 1, v[20:21]
	flat_store_short v[42:43], v63
	s_or_b64 exec, exec, s[26:27]
	s_and_b64 s[34:35], s[12:13], s[18:19]
	s_and_saveexec_b64 s[26:27], s[34:35]
	s_cbranch_execz .LBB235_81
.LBB235_103:
	s_and_b64 vcc, exec, s[0:1]
	s_cbranch_vccnz .LBB235_105
; %bb.104:
	v_lshl_add_u64 v[42:43], v[34:35], 1, v[40:41]
	flat_load_ushort v42, v[42:43]
	s_waitcnt vmcnt(0) lgkmcnt(0)
	v_mul_f16_e32 v42, s28, v42
	s_branch .LBB235_106
.LBB235_105:
	v_mov_b32_e32 v42, 0
.LBB235_106:
	v_pk_max_f16 v43, v22, v22
	v_pk_max_f16 v63, v10, v10
	s_nop 0
	v_pk_min_f16 v43, v63, v43
	v_pk_max_f16 v63, v11, v11
	v_pk_add_f16 v43, v62, v43
	v_pk_max_f16 v62, v23, v23
	s_nop 0
	v_pk_min_f16 v62, v63, v62
	s_nop 0
	v_pk_add_f16 v43, v43, v62
	s_nop 0
	v_add_f16_sdwa v43, v43, v43 dst_sel:DWORD dst_unused:UNUSED_PAD src0_sel:DWORD src1_sel:WORD_1
	v_add_f16_e32 v62, v43, v42
	v_lshl_add_u64 v[42:43], v[34:35], 1, v[20:21]
	flat_store_short v[42:43], v62
	s_or_b64 exec, exec, s[26:27]
	s_and_b64 s[34:35], s[14:15], s[18:19]
	s_and_saveexec_b64 s[26:27], s[34:35]
	s_cbranch_execz .LBB235_82
.LBB235_107:
	s_and_b64 vcc, exec, s[0:1]
	s_cbranch_vccnz .LBB235_109
; %bb.108:
	v_lshl_add_u64 v[42:43], v[36:37], 1, v[40:41]
	flat_load_ushort v42, v[42:43]
	s_waitcnt vmcnt(0) lgkmcnt(0)
	v_mul_f16_e32 v42, s28, v42
	s_branch .LBB235_110
.LBB235_109:
	v_mov_b32_e32 v42, 0
.LBB235_110:
	v_pk_max_f16 v43, v22, v22
	v_pk_max_f16 v62, v0, v0
	s_nop 0
	v_pk_min_f16 v43, v62, v43
	v_pk_max_f16 v62, v1, v1
	v_pk_add_f16 v43, v61, v43
	v_pk_max_f16 v61, v23, v23
	s_nop 0
	v_pk_min_f16 v61, v62, v61
	s_nop 0
	v_pk_add_f16 v43, v43, v61
	s_nop 0
	v_add_f16_sdwa v43, v43, v43 dst_sel:DWORD dst_unused:UNUSED_PAD src0_sel:DWORD src1_sel:WORD_1
	v_add_f16_e32 v61, v43, v42
	v_lshl_add_u64 v[42:43], v[36:37], 1, v[20:21]
	flat_store_short v[42:43], v61
	s_or_b64 exec, exec, s[26:27]
	s_and_b64 s[26:27], s[16:17], s[18:19]
	s_and_saveexec_b64 s[18:19], s[26:27]
	s_cbranch_execz .LBB235_115
.LBB235_111:
	s_and_b64 vcc, exec, s[0:1]
	s_cbranch_vccnz .LBB235_113
; %bb.112:
	v_lshl_add_u64 v[40:41], v[38:39], 1, v[40:41]
	flat_load_ushort v40, v[40:41]
	s_waitcnt vmcnt(0) lgkmcnt(0)
	v_mul_f16_e32 v40, s28, v40
	s_branch .LBB235_114
.LBB235_113:
	v_mov_b32_e32 v40, 0
.LBB235_114:
	v_pk_max_f16 v22, v22, v22
	v_pk_max_f16 v41, v2, v2
	;; [unrolled: 1-line block ×3, first 2 shown]
	v_pk_min_f16 v22, v41, v22
	v_pk_max_f16 v41, v3, v3
	v_pk_add_f16 v22, v60, v22
	v_pk_min_f16 v23, v41, v23
	v_lshl_add_u64 v[20:21], v[38:39], 1, v[20:21]
	v_pk_add_f16 v22, v22, v23
	s_nop 0
	v_add_f16_sdwa v22, v22, v22 dst_sel:DWORD dst_unused:UNUSED_PAD src0_sel:DWORD src1_sel:WORD_1
	v_add_f16_e32 v22, v22, v40
	flat_store_short v[20:21], v22
.LBB235_115:
	s_or_b64 exec, exec, s[18:19]
	v_add_u32_e32 v40, 64, v69
	v_mad_i64_i32 v[20:21], s[26:27], v40, s30, 0
	v_cmp_gt_i32_e64 s[18:19], s21, v40
	v_lshl_add_u64 v[22:23], v[20:21], 1, s[24:25]
	v_mad_i64_i32 v[20:21], s[26:27], v40, s29, 0
	v_lshl_add_u64 v[20:21], v[20:21], 1, s[22:23]
	s_and_b64 s[34:35], s[2:3], s[18:19]
	s_and_saveexec_b64 s[26:27], s[34:35]
	s_cbranch_execnz .LBB235_123
; %bb.116:
	s_or_b64 exec, exec, s[26:27]
	s_and_b64 s[34:35], s[4:5], s[18:19]
	s_and_saveexec_b64 s[26:27], s[34:35]
	s_cbranch_execnz .LBB235_127
.LBB235_117:
	s_or_b64 exec, exec, s[26:27]
	s_and_b64 s[34:35], s[6:7], s[18:19]
	s_and_saveexec_b64 s[26:27], s[34:35]
	s_cbranch_execnz .LBB235_131
.LBB235_118:
	s_or_b64 exec, exec, s[26:27]
	s_and_b64 s[34:35], s[8:9], s[18:19]
	s_and_saveexec_b64 s[26:27], s[34:35]
	s_cbranch_execnz .LBB235_135
.LBB235_119:
	s_or_b64 exec, exec, s[26:27]
	s_and_b64 s[34:35], s[10:11], s[18:19]
	s_and_saveexec_b64 s[26:27], s[34:35]
	s_cbranch_execnz .LBB235_139
.LBB235_120:
	s_or_b64 exec, exec, s[26:27]
	s_and_b64 s[34:35], s[12:13], s[18:19]
	s_and_saveexec_b64 s[26:27], s[34:35]
	s_cbranch_execnz .LBB235_143
.LBB235_121:
	s_or_b64 exec, exec, s[26:27]
	s_and_b64 s[34:35], s[14:15], s[18:19]
	s_and_saveexec_b64 s[26:27], s[34:35]
	s_cbranch_execnz .LBB235_147
.LBB235_122:
	s_or_b64 exec, exec, s[26:27]
	s_and_b64 s[26:27], s[16:17], s[18:19]
	s_and_saveexec_b64 s[18:19], s[26:27]
	s_cbranch_execnz .LBB235_151
	s_branch .LBB235_155
.LBB235_123:
	s_and_b64 vcc, exec, s[0:1]
	s_cbranch_vccnz .LBB235_125
; %bb.124:
	v_lshl_add_u64 v[40:41], v[24:25], 1, v[22:23]
	flat_load_ushort v40, v[40:41]
	s_waitcnt vmcnt(0) lgkmcnt(0)
	v_mul_f16_e32 v40, s28, v40
	s_branch .LBB235_126
.LBB235_125:
	v_mov_b32_e32 v40, 0
.LBB235_126:
	v_pk_max_f16 v41, v4, v4
	v_pk_max_f16 v42, v16, v16
	;; [unrolled: 1-line block ×3, first 2 shown]
	v_pk_min_f16 v41, v42, v41
	v_pk_max_f16 v42, v5, v5
	v_pk_add_f16 v41, v59, v41
	v_pk_min_f16 v42, v43, v42
	s_nop 0
	v_pk_add_f16 v41, v41, v42
	s_nop 0
	v_add_f16_sdwa v41, v41, v41 dst_sel:DWORD dst_unused:UNUSED_PAD src0_sel:DWORD src1_sel:WORD_1
	v_add_f16_e32 v42, v41, v40
	v_lshl_add_u64 v[40:41], v[24:25], 1, v[20:21]
	flat_store_short v[40:41], v42
	s_or_b64 exec, exec, s[26:27]
	s_and_b64 s[34:35], s[4:5], s[18:19]
	s_and_saveexec_b64 s[26:27], s[34:35]
	s_cbranch_execz .LBB235_117
.LBB235_127:
	s_and_b64 vcc, exec, s[0:1]
	s_cbranch_vccnz .LBB235_129
; %bb.128:
	v_lshl_add_u64 v[40:41], v[26:27], 1, v[22:23]
	flat_load_ushort v40, v[40:41]
	s_waitcnt vmcnt(0) lgkmcnt(0)
	v_mul_f16_e32 v40, s28, v40
	s_branch .LBB235_130
.LBB235_129:
	v_mov_b32_e32 v40, 0
.LBB235_130:
	v_pk_max_f16 v41, v4, v4
	v_pk_max_f16 v42, v18, v18
	;; [unrolled: 1-line block ×3, first 2 shown]
	v_pk_min_f16 v41, v42, v41
	v_pk_max_f16 v42, v5, v5
	v_pk_add_f16 v41, v58, v41
	v_pk_min_f16 v42, v43, v42
	s_nop 0
	v_pk_add_f16 v41, v41, v42
	s_nop 0
	v_add_f16_sdwa v41, v41, v41 dst_sel:DWORD dst_unused:UNUSED_PAD src0_sel:DWORD src1_sel:WORD_1
	v_add_f16_e32 v42, v41, v40
	v_lshl_add_u64 v[40:41], v[26:27], 1, v[20:21]
	flat_store_short v[40:41], v42
	s_or_b64 exec, exec, s[26:27]
	s_and_b64 s[34:35], s[6:7], s[18:19]
	s_and_saveexec_b64 s[26:27], s[34:35]
	s_cbranch_execz .LBB235_118
.LBB235_131:
	s_and_b64 vcc, exec, s[0:1]
	s_cbranch_vccnz .LBB235_133
; %bb.132:
	v_lshl_add_u64 v[40:41], v[28:29], 1, v[22:23]
	flat_load_ushort v40, v[40:41]
	s_waitcnt vmcnt(0) lgkmcnt(0)
	v_mul_f16_e32 v40, s28, v40
	s_branch .LBB235_134
.LBB235_133:
	v_mov_b32_e32 v40, 0
.LBB235_134:
	v_pk_max_f16 v41, v4, v4
	v_pk_max_f16 v42, v12, v12
	v_pk_max_f16 v43, v13, v13
	v_pk_min_f16 v41, v42, v41
	v_pk_max_f16 v42, v5, v5
	v_pk_add_f16 v41, v57, v41
	v_pk_min_f16 v42, v43, v42
	s_nop 0
	v_pk_add_f16 v41, v41, v42
	s_nop 0
	v_add_f16_sdwa v41, v41, v41 dst_sel:DWORD dst_unused:UNUSED_PAD src0_sel:DWORD src1_sel:WORD_1
	v_add_f16_e32 v42, v41, v40
	v_lshl_add_u64 v[40:41], v[28:29], 1, v[20:21]
	flat_store_short v[40:41], v42
	s_or_b64 exec, exec, s[26:27]
	s_and_b64 s[34:35], s[8:9], s[18:19]
	s_and_saveexec_b64 s[26:27], s[34:35]
	s_cbranch_execz .LBB235_119
.LBB235_135:
	s_and_b64 vcc, exec, s[0:1]
	s_cbranch_vccnz .LBB235_137
; %bb.136:
	v_lshl_add_u64 v[40:41], v[30:31], 1, v[22:23]
	flat_load_ushort v40, v[40:41]
	s_waitcnt vmcnt(0) lgkmcnt(0)
	v_mul_f16_e32 v40, s28, v40
	s_branch .LBB235_138
.LBB235_137:
	v_mov_b32_e32 v40, 0
.LBB235_138:
	v_pk_max_f16 v41, v4, v4
	v_pk_max_f16 v42, v14, v14
	;; [unrolled: 1-line block ×3, first 2 shown]
	v_pk_min_f16 v41, v42, v41
	v_pk_max_f16 v42, v5, v5
	v_pk_add_f16 v41, v56, v41
	v_pk_min_f16 v42, v43, v42
	s_nop 0
	v_pk_add_f16 v41, v41, v42
	s_nop 0
	v_add_f16_sdwa v41, v41, v41 dst_sel:DWORD dst_unused:UNUSED_PAD src0_sel:DWORD src1_sel:WORD_1
	v_add_f16_e32 v42, v41, v40
	v_lshl_add_u64 v[40:41], v[30:31], 1, v[20:21]
	flat_store_short v[40:41], v42
	s_or_b64 exec, exec, s[26:27]
	s_and_b64 s[34:35], s[10:11], s[18:19]
	s_and_saveexec_b64 s[26:27], s[34:35]
	s_cbranch_execz .LBB235_120
.LBB235_139:
	s_and_b64 vcc, exec, s[0:1]
	s_cbranch_vccnz .LBB235_141
; %bb.140:
	v_lshl_add_u64 v[40:41], v[32:33], 1, v[22:23]
	flat_load_ushort v40, v[40:41]
	s_waitcnt vmcnt(0) lgkmcnt(0)
	v_mul_f16_e32 v40, s28, v40
	s_branch .LBB235_142
.LBB235_141:
	v_mov_b32_e32 v40, 0
.LBB235_142:
	v_pk_max_f16 v41, v4, v4
	v_pk_max_f16 v42, v8, v8
	;; [unrolled: 1-line block ×3, first 2 shown]
	v_pk_min_f16 v41, v42, v41
	v_pk_max_f16 v42, v5, v5
	v_pk_add_f16 v41, v55, v41
	v_pk_min_f16 v42, v43, v42
	s_nop 0
	v_pk_add_f16 v41, v41, v42
	s_nop 0
	v_add_f16_sdwa v41, v41, v41 dst_sel:DWORD dst_unused:UNUSED_PAD src0_sel:DWORD src1_sel:WORD_1
	v_add_f16_e32 v42, v41, v40
	v_lshl_add_u64 v[40:41], v[32:33], 1, v[20:21]
	flat_store_short v[40:41], v42
	s_or_b64 exec, exec, s[26:27]
	s_and_b64 s[34:35], s[12:13], s[18:19]
	s_and_saveexec_b64 s[26:27], s[34:35]
	s_cbranch_execz .LBB235_121
.LBB235_143:
	s_and_b64 vcc, exec, s[0:1]
	s_cbranch_vccnz .LBB235_145
; %bb.144:
	v_lshl_add_u64 v[40:41], v[34:35], 1, v[22:23]
	flat_load_ushort v40, v[40:41]
	s_waitcnt vmcnt(0) lgkmcnt(0)
	v_mul_f16_e32 v40, s28, v40
	s_branch .LBB235_146
.LBB235_145:
	v_mov_b32_e32 v40, 0
.LBB235_146:
	v_pk_max_f16 v41, v4, v4
	v_pk_max_f16 v42, v10, v10
	;; [unrolled: 1-line block ×3, first 2 shown]
	v_pk_min_f16 v41, v42, v41
	v_pk_max_f16 v42, v5, v5
	v_pk_add_f16 v41, v54, v41
	v_pk_min_f16 v42, v43, v42
	s_nop 0
	v_pk_add_f16 v41, v41, v42
	s_nop 0
	v_add_f16_sdwa v41, v41, v41 dst_sel:DWORD dst_unused:UNUSED_PAD src0_sel:DWORD src1_sel:WORD_1
	v_add_f16_e32 v42, v41, v40
	v_lshl_add_u64 v[40:41], v[34:35], 1, v[20:21]
	flat_store_short v[40:41], v42
	s_or_b64 exec, exec, s[26:27]
	s_and_b64 s[34:35], s[14:15], s[18:19]
	s_and_saveexec_b64 s[26:27], s[34:35]
	s_cbranch_execz .LBB235_122
.LBB235_147:
	s_and_b64 vcc, exec, s[0:1]
	s_cbranch_vccnz .LBB235_149
; %bb.148:
	v_lshl_add_u64 v[40:41], v[36:37], 1, v[22:23]
	flat_load_ushort v40, v[40:41]
	s_waitcnt vmcnt(0) lgkmcnt(0)
	v_mul_f16_e32 v40, s28, v40
	s_branch .LBB235_150
.LBB235_149:
	v_mov_b32_e32 v40, 0
.LBB235_150:
	v_pk_max_f16 v41, v4, v4
	v_pk_max_f16 v42, v0, v0
	;; [unrolled: 1-line block ×3, first 2 shown]
	v_pk_min_f16 v41, v42, v41
	v_pk_max_f16 v42, v5, v5
	v_pk_add_f16 v41, v53, v41
	v_pk_min_f16 v42, v43, v42
	s_nop 0
	v_pk_add_f16 v41, v41, v42
	s_nop 0
	v_add_f16_sdwa v41, v41, v41 dst_sel:DWORD dst_unused:UNUSED_PAD src0_sel:DWORD src1_sel:WORD_1
	v_add_f16_e32 v42, v41, v40
	v_lshl_add_u64 v[40:41], v[36:37], 1, v[20:21]
	flat_store_short v[40:41], v42
	s_or_b64 exec, exec, s[26:27]
	s_and_b64 s[26:27], s[16:17], s[18:19]
	s_and_saveexec_b64 s[18:19], s[26:27]
	s_cbranch_execz .LBB235_155
.LBB235_151:
	s_and_b64 vcc, exec, s[0:1]
	s_cbranch_vccnz .LBB235_153
; %bb.152:
	v_lshl_add_u64 v[22:23], v[38:39], 1, v[22:23]
	flat_load_ushort v22, v[22:23]
	s_waitcnt vmcnt(0) lgkmcnt(0)
	v_mul_f16_e32 v22, s28, v22
	s_branch .LBB235_154
.LBB235_153:
	v_mov_b32_e32 v22, 0
.LBB235_154:
	v_pk_max_f16 v4, v4, v4
	v_pk_max_f16 v23, v2, v2
	;; [unrolled: 1-line block ×3, first 2 shown]
	v_pk_min_f16 v4, v23, v4
	v_pk_max_f16 v23, v3, v3
	v_pk_add_f16 v4, v52, v4
	v_pk_min_f16 v5, v23, v5
	s_nop 0
	v_pk_add_f16 v4, v4, v5
	s_nop 0
	v_add_f16_sdwa v4, v4, v4 dst_sel:DWORD dst_unused:UNUSED_PAD src0_sel:DWORD src1_sel:WORD_1
	v_add_f16_e32 v22, v4, v22
	v_lshl_add_u64 v[4:5], v[38:39], 1, v[20:21]
	flat_store_short v[4:5], v22
.LBB235_155:
	s_or_b64 exec, exec, s[18:19]
	v_add_u32_e32 v22, 0x60, v69
	v_cmp_gt_i32_e64 s[18:19], s21, v22
	v_mad_i64_i32 v[4:5], s[20:21], v22, s30, 0
	v_lshl_add_u64 v[20:21], v[4:5], 1, s[24:25]
	v_mad_i64_i32 v[4:5], s[20:21], v22, s29, 0
	v_lshl_add_u64 v[4:5], v[4:5], 1, s[22:23]
	s_and_b64 s[20:21], s[2:3], s[18:19]
	s_and_saveexec_b64 s[2:3], s[20:21]
	s_cbranch_execnz .LBB235_164
; %bb.156:
	s_or_b64 exec, exec, s[2:3]
	s_and_b64 s[4:5], s[4:5], s[18:19]
	s_and_saveexec_b64 s[2:3], s[4:5]
	s_cbranch_execnz .LBB235_168
.LBB235_157:
	s_or_b64 exec, exec, s[2:3]
	s_and_b64 s[4:5], s[6:7], s[18:19]
	s_and_saveexec_b64 s[2:3], s[4:5]
	s_cbranch_execnz .LBB235_172
.LBB235_158:
	s_or_b64 exec, exec, s[2:3]
	s_and_b64 s[4:5], s[8:9], s[18:19]
	s_and_saveexec_b64 s[2:3], s[4:5]
	s_cbranch_execnz .LBB235_176
.LBB235_159:
	s_or_b64 exec, exec, s[2:3]
	s_and_b64 s[4:5], s[10:11], s[18:19]
	s_and_saveexec_b64 s[2:3], s[4:5]
	s_cbranch_execnz .LBB235_180
.LBB235_160:
	s_or_b64 exec, exec, s[2:3]
	s_and_b64 s[4:5], s[12:13], s[18:19]
	s_and_saveexec_b64 s[2:3], s[4:5]
	s_cbranch_execnz .LBB235_184
.LBB235_161:
	s_or_b64 exec, exec, s[2:3]
	s_and_b64 s[4:5], s[14:15], s[18:19]
	s_and_saveexec_b64 s[2:3], s[4:5]
	s_cbranch_execnz .LBB235_188
.LBB235_162:
	s_or_b64 exec, exec, s[2:3]
	s_and_b64 s[2:3], s[16:17], s[18:19]
	s_and_saveexec_b64 s[4:5], s[2:3]
	s_cbranch_execnz .LBB235_192
.LBB235_163:
	s_endpgm
.LBB235_164:
	s_and_b64 vcc, exec, s[0:1]
	s_cbranch_vccnz .LBB235_166
; %bb.165:
	v_lshl_add_u64 v[22:23], v[24:25], 1, v[20:21]
	flat_load_ushort v22, v[22:23]
	s_waitcnt vmcnt(0) lgkmcnt(0)
	v_mul_f16_e32 v22, s28, v22
	s_branch .LBB235_167
.LBB235_166:
	v_mov_b32_e32 v22, 0
.LBB235_167:
	v_pk_max_f16 v23, v6, v6
	v_pk_max_f16 v16, v16, v16
	;; [unrolled: 1-line block ×3, first 2 shown]
	v_pk_min_f16 v16, v16, v23
	v_pk_max_f16 v23, v7, v7
	v_pk_add_f16 v16, v51, v16
	v_pk_min_f16 v17, v17, v23
	s_nop 0
	v_pk_add_f16 v16, v16, v17
	s_nop 0
	v_add_f16_sdwa v16, v16, v16 dst_sel:DWORD dst_unused:UNUSED_PAD src0_sel:DWORD src1_sel:WORD_1
	v_add_f16_e32 v22, v16, v22
	v_lshl_add_u64 v[16:17], v[24:25], 1, v[4:5]
	flat_store_short v[16:17], v22
	s_or_b64 exec, exec, s[2:3]
	s_and_b64 s[4:5], s[4:5], s[18:19]
	s_and_saveexec_b64 s[2:3], s[4:5]
	s_cbranch_execz .LBB235_157
.LBB235_168:
	s_and_b64 vcc, exec, s[0:1]
	s_cbranch_vccnz .LBB235_170
; %bb.169:
	v_lshl_add_u64 v[16:17], v[26:27], 1, v[20:21]
	flat_load_ushort v16, v[16:17]
	s_waitcnt vmcnt(0) lgkmcnt(0)
	v_mul_f16_e32 v16, s28, v16
	s_branch .LBB235_171
.LBB235_170:
	v_mov_b32_e32 v16, 0
.LBB235_171:
	v_pk_max_f16 v17, v6, v6
	v_pk_max_f16 v18, v18, v18
	;; [unrolled: 1-line block ×3, first 2 shown]
	v_pk_min_f16 v17, v18, v17
	v_pk_max_f16 v18, v7, v7
	v_pk_add_f16 v17, v50, v17
	v_pk_min_f16 v18, v19, v18
	s_nop 0
	v_pk_add_f16 v17, v17, v18
	s_nop 0
	v_add_f16_sdwa v17, v17, v17 dst_sel:DWORD dst_unused:UNUSED_PAD src0_sel:DWORD src1_sel:WORD_1
	v_add_f16_e32 v18, v17, v16
	v_lshl_add_u64 v[16:17], v[26:27], 1, v[4:5]
	flat_store_short v[16:17], v18
	s_or_b64 exec, exec, s[2:3]
	s_and_b64 s[4:5], s[6:7], s[18:19]
	s_and_saveexec_b64 s[2:3], s[4:5]
	s_cbranch_execz .LBB235_158
.LBB235_172:
	s_and_b64 vcc, exec, s[0:1]
	s_cbranch_vccnz .LBB235_174
; %bb.173:
	v_lshl_add_u64 v[16:17], v[28:29], 1, v[20:21]
	flat_load_ushort v16, v[16:17]
	s_waitcnt vmcnt(0) lgkmcnt(0)
	v_mul_f16_e32 v16, s28, v16
	s_branch .LBB235_175
.LBB235_174:
	v_mov_b32_e32 v16, 0
.LBB235_175:
	v_pk_max_f16 v17, v6, v6
	v_pk_max_f16 v12, v12, v12
	;; [unrolled: 1-line block ×3, first 2 shown]
	v_pk_min_f16 v12, v12, v17
	v_pk_max_f16 v17, v7, v7
	v_pk_add_f16 v12, v49, v12
	v_pk_min_f16 v13, v13, v17
	s_nop 0
	v_pk_add_f16 v12, v12, v13
	s_nop 0
	v_add_f16_sdwa v12, v12, v12 dst_sel:DWORD dst_unused:UNUSED_PAD src0_sel:DWORD src1_sel:WORD_1
	v_add_f16_e32 v16, v12, v16
	v_lshl_add_u64 v[12:13], v[28:29], 1, v[4:5]
	flat_store_short v[12:13], v16
	s_or_b64 exec, exec, s[2:3]
	s_and_b64 s[4:5], s[8:9], s[18:19]
	s_and_saveexec_b64 s[2:3], s[4:5]
	s_cbranch_execz .LBB235_159
.LBB235_176:
	s_and_b64 vcc, exec, s[0:1]
	s_cbranch_vccnz .LBB235_178
; %bb.177:
	v_lshl_add_u64 v[12:13], v[30:31], 1, v[20:21]
	flat_load_ushort v12, v[12:13]
	s_waitcnt vmcnt(0) lgkmcnt(0)
	v_mul_f16_e32 v12, s28, v12
	s_branch .LBB235_179
.LBB235_178:
	v_mov_b32_e32 v12, 0
.LBB235_179:
	v_pk_max_f16 v13, v6, v6
	v_pk_max_f16 v14, v14, v14
	;; [unrolled: 1-line block ×3, first 2 shown]
	v_pk_min_f16 v13, v14, v13
	v_pk_max_f16 v14, v7, v7
	v_pk_add_f16 v13, v48, v13
	v_pk_min_f16 v14, v15, v14
	s_nop 0
	v_pk_add_f16 v13, v13, v14
	s_nop 0
	v_add_f16_sdwa v13, v13, v13 dst_sel:DWORD dst_unused:UNUSED_PAD src0_sel:DWORD src1_sel:WORD_1
	v_add_f16_e32 v14, v13, v12
	v_lshl_add_u64 v[12:13], v[30:31], 1, v[4:5]
	flat_store_short v[12:13], v14
	s_or_b64 exec, exec, s[2:3]
	s_and_b64 s[4:5], s[10:11], s[18:19]
	s_and_saveexec_b64 s[2:3], s[4:5]
	s_cbranch_execz .LBB235_160
.LBB235_180:
	s_and_b64 vcc, exec, s[0:1]
	s_cbranch_vccnz .LBB235_182
; %bb.181:
	v_lshl_add_u64 v[12:13], v[32:33], 1, v[20:21]
	flat_load_ushort v12, v[12:13]
	s_waitcnt vmcnt(0) lgkmcnt(0)
	v_mul_f16_e32 v12, s28, v12
	s_branch .LBB235_183
.LBB235_182:
	v_mov_b32_e32 v12, 0
.LBB235_183:
	v_pk_max_f16 v13, v6, v6
	v_pk_max_f16 v8, v8, v8
	;; [unrolled: 1-line block ×3, first 2 shown]
	v_pk_min_f16 v8, v8, v13
	v_pk_max_f16 v13, v7, v7
	v_pk_add_f16 v8, v47, v8
	v_pk_min_f16 v9, v9, v13
	s_nop 0
	v_pk_add_f16 v8, v8, v9
	s_nop 0
	v_add_f16_sdwa v8, v8, v8 dst_sel:DWORD dst_unused:UNUSED_PAD src0_sel:DWORD src1_sel:WORD_1
	v_add_f16_e32 v12, v8, v12
	v_lshl_add_u64 v[8:9], v[32:33], 1, v[4:5]
	flat_store_short v[8:9], v12
	s_or_b64 exec, exec, s[2:3]
	s_and_b64 s[4:5], s[12:13], s[18:19]
	s_and_saveexec_b64 s[2:3], s[4:5]
	s_cbranch_execz .LBB235_161
.LBB235_184:
	s_and_b64 vcc, exec, s[0:1]
	s_cbranch_vccnz .LBB235_186
; %bb.185:
	v_lshl_add_u64 v[8:9], v[34:35], 1, v[20:21]
	flat_load_ushort v8, v[8:9]
	s_waitcnt vmcnt(0) lgkmcnt(0)
	v_mul_f16_e32 v8, s28, v8
	s_branch .LBB235_187
.LBB235_186:
	v_mov_b32_e32 v8, 0
.LBB235_187:
	v_pk_max_f16 v9, v6, v6
	v_pk_max_f16 v10, v10, v10
	;; [unrolled: 1-line block ×3, first 2 shown]
	v_pk_min_f16 v9, v10, v9
	v_pk_max_f16 v10, v7, v7
	v_pk_add_f16 v9, v46, v9
	v_pk_min_f16 v10, v11, v10
	s_nop 0
	v_pk_add_f16 v9, v9, v10
	s_nop 0
	v_add_f16_sdwa v9, v9, v9 dst_sel:DWORD dst_unused:UNUSED_PAD src0_sel:DWORD src1_sel:WORD_1
	v_add_f16_e32 v10, v9, v8
	v_lshl_add_u64 v[8:9], v[34:35], 1, v[4:5]
	flat_store_short v[8:9], v10
	s_or_b64 exec, exec, s[2:3]
	s_and_b64 s[4:5], s[14:15], s[18:19]
	s_and_saveexec_b64 s[2:3], s[4:5]
	s_cbranch_execz .LBB235_162
.LBB235_188:
	s_and_b64 vcc, exec, s[0:1]
	s_cbranch_vccnz .LBB235_190
; %bb.189:
	v_lshl_add_u64 v[8:9], v[36:37], 1, v[20:21]
	flat_load_ushort v8, v[8:9]
	s_waitcnt vmcnt(0) lgkmcnt(0)
	v_mul_f16_e32 v8, s28, v8
	s_branch .LBB235_191
.LBB235_190:
	v_mov_b32_e32 v8, 0
.LBB235_191:
	v_pk_max_f16 v9, v6, v6
	v_pk_max_f16 v0, v0, v0
	;; [unrolled: 1-line block ×3, first 2 shown]
	v_pk_min_f16 v0, v0, v9
	v_pk_max_f16 v9, v7, v7
	v_pk_add_f16 v0, v45, v0
	v_pk_min_f16 v1, v1, v9
	s_nop 0
	v_pk_add_f16 v0, v0, v1
	s_nop 0
	v_add_f16_sdwa v0, v0, v0 dst_sel:DWORD dst_unused:UNUSED_PAD src0_sel:DWORD src1_sel:WORD_1
	v_add_f16_e32 v8, v0, v8
	v_lshl_add_u64 v[0:1], v[36:37], 1, v[4:5]
	flat_store_short v[0:1], v8
	s_or_b64 exec, exec, s[2:3]
	s_and_b64 s[2:3], s[16:17], s[18:19]
	s_and_saveexec_b64 s[4:5], s[2:3]
	s_cbranch_execz .LBB235_163
.LBB235_192:
	s_and_b64 vcc, exec, s[0:1]
	s_cbranch_vccnz .LBB235_194
; %bb.193:
	v_lshl_add_u64 v[0:1], v[38:39], 1, v[20:21]
	flat_load_ushort v0, v[0:1]
	s_waitcnt vmcnt(0) lgkmcnt(0)
	v_mul_f16_e32 v0, s28, v0
	s_branch .LBB235_195
.LBB235_194:
	v_mov_b32_e32 v0, 0
.LBB235_195:
	v_pk_max_f16 v1, v6, v6
	v_pk_max_f16 v2, v2, v2
	;; [unrolled: 1-line block ×3, first 2 shown]
	v_pk_min_f16 v1, v2, v1
	v_pk_max_f16 v2, v7, v7
	v_pk_add_f16 v1, v44, v1
	v_pk_min_f16 v2, v3, v2
	s_nop 0
	v_pk_add_f16 v1, v1, v2
	s_nop 0
	v_add_f16_sdwa v1, v1, v1 dst_sel:DWORD dst_unused:UNUSED_PAD src0_sel:DWORD src1_sel:WORD_1
	v_add_f16_e32 v2, v1, v0
	v_lshl_add_u64 v[0:1], v[38:39], 1, v[4:5]
	flat_store_short v[0:1], v2
	s_endpgm
	.section	.rodata,"a",@progbits
	.p2align	6, 0x0
	.amdhsa_kernel _ZN12_GLOBAL__N_120geam_min_plus_kernelIDF16_Dv2_DF16_S1_Li8ELi32ELi64ELi128ELi4ELi64ELi4ELi4ELi64ELc78ELc78ELb1ELb1ELb0EDF16_KPKDF16_KPDF16_EEviiiT16_PT17_ilS9_ilS7_S9_ilPT18_ili26rocblas_geam_ex_operation_
		.amdhsa_group_segment_fixed_size 3072
		.amdhsa_private_segment_fixed_size 0
		.amdhsa_kernarg_size 128
		.amdhsa_user_sgpr_count 2
		.amdhsa_user_sgpr_dispatch_ptr 0
		.amdhsa_user_sgpr_queue_ptr 0
		.amdhsa_user_sgpr_kernarg_segment_ptr 1
		.amdhsa_user_sgpr_dispatch_id 0
		.amdhsa_user_sgpr_kernarg_preload_length 0
		.amdhsa_user_sgpr_kernarg_preload_offset 0
		.amdhsa_user_sgpr_private_segment_size 0
		.amdhsa_uses_dynamic_stack 0
		.amdhsa_enable_private_segment 0
		.amdhsa_system_sgpr_workgroup_id_x 1
		.amdhsa_system_sgpr_workgroup_id_y 0
		.amdhsa_system_sgpr_workgroup_id_z 1
		.amdhsa_system_sgpr_workgroup_info 0
		.amdhsa_system_vgpr_workitem_id 1
		.amdhsa_next_free_vgpr 126
		.amdhsa_next_free_sgpr 36
		.amdhsa_accum_offset 128
		.amdhsa_reserve_vcc 1
		.amdhsa_float_round_mode_32 0
		.amdhsa_float_round_mode_16_64 0
		.amdhsa_float_denorm_mode_32 3
		.amdhsa_float_denorm_mode_16_64 3
		.amdhsa_dx10_clamp 1
		.amdhsa_ieee_mode 1
		.amdhsa_fp16_overflow 0
		.amdhsa_tg_split 0
		.amdhsa_exception_fp_ieee_invalid_op 0
		.amdhsa_exception_fp_denorm_src 0
		.amdhsa_exception_fp_ieee_div_zero 0
		.amdhsa_exception_fp_ieee_overflow 0
		.amdhsa_exception_fp_ieee_underflow 0
		.amdhsa_exception_fp_ieee_inexact 0
		.amdhsa_exception_int_div_zero 0
	.end_amdhsa_kernel
	.section	.text._ZN12_GLOBAL__N_120geam_min_plus_kernelIDF16_Dv2_DF16_S1_Li8ELi32ELi64ELi128ELi4ELi64ELi4ELi4ELi64ELc78ELc78ELb1ELb1ELb0EDF16_KPKDF16_KPDF16_EEviiiT16_PT17_ilS9_ilS7_S9_ilPT18_ili26rocblas_geam_ex_operation_,"axG",@progbits,_ZN12_GLOBAL__N_120geam_min_plus_kernelIDF16_Dv2_DF16_S1_Li8ELi32ELi64ELi128ELi4ELi64ELi4ELi4ELi64ELc78ELc78ELb1ELb1ELb0EDF16_KPKDF16_KPDF16_EEviiiT16_PT17_ilS9_ilS7_S9_ilPT18_ili26rocblas_geam_ex_operation_,comdat
.Lfunc_end235:
	.size	_ZN12_GLOBAL__N_120geam_min_plus_kernelIDF16_Dv2_DF16_S1_Li8ELi32ELi64ELi128ELi4ELi64ELi4ELi4ELi64ELc78ELc78ELb1ELb1ELb0EDF16_KPKDF16_KPDF16_EEviiiT16_PT17_ilS9_ilS7_S9_ilPT18_ili26rocblas_geam_ex_operation_, .Lfunc_end235-_ZN12_GLOBAL__N_120geam_min_plus_kernelIDF16_Dv2_DF16_S1_Li8ELi32ELi64ELi128ELi4ELi64ELi4ELi4ELi64ELc78ELc78ELb1ELb1ELb0EDF16_KPKDF16_KPDF16_EEviiiT16_PT17_ilS9_ilS7_S9_ilPT18_ili26rocblas_geam_ex_operation_
                                        ; -- End function
	.set _ZN12_GLOBAL__N_120geam_min_plus_kernelIDF16_Dv2_DF16_S1_Li8ELi32ELi64ELi128ELi4ELi64ELi4ELi4ELi64ELc78ELc78ELb1ELb1ELb0EDF16_KPKDF16_KPDF16_EEviiiT16_PT17_ilS9_ilS7_S9_ilPT18_ili26rocblas_geam_ex_operation_.num_vgpr, 126
	.set _ZN12_GLOBAL__N_120geam_min_plus_kernelIDF16_Dv2_DF16_S1_Li8ELi32ELi64ELi128ELi4ELi64ELi4ELi4ELi64ELc78ELc78ELb1ELb1ELb0EDF16_KPKDF16_KPDF16_EEviiiT16_PT17_ilS9_ilS7_S9_ilPT18_ili26rocblas_geam_ex_operation_.num_agpr, 0
	.set _ZN12_GLOBAL__N_120geam_min_plus_kernelIDF16_Dv2_DF16_S1_Li8ELi32ELi64ELi128ELi4ELi64ELi4ELi4ELi64ELc78ELc78ELb1ELb1ELb0EDF16_KPKDF16_KPDF16_EEviiiT16_PT17_ilS9_ilS7_S9_ilPT18_ili26rocblas_geam_ex_operation_.numbered_sgpr, 36
	.set _ZN12_GLOBAL__N_120geam_min_plus_kernelIDF16_Dv2_DF16_S1_Li8ELi32ELi64ELi128ELi4ELi64ELi4ELi4ELi64ELc78ELc78ELb1ELb1ELb0EDF16_KPKDF16_KPDF16_EEviiiT16_PT17_ilS9_ilS7_S9_ilPT18_ili26rocblas_geam_ex_operation_.num_named_barrier, 0
	.set _ZN12_GLOBAL__N_120geam_min_plus_kernelIDF16_Dv2_DF16_S1_Li8ELi32ELi64ELi128ELi4ELi64ELi4ELi4ELi64ELc78ELc78ELb1ELb1ELb0EDF16_KPKDF16_KPDF16_EEviiiT16_PT17_ilS9_ilS7_S9_ilPT18_ili26rocblas_geam_ex_operation_.private_seg_size, 0
	.set _ZN12_GLOBAL__N_120geam_min_plus_kernelIDF16_Dv2_DF16_S1_Li8ELi32ELi64ELi128ELi4ELi64ELi4ELi4ELi64ELc78ELc78ELb1ELb1ELb0EDF16_KPKDF16_KPDF16_EEviiiT16_PT17_ilS9_ilS7_S9_ilPT18_ili26rocblas_geam_ex_operation_.uses_vcc, 1
	.set _ZN12_GLOBAL__N_120geam_min_plus_kernelIDF16_Dv2_DF16_S1_Li8ELi32ELi64ELi128ELi4ELi64ELi4ELi4ELi64ELc78ELc78ELb1ELb1ELb0EDF16_KPKDF16_KPDF16_EEviiiT16_PT17_ilS9_ilS7_S9_ilPT18_ili26rocblas_geam_ex_operation_.uses_flat_scratch, 0
	.set _ZN12_GLOBAL__N_120geam_min_plus_kernelIDF16_Dv2_DF16_S1_Li8ELi32ELi64ELi128ELi4ELi64ELi4ELi4ELi64ELc78ELc78ELb1ELb1ELb0EDF16_KPKDF16_KPDF16_EEviiiT16_PT17_ilS9_ilS7_S9_ilPT18_ili26rocblas_geam_ex_operation_.has_dyn_sized_stack, 0
	.set _ZN12_GLOBAL__N_120geam_min_plus_kernelIDF16_Dv2_DF16_S1_Li8ELi32ELi64ELi128ELi4ELi64ELi4ELi4ELi64ELc78ELc78ELb1ELb1ELb0EDF16_KPKDF16_KPDF16_EEviiiT16_PT17_ilS9_ilS7_S9_ilPT18_ili26rocblas_geam_ex_operation_.has_recursion, 0
	.set _ZN12_GLOBAL__N_120geam_min_plus_kernelIDF16_Dv2_DF16_S1_Li8ELi32ELi64ELi128ELi4ELi64ELi4ELi4ELi64ELc78ELc78ELb1ELb1ELb0EDF16_KPKDF16_KPDF16_EEviiiT16_PT17_ilS9_ilS7_S9_ilPT18_ili26rocblas_geam_ex_operation_.has_indirect_call, 0
	.section	.AMDGPU.csdata,"",@progbits
; Kernel info:
; codeLenInByte = 11212
; TotalNumSgprs: 42
; NumVgprs: 126
; NumAgprs: 0
; TotalNumVgprs: 126
; ScratchSize: 0
; MemoryBound: 0
; FloatMode: 240
; IeeeMode: 1
; LDSByteSize: 3072 bytes/workgroup (compile time only)
; SGPRBlocks: 5
; VGPRBlocks: 15
; NumSGPRsForWavesPerEU: 42
; NumVGPRsForWavesPerEU: 126
; AccumOffset: 128
; Occupancy: 4
; WaveLimiterHint : 1
; COMPUTE_PGM_RSRC2:SCRATCH_EN: 0
; COMPUTE_PGM_RSRC2:USER_SGPR: 2
; COMPUTE_PGM_RSRC2:TRAP_HANDLER: 0
; COMPUTE_PGM_RSRC2:TGID_X_EN: 1
; COMPUTE_PGM_RSRC2:TGID_Y_EN: 0
; COMPUTE_PGM_RSRC2:TGID_Z_EN: 1
; COMPUTE_PGM_RSRC2:TIDIG_COMP_CNT: 1
; COMPUTE_PGM_RSRC3_GFX90A:ACCUM_OFFSET: 31
; COMPUTE_PGM_RSRC3_GFX90A:TG_SPLIT: 0
	.section	.text._ZN12_GLOBAL__N_120geam_min_plus_kernelIDF16_Dv2_DF16_S1_Li8ELi32ELi64ELi128ELi4ELi64ELi4ELi4ELi64ELc78ELc78ELb0ELb1ELb0EDF16_KPKDF16_KPDF16_EEviiiT16_PT17_ilS9_ilS7_S9_ilPT18_ili26rocblas_geam_ex_operation_,"axG",@progbits,_ZN12_GLOBAL__N_120geam_min_plus_kernelIDF16_Dv2_DF16_S1_Li8ELi32ELi64ELi128ELi4ELi64ELi4ELi4ELi64ELc78ELc78ELb0ELb1ELb0EDF16_KPKDF16_KPDF16_EEviiiT16_PT17_ilS9_ilS7_S9_ilPT18_ili26rocblas_geam_ex_operation_,comdat
	.globl	_ZN12_GLOBAL__N_120geam_min_plus_kernelIDF16_Dv2_DF16_S1_Li8ELi32ELi64ELi128ELi4ELi64ELi4ELi4ELi64ELc78ELc78ELb0ELb1ELb0EDF16_KPKDF16_KPDF16_EEviiiT16_PT17_ilS9_ilS7_S9_ilPT18_ili26rocblas_geam_ex_operation_ ; -- Begin function _ZN12_GLOBAL__N_120geam_min_plus_kernelIDF16_Dv2_DF16_S1_Li8ELi32ELi64ELi128ELi4ELi64ELi4ELi4ELi64ELc78ELc78ELb0ELb1ELb0EDF16_KPKDF16_KPDF16_EEviiiT16_PT17_ilS9_ilS7_S9_ilPT18_ili26rocblas_geam_ex_operation_
	.p2align	8
	.type	_ZN12_GLOBAL__N_120geam_min_plus_kernelIDF16_Dv2_DF16_S1_Li8ELi32ELi64ELi128ELi4ELi64ELi4ELi4ELi64ELc78ELc78ELb0ELb1ELb0EDF16_KPKDF16_KPDF16_EEviiiT16_PT17_ilS9_ilS7_S9_ilPT18_ili26rocblas_geam_ex_operation_,@function
_ZN12_GLOBAL__N_120geam_min_plus_kernelIDF16_Dv2_DF16_S1_Li8ELi32ELi64ELi128ELi4ELi64ELi4ELi4ELi64ELc78ELc78ELb0ELb1ELb0EDF16_KPKDF16_KPDF16_EEviiiT16_PT17_ilS9_ilS7_S9_ilPT18_ili26rocblas_geam_ex_operation_: ; @_ZN12_GLOBAL__N_120geam_min_plus_kernelIDF16_Dv2_DF16_S1_Li8ELi32ELi64ELi128ELi4ELi64ELi4ELi4ELi64ELc78ELc78ELb0ELb1ELb0EDF16_KPKDF16_KPDF16_EEviiiT16_PT17_ilS9_ilS7_S9_ilPT18_ili26rocblas_geam_ex_operation_
; %bb.0:
	s_load_dwordx4 s[20:23], s[0:1], 0x0
	s_load_dwordx4 s[4:7], s[0:1], 0x20
	s_mov_b32 s8, s3
	s_mov_b32 s9, 0
	s_waitcnt lgkmcnt(0)
	v_cmp_eq_f16_e64 s[12:13], s23, 0
	v_cmp_neq_f16_e64 s[10:11], s23, 0
	s_and_b64 vcc, exec, s[12:13]
	s_cbranch_vccnz .LBB236_3
; %bb.1:
	s_load_dwordx2 s[14:15], s[0:1], 0x10
	s_lshl_b64 s[16:17], s[8:9], 3
	s_waitcnt lgkmcnt(0)
	s_add_u32 s14, s14, s16
	s_addc_u32 s15, s15, s17
	s_load_dwordx2 s[14:15], s[14:15], 0x0
	s_lshl_b64 s[4:5], s[4:5], 1
	s_waitcnt lgkmcnt(0)
	s_add_u32 s16, s14, s4
	s_addc_u32 s17, s15, s5
	s_andn2_b64 vcc, exec, s[12:13]
	s_cbranch_vccnz .LBB236_4
.LBB236_2:
	s_mov_b32 s15, 0
	s_mov_b32 s14, s8
	s_mov_b64 s[24:25], 0
	s_mov_b64 s[12:13], 0
	s_cbranch_execz .LBB236_5
	s_branch .LBB236_6
.LBB236_3:
	s_mov_b64 s[16:17], 0
	s_andn2_b64 vcc, exec, s[12:13]
	s_cbranch_vccz .LBB236_2
.LBB236_4:
	s_mov_b64 s[14:15], s[8:9]
	s_mov_b64 s[24:25], 0
	;; [unrolled: 1-line block ×3, first 2 shown]
.LBB236_5:
	s_lshl_b64 s[8:9], s[8:9], 3
	s_add_u32 s6, s6, s8
	s_load_dwordx2 s[4:5], s[0:1], 0x38
	s_addc_u32 s7, s7, s9
	s_load_dwordx2 s[6:7], s[6:7], 0x0
	s_waitcnt lgkmcnt(0)
	s_lshl_b64 s[4:5], s[4:5], 1
	s_add_u32 s12, s6, s4
	s_addc_u32 s13, s7, s5
.LBB236_6:
	s_load_dword s28, s[0:1], 0x40
	s_load_dwordx4 s[4:7], s[0:1], 0x58
	s_waitcnt lgkmcnt(0)
	v_cmp_eq_f16_e64 s[18:19], s28, 0
	v_cmp_neq_f16_e64 s[8:9], s28, 0
	s_and_b64 vcc, exec, s[18:19]
	s_cbranch_vccnz .LBB236_8
; %bb.7:
	s_load_dwordx2 s[18:19], s[0:1], 0x48
	s_lshl_b64 s[24:25], s[14:15], 3
	s_waitcnt lgkmcnt(0)
	s_add_u32 s18, s18, s24
	s_addc_u32 s19, s19, s25
	s_load_dwordx2 s[18:19], s[18:19], 0x0
	s_lshl_b64 s[4:5], s[4:5], 1
	s_waitcnt lgkmcnt(0)
	s_add_u32 s24, s18, s4
	s_addc_u32 s25, s19, s5
.LBB236_8:
	s_load_dword s18, s[0:1], 0x18
	s_lshl_b64 s[4:5], s[14:15], 3
	v_and_b32_e32 v36, 0x3ff, v0
	v_bfe_u32 v37, v0, 10, 10
	v_lshl_add_u32 v2, v37, 3, v36
	s_waitcnt lgkmcnt(0)
	s_ashr_i32 s19, s18, 31
	s_add_u32 s26, s6, s4
	s_addc_u32 s27, s7, s5
	s_add_i32 s3, s20, -1
	s_ashr_i32 s4, s3, 31
	s_lshr_b32 s4, s4, 26
	s_add_i32 s3, s3, s4
	s_ashr_i32 s3, s3, 6
	s_add_i32 s7, s3, 1
	v_cvt_f32_u32_e32 v1, s7
	s_not_b32 s3, s3
	v_and_b32_e32 v10, 63, v2
	v_lshrrev_b32_e32 v38, 6, v2
	v_rcp_iflag_f32_e32 v0, v1
	v_cmp_gt_i32_e64 s[4:5], s22, v38
	v_mov_b32_e32 v9, 0
	v_mov_b32_e32 v11, 0
	v_mul_f32_e32 v0, 0x4f7ffffe, v0
	v_cvt_u32_f32_e32 v0, v0
	s_nop 0
	v_readfirstlane_b32 s6, v0
	s_mul_i32 s3, s3, s6
	s_mul_hi_u32 s3, s6, s3
	s_add_i32 s6, s6, s3
	s_mul_hi_u32 s3, s2, s6
	s_mul_i32 s6, s3, s7
	s_sub_i32 s6, s2, s6
	s_add_i32 s14, s3, 1
	s_sub_i32 s15, s6, s7
	s_cmp_ge_u32 s6, s7
	s_cselect_b32 s3, s14, s3
	s_cselect_b32 s6, s15, s6
	s_add_i32 s14, s3, 1
	s_cmp_ge_u32 s6, s7
	s_cselect_b32 s6, s14, s3
	s_mul_i32 s3, s6, s7
	s_sub_i32 s2, s2, s3
	s_lshl_b32 s29, s2, 6
	v_or_b32_e32 v0, s29, v10
	v_cmp_gt_i32_e32 vcc, s20, v0
	s_and_b64 s[2:3], s[4:5], vcc
	v_ashrrev_i32_e32 v1, 31, v0
	s_and_b64 s[4:5], s[10:11], s[2:3]
	s_and_saveexec_b64 s[2:3], s[4:5]
	s_cbranch_execz .LBB236_10
; %bb.9:
	v_mad_i64_i32 v[4:5], s[4:5], s18, v38, 0
	v_lshl_add_u64 v[4:5], v[4:5], 1, s[16:17]
	v_lshl_add_u64 v[4:5], v[0:1], 1, v[4:5]
	flat_load_ushort v3, v[4:5]
	s_waitcnt vmcnt(0) lgkmcnt(0)
	v_mul_f16_e32 v11, s23, v3
.LBB236_10:
	s_or_b64 exec, exec, s[2:3]
	s_load_dword s33, s[0:1], 0x30
	v_lshrrev_b32_e32 v12, 2, v2
	s_lshl_b32 s30, s6, 7
	v_and_b32_e32 v39, 3, v36
	v_add_u32_e32 v4, s30, v12
	s_add_i32 s31, s22, -1
	v_min_i32_e32 v2, s31, v39
	v_cmp_le_i32_e64 s[4:5], s21, v4
	s_xor_b64 s[14:15], s[10:11], -1
	v_cmp_le_i32_e64 s[2:3], s22, v39
	v_ashrrev_i32_e32 v3, 31, v2
	s_or_b64 s[6:7], s[4:5], s[14:15]
	v_lshl_add_u64 v[2:3], v[2:3], 1, s[12:13]
	s_nor_b64 s[34:35], s[2:3], s[6:7]
	s_and_saveexec_b64 s[4:5], s[34:35]
	s_cbranch_execz .LBB236_12
; %bb.11:
	s_waitcnt lgkmcnt(0)
	v_mad_i64_i32 v[6:7], s[34:35], v4, s33, 0
	v_lshl_add_u64 v[6:7], v[6:7], 1, v[2:3]
	flat_load_ushort v5, v[6:7]
	s_waitcnt vmcnt(0) lgkmcnt(0)
	v_mul_f16_e32 v9, s23, v5
.LBB236_12:
	s_or_b64 exec, exec, s[4:5]
	v_add_u32_e32 v5, 64, v4
	v_cmp_le_i32_e64 s[4:5], s21, v5
	s_or_b64 s[14:15], s[4:5], s[14:15]
	s_nor_b64 s[4:5], s[2:3], s[14:15]
	v_mov_b32_e32 v6, 0
	v_mov_b32_e32 v13, 0
	s_and_saveexec_b64 s[2:3], s[4:5]
	s_cbranch_execz .LBB236_14
; %bb.13:
	s_waitcnt lgkmcnt(0)
	v_mad_i64_i32 v[14:15], s[4:5], v5, s33, 0
	v_lshl_add_u64 v[2:3], v[14:15], 1, v[2:3]
	flat_load_ushort v2, v[2:3]
	s_waitcnt vmcnt(0) lgkmcnt(0)
	v_mul_f16_e32 v13, s23, v2
.LBB236_14:
	s_or_b64 exec, exec, s[2:3]
	v_add_u32_e32 v2, 4, v38
	v_cmp_gt_i32_e64 s[2:3], s22, v2
	s_and_b64 s[2:3], vcc, s[2:3]
	s_and_b64 s[4:5], s[10:11], s[2:3]
	s_and_saveexec_b64 s[2:3], s[4:5]
	s_cbranch_execz .LBB236_16
; %bb.15:
	v_mad_u64_u32 v[6:7], s[4:5], s18, v2, 0
	v_mov_b32_e32 v8, v7
	v_mad_u64_u32 v[2:3], s[4:5], s19, v2, v[8:9]
	v_mov_b32_e32 v7, v2
	v_lshl_add_u64 v[2:3], v[6:7], 1, s[16:17]
	v_lshl_add_u64 v[2:3], v[0:1], 1, v[2:3]
	flat_load_ushort v2, v[2:3]
	s_waitcnt vmcnt(0) lgkmcnt(0)
	v_mul_f16_e32 v6, s23, v2
.LBB236_16:
	s_or_b64 exec, exec, s[2:3]
	v_or_b32_e32 v2, 4, v39
	v_cmp_le_i32_e64 s[2:3], s22, v2
	v_min_i32_e32 v2, s31, v2
	v_ashrrev_i32_e32 v3, 31, v2
	v_lshl_add_u64 v[2:3], v[2:3], 1, s[12:13]
	s_nor_b64 s[34:35], s[2:3], s[6:7]
	v_mov_b32_e32 v7, 0
	v_mov_b32_e32 v8, 0
	s_and_saveexec_b64 s[4:5], s[34:35]
	s_cbranch_execz .LBB236_18
; %bb.17:
	s_waitcnt lgkmcnt(0)
	v_mad_i64_i32 v[14:15], s[34:35], v4, s33, 0
	v_lshl_add_u64 v[14:15], v[14:15], 1, v[2:3]
	flat_load_ushort v8, v[14:15]
	s_waitcnt vmcnt(0) lgkmcnt(0)
	v_mul_f16_e32 v8, s23, v8
.LBB236_18:
	s_or_b64 exec, exec, s[4:5]
	s_nor_b64 s[4:5], s[2:3], s[14:15]
	s_and_saveexec_b64 s[2:3], s[4:5]
	s_cbranch_execz .LBB236_20
; %bb.19:
	s_waitcnt lgkmcnt(0)
	v_mad_i64_i32 v[14:15], s[4:5], v5, s33, 0
	v_lshl_add_u64 v[2:3], v[14:15], 1, v[2:3]
	flat_load_ushort v2, v[2:3]
	s_waitcnt vmcnt(0) lgkmcnt(0)
	v_mul_f16_e32 v7, s23, v2
.LBB236_20:
	s_or_b64 exec, exec, s[2:3]
	v_lshlrev_b32_e32 v2, 3, v10
	v_lshlrev_b32_e32 v3, 3, v12
	;; [unrolled: 1-line block ×3, first 2 shown]
	v_lshl_add_u32 v2, v38, 1, v2
	v_lshl_or_b32 v42, v39, 1, v3
	v_lshlrev_b32_e32 v40, 3, v37
	v_add_u32_e32 v43, 0x800, v41
	s_load_dwordx2 s[4:5], s[26:27], 0x0
	ds_write_b16 v2, v11 offset:2048
	ds_write_b16 v42, v9
	ds_write_b16 v42, v13 offset:512
	s_waitcnt lgkmcnt(0)
	s_barrier
	ds_read2_b64 v[10:13], v40 offset1:32
	ds_read2_b64 v[14:17], v43 offset0:48 offset1:56
	ds_read2_b64 v[18:21], v40 offset0:64 offset1:96
	ds_read2_b64 v[22:25], v43 offset1:8
	ds_read2_b64 v[26:29], v43 offset0:16 offset1:24
	ds_read2_b64 v[30:33], v43 offset0:32 offset1:40
	s_waitcnt lgkmcnt(5)
	v_pk_max_f16 v3, v10, v10
	s_waitcnt lgkmcnt(4)
	v_pk_max_f16 v9, v16, v16
	v_pk_max_f16 v12, v12, v12
	v_pk_min_f16 v10, v9, v3
	s_waitcnt lgkmcnt(3)
	v_pk_max_f16 v18, v18, v18
	s_waitcnt lgkmcnt(2)
	v_pk_max_f16 v22, v22, v22
	v_pk_max_f16 v20, v20, v20
	v_pk_max_f16 v24, v24, v24
	s_waitcnt lgkmcnt(1)
	v_pk_max_f16 v26, v26, v26
	v_pk_max_f16 v28, v28, v28
	;; [unrolled: 4-line block ×3, first 2 shown]
	v_pk_max_f16 v14, v14, v14
	v_pk_max_f16 v17, v17, v17
	v_pk_min_f16 v16, v9, v12
	v_pk_min_f16 v34, v22, v3
	;; [unrolled: 1-line block ×17, first 2 shown]
	v_pk_max_f16 v13, v13, v13
	v_pk_min_f16 v56, v30, v3
	v_pk_min_f16 v57, v30, v12
	;; [unrolled: 1-line block ×14, first 2 shown]
	v_pk_add_f16 v10, v10, 0
	v_pk_min_f16 v20, v17, v11
	v_pk_max_f16 v19, v19, v19
	v_pk_add_f16 v68, v10, v20
	v_pk_add_f16 v10, v16, 0
	v_pk_min_f16 v16, v17, v13
	v_pk_max_f16 v23, v23, v23
	v_pk_add_f16 v60, v10, v16
	;; [unrolled: 4-line block ×5, first 2 shown]
	v_pk_add_f16 v10, v44, 0
	v_pk_min_f16 v16, v23, v19
	v_pk_add_f16 v20, v49, 0
	v_pk_add_f16 v59, v10, v16
	;; [unrolled: 1-line block ×3, first 2 shown]
	v_pk_min_f16 v16, v23, v21
	v_pk_add_f16 v22, v50, 0
	v_pk_add_f16 v51, v10, v16
	v_pk_add_f16 v10, v45, 0
	v_pk_min_f16 v16, v25, v11
	v_pk_max_f16 v29, v29, v29
	v_pk_add_f16 v75, v10, v16
	v_pk_add_f16 v10, v46, 0
	v_pk_min_f16 v16, v25, v13
	v_pk_add_f16 v23, v26, 0
	v_pk_add_f16 v66, v10, v16
	;; [unrolled: 1-line block ×3, first 2 shown]
	v_pk_min_f16 v16, v25, v19
	v_pk_min_f16 v25, v25, v21
	v_pk_add_f16 v58, v10, v16
	v_pk_add_f16 v10, v24, 0
	;; [unrolled: 1-line block ×4, first 2 shown]
	v_pk_min_f16 v10, v27, v11
	v_pk_add_f16 v44, v57, 0
	v_pk_add_f16 v74, v16, v10
	v_pk_min_f16 v10, v27, v13
	v_pk_add_f16 v24, v53, 0
	v_pk_add_f16 v65, v20, v10
	;; [unrolled: 3-line block ×8, first 2 shown]
	v_pk_max_f16 v10, v31, v31
	v_pk_add_f16 v53, v63, 0
	v_pk_min_f16 v16, v10, v11
	v_pk_add_f16 v45, v61, 0
	v_pk_add_f16 v72, v35, v16
	v_pk_min_f16 v16, v10, v13
	v_pk_add_f16 v46, v62, 0
	v_pk_add_f16 v63, v44, v16
	v_pk_min_f16 v16, v10, v19
	v_pk_min_f16 v10, v10, v21
	v_pk_add_f16 v55, v45, v16
	v_pk_add_f16 v47, v30, v10
	v_pk_max_f16 v10, v33, v33
	v_pk_add_f16 v32, v32, 0
	v_pk_min_f16 v16, v10, v11
	v_pk_add_f16 v3, v3, 0
	v_pk_add_f16 v71, v46, v16
	v_pk_min_f16 v16, v10, v13
	v_pk_add_f16 v12, v12, 0
	v_pk_add_f16 v62, v53, v16
	v_pk_min_f16 v16, v10, v19
	v_pk_min_f16 v10, v10, v21
	v_pk_add_f16 v18, v18, 0
	v_pk_add_f16 v46, v32, v10
	v_pk_max_f16 v10, v15, v15
	v_pk_add_f16 v14, v14, 0
	v_pk_min_f16 v11, v10, v11
	v_pk_add_f16 v9, v9, 0
	v_pk_add_f16 v70, v3, v11
	v_pk_min_f16 v3, v10, v13
	s_mov_b32 s26, 0
	v_pk_add_f16 v61, v12, v3
	v_pk_min_f16 v3, v10, v19
	v_pk_add_f16 v54, v54, v16
	v_pk_add_f16 v53, v18, v3
	v_pk_min_f16 v3, v10, v21
	s_cmp_lt_i32 s22, 9
	v_pk_add_f16 v45, v14, v3
	v_pk_min_f16 v3, v17, v21
	ds_write_b16 v2, v6 offset:2560
	ds_write_b16 v42, v8 offset:1024
	;; [unrolled: 1-line block ×3, first 2 shown]
	v_pk_add_f16 v44, v9, v3
	s_waitcnt lgkmcnt(0)
	s_barrier
	s_cbranch_scc1 .LBB236_35
; %bb.21:
	v_lshl_add_u64 v[24:25], v[0:1], 1, s[16:17]
	v_mov_b32_e32 v0, 0xa00
	v_lshl_add_u32 v79, v36, 3, v0
	v_add_u32_e32 v0, v40, v36
	v_or_b32_e32 v69, 0x800, v2
	v_add_u32_e32 v77, 0xa00, v2
	v_lshrrev_b32_e32 v2, 6, v0
	v_add_u32_e32 v0, 12, v2
	v_mad_i64_i32 v[0:1], s[2:3], v0, s18, 0
	v_lshlrev_b64 v[30:31], 1, v[0:1]
	v_add_u32_e32 v0, 8, v2
	v_mad_i64_i32 v[0:1], s[2:3], v0, s18, 0
	v_add_u32_e32 v78, 0x400, v42
	s_add_i32 s27, s22, -8
	v_mad_i64_i32 v[26:27], s[2:3], v4, s33, 0
	v_mad_i64_i32 v[28:29], s[2:3], v5, s33, 0
	v_add_u32_e32 v80, 0x400, v40
	s_lshl_b64 s[16:17], s[18:19], 4
	v_lshlrev_b64 v[32:33], 1, v[0:1]
	s_branch .LBB236_23
.LBB236_22:                             ;   in Loop: Header=BB236_23 Depth=1
	s_or_b64 exec, exec, s[2:3]
	v_pk_max_f16 v2, v2, v2
	v_pk_max_f16 v20, v20, v20
	;; [unrolled: 1-line block ×7, first 2 shown]
	v_pk_min_f16 v34, v2, v20
	v_pk_min_f16 v35, v2, v22
	v_pk_max_f16 v12, v12, v12
	v_pk_max_f16 v14, v14, v14
	;; [unrolled: 1-line block ×10, first 2 shown]
	v_pk_min_f16 v96, v4, v20
	v_pk_max_f16 v9, v9, v9
	v_pk_max_f16 v11, v11, v11
	v_pk_min_f16 v97, v4, v22
	v_pk_max_f16 v5, v5, v5
	v_pk_max_f16 v7, v7, v7
	v_pk_min_f16 v98, v4, v16
	v_pk_min_f16 v4, v4, v18
	v_pk_max_f16 v0, v0, v0
	v_pk_max_f16 v3, v3, v3
	;; [unrolled: 1-line block ×3, first 2 shown]
	v_pk_min_f16 v99, v6, v20
	v_pk_min_f16 v100, v6, v22
	v_pk_min_f16 v101, v6, v16
	v_pk_min_f16 v6, v6, v18
	v_pk_min_f16 v84, v12, v20
	v_pk_min_f16 v85, v12, v22
	v_pk_min_f16 v86, v12, v16
	v_pk_min_f16 v12, v12, v18
	v_pk_min_f16 v87, v14, v20
	v_pk_min_f16 v88, v14, v22
	v_pk_min_f16 v89, v14, v16
	v_pk_min_f16 v14, v14, v18
	v_pk_min_f16 v90, v8, v20
	v_pk_min_f16 v91, v8, v22
	v_pk_min_f16 v92, v8, v16
	v_pk_min_f16 v8, v8, v18
	v_pk_min_f16 v93, v10, v20
	v_pk_min_f16 v94, v10, v22
	v_pk_min_f16 v95, v10, v16
	v_pk_min_f16 v10, v10, v18
	v_pk_min_f16 v20, v0, v20
	v_pk_min_f16 v22, v0, v22
	v_pk_min_f16 v102, v2, v16
	v_pk_min_f16 v16, v0, v16
	v_pk_min_f16 v0, v0, v18
	v_pk_min_f16 v2, v2, v18
	v_pk_min_f16 v18, v13, v21
	v_pk_min_f16 v103, v13, v23
	v_pk_min_f16 v104, v13, v17
	v_pk_min_f16 v13, v13, v19
	v_pk_min_f16 v105, v15, v21
	v_pk_min_f16 v106, v15, v23
	v_pk_min_f16 v107, v15, v17
	v_pk_min_f16 v15, v15, v19
	v_pk_min_f16 v108, v9, v21
	v_pk_min_f16 v109, v9, v23
	v_pk_min_f16 v110, v9, v17
	v_pk_min_f16 v9, v9, v19
	v_pk_min_f16 v111, v11, v21
	v_pk_min_f16 v112, v11, v23
	v_pk_min_f16 v113, v11, v17
	v_pk_min_f16 v11, v11, v19
	v_pk_min_f16 v114, v5, v21
	v_pk_min_f16 v115, v5, v23
	v_pk_min_f16 v116, v5, v17
	v_pk_min_f16 v5, v5, v19
	v_pk_min_f16 v117, v7, v21
	v_pk_min_f16 v118, v7, v23
	v_pk_min_f16 v119, v7, v17
	v_pk_min_f16 v7, v7, v19
	v_pk_min_f16 v120, v3, v21
	v_pk_min_f16 v21, v1, v21
	v_pk_min_f16 v121, v3, v23
	v_pk_min_f16 v23, v1, v23
	v_pk_min_f16 v122, v3, v17
	v_pk_min_f16 v17, v1, v17
	v_pk_min_f16 v123, v1, v19
	v_pk_min_f16 v19, v3, v19
	v_pk_add_f16 v1, v68, v34
	v_pk_add_f16 v3, v60, v35
	;; [unrolled: 1-line block ×12, first 2 shown]
	ds_read2_b64 v[0:3], v43 offset0:48 offset1:56
	ds_read2_b64 v[4:7], v40 offset1:32
	v_pk_add_f16 v34, v52, v102
	v_pk_add_f16 v35, v76, v84
	;; [unrolled: 1-line block ×7, first 2 shown]
	s_waitcnt lgkmcnt(1)
	v_pk_max_f16 v2, v2, v2
	s_waitcnt lgkmcnt(0)
	v_pk_max_f16 v4, v4, v4
	v_pk_add_f16 v60, v66, v88
	v_pk_add_f16 v14, v50, v14
	;; [unrolled: 1-line block ×8, first 2 shown]
	ds_read2_b64 v[8:11], v40 offset0:64 offset1:96
	v_pk_min_f16 v12, v2, v4
	v_pk_add_f16 v22, v61, v22
	v_pk_add_f16 v61, v14, v15
	;; [unrolled: 1-line block ×3, first 2 shown]
	ds_read2_b64 v[12:15], v43 offset1:8
	v_pk_max_f16 v6, v6, v6
	v_pk_add_f16 v49, v73, v93
	v_pk_add_f16 v73, v16, v17
	v_pk_min_f16 v16, v2, v6
	s_waitcnt lgkmcnt(1)
	v_pk_max_f16 v8, v8, v8
	v_pk_add_f16 v34, v34, v122
	v_pk_add_f16 v53, v53, v16
	v_pk_min_f16 v16, v2, v8
	s_waitcnt lgkmcnt(0)
	v_pk_max_f16 v12, v12, v12
	v_pk_add_f16 v34, v34, v16
	v_pk_min_f16 v16, v12, v4
	v_pk_add_f16 v50, v74, v90
	v_pk_add_f16 v74, v18, v16
	v_pk_min_f16 v16, v12, v6
	v_pk_add_f16 v51, v75, v87
	v_pk_add_f16 v35, v35, v16
	v_pk_min_f16 v16, v12, v8
	v_pk_max_f16 v14, v14, v14
	v_pk_add_f16 v51, v51, v105
	v_pk_add_f16 v75, v52, v16
	v_pk_min_f16 v16, v14, v4
	v_pk_add_f16 v60, v60, v106
	v_pk_add_f16 v84, v51, v16
	v_pk_min_f16 v16, v14, v6
	v_pk_add_f16 v44, v44, v19
	v_pk_add_f16 v85, v60, v16
	ds_read2_b64 v[16:19], v43 offset0:16 offset1:24
	v_pk_add_f16 v58, v58, v89
	v_pk_add_f16 v47, v71, v99
	;; [unrolled: 1-line block ×4, first 2 shown]
	v_pk_max_f16 v10, v10, v10
	v_pk_min_f16 v20, v14, v8
	s_waitcnt lgkmcnt(0)
	v_pk_max_f16 v16, v16, v16
	v_pk_add_f16 v65, v65, v91
	v_pk_add_f16 v50, v50, v108
	;; [unrolled: 1-line block ×3, first 2 shown]
	v_pk_min_f16 v14, v14, v10
	v_pk_min_f16 v20, v16, v4
	v_pk_add_f16 v57, v57, v92
	v_pk_add_f16 v65, v65, v109
	;; [unrolled: 1-line block ×4, first 2 shown]
	v_pk_min_f16 v20, v16, v6
	v_pk_add_f16 v57, v57, v110
	v_pk_add_f16 v65, v65, v20
	v_pk_min_f16 v20, v16, v8
	v_pk_max_f16 v18, v18, v18
	v_pk_add_f16 v64, v64, v94
	v_pk_add_f16 v49, v49, v111
	;; [unrolled: 1-line block ×3, first 2 shown]
	v_pk_min_f16 v20, v18, v4
	v_pk_add_f16 v64, v64, v112
	v_pk_add_f16 v86, v49, v20
	v_pk_min_f16 v20, v18, v6
	v_pk_add_f16 v48, v72, v96
	v_pk_add_f16 v72, v22, v23
	v_pk_add_f16 v64, v64, v20
	ds_read2_b64 v[20:23], v43 offset0:32 offset1:40
	v_pk_add_f16 v56, v56, v95
	v_pk_min_f16 v49, v18, v8
	v_pk_add_f16 v56, v56, v113
	v_pk_add_f16 v63, v63, v97
	s_waitcnt lgkmcnt(0)
	v_pk_max_f16 v20, v20, v20
	v_pk_add_f16 v48, v48, v114
	v_pk_add_f16 v56, v56, v49
	v_pk_min_f16 v49, v20, v4
	v_pk_add_f16 v55, v55, v98
	v_pk_add_f16 v63, v63, v115
	v_pk_add_f16 v87, v48, v49
	v_pk_min_f16 v48, v20, v6
	v_pk_add_f16 v55, v55, v116
	v_pk_add_f16 v63, v63, v48
	v_pk_min_f16 v48, v20, v8
	v_pk_max_f16 v22, v22, v22
	v_pk_add_f16 v62, v62, v100
	v_pk_add_f16 v47, v47, v117
	;; [unrolled: 1-line block ×3, first 2 shown]
	v_pk_min_f16 v48, v22, v4
	v_pk_add_f16 v62, v62, v118
	v_pk_add_f16 v88, v47, v48
	v_pk_min_f16 v47, v22, v6
	v_pk_max_f16 v0, v0, v0
	v_pk_max_f16 v3, v3, v3
	;; [unrolled: 1-line block ×3, first 2 shown]
	v_pk_min_f16 v12, v12, v10
	v_pk_min_f16 v16, v16, v10
	;; [unrolled: 1-line block ×4, first 2 shown]
	v_pk_add_f16 v62, v62, v47
	v_pk_min_f16 v47, v22, v8
	v_pk_min_f16 v22, v22, v10
	;; [unrolled: 1-line block ×8, first 2 shown]
	v_pk_max_f16 v7, v7, v7
	v_pk_add_f16 v20, v68, v20
	v_pk_add_f16 v68, v46, v10
	v_pk_min_f16 v10, v3, v7
	v_pk_max_f16 v9, v9, v9
	v_pk_add_f16 v60, v53, v10
	v_pk_min_f16 v10, v3, v9
	v_pk_max_f16 v11, v11, v11
	v_pk_add_f16 v52, v34, v10
	v_pk_max_f16 v10, v13, v13
	v_pk_add_f16 v12, v59, v12
	v_pk_min_f16 v13, v10, v5
	v_pk_add_f16 v18, v67, v18
	v_pk_add_f16 v76, v74, v13
	v_pk_min_f16 v13, v10, v7
	v_pk_add_f16 v16, v66, v16
	v_pk_add_f16 v67, v35, v13
	v_pk_min_f16 v13, v10, v9
	v_pk_min_f16 v10, v10, v11
	v_pk_add_f16 v59, v75, v13
	v_pk_add_f16 v51, v12, v10
	v_pk_max_f16 v10, v15, v15
	v_pk_add_f16 v8, v73, v8
	v_pk_min_f16 v12, v10, v5
	v_pk_add_f16 v54, v54, v101
	v_pk_add_f16 v75, v84, v12
	v_pk_min_f16 v12, v10, v7
	v_pk_add_f16 v6, v72, v6
	v_pk_add_f16 v66, v85, v12
	v_pk_min_f16 v12, v10, v9
	v_pk_min_f16 v10, v10, v11
	v_pk_add_f16 v58, v58, v12
	v_pk_add_f16 v50, v14, v10
	v_pk_max_f16 v10, v17, v17
	v_pk_add_f16 v54, v54, v119
	v_pk_min_f16 v12, v10, v5
	v_pk_add_f16 v54, v54, v47
	v_pk_add_f16 v74, v61, v12
	v_pk_min_f16 v12, v10, v7
	v_pk_max_f16 v1, v1, v1
	v_pk_add_f16 v65, v65, v12
	v_pk_min_f16 v12, v10, v9
	v_pk_min_f16 v10, v10, v11
	v_pk_add_f16 v57, v57, v12
	v_pk_add_f16 v49, v16, v10
	v_pk_max_f16 v10, v19, v19
	v_pk_add_f16 v4, v71, v4
	v_pk_min_f16 v12, v10, v5
	v_pk_add_f16 v45, v45, v123
	v_pk_add_f16 v73, v86, v12
	v_pk_min_f16 v12, v10, v7
	v_pk_add_f16 v22, v70, v22
	v_pk_add_f16 v64, v64, v12
	v_pk_min_f16 v12, v10, v9
	v_pk_min_f16 v10, v10, v11
	v_pk_add_f16 v56, v56, v12
	v_pk_add_f16 v48, v18, v10
	v_pk_max_f16 v10, v21, v21
	v_pk_add_f16 v0, v45, v0
	v_pk_min_f16 v12, v10, v5
	v_pk_add_f16 v2, v44, v2
	v_pk_add_f16 v72, v87, v12
	v_pk_min_f16 v12, v10, v7
	s_add_i32 s26, s26, 8
	v_pk_add_f16 v63, v63, v12
	v_pk_min_f16 v12, v10, v9
	v_pk_min_f16 v10, v10, v11
	v_pk_add_f16 v55, v55, v12
	v_pk_add_f16 v47, v20, v10
	v_pk_max_f16 v10, v23, v23
	s_cmp_ge_i32 s26, s27
	v_pk_min_f16 v12, v10, v5
	v_pk_min_f16 v5, v1, v5
	v_pk_add_f16 v71, v88, v12
	v_pk_add_f16 v70, v4, v5
	v_pk_min_f16 v4, v1, v7
	v_pk_min_f16 v12, v10, v7
	v_pk_add_f16 v61, v6, v4
	v_pk_min_f16 v4, v1, v9
	v_pk_min_f16 v1, v1, v11
	;; [unrolled: 3-line block ×3, first 2 shown]
	v_pk_add_f16 v45, v0, v1
	v_pk_min_f16 v0, v3, v11
	v_pk_add_f16 v54, v54, v12
	v_pk_add_f16 v46, v22, v10
	;; [unrolled: 1-line block ×4, first 2 shown]
	v_lshl_add_u64 v[24:25], v[24:25], 0, s[16:17]
	ds_write_b16 v77, v81
	ds_write_b16 v78, v83
	ds_write_b16 v78, v82 offset:512
	s_waitcnt lgkmcnt(0)
	s_barrier
	s_cbranch_scc1 .LBB236_35
.LBB236_23:                             ; =>This Inner Loop Header: Depth=1
	v_add_u32_e32 v34, s26, v38
	v_add_u32_e32 v0, 8, v34
	v_cmp_gt_i32_e64 s[2:3], s22, v0
	s_and_b64 s[2:3], vcc, s[2:3]
	s_and_b64 s[18:19], s[10:11], s[2:3]
	v_mov_b32_e32 v82, 0
	v_mov_b32_e32 v83, 0
	s_and_saveexec_b64 s[2:3], s[18:19]
	s_cbranch_execz .LBB236_25
; %bb.24:                               ;   in Loop: Header=BB236_23 Depth=1
	v_lshl_add_u64 v[0:1], v[24:25], 0, v[32:33]
	flat_load_ushort v0, v[0:1]
	s_waitcnt vmcnt(0) lgkmcnt(0)
	v_mul_f16_e32 v83, s23, v0
.LBB236_25:                             ;   in Loop: Header=BB236_23 Depth=1
	s_or_b64 exec, exec, s[2:3]
	v_add_u32_e32 v35, s26, v39
	v_add_u32_e32 v0, 8, v35
	v_cmp_le_i32_e64 s[2:3], s22, v0
	v_min_i32_e32 v0, s31, v0
	v_ashrrev_i32_e32 v1, 31, v0
	v_lshl_add_u64 v[0:1], v[0:1], 1, s[12:13]
	s_nor_b64 s[34:35], s[6:7], s[2:3]
	s_and_saveexec_b64 s[18:19], s[34:35]
	s_cbranch_execz .LBB236_27
; %bb.26:                               ;   in Loop: Header=BB236_23 Depth=1
	v_lshl_add_u64 v[2:3], v[26:27], 1, v[0:1]
	flat_load_ushort v2, v[2:3]
	s_waitcnt vmcnt(0) lgkmcnt(0)
	v_mul_f16_e32 v82, s23, v2
.LBB236_27:                             ;   in Loop: Header=BB236_23 Depth=1
	s_or_b64 exec, exec, s[18:19]
	s_nor_b64 s[18:19], s[14:15], s[2:3]
	v_mov_b32_e32 v81, 0
	v_mov_b32_e32 v84, 0
	s_and_saveexec_b64 s[2:3], s[18:19]
	s_cbranch_execz .LBB236_29
; %bb.28:                               ;   in Loop: Header=BB236_23 Depth=1
	v_lshl_add_u64 v[0:1], v[28:29], 1, v[0:1]
	flat_load_ushort v0, v[0:1]
	s_waitcnt vmcnt(0) lgkmcnt(0)
	v_mul_f16_e32 v84, s23, v0
.LBB236_29:                             ;   in Loop: Header=BB236_23 Depth=1
	s_or_b64 exec, exec, s[2:3]
	ds_read2_b64 v[0:3], v79 offset0:48 offset1:56
	ds_read2_b64 v[16:19], v80 offset0:64 offset1:96
	ds_read2_b64 v[20:23], v80 offset1:32
	ds_read2_b64 v[12:15], v79 offset1:8
	ds_read2_b64 v[8:11], v79 offset0:16 offset1:24
	ds_read2_b64 v[4:7], v79 offset0:32 offset1:40
	v_add_u32_e32 v34, 12, v34
	v_cmp_gt_i32_e64 s[2:3], s22, v34
	s_and_b64 s[2:3], vcc, s[2:3]
	s_and_b64 s[2:3], s[10:11], s[2:3]
	ds_write_b16 v69, v83
	ds_write_b16 v42, v82
	ds_write_b16 v42, v84 offset:512
	s_waitcnt lgkmcnt(0)
	s_barrier
	s_and_saveexec_b64 s[18:19], s[2:3]
	s_xor_b64 s[2:3], exec, s[18:19]
	s_cbranch_execz .LBB236_31
; %bb.30:                               ;   in Loop: Header=BB236_23 Depth=1
	v_lshl_add_u64 v[82:83], v[24:25], 0, v[30:31]
	flat_load_ushort v34, v[82:83]
	s_waitcnt vmcnt(0) lgkmcnt(0)
	v_mul_f16_e32 v81, s23, v34
.LBB236_31:                             ;   in Loop: Header=BB236_23 Depth=1
	s_or_b64 exec, exec, s[2:3]
	v_add_u32_e32 v34, 12, v35
	v_cmp_le_i32_e64 s[2:3], s22, v34
	v_min_i32_e32 v34, s31, v34
	v_ashrrev_i32_e32 v35, 31, v34
	v_lshl_add_u64 v[34:35], v[34:35], 1, s[12:13]
	s_nor_b64 s[34:35], s[6:7], s[2:3]
	v_mov_b32_e32 v82, 0
	v_mov_b32_e32 v83, 0
	s_and_saveexec_b64 s[18:19], s[34:35]
	s_cbranch_execz .LBB236_33
; %bb.32:                               ;   in Loop: Header=BB236_23 Depth=1
	v_lshl_add_u64 v[84:85], v[26:27], 1, v[34:35]
	flat_load_ushort v83, v[84:85]
	s_waitcnt vmcnt(0) lgkmcnt(0)
	v_mul_f16_e32 v83, s23, v83
.LBB236_33:                             ;   in Loop: Header=BB236_23 Depth=1
	s_or_b64 exec, exec, s[18:19]
	s_nor_b64 s[18:19], s[14:15], s[2:3]
	s_and_saveexec_b64 s[2:3], s[18:19]
	s_cbranch_execz .LBB236_22
; %bb.34:                               ;   in Loop: Header=BB236_23 Depth=1
	v_lshl_add_u64 v[34:35], v[28:29], 1, v[34:35]
	flat_load_ushort v34, v[34:35]
	s_waitcnt vmcnt(0) lgkmcnt(0)
	v_mul_f16_e32 v82, s23, v34
	s_branch .LBB236_22
.LBB236_35:
	s_load_dwordx2 s[2:3], s[0:1], 0x70
	s_load_dword s33, s[0:1], 0x50
	s_load_dword s31, s[0:1], 0x68
	v_add_u32_e32 v8, 0x800, v41
	ds_read2_b64 v[0:3], v8 offset0:112 offset1:120
	ds_read2_b64 v[4:7], v40 offset0:192 offset1:224
	;; [unrolled: 1-line block ×6, first 2 shown]
	s_waitcnt lgkmcnt(0)
	s_lshl_b64 s[0:1], s[2:3], 1
	s_add_u32 s22, s4, s0
	v_add_u32_e32 v69, s30, v37
	s_addc_u32 s23, s5, s1
	v_mad_i64_i32 v[26:27], s[0:1], v69, s33, 0
	v_add_u32_e32 v24, s29, v36
	v_lshl_add_u64 v[42:43], v[26:27], 1, s[24:25]
	v_mad_i64_i32 v[26:27], s[0:1], v69, s31, 0
	v_cmp_gt_i32_e64 s[18:19], s21, v69
	v_lshl_add_u64 v[40:41], v[26:27], 1, s[22:23]
	v_cmp_gt_i32_e64 s[2:3], s20, v24
	v_cndmask_b32_e64 v26, 0, 1, s[8:9]
	s_and_b64 s[4:5], s[2:3], s[18:19]
	v_ashrrev_i32_e32 v25, 31, v24
	v_cmp_ne_u32_e64 s[0:1], 1, v26
	s_and_saveexec_b64 s[6:7], s[4:5]
	s_xor_b64 s[4:5], exec, s[6:7]
	s_cbranch_execz .LBB236_40
; %bb.36:
	s_and_b64 vcc, exec, s[0:1]
	s_cbranch_vccnz .LBB236_38
; %bb.37:
	v_lshl_add_u64 v[26:27], v[24:25], 1, v[42:43]
	flat_load_ushort v26, v[26:27]
	s_waitcnt vmcnt(0) lgkmcnt(0)
	v_mul_f16_e32 v26, s28, v26
	s_branch .LBB236_39
.LBB236_38:
	v_mov_b32_e32 v26, 0
.LBB236_39:
	v_pk_max_f16 v27, v20, v20
	v_pk_max_f16 v28, v16, v16
	v_pk_max_f16 v29, v17, v17
	v_pk_min_f16 v27, v28, v27
	v_pk_max_f16 v28, v21, v21
	v_pk_add_f16 v27, v76, v27
	v_pk_min_f16 v28, v29, v28
	s_nop 0
	v_pk_add_f16 v27, v27, v28
	s_nop 0
	v_add_f16_sdwa v27, v27, v27 dst_sel:DWORD dst_unused:UNUSED_PAD src0_sel:DWORD src1_sel:WORD_1
	v_add_f16_e32 v28, v27, v26
	v_lshl_add_u64 v[26:27], v[24:25], 1, v[40:41]
	flat_store_short v[26:27], v28
.LBB236_40:
	s_or_b64 exec, exec, s[4:5]
	v_add_u32_e32 v26, 8, v24
	v_cmp_gt_i32_e64 s[4:5], s20, v26
	s_and_b64 s[8:9], s[4:5], s[18:19]
	v_ashrrev_i32_e32 v27, 31, v26
	s_and_saveexec_b64 s[6:7], s[8:9]
	s_cbranch_execz .LBB236_45
; %bb.41:
	s_and_b64 vcc, exec, s[0:1]
	s_cbranch_vccnz .LBB236_43
; %bb.42:
	v_lshl_add_u64 v[28:29], v[26:27], 1, v[42:43]
	flat_load_ushort v28, v[28:29]
	s_waitcnt vmcnt(0) lgkmcnt(0)
	v_mul_f16_e32 v28, s28, v28
	s_branch .LBB236_44
.LBB236_43:
	v_mov_b32_e32 v28, 0
.LBB236_44:
	v_pk_max_f16 v29, v20, v20
	v_pk_max_f16 v30, v18, v18
	v_pk_max_f16 v31, v19, v19
	v_pk_min_f16 v29, v30, v29
	v_pk_max_f16 v30, v21, v21
	v_pk_add_f16 v29, v75, v29
	v_pk_min_f16 v30, v31, v30
	s_nop 0
	v_pk_add_f16 v29, v29, v30
	s_nop 0
	v_add_f16_sdwa v29, v29, v29 dst_sel:DWORD dst_unused:UNUSED_PAD src0_sel:DWORD src1_sel:WORD_1
	v_add_f16_e32 v30, v29, v28
	v_lshl_add_u64 v[28:29], v[26:27], 1, v[40:41]
	flat_store_short v[28:29], v30
.LBB236_45:
	s_or_b64 exec, exec, s[6:7]
	v_add_u32_e32 v28, 16, v24
	v_cmp_gt_i32_e64 s[6:7], s20, v28
	s_and_b64 s[10:11], s[6:7], s[18:19]
	v_ashrrev_i32_e32 v29, 31, v28
	s_and_saveexec_b64 s[8:9], s[10:11]
	;; [unrolled: 34-line block ×6, first 2 shown]
	s_cbranch_execz .LBB236_70
; %bb.66:
	s_and_b64 vcc, exec, s[0:1]
	s_cbranch_vccnz .LBB236_68
; %bb.67:
	v_lshl_add_u64 v[38:39], v[36:37], 1, v[42:43]
	flat_load_ushort v38, v[38:39]
	s_waitcnt vmcnt(0) lgkmcnt(0)
	v_mul_f16_e32 v38, s28, v38
	s_branch .LBB236_69
.LBB236_68:
	v_mov_b32_e32 v38, 0
.LBB236_69:
	v_pk_max_f16 v39, v20, v20
	v_pk_max_f16 v71, v0, v0
	s_nop 0
	v_pk_min_f16 v39, v71, v39
	v_pk_max_f16 v71, v1, v1
	v_pk_add_f16 v39, v70, v39
	v_pk_max_f16 v70, v21, v21
	s_nop 0
	v_pk_min_f16 v70, v71, v70
	s_nop 0
	v_pk_add_f16 v39, v39, v70
	s_nop 0
	v_add_f16_sdwa v39, v39, v39 dst_sel:DWORD dst_unused:UNUSED_PAD src0_sel:DWORD src1_sel:WORD_1
	v_add_f16_e32 v70, v39, v38
	v_lshl_add_u64 v[38:39], v[36:37], 1, v[40:41]
	flat_store_short v[38:39], v70
.LBB236_70:
	s_or_b64 exec, exec, s[16:17]
	v_add_u32_e32 v38, 56, v24
	v_cmp_gt_i32_e64 s[16:17], s20, v38
	s_and_b64 s[26:27], s[16:17], s[18:19]
	v_ashrrev_i32_e32 v39, 31, v38
	s_and_saveexec_b64 s[18:19], s[26:27]
	s_cbranch_execz .LBB236_75
; %bb.71:
	s_and_b64 vcc, exec, s[0:1]
	s_cbranch_vccnz .LBB236_73
; %bb.72:
	v_lshl_add_u64 v[42:43], v[38:39], 1, v[42:43]
	flat_load_ushort v42, v[42:43]
	s_waitcnt vmcnt(0) lgkmcnt(0)
	v_mul_f16_e32 v42, s28, v42
	s_branch .LBB236_74
.LBB236_73:
	v_mov_b32_e32 v42, 0
.LBB236_74:
	v_pk_max_f16 v20, v20, v20
	v_pk_max_f16 v43, v2, v2
	;; [unrolled: 1-line block ×3, first 2 shown]
	v_pk_min_f16 v20, v43, v20
	v_pk_max_f16 v43, v3, v3
	v_pk_add_f16 v20, v68, v20
	v_pk_min_f16 v21, v43, v21
	s_nop 0
	v_pk_add_f16 v20, v20, v21
	s_nop 0
	v_add_f16_sdwa v20, v20, v20 dst_sel:DWORD dst_unused:UNUSED_PAD src0_sel:DWORD src1_sel:WORD_1
	v_add_f16_e32 v42, v20, v42
	v_lshl_add_u64 v[20:21], v[38:39], 1, v[40:41]
	flat_store_short v[20:21], v42
.LBB236_75:
	s_or_b64 exec, exec, s[18:19]
	v_add_u32_e32 v42, 32, v69
	v_mad_i64_i32 v[20:21], s[26:27], v42, s33, 0
	v_cmp_gt_i32_e64 s[18:19], s21, v42
	v_lshl_add_u64 v[40:41], v[20:21], 1, s[24:25]
	v_mad_i64_i32 v[20:21], s[26:27], v42, s31, 0
	v_lshl_add_u64 v[20:21], v[20:21], 1, s[22:23]
	s_and_b64 s[34:35], s[2:3], s[18:19]
	s_and_saveexec_b64 s[26:27], s[34:35]
	s_cbranch_execnz .LBB236_83
; %bb.76:
	s_or_b64 exec, exec, s[26:27]
	s_and_b64 s[34:35], s[4:5], s[18:19]
	s_and_saveexec_b64 s[26:27], s[34:35]
	s_cbranch_execnz .LBB236_87
.LBB236_77:
	s_or_b64 exec, exec, s[26:27]
	s_and_b64 s[34:35], s[6:7], s[18:19]
	s_and_saveexec_b64 s[26:27], s[34:35]
	s_cbranch_execnz .LBB236_91
.LBB236_78:
	s_or_b64 exec, exec, s[26:27]
	s_and_b64 s[34:35], s[8:9], s[18:19]
	s_and_saveexec_b64 s[26:27], s[34:35]
	s_cbranch_execnz .LBB236_95
.LBB236_79:
	s_or_b64 exec, exec, s[26:27]
	s_and_b64 s[34:35], s[10:11], s[18:19]
	s_and_saveexec_b64 s[26:27], s[34:35]
	s_cbranch_execnz .LBB236_99
.LBB236_80:
	s_or_b64 exec, exec, s[26:27]
	s_and_b64 s[34:35], s[12:13], s[18:19]
	s_and_saveexec_b64 s[26:27], s[34:35]
	s_cbranch_execnz .LBB236_103
.LBB236_81:
	s_or_b64 exec, exec, s[26:27]
	s_and_b64 s[34:35], s[14:15], s[18:19]
	s_and_saveexec_b64 s[26:27], s[34:35]
	s_cbranch_execnz .LBB236_107
.LBB236_82:
	s_or_b64 exec, exec, s[26:27]
	s_and_b64 s[26:27], s[16:17], s[18:19]
	s_and_saveexec_b64 s[18:19], s[26:27]
	s_cbranch_execnz .LBB236_111
	s_branch .LBB236_115
.LBB236_83:
	s_and_b64 vcc, exec, s[0:1]
	s_cbranch_vccnz .LBB236_85
; %bb.84:
	v_lshl_add_u64 v[42:43], v[24:25], 1, v[40:41]
	flat_load_ushort v42, v[42:43]
	s_waitcnt vmcnt(0) lgkmcnt(0)
	v_mul_f16_e32 v42, s28, v42
	s_branch .LBB236_86
.LBB236_85:
	v_mov_b32_e32 v42, 0
.LBB236_86:
	v_pk_max_f16 v43, v22, v22
	v_pk_max_f16 v68, v16, v16
	s_nop 0
	v_pk_min_f16 v43, v68, v43
	v_pk_max_f16 v68, v17, v17
	v_pk_add_f16 v43, v67, v43
	v_pk_max_f16 v67, v23, v23
	s_nop 0
	v_pk_min_f16 v67, v68, v67
	s_nop 0
	v_pk_add_f16 v43, v43, v67
	s_nop 0
	v_add_f16_sdwa v43, v43, v43 dst_sel:DWORD dst_unused:UNUSED_PAD src0_sel:DWORD src1_sel:WORD_1
	v_add_f16_e32 v67, v43, v42
	v_lshl_add_u64 v[42:43], v[24:25], 1, v[20:21]
	flat_store_short v[42:43], v67
	s_or_b64 exec, exec, s[26:27]
	s_and_b64 s[34:35], s[4:5], s[18:19]
	s_and_saveexec_b64 s[26:27], s[34:35]
	s_cbranch_execz .LBB236_77
.LBB236_87:
	s_and_b64 vcc, exec, s[0:1]
	s_cbranch_vccnz .LBB236_89
; %bb.88:
	v_lshl_add_u64 v[42:43], v[26:27], 1, v[40:41]
	flat_load_ushort v42, v[42:43]
	s_waitcnt vmcnt(0) lgkmcnt(0)
	v_mul_f16_e32 v42, s28, v42
	s_branch .LBB236_90
.LBB236_89:
	v_mov_b32_e32 v42, 0
.LBB236_90:
	v_pk_max_f16 v43, v22, v22
	v_pk_max_f16 v67, v18, v18
	s_nop 0
	v_pk_min_f16 v43, v67, v43
	v_pk_max_f16 v67, v19, v19
	v_pk_add_f16 v43, v66, v43
	v_pk_max_f16 v66, v23, v23
	s_nop 0
	v_pk_min_f16 v66, v67, v66
	s_nop 0
	v_pk_add_f16 v43, v43, v66
	s_nop 0
	v_add_f16_sdwa v43, v43, v43 dst_sel:DWORD dst_unused:UNUSED_PAD src0_sel:DWORD src1_sel:WORD_1
	v_add_f16_e32 v66, v43, v42
	v_lshl_add_u64 v[42:43], v[26:27], 1, v[20:21]
	flat_store_short v[42:43], v66
	s_or_b64 exec, exec, s[26:27]
	s_and_b64 s[34:35], s[6:7], s[18:19]
	s_and_saveexec_b64 s[26:27], s[34:35]
	s_cbranch_execz .LBB236_78
.LBB236_91:
	s_and_b64 vcc, exec, s[0:1]
	s_cbranch_vccnz .LBB236_93
; %bb.92:
	v_lshl_add_u64 v[42:43], v[28:29], 1, v[40:41]
	flat_load_ushort v42, v[42:43]
	s_waitcnt vmcnt(0) lgkmcnt(0)
	v_mul_f16_e32 v42, s28, v42
	s_branch .LBB236_94
.LBB236_93:
	v_mov_b32_e32 v42, 0
.LBB236_94:
	v_pk_max_f16 v43, v22, v22
	v_pk_max_f16 v66, v12, v12
	s_nop 0
	v_pk_min_f16 v43, v66, v43
	v_pk_max_f16 v66, v13, v13
	v_pk_add_f16 v43, v65, v43
	v_pk_max_f16 v65, v23, v23
	s_nop 0
	v_pk_min_f16 v65, v66, v65
	s_nop 0
	v_pk_add_f16 v43, v43, v65
	s_nop 0
	v_add_f16_sdwa v43, v43, v43 dst_sel:DWORD dst_unused:UNUSED_PAD src0_sel:DWORD src1_sel:WORD_1
	v_add_f16_e32 v65, v43, v42
	v_lshl_add_u64 v[42:43], v[28:29], 1, v[20:21]
	flat_store_short v[42:43], v65
	s_or_b64 exec, exec, s[26:27]
	s_and_b64 s[34:35], s[8:9], s[18:19]
	s_and_saveexec_b64 s[26:27], s[34:35]
	s_cbranch_execz .LBB236_79
.LBB236_95:
	s_and_b64 vcc, exec, s[0:1]
	s_cbranch_vccnz .LBB236_97
; %bb.96:
	v_lshl_add_u64 v[42:43], v[30:31], 1, v[40:41]
	flat_load_ushort v42, v[42:43]
	s_waitcnt vmcnt(0) lgkmcnt(0)
	v_mul_f16_e32 v42, s28, v42
	s_branch .LBB236_98
.LBB236_97:
	v_mov_b32_e32 v42, 0
.LBB236_98:
	v_pk_max_f16 v43, v22, v22
	v_pk_max_f16 v65, v14, v14
	s_nop 0
	v_pk_min_f16 v43, v65, v43
	v_pk_max_f16 v65, v15, v15
	v_pk_add_f16 v43, v64, v43
	v_pk_max_f16 v64, v23, v23
	s_nop 0
	v_pk_min_f16 v64, v65, v64
	s_nop 0
	v_pk_add_f16 v43, v43, v64
	s_nop 0
	v_add_f16_sdwa v43, v43, v43 dst_sel:DWORD dst_unused:UNUSED_PAD src0_sel:DWORD src1_sel:WORD_1
	v_add_f16_e32 v64, v43, v42
	v_lshl_add_u64 v[42:43], v[30:31], 1, v[20:21]
	flat_store_short v[42:43], v64
	s_or_b64 exec, exec, s[26:27]
	s_and_b64 s[34:35], s[10:11], s[18:19]
	s_and_saveexec_b64 s[26:27], s[34:35]
	s_cbranch_execz .LBB236_80
.LBB236_99:
	s_and_b64 vcc, exec, s[0:1]
	s_cbranch_vccnz .LBB236_101
; %bb.100:
	v_lshl_add_u64 v[42:43], v[32:33], 1, v[40:41]
	flat_load_ushort v42, v[42:43]
	s_waitcnt vmcnt(0) lgkmcnt(0)
	v_mul_f16_e32 v42, s28, v42
	s_branch .LBB236_102
.LBB236_101:
	v_mov_b32_e32 v42, 0
.LBB236_102:
	v_pk_max_f16 v43, v22, v22
	v_pk_max_f16 v64, v8, v8
	s_nop 0
	v_pk_min_f16 v43, v64, v43
	v_pk_max_f16 v64, v9, v9
	v_pk_add_f16 v43, v63, v43
	v_pk_max_f16 v63, v23, v23
	s_nop 0
	v_pk_min_f16 v63, v64, v63
	s_nop 0
	v_pk_add_f16 v43, v43, v63
	s_nop 0
	v_add_f16_sdwa v43, v43, v43 dst_sel:DWORD dst_unused:UNUSED_PAD src0_sel:DWORD src1_sel:WORD_1
	v_add_f16_e32 v63, v43, v42
	v_lshl_add_u64 v[42:43], v[32:33], 1, v[20:21]
	flat_store_short v[42:43], v63
	s_or_b64 exec, exec, s[26:27]
	s_and_b64 s[34:35], s[12:13], s[18:19]
	s_and_saveexec_b64 s[26:27], s[34:35]
	s_cbranch_execz .LBB236_81
.LBB236_103:
	s_and_b64 vcc, exec, s[0:1]
	s_cbranch_vccnz .LBB236_105
; %bb.104:
	v_lshl_add_u64 v[42:43], v[34:35], 1, v[40:41]
	flat_load_ushort v42, v[42:43]
	s_waitcnt vmcnt(0) lgkmcnt(0)
	v_mul_f16_e32 v42, s28, v42
	s_branch .LBB236_106
.LBB236_105:
	v_mov_b32_e32 v42, 0
.LBB236_106:
	v_pk_max_f16 v43, v22, v22
	v_pk_max_f16 v63, v10, v10
	s_nop 0
	v_pk_min_f16 v43, v63, v43
	v_pk_max_f16 v63, v11, v11
	v_pk_add_f16 v43, v62, v43
	v_pk_max_f16 v62, v23, v23
	s_nop 0
	v_pk_min_f16 v62, v63, v62
	s_nop 0
	v_pk_add_f16 v43, v43, v62
	s_nop 0
	v_add_f16_sdwa v43, v43, v43 dst_sel:DWORD dst_unused:UNUSED_PAD src0_sel:DWORD src1_sel:WORD_1
	v_add_f16_e32 v62, v43, v42
	v_lshl_add_u64 v[42:43], v[34:35], 1, v[20:21]
	flat_store_short v[42:43], v62
	s_or_b64 exec, exec, s[26:27]
	s_and_b64 s[34:35], s[14:15], s[18:19]
	s_and_saveexec_b64 s[26:27], s[34:35]
	s_cbranch_execz .LBB236_82
.LBB236_107:
	s_and_b64 vcc, exec, s[0:1]
	s_cbranch_vccnz .LBB236_109
; %bb.108:
	v_lshl_add_u64 v[42:43], v[36:37], 1, v[40:41]
	flat_load_ushort v42, v[42:43]
	s_waitcnt vmcnt(0) lgkmcnt(0)
	v_mul_f16_e32 v42, s28, v42
	s_branch .LBB236_110
.LBB236_109:
	v_mov_b32_e32 v42, 0
.LBB236_110:
	v_pk_max_f16 v43, v22, v22
	v_pk_max_f16 v62, v0, v0
	s_nop 0
	v_pk_min_f16 v43, v62, v43
	v_pk_max_f16 v62, v1, v1
	v_pk_add_f16 v43, v61, v43
	v_pk_max_f16 v61, v23, v23
	s_nop 0
	v_pk_min_f16 v61, v62, v61
	s_nop 0
	v_pk_add_f16 v43, v43, v61
	s_nop 0
	v_add_f16_sdwa v43, v43, v43 dst_sel:DWORD dst_unused:UNUSED_PAD src0_sel:DWORD src1_sel:WORD_1
	v_add_f16_e32 v61, v43, v42
	v_lshl_add_u64 v[42:43], v[36:37], 1, v[20:21]
	flat_store_short v[42:43], v61
	s_or_b64 exec, exec, s[26:27]
	s_and_b64 s[26:27], s[16:17], s[18:19]
	s_and_saveexec_b64 s[18:19], s[26:27]
	s_cbranch_execz .LBB236_115
.LBB236_111:
	s_and_b64 vcc, exec, s[0:1]
	s_cbranch_vccnz .LBB236_113
; %bb.112:
	v_lshl_add_u64 v[40:41], v[38:39], 1, v[40:41]
	flat_load_ushort v40, v[40:41]
	s_waitcnt vmcnt(0) lgkmcnt(0)
	v_mul_f16_e32 v40, s28, v40
	s_branch .LBB236_114
.LBB236_113:
	v_mov_b32_e32 v40, 0
.LBB236_114:
	v_pk_max_f16 v22, v22, v22
	v_pk_max_f16 v41, v2, v2
	;; [unrolled: 1-line block ×3, first 2 shown]
	v_pk_min_f16 v22, v41, v22
	v_pk_max_f16 v41, v3, v3
	v_pk_add_f16 v22, v60, v22
	v_pk_min_f16 v23, v41, v23
	v_lshl_add_u64 v[20:21], v[38:39], 1, v[20:21]
	v_pk_add_f16 v22, v22, v23
	s_nop 0
	v_add_f16_sdwa v22, v22, v22 dst_sel:DWORD dst_unused:UNUSED_PAD src0_sel:DWORD src1_sel:WORD_1
	v_add_f16_e32 v22, v22, v40
	flat_store_short v[20:21], v22
.LBB236_115:
	s_or_b64 exec, exec, s[18:19]
	v_add_u32_e32 v40, 64, v69
	v_mad_i64_i32 v[20:21], s[26:27], v40, s33, 0
	v_cmp_gt_i32_e64 s[18:19], s21, v40
	v_lshl_add_u64 v[22:23], v[20:21], 1, s[24:25]
	v_mad_i64_i32 v[20:21], s[26:27], v40, s31, 0
	v_lshl_add_u64 v[20:21], v[20:21], 1, s[22:23]
	s_and_b64 s[34:35], s[2:3], s[18:19]
	s_and_saveexec_b64 s[26:27], s[34:35]
	s_cbranch_execnz .LBB236_123
; %bb.116:
	s_or_b64 exec, exec, s[26:27]
	s_and_b64 s[34:35], s[4:5], s[18:19]
	s_and_saveexec_b64 s[26:27], s[34:35]
	s_cbranch_execnz .LBB236_127
.LBB236_117:
	s_or_b64 exec, exec, s[26:27]
	s_and_b64 s[34:35], s[6:7], s[18:19]
	s_and_saveexec_b64 s[26:27], s[34:35]
	s_cbranch_execnz .LBB236_131
.LBB236_118:
	s_or_b64 exec, exec, s[26:27]
	s_and_b64 s[34:35], s[8:9], s[18:19]
	s_and_saveexec_b64 s[26:27], s[34:35]
	s_cbranch_execnz .LBB236_135
.LBB236_119:
	s_or_b64 exec, exec, s[26:27]
	s_and_b64 s[34:35], s[10:11], s[18:19]
	s_and_saveexec_b64 s[26:27], s[34:35]
	s_cbranch_execnz .LBB236_139
.LBB236_120:
	s_or_b64 exec, exec, s[26:27]
	s_and_b64 s[34:35], s[12:13], s[18:19]
	s_and_saveexec_b64 s[26:27], s[34:35]
	s_cbranch_execnz .LBB236_143
.LBB236_121:
	s_or_b64 exec, exec, s[26:27]
	s_and_b64 s[34:35], s[14:15], s[18:19]
	s_and_saveexec_b64 s[26:27], s[34:35]
	s_cbranch_execnz .LBB236_147
.LBB236_122:
	s_or_b64 exec, exec, s[26:27]
	s_and_b64 s[26:27], s[16:17], s[18:19]
	s_and_saveexec_b64 s[18:19], s[26:27]
	s_cbranch_execnz .LBB236_151
	s_branch .LBB236_155
.LBB236_123:
	s_and_b64 vcc, exec, s[0:1]
	s_cbranch_vccnz .LBB236_125
; %bb.124:
	v_lshl_add_u64 v[40:41], v[24:25], 1, v[22:23]
	flat_load_ushort v40, v[40:41]
	s_waitcnt vmcnt(0) lgkmcnt(0)
	v_mul_f16_e32 v40, s28, v40
	s_branch .LBB236_126
.LBB236_125:
	v_mov_b32_e32 v40, 0
.LBB236_126:
	v_pk_max_f16 v41, v4, v4
	v_pk_max_f16 v42, v16, v16
	;; [unrolled: 1-line block ×3, first 2 shown]
	v_pk_min_f16 v41, v42, v41
	v_pk_max_f16 v42, v5, v5
	v_pk_add_f16 v41, v59, v41
	v_pk_min_f16 v42, v43, v42
	s_nop 0
	v_pk_add_f16 v41, v41, v42
	s_nop 0
	v_add_f16_sdwa v41, v41, v41 dst_sel:DWORD dst_unused:UNUSED_PAD src0_sel:DWORD src1_sel:WORD_1
	v_add_f16_e32 v42, v41, v40
	v_lshl_add_u64 v[40:41], v[24:25], 1, v[20:21]
	flat_store_short v[40:41], v42
	s_or_b64 exec, exec, s[26:27]
	s_and_b64 s[34:35], s[4:5], s[18:19]
	s_and_saveexec_b64 s[26:27], s[34:35]
	s_cbranch_execz .LBB236_117
.LBB236_127:
	s_and_b64 vcc, exec, s[0:1]
	s_cbranch_vccnz .LBB236_129
; %bb.128:
	v_lshl_add_u64 v[40:41], v[26:27], 1, v[22:23]
	flat_load_ushort v40, v[40:41]
	s_waitcnt vmcnt(0) lgkmcnt(0)
	v_mul_f16_e32 v40, s28, v40
	s_branch .LBB236_130
.LBB236_129:
	v_mov_b32_e32 v40, 0
.LBB236_130:
	v_pk_max_f16 v41, v4, v4
	v_pk_max_f16 v42, v18, v18
	;; [unrolled: 1-line block ×3, first 2 shown]
	v_pk_min_f16 v41, v42, v41
	v_pk_max_f16 v42, v5, v5
	v_pk_add_f16 v41, v58, v41
	v_pk_min_f16 v42, v43, v42
	s_nop 0
	v_pk_add_f16 v41, v41, v42
	s_nop 0
	v_add_f16_sdwa v41, v41, v41 dst_sel:DWORD dst_unused:UNUSED_PAD src0_sel:DWORD src1_sel:WORD_1
	v_add_f16_e32 v42, v41, v40
	v_lshl_add_u64 v[40:41], v[26:27], 1, v[20:21]
	flat_store_short v[40:41], v42
	s_or_b64 exec, exec, s[26:27]
	s_and_b64 s[34:35], s[6:7], s[18:19]
	s_and_saveexec_b64 s[26:27], s[34:35]
	s_cbranch_execz .LBB236_118
.LBB236_131:
	s_and_b64 vcc, exec, s[0:1]
	s_cbranch_vccnz .LBB236_133
; %bb.132:
	v_lshl_add_u64 v[40:41], v[28:29], 1, v[22:23]
	flat_load_ushort v40, v[40:41]
	s_waitcnt vmcnt(0) lgkmcnt(0)
	v_mul_f16_e32 v40, s28, v40
	s_branch .LBB236_134
.LBB236_133:
	v_mov_b32_e32 v40, 0
.LBB236_134:
	v_pk_max_f16 v41, v4, v4
	v_pk_max_f16 v42, v12, v12
	;; [unrolled: 1-line block ×3, first 2 shown]
	v_pk_min_f16 v41, v42, v41
	v_pk_max_f16 v42, v5, v5
	v_pk_add_f16 v41, v57, v41
	v_pk_min_f16 v42, v43, v42
	s_nop 0
	v_pk_add_f16 v41, v41, v42
	s_nop 0
	v_add_f16_sdwa v41, v41, v41 dst_sel:DWORD dst_unused:UNUSED_PAD src0_sel:DWORD src1_sel:WORD_1
	v_add_f16_e32 v42, v41, v40
	v_lshl_add_u64 v[40:41], v[28:29], 1, v[20:21]
	flat_store_short v[40:41], v42
	s_or_b64 exec, exec, s[26:27]
	s_and_b64 s[34:35], s[8:9], s[18:19]
	s_and_saveexec_b64 s[26:27], s[34:35]
	s_cbranch_execz .LBB236_119
.LBB236_135:
	s_and_b64 vcc, exec, s[0:1]
	s_cbranch_vccnz .LBB236_137
; %bb.136:
	v_lshl_add_u64 v[40:41], v[30:31], 1, v[22:23]
	flat_load_ushort v40, v[40:41]
	s_waitcnt vmcnt(0) lgkmcnt(0)
	v_mul_f16_e32 v40, s28, v40
	s_branch .LBB236_138
.LBB236_137:
	v_mov_b32_e32 v40, 0
.LBB236_138:
	v_pk_max_f16 v41, v4, v4
	v_pk_max_f16 v42, v14, v14
	;; [unrolled: 1-line block ×3, first 2 shown]
	v_pk_min_f16 v41, v42, v41
	v_pk_max_f16 v42, v5, v5
	v_pk_add_f16 v41, v56, v41
	v_pk_min_f16 v42, v43, v42
	s_nop 0
	v_pk_add_f16 v41, v41, v42
	s_nop 0
	v_add_f16_sdwa v41, v41, v41 dst_sel:DWORD dst_unused:UNUSED_PAD src0_sel:DWORD src1_sel:WORD_1
	v_add_f16_e32 v42, v41, v40
	v_lshl_add_u64 v[40:41], v[30:31], 1, v[20:21]
	flat_store_short v[40:41], v42
	s_or_b64 exec, exec, s[26:27]
	s_and_b64 s[34:35], s[10:11], s[18:19]
	s_and_saveexec_b64 s[26:27], s[34:35]
	s_cbranch_execz .LBB236_120
.LBB236_139:
	s_and_b64 vcc, exec, s[0:1]
	s_cbranch_vccnz .LBB236_141
; %bb.140:
	v_lshl_add_u64 v[40:41], v[32:33], 1, v[22:23]
	flat_load_ushort v40, v[40:41]
	s_waitcnt vmcnt(0) lgkmcnt(0)
	v_mul_f16_e32 v40, s28, v40
	s_branch .LBB236_142
.LBB236_141:
	v_mov_b32_e32 v40, 0
.LBB236_142:
	v_pk_max_f16 v41, v4, v4
	v_pk_max_f16 v42, v8, v8
	;; [unrolled: 1-line block ×3, first 2 shown]
	v_pk_min_f16 v41, v42, v41
	v_pk_max_f16 v42, v5, v5
	v_pk_add_f16 v41, v55, v41
	v_pk_min_f16 v42, v43, v42
	s_nop 0
	v_pk_add_f16 v41, v41, v42
	s_nop 0
	v_add_f16_sdwa v41, v41, v41 dst_sel:DWORD dst_unused:UNUSED_PAD src0_sel:DWORD src1_sel:WORD_1
	v_add_f16_e32 v42, v41, v40
	v_lshl_add_u64 v[40:41], v[32:33], 1, v[20:21]
	flat_store_short v[40:41], v42
	s_or_b64 exec, exec, s[26:27]
	s_and_b64 s[34:35], s[12:13], s[18:19]
	s_and_saveexec_b64 s[26:27], s[34:35]
	s_cbranch_execz .LBB236_121
.LBB236_143:
	s_and_b64 vcc, exec, s[0:1]
	s_cbranch_vccnz .LBB236_145
; %bb.144:
	v_lshl_add_u64 v[40:41], v[34:35], 1, v[22:23]
	flat_load_ushort v40, v[40:41]
	s_waitcnt vmcnt(0) lgkmcnt(0)
	v_mul_f16_e32 v40, s28, v40
	s_branch .LBB236_146
.LBB236_145:
	v_mov_b32_e32 v40, 0
.LBB236_146:
	v_pk_max_f16 v41, v4, v4
	v_pk_max_f16 v42, v10, v10
	v_pk_max_f16 v43, v11, v11
	v_pk_min_f16 v41, v42, v41
	v_pk_max_f16 v42, v5, v5
	v_pk_add_f16 v41, v54, v41
	v_pk_min_f16 v42, v43, v42
	s_nop 0
	v_pk_add_f16 v41, v41, v42
	s_nop 0
	v_add_f16_sdwa v41, v41, v41 dst_sel:DWORD dst_unused:UNUSED_PAD src0_sel:DWORD src1_sel:WORD_1
	v_add_f16_e32 v42, v41, v40
	v_lshl_add_u64 v[40:41], v[34:35], 1, v[20:21]
	flat_store_short v[40:41], v42
	s_or_b64 exec, exec, s[26:27]
	s_and_b64 s[34:35], s[14:15], s[18:19]
	s_and_saveexec_b64 s[26:27], s[34:35]
	s_cbranch_execz .LBB236_122
.LBB236_147:
	s_and_b64 vcc, exec, s[0:1]
	s_cbranch_vccnz .LBB236_149
; %bb.148:
	v_lshl_add_u64 v[40:41], v[36:37], 1, v[22:23]
	flat_load_ushort v40, v[40:41]
	s_waitcnt vmcnt(0) lgkmcnt(0)
	v_mul_f16_e32 v40, s28, v40
	s_branch .LBB236_150
.LBB236_149:
	v_mov_b32_e32 v40, 0
.LBB236_150:
	v_pk_max_f16 v41, v4, v4
	v_pk_max_f16 v42, v0, v0
	;; [unrolled: 1-line block ×3, first 2 shown]
	v_pk_min_f16 v41, v42, v41
	v_pk_max_f16 v42, v5, v5
	v_pk_add_f16 v41, v53, v41
	v_pk_min_f16 v42, v43, v42
	s_nop 0
	v_pk_add_f16 v41, v41, v42
	s_nop 0
	v_add_f16_sdwa v41, v41, v41 dst_sel:DWORD dst_unused:UNUSED_PAD src0_sel:DWORD src1_sel:WORD_1
	v_add_f16_e32 v42, v41, v40
	v_lshl_add_u64 v[40:41], v[36:37], 1, v[20:21]
	flat_store_short v[40:41], v42
	s_or_b64 exec, exec, s[26:27]
	s_and_b64 s[26:27], s[16:17], s[18:19]
	s_and_saveexec_b64 s[18:19], s[26:27]
	s_cbranch_execz .LBB236_155
.LBB236_151:
	s_and_b64 vcc, exec, s[0:1]
	s_cbranch_vccnz .LBB236_153
; %bb.152:
	v_lshl_add_u64 v[22:23], v[38:39], 1, v[22:23]
	flat_load_ushort v22, v[22:23]
	s_waitcnt vmcnt(0) lgkmcnt(0)
	v_mul_f16_e32 v22, s28, v22
	s_branch .LBB236_154
.LBB236_153:
	v_mov_b32_e32 v22, 0
.LBB236_154:
	v_pk_max_f16 v4, v4, v4
	v_pk_max_f16 v23, v2, v2
	;; [unrolled: 1-line block ×3, first 2 shown]
	v_pk_min_f16 v4, v23, v4
	v_pk_max_f16 v23, v3, v3
	v_pk_add_f16 v4, v52, v4
	v_pk_min_f16 v5, v23, v5
	s_nop 0
	v_pk_add_f16 v4, v4, v5
	s_nop 0
	v_add_f16_sdwa v4, v4, v4 dst_sel:DWORD dst_unused:UNUSED_PAD src0_sel:DWORD src1_sel:WORD_1
	v_add_f16_e32 v22, v4, v22
	v_lshl_add_u64 v[4:5], v[38:39], 1, v[20:21]
	flat_store_short v[4:5], v22
.LBB236_155:
	s_or_b64 exec, exec, s[18:19]
	v_add_u32_e32 v22, 0x60, v69
	v_cmp_gt_i32_e64 s[18:19], s21, v22
	v_mad_i64_i32 v[4:5], s[20:21], v22, s33, 0
	v_lshl_add_u64 v[20:21], v[4:5], 1, s[24:25]
	v_mad_i64_i32 v[4:5], s[20:21], v22, s31, 0
	v_lshl_add_u64 v[4:5], v[4:5], 1, s[22:23]
	s_and_b64 s[20:21], s[2:3], s[18:19]
	s_and_saveexec_b64 s[2:3], s[20:21]
	s_cbranch_execnz .LBB236_164
; %bb.156:
	s_or_b64 exec, exec, s[2:3]
	s_and_b64 s[4:5], s[4:5], s[18:19]
	s_and_saveexec_b64 s[2:3], s[4:5]
	s_cbranch_execnz .LBB236_168
.LBB236_157:
	s_or_b64 exec, exec, s[2:3]
	s_and_b64 s[4:5], s[6:7], s[18:19]
	s_and_saveexec_b64 s[2:3], s[4:5]
	s_cbranch_execnz .LBB236_172
.LBB236_158:
	s_or_b64 exec, exec, s[2:3]
	s_and_b64 s[4:5], s[8:9], s[18:19]
	s_and_saveexec_b64 s[2:3], s[4:5]
	s_cbranch_execnz .LBB236_176
.LBB236_159:
	s_or_b64 exec, exec, s[2:3]
	s_and_b64 s[4:5], s[10:11], s[18:19]
	s_and_saveexec_b64 s[2:3], s[4:5]
	s_cbranch_execnz .LBB236_180
.LBB236_160:
	s_or_b64 exec, exec, s[2:3]
	s_and_b64 s[4:5], s[12:13], s[18:19]
	s_and_saveexec_b64 s[2:3], s[4:5]
	s_cbranch_execnz .LBB236_184
.LBB236_161:
	s_or_b64 exec, exec, s[2:3]
	s_and_b64 s[4:5], s[14:15], s[18:19]
	s_and_saveexec_b64 s[2:3], s[4:5]
	s_cbranch_execnz .LBB236_188
.LBB236_162:
	s_or_b64 exec, exec, s[2:3]
	s_and_b64 s[2:3], s[16:17], s[18:19]
	s_and_saveexec_b64 s[4:5], s[2:3]
	s_cbranch_execnz .LBB236_192
.LBB236_163:
	s_endpgm
.LBB236_164:
	s_and_b64 vcc, exec, s[0:1]
	s_cbranch_vccnz .LBB236_166
; %bb.165:
	v_lshl_add_u64 v[22:23], v[24:25], 1, v[20:21]
	flat_load_ushort v22, v[22:23]
	s_waitcnt vmcnt(0) lgkmcnt(0)
	v_mul_f16_e32 v22, s28, v22
	s_branch .LBB236_167
.LBB236_166:
	v_mov_b32_e32 v22, 0
.LBB236_167:
	v_pk_max_f16 v23, v6, v6
	v_pk_max_f16 v16, v16, v16
	;; [unrolled: 1-line block ×3, first 2 shown]
	v_pk_min_f16 v16, v16, v23
	v_pk_max_f16 v23, v7, v7
	v_pk_add_f16 v16, v51, v16
	v_pk_min_f16 v17, v17, v23
	s_nop 0
	v_pk_add_f16 v16, v16, v17
	s_nop 0
	v_add_f16_sdwa v16, v16, v16 dst_sel:DWORD dst_unused:UNUSED_PAD src0_sel:DWORD src1_sel:WORD_1
	v_add_f16_e32 v22, v16, v22
	v_lshl_add_u64 v[16:17], v[24:25], 1, v[4:5]
	flat_store_short v[16:17], v22
	s_or_b64 exec, exec, s[2:3]
	s_and_b64 s[4:5], s[4:5], s[18:19]
	s_and_saveexec_b64 s[2:3], s[4:5]
	s_cbranch_execz .LBB236_157
.LBB236_168:
	s_and_b64 vcc, exec, s[0:1]
	s_cbranch_vccnz .LBB236_170
; %bb.169:
	v_lshl_add_u64 v[16:17], v[26:27], 1, v[20:21]
	flat_load_ushort v16, v[16:17]
	s_waitcnt vmcnt(0) lgkmcnt(0)
	v_mul_f16_e32 v16, s28, v16
	s_branch .LBB236_171
.LBB236_170:
	v_mov_b32_e32 v16, 0
.LBB236_171:
	v_pk_max_f16 v17, v6, v6
	v_pk_max_f16 v18, v18, v18
	;; [unrolled: 1-line block ×3, first 2 shown]
	v_pk_min_f16 v17, v18, v17
	v_pk_max_f16 v18, v7, v7
	v_pk_add_f16 v17, v50, v17
	v_pk_min_f16 v18, v19, v18
	s_nop 0
	v_pk_add_f16 v17, v17, v18
	s_nop 0
	v_add_f16_sdwa v17, v17, v17 dst_sel:DWORD dst_unused:UNUSED_PAD src0_sel:DWORD src1_sel:WORD_1
	v_add_f16_e32 v18, v17, v16
	v_lshl_add_u64 v[16:17], v[26:27], 1, v[4:5]
	flat_store_short v[16:17], v18
	s_or_b64 exec, exec, s[2:3]
	s_and_b64 s[4:5], s[6:7], s[18:19]
	s_and_saveexec_b64 s[2:3], s[4:5]
	s_cbranch_execz .LBB236_158
.LBB236_172:
	s_and_b64 vcc, exec, s[0:1]
	s_cbranch_vccnz .LBB236_174
; %bb.173:
	v_lshl_add_u64 v[16:17], v[28:29], 1, v[20:21]
	flat_load_ushort v16, v[16:17]
	s_waitcnt vmcnt(0) lgkmcnt(0)
	v_mul_f16_e32 v16, s28, v16
	s_branch .LBB236_175
.LBB236_174:
	v_mov_b32_e32 v16, 0
.LBB236_175:
	v_pk_max_f16 v17, v6, v6
	v_pk_max_f16 v12, v12, v12
	;; [unrolled: 1-line block ×3, first 2 shown]
	v_pk_min_f16 v12, v12, v17
	v_pk_max_f16 v17, v7, v7
	v_pk_add_f16 v12, v49, v12
	v_pk_min_f16 v13, v13, v17
	s_nop 0
	v_pk_add_f16 v12, v12, v13
	s_nop 0
	v_add_f16_sdwa v12, v12, v12 dst_sel:DWORD dst_unused:UNUSED_PAD src0_sel:DWORD src1_sel:WORD_1
	v_add_f16_e32 v16, v12, v16
	v_lshl_add_u64 v[12:13], v[28:29], 1, v[4:5]
	flat_store_short v[12:13], v16
	s_or_b64 exec, exec, s[2:3]
	s_and_b64 s[4:5], s[8:9], s[18:19]
	s_and_saveexec_b64 s[2:3], s[4:5]
	s_cbranch_execz .LBB236_159
.LBB236_176:
	s_and_b64 vcc, exec, s[0:1]
	s_cbranch_vccnz .LBB236_178
; %bb.177:
	v_lshl_add_u64 v[12:13], v[30:31], 1, v[20:21]
	flat_load_ushort v12, v[12:13]
	s_waitcnt vmcnt(0) lgkmcnt(0)
	v_mul_f16_e32 v12, s28, v12
	s_branch .LBB236_179
.LBB236_178:
	v_mov_b32_e32 v12, 0
.LBB236_179:
	v_pk_max_f16 v13, v6, v6
	v_pk_max_f16 v14, v14, v14
	;; [unrolled: 1-line block ×3, first 2 shown]
	v_pk_min_f16 v13, v14, v13
	v_pk_max_f16 v14, v7, v7
	v_pk_add_f16 v13, v48, v13
	v_pk_min_f16 v14, v15, v14
	s_nop 0
	v_pk_add_f16 v13, v13, v14
	s_nop 0
	v_add_f16_sdwa v13, v13, v13 dst_sel:DWORD dst_unused:UNUSED_PAD src0_sel:DWORD src1_sel:WORD_1
	v_add_f16_e32 v14, v13, v12
	v_lshl_add_u64 v[12:13], v[30:31], 1, v[4:5]
	flat_store_short v[12:13], v14
	s_or_b64 exec, exec, s[2:3]
	s_and_b64 s[4:5], s[10:11], s[18:19]
	s_and_saveexec_b64 s[2:3], s[4:5]
	s_cbranch_execz .LBB236_160
.LBB236_180:
	s_and_b64 vcc, exec, s[0:1]
	s_cbranch_vccnz .LBB236_182
; %bb.181:
	v_lshl_add_u64 v[12:13], v[32:33], 1, v[20:21]
	flat_load_ushort v12, v[12:13]
	s_waitcnt vmcnt(0) lgkmcnt(0)
	v_mul_f16_e32 v12, s28, v12
	s_branch .LBB236_183
.LBB236_182:
	v_mov_b32_e32 v12, 0
.LBB236_183:
	v_pk_max_f16 v13, v6, v6
	v_pk_max_f16 v8, v8, v8
	;; [unrolled: 1-line block ×3, first 2 shown]
	v_pk_min_f16 v8, v8, v13
	v_pk_max_f16 v13, v7, v7
	v_pk_add_f16 v8, v47, v8
	v_pk_min_f16 v9, v9, v13
	s_nop 0
	v_pk_add_f16 v8, v8, v9
	s_nop 0
	v_add_f16_sdwa v8, v8, v8 dst_sel:DWORD dst_unused:UNUSED_PAD src0_sel:DWORD src1_sel:WORD_1
	v_add_f16_e32 v12, v8, v12
	v_lshl_add_u64 v[8:9], v[32:33], 1, v[4:5]
	flat_store_short v[8:9], v12
	s_or_b64 exec, exec, s[2:3]
	s_and_b64 s[4:5], s[12:13], s[18:19]
	s_and_saveexec_b64 s[2:3], s[4:5]
	s_cbranch_execz .LBB236_161
.LBB236_184:
	s_and_b64 vcc, exec, s[0:1]
	s_cbranch_vccnz .LBB236_186
; %bb.185:
	v_lshl_add_u64 v[8:9], v[34:35], 1, v[20:21]
	flat_load_ushort v8, v[8:9]
	s_waitcnt vmcnt(0) lgkmcnt(0)
	v_mul_f16_e32 v8, s28, v8
	s_branch .LBB236_187
.LBB236_186:
	v_mov_b32_e32 v8, 0
.LBB236_187:
	v_pk_max_f16 v9, v6, v6
	v_pk_max_f16 v10, v10, v10
	;; [unrolled: 1-line block ×3, first 2 shown]
	v_pk_min_f16 v9, v10, v9
	v_pk_max_f16 v10, v7, v7
	v_pk_add_f16 v9, v46, v9
	v_pk_min_f16 v10, v11, v10
	s_nop 0
	v_pk_add_f16 v9, v9, v10
	s_nop 0
	v_add_f16_sdwa v9, v9, v9 dst_sel:DWORD dst_unused:UNUSED_PAD src0_sel:DWORD src1_sel:WORD_1
	v_add_f16_e32 v10, v9, v8
	v_lshl_add_u64 v[8:9], v[34:35], 1, v[4:5]
	flat_store_short v[8:9], v10
	s_or_b64 exec, exec, s[2:3]
	s_and_b64 s[4:5], s[14:15], s[18:19]
	s_and_saveexec_b64 s[2:3], s[4:5]
	s_cbranch_execz .LBB236_162
.LBB236_188:
	s_and_b64 vcc, exec, s[0:1]
	s_cbranch_vccnz .LBB236_190
; %bb.189:
	v_lshl_add_u64 v[8:9], v[36:37], 1, v[20:21]
	flat_load_ushort v8, v[8:9]
	s_waitcnt vmcnt(0) lgkmcnt(0)
	v_mul_f16_e32 v8, s28, v8
	s_branch .LBB236_191
.LBB236_190:
	v_mov_b32_e32 v8, 0
.LBB236_191:
	v_pk_max_f16 v9, v6, v6
	v_pk_max_f16 v0, v0, v0
	v_pk_max_f16 v1, v1, v1
	v_pk_min_f16 v0, v0, v9
	v_pk_max_f16 v9, v7, v7
	v_pk_add_f16 v0, v45, v0
	v_pk_min_f16 v1, v1, v9
	s_nop 0
	v_pk_add_f16 v0, v0, v1
	s_nop 0
	v_add_f16_sdwa v0, v0, v0 dst_sel:DWORD dst_unused:UNUSED_PAD src0_sel:DWORD src1_sel:WORD_1
	v_add_f16_e32 v8, v0, v8
	v_lshl_add_u64 v[0:1], v[36:37], 1, v[4:5]
	flat_store_short v[0:1], v8
	s_or_b64 exec, exec, s[2:3]
	s_and_b64 s[2:3], s[16:17], s[18:19]
	s_and_saveexec_b64 s[4:5], s[2:3]
	s_cbranch_execz .LBB236_163
.LBB236_192:
	s_and_b64 vcc, exec, s[0:1]
	s_cbranch_vccnz .LBB236_194
; %bb.193:
	v_lshl_add_u64 v[0:1], v[38:39], 1, v[20:21]
	flat_load_ushort v0, v[0:1]
	s_waitcnt vmcnt(0) lgkmcnt(0)
	v_mul_f16_e32 v0, s28, v0
	s_branch .LBB236_195
.LBB236_194:
	v_mov_b32_e32 v0, 0
.LBB236_195:
	v_pk_max_f16 v1, v6, v6
	v_pk_max_f16 v2, v2, v2
	;; [unrolled: 1-line block ×3, first 2 shown]
	v_pk_min_f16 v1, v2, v1
	v_pk_max_f16 v2, v7, v7
	v_pk_add_f16 v1, v44, v1
	v_pk_min_f16 v2, v3, v2
	s_nop 0
	v_pk_add_f16 v1, v1, v2
	s_nop 0
	v_add_f16_sdwa v1, v1, v1 dst_sel:DWORD dst_unused:UNUSED_PAD src0_sel:DWORD src1_sel:WORD_1
	v_add_f16_e32 v2, v1, v0
	v_lshl_add_u64 v[0:1], v[38:39], 1, v[4:5]
	flat_store_short v[0:1], v2
	s_endpgm
	.section	.rodata,"a",@progbits
	.p2align	6, 0x0
	.amdhsa_kernel _ZN12_GLOBAL__N_120geam_min_plus_kernelIDF16_Dv2_DF16_S1_Li8ELi32ELi64ELi128ELi4ELi64ELi4ELi4ELi64ELc78ELc78ELb0ELb1ELb0EDF16_KPKDF16_KPDF16_EEviiiT16_PT17_ilS9_ilS7_S9_ilPT18_ili26rocblas_geam_ex_operation_
		.amdhsa_group_segment_fixed_size 3072
		.amdhsa_private_segment_fixed_size 0
		.amdhsa_kernarg_size 128
		.amdhsa_user_sgpr_count 2
		.amdhsa_user_sgpr_dispatch_ptr 0
		.amdhsa_user_sgpr_queue_ptr 0
		.amdhsa_user_sgpr_kernarg_segment_ptr 1
		.amdhsa_user_sgpr_dispatch_id 0
		.amdhsa_user_sgpr_kernarg_preload_length 0
		.amdhsa_user_sgpr_kernarg_preload_offset 0
		.amdhsa_user_sgpr_private_segment_size 0
		.amdhsa_uses_dynamic_stack 0
		.amdhsa_enable_private_segment 0
		.amdhsa_system_sgpr_workgroup_id_x 1
		.amdhsa_system_sgpr_workgroup_id_y 0
		.amdhsa_system_sgpr_workgroup_id_z 1
		.amdhsa_system_sgpr_workgroup_info 0
		.amdhsa_system_vgpr_workitem_id 1
		.amdhsa_next_free_vgpr 124
		.amdhsa_next_free_sgpr 36
		.amdhsa_accum_offset 124
		.amdhsa_reserve_vcc 1
		.amdhsa_float_round_mode_32 0
		.amdhsa_float_round_mode_16_64 0
		.amdhsa_float_denorm_mode_32 3
		.amdhsa_float_denorm_mode_16_64 3
		.amdhsa_dx10_clamp 1
		.amdhsa_ieee_mode 1
		.amdhsa_fp16_overflow 0
		.amdhsa_tg_split 0
		.amdhsa_exception_fp_ieee_invalid_op 0
		.amdhsa_exception_fp_denorm_src 0
		.amdhsa_exception_fp_ieee_div_zero 0
		.amdhsa_exception_fp_ieee_overflow 0
		.amdhsa_exception_fp_ieee_underflow 0
		.amdhsa_exception_fp_ieee_inexact 0
		.amdhsa_exception_int_div_zero 0
	.end_amdhsa_kernel
	.section	.text._ZN12_GLOBAL__N_120geam_min_plus_kernelIDF16_Dv2_DF16_S1_Li8ELi32ELi64ELi128ELi4ELi64ELi4ELi4ELi64ELc78ELc78ELb0ELb1ELb0EDF16_KPKDF16_KPDF16_EEviiiT16_PT17_ilS9_ilS7_S9_ilPT18_ili26rocblas_geam_ex_operation_,"axG",@progbits,_ZN12_GLOBAL__N_120geam_min_plus_kernelIDF16_Dv2_DF16_S1_Li8ELi32ELi64ELi128ELi4ELi64ELi4ELi4ELi64ELc78ELc78ELb0ELb1ELb0EDF16_KPKDF16_KPDF16_EEviiiT16_PT17_ilS9_ilS7_S9_ilPT18_ili26rocblas_geam_ex_operation_,comdat
.Lfunc_end236:
	.size	_ZN12_GLOBAL__N_120geam_min_plus_kernelIDF16_Dv2_DF16_S1_Li8ELi32ELi64ELi128ELi4ELi64ELi4ELi4ELi64ELc78ELc78ELb0ELb1ELb0EDF16_KPKDF16_KPDF16_EEviiiT16_PT17_ilS9_ilS7_S9_ilPT18_ili26rocblas_geam_ex_operation_, .Lfunc_end236-_ZN12_GLOBAL__N_120geam_min_plus_kernelIDF16_Dv2_DF16_S1_Li8ELi32ELi64ELi128ELi4ELi64ELi4ELi4ELi64ELc78ELc78ELb0ELb1ELb0EDF16_KPKDF16_KPDF16_EEviiiT16_PT17_ilS9_ilS7_S9_ilPT18_ili26rocblas_geam_ex_operation_
                                        ; -- End function
	.set _ZN12_GLOBAL__N_120geam_min_plus_kernelIDF16_Dv2_DF16_S1_Li8ELi32ELi64ELi128ELi4ELi64ELi4ELi4ELi64ELc78ELc78ELb0ELb1ELb0EDF16_KPKDF16_KPDF16_EEviiiT16_PT17_ilS9_ilS7_S9_ilPT18_ili26rocblas_geam_ex_operation_.num_vgpr, 124
	.set _ZN12_GLOBAL__N_120geam_min_plus_kernelIDF16_Dv2_DF16_S1_Li8ELi32ELi64ELi128ELi4ELi64ELi4ELi4ELi64ELc78ELc78ELb0ELb1ELb0EDF16_KPKDF16_KPDF16_EEviiiT16_PT17_ilS9_ilS7_S9_ilPT18_ili26rocblas_geam_ex_operation_.num_agpr, 0
	.set _ZN12_GLOBAL__N_120geam_min_plus_kernelIDF16_Dv2_DF16_S1_Li8ELi32ELi64ELi128ELi4ELi64ELi4ELi4ELi64ELc78ELc78ELb0ELb1ELb0EDF16_KPKDF16_KPDF16_EEviiiT16_PT17_ilS9_ilS7_S9_ilPT18_ili26rocblas_geam_ex_operation_.numbered_sgpr, 36
	.set _ZN12_GLOBAL__N_120geam_min_plus_kernelIDF16_Dv2_DF16_S1_Li8ELi32ELi64ELi128ELi4ELi64ELi4ELi4ELi64ELc78ELc78ELb0ELb1ELb0EDF16_KPKDF16_KPDF16_EEviiiT16_PT17_ilS9_ilS7_S9_ilPT18_ili26rocblas_geam_ex_operation_.num_named_barrier, 0
	.set _ZN12_GLOBAL__N_120geam_min_plus_kernelIDF16_Dv2_DF16_S1_Li8ELi32ELi64ELi128ELi4ELi64ELi4ELi4ELi64ELc78ELc78ELb0ELb1ELb0EDF16_KPKDF16_KPDF16_EEviiiT16_PT17_ilS9_ilS7_S9_ilPT18_ili26rocblas_geam_ex_operation_.private_seg_size, 0
	.set _ZN12_GLOBAL__N_120geam_min_plus_kernelIDF16_Dv2_DF16_S1_Li8ELi32ELi64ELi128ELi4ELi64ELi4ELi4ELi64ELc78ELc78ELb0ELb1ELb0EDF16_KPKDF16_KPDF16_EEviiiT16_PT17_ilS9_ilS7_S9_ilPT18_ili26rocblas_geam_ex_operation_.uses_vcc, 1
	.set _ZN12_GLOBAL__N_120geam_min_plus_kernelIDF16_Dv2_DF16_S1_Li8ELi32ELi64ELi128ELi4ELi64ELi4ELi4ELi64ELc78ELc78ELb0ELb1ELb0EDF16_KPKDF16_KPDF16_EEviiiT16_PT17_ilS9_ilS7_S9_ilPT18_ili26rocblas_geam_ex_operation_.uses_flat_scratch, 0
	.set _ZN12_GLOBAL__N_120geam_min_plus_kernelIDF16_Dv2_DF16_S1_Li8ELi32ELi64ELi128ELi4ELi64ELi4ELi4ELi64ELc78ELc78ELb0ELb1ELb0EDF16_KPKDF16_KPDF16_EEviiiT16_PT17_ilS9_ilS7_S9_ilPT18_ili26rocblas_geam_ex_operation_.has_dyn_sized_stack, 0
	.set _ZN12_GLOBAL__N_120geam_min_plus_kernelIDF16_Dv2_DF16_S1_Li8ELi32ELi64ELi128ELi4ELi64ELi4ELi4ELi64ELc78ELc78ELb0ELb1ELb0EDF16_KPKDF16_KPDF16_EEviiiT16_PT17_ilS9_ilS7_S9_ilPT18_ili26rocblas_geam_ex_operation_.has_recursion, 0
	.set _ZN12_GLOBAL__N_120geam_min_plus_kernelIDF16_Dv2_DF16_S1_Li8ELi32ELi64ELi128ELi4ELi64ELi4ELi4ELi64ELc78ELc78ELb0ELb1ELb0EDF16_KPKDF16_KPDF16_EEviiiT16_PT17_ilS9_ilS7_S9_ilPT18_ili26rocblas_geam_ex_operation_.has_indirect_call, 0
	.section	.AMDGPU.csdata,"",@progbits
; Kernel info:
; codeLenInByte = 11360
; TotalNumSgprs: 42
; NumVgprs: 124
; NumAgprs: 0
; TotalNumVgprs: 124
; ScratchSize: 0
; MemoryBound: 0
; FloatMode: 240
; IeeeMode: 1
; LDSByteSize: 3072 bytes/workgroup (compile time only)
; SGPRBlocks: 5
; VGPRBlocks: 15
; NumSGPRsForWavesPerEU: 42
; NumVGPRsForWavesPerEU: 124
; AccumOffset: 124
; Occupancy: 4
; WaveLimiterHint : 1
; COMPUTE_PGM_RSRC2:SCRATCH_EN: 0
; COMPUTE_PGM_RSRC2:USER_SGPR: 2
; COMPUTE_PGM_RSRC2:TRAP_HANDLER: 0
; COMPUTE_PGM_RSRC2:TGID_X_EN: 1
; COMPUTE_PGM_RSRC2:TGID_Y_EN: 0
; COMPUTE_PGM_RSRC2:TGID_Z_EN: 1
; COMPUTE_PGM_RSRC2:TIDIG_COMP_CNT: 1
; COMPUTE_PGM_RSRC3_GFX90A:ACCUM_OFFSET: 30
; COMPUTE_PGM_RSRC3_GFX90A:TG_SPLIT: 0
	.section	.text._ZN12_GLOBAL__N_120geam_min_plus_kernelIDF16_Dv2_DF16_S1_Li8ELi32ELi64ELi128ELi4ELi4ELi64ELi4ELi64ELc84ELc78ELb0ELb0ELb0EPKDF16_KS3_KPDF16_EEviiiT16_PT17_ilS9_ilS7_S9_ilPT18_ili26rocblas_geam_ex_operation_,"axG",@progbits,_ZN12_GLOBAL__N_120geam_min_plus_kernelIDF16_Dv2_DF16_S1_Li8ELi32ELi64ELi128ELi4ELi4ELi64ELi4ELi64ELc84ELc78ELb0ELb0ELb0EPKDF16_KS3_KPDF16_EEviiiT16_PT17_ilS9_ilS7_S9_ilPT18_ili26rocblas_geam_ex_operation_,comdat
	.globl	_ZN12_GLOBAL__N_120geam_min_plus_kernelIDF16_Dv2_DF16_S1_Li8ELi32ELi64ELi128ELi4ELi4ELi64ELi4ELi64ELc84ELc78ELb0ELb0ELb0EPKDF16_KS3_KPDF16_EEviiiT16_PT17_ilS9_ilS7_S9_ilPT18_ili26rocblas_geam_ex_operation_ ; -- Begin function _ZN12_GLOBAL__N_120geam_min_plus_kernelIDF16_Dv2_DF16_S1_Li8ELi32ELi64ELi128ELi4ELi4ELi64ELi4ELi64ELc84ELc78ELb0ELb0ELb0EPKDF16_KS3_KPDF16_EEviiiT16_PT17_ilS9_ilS7_S9_ilPT18_ili26rocblas_geam_ex_operation_
	.p2align	8
	.type	_ZN12_GLOBAL__N_120geam_min_plus_kernelIDF16_Dv2_DF16_S1_Li8ELi32ELi64ELi128ELi4ELi4ELi64ELi4ELi64ELc84ELc78ELb0ELb0ELb0EPKDF16_KS3_KPDF16_EEviiiT16_PT17_ilS9_ilS7_S9_ilPT18_ili26rocblas_geam_ex_operation_,@function
_ZN12_GLOBAL__N_120geam_min_plus_kernelIDF16_Dv2_DF16_S1_Li8ELi32ELi64ELi128ELi4ELi4ELi64ELi4ELi64ELc84ELc78ELb0ELb0ELb0EPKDF16_KS3_KPDF16_EEviiiT16_PT17_ilS9_ilS7_S9_ilPT18_ili26rocblas_geam_ex_operation_: ; @_ZN12_GLOBAL__N_120geam_min_plus_kernelIDF16_Dv2_DF16_S1_Li8ELi32ELi64ELi128ELi4ELi4ELi64ELi4ELi64ELc84ELc78ELb0ELb0ELb0EPKDF16_KS3_KPDF16_EEviiiT16_PT17_ilS9_ilS7_S9_ilPT18_ili26rocblas_geam_ex_operation_
; %bb.0:
	s_load_dwordx4 s[8:11], s[0:1], 0x10
	s_load_dwordx4 s[12:15], s[0:1], 0x28
	s_mov_b32 s22, s3
	s_mov_b32 s23, 0
	s_lshl_b64 s[4:5], s[22:23], 1
	s_waitcnt lgkmcnt(0)
	s_add_u32 s6, s8, s4
	s_addc_u32 s7, s9, s5
	v_mov_b32_e32 v1, 0
	global_load_ushort v39, v1, s[6:7]
	s_load_dwordx4 s[16:19], s[0:1], 0x40
	s_load_dwordx2 s[24:25], s[0:1], 0x50
	s_mov_b64 s[20:21], 0
	s_waitcnt lgkmcnt(0)
	s_add_u32 s4, s18, s4
	s_addc_u32 s5, s19, s5
	s_mov_b64 s[18:19], 0
	s_waitcnt vmcnt(0)
	v_cmp_eq_f16_e32 vcc, 0, v39
	s_and_b64 s[8:9], exec, vcc
	v_cmp_neq_f16_e64 s[6:7], 0, v39
	s_mov_b64 vcc, s[8:9]
	s_cbranch_vccnz .LBB237_2
; %bb.1:
	s_lshl_b64 s[18:19], s[22:23], 3
	s_add_u32 s10, s10, s18
	s_addc_u32 s11, s11, s19
	s_load_dwordx2 s[10:11], s[10:11], 0x0
	s_lshl_b64 s[12:13], s[12:13], 1
	s_waitcnt lgkmcnt(0)
	s_add_u32 s18, s10, s12
	s_addc_u32 s19, s11, s13
.LBB237_2:
	global_load_ushort v52, v1, s[4:5]
	v_cndmask_b32_e64 v1, 0, 1, s[6:7]
	v_cmp_ne_u32_e64 s[4:5], 1, v1
	s_andn2_b64 vcc, exec, s[6:7]
	s_cbranch_vccnz .LBB237_4
; %bb.3:
	s_lshl_b64 s[6:7], s[22:23], 3
	s_add_u32 s6, s14, s6
	s_addc_u32 s7, s15, s7
	s_load_dwordx2 s[6:7], s[6:7], 0x0
	s_lshl_b64 s[10:11], s[16:17], 1
	s_waitcnt lgkmcnt(0)
	s_add_u32 s20, s6, s10
	s_addc_u32 s21, s7, s11
.LBB237_4:
	s_load_dwordx4 s[12:15], s[0:1], 0x60
	s_waitcnt vmcnt(0)
	v_cmp_eq_f16_e32 vcc, 0, v52
	s_cbranch_vccnz .LBB237_6
; %bb.5:
	s_lshl_b64 s[6:7], s[22:23], 3
	s_add_u32 s6, s24, s6
	s_addc_u32 s7, s25, s7
	s_load_dwordx2 s[6:7], s[6:7], 0x0
	s_waitcnt lgkmcnt(0)
	s_lshl_b64 s[10:11], s[12:13], 1
	s_add_u32 s6, s6, s10
	s_addc_u32 s7, s7, s11
	s_branch .LBB237_7
.LBB237_6:
	s_mov_b64 s[6:7], 0
.LBB237_7:
	s_load_dword s3, s[0:1], 0x0
	s_waitcnt lgkmcnt(0)
	s_load_dword s13, s[0:1], 0x20
	s_load_dword s12, s[0:1], 0x38
	s_lshl_b64 s[10:11], s[22:23], 3
	s_add_u32 s10, s14, s10
	s_addc_u32 s11, s15, s11
	s_add_i32 s3, s3, -1
	s_ashr_i32 s14, s3, 31
	s_lshr_b32 s14, s14, 26
	s_add_i32 s3, s3, s14
	s_ashr_i32 s3, s3, 6
	s_add_i32 s14, s3, 1
	v_cvt_f32_u32_e32 v1, s14
	v_and_b32_e32 v38, 0x3ff, v0
	v_bfe_u32 v48, v0, 10, 10
	v_and_b32_e32 v9, 3, v0
	v_rcp_iflag_f32_e32 v1, v1
	s_not_b32 s3, s3
	v_mov_b32_e32 v7, 0
	v_mul_f32_e32 v0, 0x4f7ffffe, v1
	v_cvt_u32_f32_e32 v0, v0
	v_lshl_add_u32 v1, v48, 3, v38
	v_lshrrev_b32_e32 v10, 2, v1
	v_readfirstlane_b32 s15, v0
	s_mul_i32 s3, s3, s15
	s_mul_hi_u32 s3, s15, s3
	s_add_i32 s15, s15, s3
	s_mul_hi_u32 s3, s2, s15
	s_mul_i32 s15, s3, s14
	s_sub_i32 s15, s2, s15
	s_add_i32 s16, s3, 1
	s_sub_i32 s17, s15, s14
	s_cmp_ge_u32 s15, s14
	s_cselect_b32 s3, s16, s3
	s_cselect_b32 s15, s17, s15
	s_add_i32 s16, s3, 1
	s_cmp_ge_u32 s15, s14
	s_cselect_b32 s3, s16, s3
	s_mul_i32 s14, s3, s14
	s_sub_i32 s2, s2, s14
	s_lshl_b32 s14, s3, 7
	s_lshl_b32 s15, s2, 6
	v_add_u32_e32 v2, s14, v10
	s_and_b64 vcc, exec, s[4:5]
	v_add_u32_e32 v4, s15, v10
	v_lshlrev_b32_e32 v0, 1, v9
	v_add_u32_e32 v3, 64, v2
	s_cbranch_vccnz .LBB237_10
; %bb.8:
	s_waitcnt lgkmcnt(0)
	v_mad_i64_i32 v[12:13], s[2:3], v4, s13, 0
	v_lshl_add_u64 v[12:13], v[12:13], 1, s[18:19]
	v_mov_b32_e32 v1, 0
	v_lshl_add_u64 v[12:13], v[12:13], 0, v[0:1]
	flat_load_ushort v5, v[12:13]
	v_lshl_add_u64 v[12:13], s[20:21], 0, v[0:1]
	v_mad_i64_i32 v[14:15], s[2:3], v2, s12, 0
	v_lshl_add_u64 v[14:15], v[14:15], 1, v[12:13]
	flat_load_ushort v1, v[14:15]
	v_mad_i64_i32 v[14:15], s[2:3], v3, s12, 0
	v_lshl_add_u64 v[12:13], v[14:15], 1, v[12:13]
	flat_load_ushort v6, v[12:13]
	s_waitcnt vmcnt(0) lgkmcnt(0)
	v_mul_f16_e32 v11, v39, v5
	v_mul_f16_e32 v1, v39, v1
	v_pack_b32_f16 v5, v1, 0
	v_mul_f16_e32 v6, v39, v6
	s_and_b64 vcc, exec, s[4:5]
	s_cbranch_vccnz .LBB237_11
.LBB237_9:
	s_waitcnt lgkmcnt(0)
	v_mad_i64_i32 v[12:13], s[2:3], v4, s13, 0
	v_lshl_add_u64 v[12:13], v[12:13], 1, s[18:19]
	v_mov_b32_e32 v1, 0
	v_lshl_add_u64 v[12:13], v[12:13], 0, v[0:1]
	flat_load_ushort v7, v[12:13] offset:8
	v_lshl_add_u64 v[0:1], s[20:21], 0, v[0:1]
	v_mad_i64_i32 v[12:13], s[2:3], v2, s12, 0
	v_lshl_add_u64 v[12:13], v[12:13], 1, v[0:1]
	flat_load_ushort v8, v[12:13] offset:8
	v_mad_i64_i32 v[12:13], s[2:3], v3, s12, 0
	v_lshl_add_u64 v[0:1], v[12:13], 1, v[0:1]
	flat_load_ushort v0, v[0:1] offset:8
	s_waitcnt vmcnt(0) lgkmcnt(0)
	v_mul_f16_e32 v7, v39, v7
	v_mul_f16_e32 v1, v39, v8
	v_pack_b32_f16 v1, v1, 0
	v_mul_f16_e32 v8, v39, v0
	s_branch .LBB237_12
.LBB237_10:
	v_mov_b32_e32 v5, 0
	v_mov_b32_e32 v11, 0
	;; [unrolled: 1-line block ×3, first 2 shown]
	s_and_b64 vcc, exec, s[4:5]
	s_cbranch_vccz .LBB237_9
.LBB237_11:
	v_mov_b32_e32 v1, 0
	v_mov_b32_e32 v8, 0
.LBB237_12:
	v_lshlrev_b32_e32 v0, 3, v10
	v_lshl_or_b32 v42, v9, 1, v0
	v_lshlrev_b32_e32 v41, 3, v38
	v_lshlrev_b32_e32 v40, 3, v48
	s_load_dwordx2 s[2:3], s[10:11], 0x0
	ds_write_b16 v42, v11 offset:2048
	ds_write_b16 v42, v5
	ds_write_b16 v42, v6 offset:512
	s_waitcnt lgkmcnt(0)
	s_barrier
	ds_read2_b64 v[10:13], v40 offset1:32
	v_add_u32_e32 v43, 0x800, v41
	ds_read2_b64 v[14:17], v43 offset0:48 offset1:56
	ds_read2_b64 v[18:21], v40 offset0:64 offset1:96
	ds_read2_b64 v[22:25], v43 offset1:8
	ds_read2_b64 v[26:29], v43 offset0:16 offset1:24
	ds_read2_b64 v[30:33], v43 offset0:32 offset1:40
	s_waitcnt lgkmcnt(5)
	v_pk_max_f16 v0, v10, v10
	s_waitcnt lgkmcnt(4)
	v_pk_max_f16 v9, v16, v16
	v_pk_max_f16 v12, v12, v12
	v_pk_min_f16 v10, v9, v0
	s_waitcnt lgkmcnt(3)
	v_pk_max_f16 v16, v18, v18
	s_waitcnt lgkmcnt(2)
	v_pk_max_f16 v18, v22, v22
	v_pk_max_f16 v20, v20, v20
	;; [unrolled: 1-line block ×3, first 2 shown]
	s_waitcnt lgkmcnt(1)
	v_pk_max_f16 v26, v26, v26
	v_pk_max_f16 v28, v28, v28
	s_waitcnt lgkmcnt(0)
	v_pk_max_f16 v30, v30, v30
	v_pk_max_f16 v11, v11, v11
	;; [unrolled: 1-line block ×5, first 2 shown]
	v_pk_min_f16 v22, v18, v0
	v_pk_min_f16 v34, v18, v12
	v_pk_min_f16 v35, v18, v16
	v_pk_min_f16 v18, v18, v20
	v_pk_min_f16 v36, v24, v0
	v_pk_min_f16 v37, v24, v12
	v_pk_min_f16 v53, v24, v16
	v_pk_min_f16 v24, v24, v20
	v_pk_min_f16 v56, v26, v0
	v_pk_min_f16 v58, v26, v12
	v_pk_min_f16 v59, v26, v16
	v_pk_min_f16 v26, v26, v20
	v_pk_min_f16 v61, v28, v0
	v_pk_min_f16 v62, v28, v12
	v_pk_min_f16 v63, v28, v16
	v_pk_min_f16 v28, v28, v20
	v_pk_min_f16 v64, v30, v0
	v_pk_max_f16 v13, v13, v13
	v_pk_min_f16 v65, v30, v12
	v_pk_min_f16 v66, v30, v16
	;; [unrolled: 1-line block ×14, first 2 shown]
	v_pk_add_f16 v10, v10, 0
	v_pk_min_f16 v20, v17, v11
	v_pk_max_f16 v19, v19, v19
	v_pk_add_f16 v47, v10, v20
	v_pk_add_f16 v10, v44, 0
	v_pk_min_f16 v20, v17, v13
	v_pk_max_f16 v23, v23, v23
	v_pk_add_f16 v44, v10, v20
	;; [unrolled: 4-line block ×5, first 2 shown]
	v_pk_add_f16 v10, v35, 0
	v_pk_min_f16 v20, v23, v19
	v_pk_min_f16 v34, v29, v11
	v_pk_add_f16 v50, v10, v20
	v_pk_add_f16 v10, v18, 0
	v_pk_min_f16 v18, v23, v21
	v_pk_add_f16 v22, v28, 0
	v_pk_add_f16 v51, v10, v18
	v_pk_add_f16 v10, v36, 0
	v_pk_min_f16 v18, v25, v11
	v_pk_add_f16 v23, v64, 0
	;; [unrolled: 4-line block ×5, first 2 shown]
	v_pk_add_f16 v55, v10, v18
	v_pk_max_f16 v18, v27, v27
	v_pk_add_f16 v10, v56, 0
	v_pk_min_f16 v20, v18, v11
	v_pk_add_f16 v27, v67, 0
	v_pk_add_f16 v56, v10, v20
	;; [unrolled: 1-line block ×3, first 2 shown]
	v_pk_min_f16 v20, v18, v13
	v_pk_add_f16 v25, v66, 0
	v_pk_add_f16 v58, v10, v20
	;; [unrolled: 1-line block ×3, first 2 shown]
	v_pk_min_f16 v20, v18, v19
	v_pk_min_f16 v18, v18, v21
	v_pk_add_f16 v59, v10, v20
	v_pk_add_f16 v10, v26, 0
	v_pk_add_f16 v20, v63, 0
	v_pk_add_f16 v60, v10, v18
	v_pk_add_f16 v10, v61, 0
	v_pk_add_f16 v18, v62, 0
	v_pk_add_f16 v65, v10, v34
	v_pk_min_f16 v10, v29, v13
	v_pk_add_f16 v26, v30, 0
	v_pk_add_f16 v67, v18, v10
	v_pk_min_f16 v10, v29, v19
	v_pk_add_f16 v30, v69, 0
	v_pk_add_f16 v61, v20, v10
	v_pk_min_f16 v10, v29, v21
	s_load_dword s10, s[0:1], 0x8
	v_pk_add_f16 v63, v22, v10
	v_pk_max_f16 v10, v31, v31
	v_pk_add_f16 v0, v0, 0
	v_pk_min_f16 v18, v10, v11
	v_pk_add_f16 v12, v12, 0
	v_pk_add_f16 v62, v23, v18
	v_pk_min_f16 v18, v10, v13
	v_pk_add_f16 v16, v16, 0
	v_pk_add_f16 v64, v24, v18
	v_pk_min_f16 v18, v10, v19
	v_pk_min_f16 v10, v10, v21
	v_pk_add_f16 v66, v25, v18
	v_pk_add_f16 v68, v26, v10
	v_pk_max_f16 v10, v33, v33
	v_pk_add_f16 v14, v14, 0
	v_pk_min_f16 v18, v10, v11
	v_pk_add_f16 v9, v9, 0
	v_pk_add_f16 v69, v27, v18
	v_pk_min_f16 v18, v10, v13
	s_waitcnt lgkmcnt(0)
	s_cmp_lt_i32 s10, 9
	v_pk_add_f16 v70, v28, v18
	v_pk_min_f16 v18, v10, v19
	v_pk_min_f16 v10, v10, v21
	v_pk_add_f16 v71, v30, v18
	v_pk_add_f16 v72, v32, v10
	v_pk_max_f16 v10, v15, v15
	ds_write_b16 v42, v7 offset:2560
	ds_write_b16 v42, v1 offset:1024
	;; [unrolled: 1-line block ×3, first 2 shown]
	v_pk_min_f16 v11, v10, v11
	s_waitcnt lgkmcnt(0)
	v_pk_add_f16 v73, v0, v11
	v_pk_min_f16 v0, v10, v13
	s_barrier
	v_pk_add_f16 v74, v12, v0
	v_pk_min_f16 v0, v10, v19
	s_nop 0
	v_pk_add_f16 v75, v16, v0
	v_pk_min_f16 v0, v10, v21
	s_nop 0
	;; [unrolled: 3-line block ×3, first 2 shown]
	v_pk_add_f16 v77, v9, v0
	s_cbranch_scc1 .LBB237_23
; %bb.13:
	s_mov_b32 s11, 0x5040100
	v_perm_b32 v88, v8, v1, s11
	v_mov_b32_e32 v1, 0xa00
	v_perm_b32 v0, v6, v5, s11
	v_mad_i64_i32 v[4:5], s[4:5], v4, s13, 0
	v_lshl_add_u32 v81, v38, 3, v1
	v_mov_b32_e32 v1, 0x400
	v_lshl_add_u64 v[24:25], v[4:5], 1, s[18:19]
	v_lshl_add_u32 v82, v48, 3, v1
	v_and_b32_e32 v1, 3, v38
	v_mad_i64_i32 v[4:5], s[4:5], s12, v3, 0
	v_mad_i64_i32 v[2:3], s[4:5], s12, v2, 0
	v_add_u32_e32 v78, 0x800, v42
	v_add_u32_e32 v79, 0xa00, v42
	;; [unrolled: 1-line block ×3, first 2 shown]
	s_add_i32 s10, s10, -8
	v_lshlrev_b32_e32 v26, 1, v1
	v_mov_b32_e32 v27, 0
	v_lshl_add_u64 v[28:29], v[4:5], 1, s[20:21]
	v_lshl_add_u64 v[30:31], v[2:3], 1, s[20:21]
	s_mov_b32 s12, 0
	s_mov_b32 s13, 0xffff
	s_branch .LBB237_15
.LBB237_14:                             ;   in Loop: Header=BB237_15 Depth=1
	v_pk_max_f16 v2, v2, v2
	v_pk_max_f16 v20, v20, v20
	;; [unrolled: 1-line block ×12, first 2 shown]
	v_pk_min_f16 v88, v8, v20
	v_pk_max_f16 v17, v17, v17
	v_pk_max_f16 v19, v19, v19
	v_pk_min_f16 v89, v8, v22
	v_pk_min_f16 v90, v8, v16
	;; [unrolled: 1-line block ×3, first 2 shown]
	v_pk_max_f16 v13, v13, v13
	v_pk_max_f16 v15, v15, v15
	;; [unrolled: 1-line block ×10, first 2 shown]
	v_pk_min_f16 v94, v4, v20
	v_pk_min_f16 v95, v4, v22
	;; [unrolled: 1-line block ×60, first 2 shown]
	v_pk_add_f16 v3, v47, v100
	v_pk_add_f16 v8, v60, v8
	;; [unrolled: 1-line block ×17, first 2 shown]
	ds_read2_b64 v[2:5], v43 offset0:48 offset1:56
	ds_read2_b64 v[6:9], v40 offset1:32
	v_pk_add_f16 v33, v49, v33
	v_pk_add_f16 v12, v51, v12
	;; [unrolled: 1-line block ×3, first 2 shown]
	s_waitcnt lgkmcnt(1)
	v_pk_max_f16 v4, v4, v4
	s_waitcnt lgkmcnt(0)
	v_pk_max_f16 v6, v6, v6
	v_pk_add_f16 v35, v54, v35
	v_pk_add_f16 v54, v62, v94
	;; [unrolled: 1-line block ×11, first 2 shown]
	ds_read2_b64 v[10:13], v40 offset0:64 offset1:96
	v_pk_min_f16 v14, v4, v6
	v_pk_add_f16 v22, v22, v23
	v_pk_add_f16 v23, v16, v17
	;; [unrolled: 1-line block ×3, first 2 shown]
	ds_read2_b64 v[14:17], v43 offset1:8
	v_pk_add_f16 v44, v44, v101
	v_pk_max_f16 v8, v8, v8
	v_pk_add_f16 v46, v46, v102
	v_pk_add_f16 v44, v44, v121
	;; [unrolled: 1-line block ×3, first 2 shown]
	v_pk_min_f16 v19, v4, v8
	s_waitcnt lgkmcnt(1)
	v_pk_max_f16 v10, v10, v10
	v_pk_add_f16 v46, v46, v122
	v_pk_add_f16 v44, v44, v19
	v_pk_min_f16 v19, v4, v10
	s_waitcnt lgkmcnt(0)
	v_pk_max_f16 v14, v14, v14
	v_pk_add_f16 v46, v46, v19
	v_pk_min_f16 v19, v14, v6
	v_pk_add_f16 v36, v57, v36
	v_pk_add_f16 v68, v18, v19
	v_pk_min_f16 v18, v14, v8
	v_pk_add_f16 v57, v69, v97
	v_pk_add_f16 v69, v32, v18
	v_pk_min_f16 v18, v14, v10
	v_pk_max_f16 v16, v16, v16
	v_pk_add_f16 v47, v58, v89
	v_pk_add_f16 v58, v70, v98
	;; [unrolled: 1-line block ×4, first 2 shown]
	v_pk_min_f16 v18, v16, v6
	v_pk_add_f16 v49, v59, v90
	v_pk_add_f16 v59, v71, v99
	;; [unrolled: 1-line block ×5, first 2 shown]
	v_pk_min_f16 v18, v16, v8
	v_pk_add_f16 v51, v67, v92
	v_pk_add_f16 v67, v20, v21
	v_pk_add_f16 v36, v36, v18
	ds_read2_b64 v[18:21], v43 offset0:16 offset1:24
	v_pk_add_f16 v37, v37, v107
	v_pk_max_f16 v12, v12, v12
	v_pk_min_f16 v32, v16, v10
	v_pk_add_f16 v45, v45, v108
	s_waitcnt lgkmcnt(0)
	v_pk_max_f16 v18, v18, v18
	v_pk_add_f16 v37, v37, v32
	v_pk_min_f16 v16, v16, v12
	v_pk_min_f16 v32, v18, v6
	v_pk_add_f16 v47, v47, v109
	v_pk_add_f16 v16, v62, v16
	;; [unrolled: 1-line block ×3, first 2 shown]
	v_pk_min_f16 v32, v18, v8
	v_pk_add_f16 v49, v49, v110
	v_pk_add_f16 v72, v47, v32
	v_pk_min_f16 v32, v18, v10
	v_pk_max_f16 v20, v20, v20
	v_pk_add_f16 v50, v50, v111
	v_pk_add_f16 v73, v49, v32
	v_pk_min_f16 v18, v18, v12
	v_pk_min_f16 v32, v20, v6
	v_pk_add_f16 v51, v51, v112
	v_pk_min_f16 v14, v14, v12
	v_pk_add_f16 v18, v63, v18
	v_pk_add_f16 v63, v50, v32
	v_pk_min_f16 v32, v20, v8
	v_pk_add_f16 v14, v34, v14
	v_pk_add_f16 v74, v51, v32
	ds_read2_b64 v[32:35], v43 offset0:32 offset1:40
	v_pk_add_f16 v53, v53, v113
	v_pk_min_f16 v45, v20, v10
	v_pk_add_f16 v54, v54, v114
	v_pk_add_f16 v75, v53, v45
	s_waitcnt lgkmcnt(0)
	v_pk_max_f16 v32, v32, v32
	v_pk_min_f16 v20, v20, v12
	v_pk_min_f16 v45, v32, v6
	v_pk_add_f16 v55, v55, v115
	v_pk_add_f16 v20, v64, v20
	v_pk_add_f16 v64, v54, v45
	v_pk_min_f16 v45, v32, v8
	v_pk_add_f16 v0, v76, v0
	v_pk_add_f16 v56, v56, v116
	;; [unrolled: 1-line block ×3, first 2 shown]
	v_pk_min_f16 v45, v32, v10
	v_pk_max_f16 v34, v34, v34
	v_pk_add_f16 v57, v57, v117
	v_pk_add_f16 v77, v56, v45
	v_pk_min_f16 v45, v34, v6
	v_pk_add_f16 v58, v58, v118
	v_pk_add_f16 v1, v0, v1
	v_perm_b32 v0, v87, v86, s11
	v_pk_add_f16 v86, v57, v45
	v_pk_min_f16 v45, v34, v8
	v_pk_max_f16 v2, v2, v2
	v_pk_add_f16 v87, v58, v45
	v_pk_min_f16 v45, v34, v10
	v_pk_min_f16 v6, v2, v6
	;; [unrolled: 1-line block ×5, first 2 shown]
	v_pk_add_f16 v59, v59, v119
	v_pk_add_f16 v1, v1, v2
	v_pk_min_f16 v2, v4, v12
	v_pk_max_f16 v4, v5, v5
	v_pk_max_f16 v5, v7, v7
	v_pk_min_f16 v32, v32, v12
	v_pk_min_f16 v7, v4, v5
	;; [unrolled: 1-line block ×3, first 2 shown]
	v_pk_add_f16 v47, v61, v7
	v_pk_max_f16 v7, v9, v9
	v_pk_add_f16 v88, v59, v45
	v_pk_min_f16 v9, v4, v7
	v_pk_add_f16 v2, v60, v2
	v_pk_add_f16 v44, v44, v9
	v_pk_max_f16 v9, v11, v11
	v_pk_add_f16 v32, v65, v32
	v_pk_min_f16 v11, v4, v9
	v_pk_add_f16 v6, v67, v6
	v_pk_add_f16 v46, v46, v11
	v_pk_max_f16 v11, v15, v15
	v_pk_max_f16 v3, v3, v3
	v_pk_min_f16 v12, v11, v5
	v_pk_add_f16 v34, v66, v34
	v_pk_add_f16 v45, v68, v12
	v_pk_min_f16 v12, v11, v7
	v_pk_add_f16 v8, v22, v8
	v_pk_add_f16 v49, v69, v12
	;; [unrolled: 3-line block ×3, first 2 shown]
	v_pk_max_f16 v12, v13, v13
	s_add_i32 s12, s12, 8
	v_pk_min_f16 v11, v11, v12
	v_lshl_add_u64 v[28:29], v[28:29], 0, 16
	v_pk_add_f16 v51, v14, v11
	v_pk_max_f16 v11, v17, v17
	v_lshl_add_u64 v[30:31], v[30:31], 0, 16
	v_pk_min_f16 v13, v11, v5
	s_cmp_ge_i32 s12, s10
	v_pk_add_f16 v54, v71, v13
	v_pk_min_f16 v13, v11, v7
	v_lshl_add_u64 v[24:25], v[24:25], 0, 16
	v_pk_add_f16 v57, v36, v13
	v_pk_min_f16 v13, v11, v9
	v_pk_min_f16 v11, v11, v12
	v_pk_add_f16 v53, v37, v13
	v_pk_add_f16 v55, v16, v11
	v_pk_max_f16 v11, v19, v19
	ds_write_b16 v79, v84
	ds_write_b16 v80, v83
	ds_write_b16 v80, v85 offset:512
	v_pk_min_f16 v13, v11, v5
	s_waitcnt lgkmcnt(0)
	v_pk_add_f16 v56, v62, v13
	v_pk_min_f16 v13, v11, v7
	s_barrier
	v_pk_add_f16 v58, v72, v13
	v_pk_min_f16 v13, v11, v9
	v_pk_min_f16 v11, v11, v12
	v_pk_add_f16 v59, v73, v13
	v_pk_add_f16 v60, v18, v11
	v_pk_max_f16 v11, v21, v21
	s_nop 0
	v_pk_min_f16 v13, v11, v5
	s_nop 0
	v_pk_add_f16 v65, v63, v13
	v_pk_min_f16 v13, v11, v7
	s_nop 0
	v_pk_add_f16 v67, v74, v13
	v_pk_min_f16 v13, v11, v9
	v_pk_min_f16 v11, v11, v12
	v_pk_add_f16 v61, v75, v13
	v_pk_add_f16 v63, v20, v11
	v_pk_max_f16 v11, v33, v33
	s_nop 0
	v_pk_min_f16 v13, v11, v5
	s_nop 0
	v_pk_add_f16 v62, v64, v13
	v_pk_min_f16 v13, v11, v7
	s_nop 0
	v_pk_add_f16 v64, v76, v13
	v_pk_min_f16 v13, v11, v9
	v_pk_min_f16 v11, v11, v12
	v_pk_add_f16 v66, v77, v13
	v_pk_add_f16 v68, v32, v11
	v_pk_max_f16 v11, v35, v35
	s_nop 0
	v_pk_min_f16 v13, v11, v5
	v_pk_min_f16 v5, v3, v5
	v_pk_add_f16 v69, v86, v13
	v_pk_add_f16 v73, v6, v5
	v_pk_min_f16 v5, v3, v7
	v_pk_min_f16 v13, v11, v7
	v_pk_add_f16 v74, v8, v5
	v_pk_min_f16 v5, v3, v9
	v_pk_min_f16 v3, v3, v12
	;; [unrolled: 3-line block ×3, first 2 shown]
	v_pk_add_f16 v76, v1, v3
	v_pk_min_f16 v1, v4, v12
	v_pk_add_f16 v71, v88, v13
	v_pk_add_f16 v72, v34, v11
	;; [unrolled: 1-line block ×4, first 2 shown]
	v_perm_b32 v88, v85, v83, s11
	s_cbranch_scc1 .LBB237_23
.LBB237_15:                             ; =>This Inner Loop Header: Depth=1
	s_mov_b64 s[4:5], -1
	s_mov_b64 vcc, s[8:9]
                                        ; implicit-def: $vgpr86
	s_cbranch_vccz .LBB237_17
; %bb.16:                               ;   in Loop: Header=BB237_15 Depth=1
	v_and_b32_e32 v86, 0xffff0000, v0
	s_mov_b64 s[4:5], 0
.LBB237_17:                             ;   in Loop: Header=BB237_15 Depth=1
	v_mov_b32_e32 v83, 0
	s_andn2_b64 vcc, exec, s[4:5]
	v_lshl_add_u64 v[32:33], v[24:25], 0, v[26:27]
	v_lshl_add_u64 v[34:35], v[30:31], 0, v[26:27]
	;; [unrolled: 1-line block ×3, first 2 shown]
	v_mov_b32_e32 v87, 0
	s_cbranch_vccnz .LBB237_19
; %bb.18:                               ;   in Loop: Header=BB237_15 Depth=1
	flat_load_ushort v1, v[32:33] offset:16
	flat_load_ushort v2, v[34:35] offset:16
	;; [unrolled: 1-line block ×3, first 2 shown]
	s_waitcnt vmcnt(0) lgkmcnt(0)
	v_mul_f16_e32 v83, v39, v1
	v_mul_f16_e32 v1, v39, v2
	v_bfi_b32 v86, s13, v1, v0
	v_mul_f16_e32 v87, v39, v3
.LBB237_19:                             ;   in Loop: Header=BB237_15 Depth=1
	ds_read2_b64 v[0:3], v81 offset0:48 offset1:56
	ds_read2_b64 v[16:19], v82 offset0:64 offset1:96
	ds_read2_b64 v[20:23], v82 offset1:32
	ds_read2_b64 v[12:15], v81 offset1:8
	ds_read2_b64 v[8:11], v81 offset0:16 offset1:24
	ds_read2_b64 v[4:7], v81 offset0:32 offset1:40
	s_mov_b64 s[4:5], -1
	s_mov_b64 vcc, s[8:9]
	ds_write_b16 v78, v83
	ds_write_b16 v42, v86
	ds_write_b16 v42, v87 offset:512
	s_waitcnt lgkmcnt(0)
	s_barrier
                                        ; implicit-def: $vgpr83
	s_cbranch_vccz .LBB237_21
; %bb.20:                               ;   in Loop: Header=BB237_15 Depth=1
	v_and_b32_e32 v83, 0xffff0000, v88
	s_mov_b64 s[4:5], 0
.LBB237_21:                             ;   in Loop: Header=BB237_15 Depth=1
	v_mov_b32_e32 v84, 0
	s_andn2_b64 vcc, exec, s[4:5]
	v_mov_b32_e32 v85, 0
	s_cbranch_vccnz .LBB237_14
; %bb.22:                               ;   in Loop: Header=BB237_15 Depth=1
	flat_load_ushort v83, v[32:33] offset:24
	flat_load_ushort v85, v[34:35] offset:24
	;; [unrolled: 1-line block ×3, first 2 shown]
	s_waitcnt vmcnt(0) lgkmcnt(0)
	v_mul_f16_e32 v84, v39, v83
	v_mul_f16_e32 v32, v39, v85
	v_bfi_b32 v83, s13, v32, v88
	v_mul_f16_e32 v85, v39, v89
	s_branch .LBB237_14
.LBB237_23:
	v_add_u32_e32 v12, 0x800, v41
	s_load_dwordx2 s[8:9], s[0:1], 0x78
	s_load_dword s12, s[0:1], 0x58
	s_load_dword s13, s[0:1], 0x70
	ds_read2_b64 v[4:7], v12 offset0:112 offset1:120
	ds_read2_b64 v[8:11], v40 offset0:192 offset1:224
	;; [unrolled: 1-line block ×4, first 2 shown]
	s_waitcnt lgkmcnt(0)
	s_lshl_b64 s[0:1], s[8:9], 1
	v_pk_max_f16 v6, v6, v6
	v_pk_max_f16 v8, v8, v8
	;; [unrolled: 1-line block ×3, first 2 shown]
	v_pk_min_f16 v15, v6, v8
	v_pk_max_f16 v0, v0, v0
	v_pk_add_f16 v28, v46, v15
	v_pk_max_f16 v15, v16, v16
	v_pk_max_f16 v10, v10, v10
	v_pk_min_f16 v20, v15, v2
	v_pk_min_f16 v16, v15, v0
	v_pk_add_f16 v29, v49, v20
	v_pk_min_f16 v20, v15, v8
	v_pk_min_f16 v15, v15, v10
	v_pk_add_f16 v30, v50, v20
	v_pk_add_f16 v31, v51, v15
	v_pk_max_f16 v15, v18, v18
	v_pk_max_f16 v4, v4, v4
	v_pk_min_f16 v20, v15, v2
	v_pk_min_f16 v18, v15, v0
	v_pk_add_f16 v49, v57, v20
	ds_read2_b64 v[20:23], v12 offset0:80 offset1:88
	v_pk_min_f16 v24, v15, v8
	v_pk_min_f16 v15, v15, v10
	v_pk_add_f16 v50, v53, v24
	v_pk_add_f16 v51, v55, v15
	s_waitcnt lgkmcnt(0)
	v_pk_max_f16 v15, v20, v20
	v_pk_add_f16 v18, v54, v18
	v_pk_min_f16 v24, v15, v2
	v_pk_min_f16 v20, v15, v0
	v_pk_add_f16 v54, v58, v24
	v_pk_min_f16 v24, v15, v8
	v_pk_min_f16 v15, v15, v10
	v_pk_add_f16 v20, v56, v20
	v_pk_add_f16 v56, v60, v15
	v_pk_max_f16 v15, v22, v22
	v_pk_add_f16 v55, v59, v24
	v_pk_min_f16 v24, v15, v2
	v_pk_min_f16 v22, v15, v0
	v_pk_add_f16 v57, v67, v24
	ds_read2_b64 v[24:27], v12 offset0:96 offset1:104
	v_pk_min_f16 v12, v15, v8
	v_pk_min_f16 v13, v6, v0
	v_pk_add_f16 v58, v61, v12
	v_pk_min_f16 v12, v15, v10
	v_pk_add_f16 v13, v47, v13
	v_pk_add_f16 v59, v63, v12
	s_waitcnt lgkmcnt(0)
	v_pk_max_f16 v12, v24, v24
	v_pk_min_f16 v14, v6, v2
	v_pk_min_f16 v15, v12, v0
	v_pk_add_f16 v14, v44, v14
	v_pk_add_f16 v24, v62, v15
	v_pk_min_f16 v15, v12, v2
	v_pk_add_f16 v22, v65, v22
	v_pk_add_f16 v60, v64, v15
	v_pk_min_f16 v15, v12, v8
	v_pk_min_f16 v12, v12, v10
	v_pk_add_f16 v61, v66, v15
	v_pk_add_f16 v62, v68, v12
	v_pk_max_f16 v12, v26, v26
	v_pk_max_f16 v11, v11, v11
	v_pk_min_f16 v15, v12, v0
	v_pk_min_f16 v0, v4, v0
	v_pk_add_f16 v26, v69, v15
	v_pk_add_f16 v66, v73, v0
	v_pk_min_f16 v0, v4, v2
	v_pk_min_f16 v15, v12, v2
	v_pk_add_f16 v67, v74, v0
	v_pk_min_f16 v0, v4, v8
	v_pk_add_f16 v63, v70, v15
	v_pk_add_f16 v68, v75, v0
	v_pk_min_f16 v0, v4, v10
	v_pk_min_f16 v15, v12, v8
	v_pk_add_f16 v69, v76, v0
	v_pk_min_f16 v0, v6, v10
	v_pk_add_f16 v64, v71, v15
	v_pk_add_f16 v70, v77, v0
	v_pk_max_f16 v0, v1, v1
	v_pk_max_f16 v1, v7, v7
	v_pk_min_f16 v12, v12, v10
	v_pk_min_f16 v2, v1, v0
	v_pk_add_f16 v65, v72, v12
	v_pk_add_f16 v7, v13, v2
	v_pk_max_f16 v2, v3, v3
	v_pk_max_f16 v12, v19, v19
	v_pk_min_f16 v3, v1, v2
	v_pk_max_f16 v19, v21, v21
	v_pk_add_f16 v15, v14, v3
	v_pk_max_f16 v3, v9, v9
	v_pk_max_f16 v23, v23, v23
	v_pk_min_f16 v4, v1, v3
	v_pk_max_f16 v25, v25, v25
	v_pk_add_f16 v9, v28, v4
	v_pk_max_f16 v4, v17, v17
	v_pk_max_f16 v27, v27, v27
	;; [unrolled: 1-line block ×3, first 2 shown]
	v_add_u32_e32 v32, s15, v38
	s_add_u32 s8, s2, s0
	v_pk_add_f16 v16, v45, v16
	v_pk_min_f16 v6, v4, v0
	v_pk_min_f16 v8, v4, v2
	;; [unrolled: 1-line block ×29, first 2 shown]
	v_add_u32_e32 v34, 8, v32
	v_add_u32_e32 v36, 16, v32
	;; [unrolled: 1-line block ×7, first 2 shown]
	v_cmp_neq_f16_e64 s[4:5], 0, v52
	s_addc_u32 s9, s3, s1
	v_ashrrev_i32_e32 v33, 31, v32
	v_ashrrev_i32_e32 v35, 31, v34
	;; [unrolled: 1-line block ×8, first 2 shown]
	v_add_u32_e32 v53, s14, v48
	s_mov_b64 s[10:11], 15
	v_pk_add_f16 v0, v16, v6
	v_pk_add_f16 v8, v29, v8
	;; [unrolled: 1-line block ×29, first 2 shown]
	s_branch .LBB237_25
.LBB237_24:                             ;   in Loop: Header=BB237_25 Depth=1
	s_add_i32 s0, s10, -1
	s_cmp_eq_u32 s0, 1
	s_cselect_b64 vcc, -1, 0
	s_cmp_eq_u32 s0, 2
	v_cndmask_b32_e32 v48, v0, v54, vcc
	s_cselect_b64 vcc, -1, 0
	s_cmp_eq_u32 s0, 3
	v_cndmask_b32_e32 v48, v48, v1, vcc
	s_cselect_b64 vcc, -1, 0
	s_cmp_eq_u32 s0, 4
	v_cndmask_b32_e32 v48, v48, v55, vcc
	s_cselect_b64 vcc, -1, 0
	s_cmp_eq_u32 s0, 5
	v_cndmask_b32_e32 v48, v48, v4, vcc
	s_cselect_b64 vcc, -1, 0
	s_cmp_eq_u32 s0, 6
	v_cndmask_b32_e32 v48, v48, v56, vcc
	s_cselect_b64 vcc, -1, 0
	s_cmp_eq_u32 s0, 7
	v_cndmask_b32_e32 v48, v48, v5, vcc
	s_cselect_b64 vcc, -1, 0
	s_cmp_eq_u32 s0, 8
	v_cndmask_b32_e32 v48, v48, v57, vcc
	s_cselect_b64 vcc, -1, 0
	s_cmp_eq_u32 s0, 9
	v_cndmask_b32_e32 v48, v48, v16, vcc
	s_cselect_b64 vcc, -1, 0
	s_cmp_eq_u32 s0, 10
	v_cndmask_b32_e32 v48, v48, v58, vcc
	s_cselect_b64 vcc, -1, 0
	s_cmp_eq_u32 s0, 11
	v_cndmask_b32_e32 v48, v48, v23, vcc
	s_cselect_b64 vcc, -1, 0
	s_cmp_eq_u32 s0, 12
	v_cndmask_b32_e32 v48, v48, v59, vcc
	s_cselect_b64 vcc, -1, 0
	s_cmp_eq_u32 s0, 13
	v_cndmask_b32_e32 v48, v48, v24, vcc
	s_cselect_b64 vcc, -1, 0
	s_cmp_eq_u32 s0, 14
	v_cndmask_b32_e32 v48, v48, v60, vcc
	s_cselect_b64 vcc, -1, 0
	s_cmp_eq_u32 s0, 15
	v_cndmask_b32_e32 v48, v48, v7, vcc
	s_cselect_b64 vcc, -1, 0
	s_cmp_eq_u32 s0, 16
	v_cndmask_b32_e32 v48, v48, v61, vcc
	s_cselect_b64 vcc, -1, 0
	s_cmp_eq_u32 s0, 17
	v_cndmask_b32_e32 v48, v48, v8, vcc
	s_cselect_b64 vcc, -1, 0
	s_cmp_eq_u32 s0, 18
	v_cndmask_b32_e32 v48, v48, v62, vcc
	s_cselect_b64 vcc, -1, 0
	s_cmp_eq_u32 s0, 19
	v_cndmask_b32_e32 v48, v48, v11, vcc
	s_cselect_b64 vcc, -1, 0
	s_cmp_eq_u32 s0, 20
	v_cndmask_b32_e32 v48, v48, v63, vcc
	s_cselect_b64 vcc, -1, 0
	s_cmp_eq_u32 s0, 21
	v_cndmask_b32_e32 v48, v48, v12, vcc
	s_cselect_b64 vcc, -1, 0
	s_cmp_eq_u32 s0, 22
	v_cndmask_b32_e32 v48, v48, v64, vcc
	s_cselect_b64 vcc, -1, 0
	s_cmp_eq_u32 s0, 23
	v_cndmask_b32_e32 v48, v48, v17, vcc
	s_cselect_b64 vcc, -1, 0
	s_cmp_eq_u32 s0, 24
	v_cndmask_b32_e32 v48, v48, v65, vcc
	s_cselect_b64 vcc, -1, 0
	s_cmp_eq_u32 s0, 25
	v_cndmask_b32_e32 v48, v48, v18, vcc
	s_cselect_b64 vcc, -1, 0
	s_cmp_eq_u32 s0, 26
	v_cndmask_b32_e32 v48, v48, v66, vcc
	s_cselect_b64 vcc, -1, 0
	s_cmp_eq_u32 s0, 27
	v_cndmask_b32_e32 v48, v48, v25, vcc
	s_cselect_b64 vcc, -1, 0
	s_cmp_eq_u32 s0, 28
	v_cndmask_b32_e32 v48, v48, v67, vcc
	s_cselect_b64 vcc, -1, 0
	s_cmp_eq_u32 s0, 29
	v_cndmask_b32_e32 v48, v48, v26, vcc
	s_cselect_b64 vcc, -1, 0
	s_cmp_eq_u32 s0, 30
	v_cndmask_b32_e32 v48, v48, v68, vcc
	s_cselect_b64 vcc, -1, 0
	s_cmp_eq_u32 s0, 31
	v_cndmask_b32_e32 v48, v48, v15, vcc
	s_cselect_b64 vcc, -1, 0
	s_cmp_eq_u32 s0, 32
	v_cndmask_b32_e32 v48, v48, v69, vcc
	s_cselect_b64 vcc, -1, 0
	s_cmp_eq_u32 s0, 33
	v_cndmask_b32_e32 v48, v48, v2, vcc
	s_cselect_b64 vcc, -1, 0
	s_cmp_eq_u32 s0, 34
	v_cndmask_b32_e32 v48, v48, v70, vcc
	s_cselect_b64 vcc, -1, 0
	s_cmp_eq_u32 s0, 35
	v_cndmask_b32_e32 v48, v48, v3, vcc
	s_cselect_b64 vcc, -1, 0
	s_cmp_eq_u32 s0, 36
	v_cndmask_b32_e32 v48, v48, v71, vcc
	s_cselect_b64 vcc, -1, 0
	s_cmp_eq_u32 s0, 37
	v_cndmask_b32_e32 v48, v48, v6, vcc
	s_cselect_b64 vcc, -1, 0
	s_cmp_eq_u32 s0, 38
	v_cndmask_b32_e32 v48, v48, v72, vcc
	s_cselect_b64 vcc, -1, 0
	s_cmp_eq_u32 s0, 39
	v_cndmask_b32_e32 v48, v48, v19, vcc
	s_cselect_b64 vcc, -1, 0
	s_cmp_eq_u32 s0, 40
	v_cndmask_b32_e32 v48, v48, v73, vcc
	s_cselect_b64 vcc, -1, 0
	s_cmp_eq_u32 s0, 41
	v_cndmask_b32_e32 v48, v48, v20, vcc
	s_cselect_b64 vcc, -1, 0
	s_cmp_eq_u32 s0, 42
	v_cndmask_b32_e32 v48, v48, v74, vcc
	s_cselect_b64 vcc, -1, 0
	s_cmp_eq_u32 s0, 43
	v_cndmask_b32_e32 v48, v48, v27, vcc
	s_cselect_b64 vcc, -1, 0
	s_cmp_eq_u32 s0, 44
	v_cndmask_b32_e32 v48, v48, v75, vcc
	s_cselect_b64 vcc, -1, 0
	s_cmp_eq_u32 s0, 45
	v_cndmask_b32_e32 v48, v48, v28, vcc
	s_cselect_b64 vcc, -1, 0
	s_cmp_eq_u32 s0, 46
	v_cndmask_b32_e32 v48, v48, v76, vcc
	s_cselect_b64 vcc, -1, 0
	s_cmp_eq_u32 s0, 47
	v_cndmask_b32_e32 v48, v48, v9, vcc
	s_cselect_b64 vcc, -1, 0
	s_cmp_eq_u32 s0, 48
	v_cndmask_b32_e32 v48, v48, v77, vcc
	s_cselect_b64 vcc, -1, 0
	s_cmp_eq_u32 s0, 49
	v_cndmask_b32_e32 v48, v48, v10, vcc
	s_cselect_b64 vcc, -1, 0
	s_cmp_eq_u32 s0, 50
	v_cndmask_b32_e32 v48, v48, v78, vcc
	s_cselect_b64 vcc, -1, 0
	s_cmp_eq_u32 s0, 51
	v_cndmask_b32_e32 v48, v48, v13, vcc
	s_cselect_b64 vcc, -1, 0
	s_cmp_eq_u32 s0, 52
	v_cndmask_b32_e32 v48, v48, v79, vcc
	s_cselect_b64 vcc, -1, 0
	s_cmp_eq_u32 s0, 53
	v_cndmask_b32_e32 v48, v48, v14, vcc
	s_cselect_b64 vcc, -1, 0
	s_cmp_eq_u32 s0, 54
	v_cndmask_b32_e32 v48, v48, v80, vcc
	s_cselect_b64 vcc, -1, 0
	s_cmp_eq_u32 s0, 55
	v_cndmask_b32_e32 v48, v48, v21, vcc
	s_cselect_b64 vcc, -1, 0
	s_cmp_eq_u32 s0, 56
	v_cndmask_b32_e32 v48, v48, v81, vcc
	s_cselect_b64 vcc, -1, 0
	s_cmp_eq_u32 s0, 57
	v_cndmask_b32_e32 v48, v48, v22, vcc
	s_cselect_b64 vcc, -1, 0
	s_cmp_eq_u32 s0, 58
	v_cndmask_b32_e32 v48, v48, v82, vcc
	s_cselect_b64 vcc, -1, 0
	s_cmp_eq_u32 s0, 59
	v_cndmask_b32_e32 v48, v48, v29, vcc
	s_cselect_b64 vcc, -1, 0
	s_cmp_eq_u32 s0, 60
	v_cndmask_b32_e32 v48, v48, v83, vcc
	s_cselect_b64 vcc, -1, 0
	s_cmp_eq_u32 s0, 61
	v_cndmask_b32_e32 v48, v48, v30, vcc
	s_cselect_b64 vcc, -1, 0
	s_cmp_eq_u32 s0, 62
	v_cndmask_b32_e32 v48, v48, v84, vcc
	s_cselect_b64 vcc, -1, 0
	s_cmp_eq_u32 s0, 63
	v_cndmask_b32_e32 v48, v48, v31, vcc
	s_cselect_b64 vcc, -1, 0
	s_cmp_eq_u32 s10, 1
	s_cselect_b64 s[0:1], -1, 0
	s_cmp_eq_u32 s10, 2
	v_cndmask_b32_e64 v49, v0, v54, s[0:1]
	s_cselect_b64 s[0:1], -1, 0
	s_cmp_eq_u32 s10, 3
	v_cndmask_b32_e64 v49, v49, v1, s[0:1]
	;; [unrolled: 3-line block ×61, first 2 shown]
	v_cndmask_b32_e32 v48, v48, v85, vcc
	s_cselect_b64 vcc, -1, 0
	s_cmp_eq_u32 s10, 63
	v_cndmask_b32_e32 v49, v49, v31, vcc
	s_cselect_b64 vcc, -1, 0
	v_cndmask_b32_e32 v49, v49, v85, vcc
	s_add_u32 s10, s10, 16
	v_add_f16_e32 v48, v48, v49
	s_addc_u32 s11, s11, 0
	v_add_f16_e32 v54, v48, v86
	v_lshl_add_u64 v[48:49], v[46:47], 1, v[50:51]
	s_cmpk_lg_i32 s10, 0x4f
	v_add_u32_e32 v53, 32, v53
	flat_store_short v[48:49], v54
	s_cbranch_scc0 .LBB237_41
.LBB237_25:                             ; =>This Inner Loop Header: Depth=1
	v_mad_i64_i32 v[48:49], s[0:1], v53, s12, 0
	v_cndmask_b32_e64 v50, 0, 1, s[4:5]
	v_lshl_add_u64 v[48:49], v[48:49], 1, s[6:7]
	v_mov_b32_e32 v86, 0
	v_cmp_ne_u32_e64 s[2:3], 1, v50
	s_andn2_b64 vcc, exec, s[4:5]
	v_mov_b32_e32 v50, 0
	s_cbranch_vccnz .LBB237_27
; %bb.26:                               ;   in Loop: Header=BB237_25 Depth=1
	v_lshl_add_u64 v[50:51], v[32:33], 1, v[48:49]
	flat_load_ushort v50, v[50:51]
	s_waitcnt vmcnt(0) lgkmcnt(0)
	v_mul_f16_e32 v50, v52, v50
.LBB237_27:                             ;   in Loop: Header=BB237_25 Depth=1
	s_add_i32 s0, s10, -15
	s_cmp_eq_u32 s0, 1
	v_lshrrev_b32_e32 v54, 16, v0
	s_cselect_b64 vcc, -1, 0
	s_cmp_eq_u32 s0, 2
	v_cndmask_b32_e32 v51, v0, v54, vcc
	s_cselect_b64 vcc, -1, 0
	s_cmp_eq_u32 s0, 3
	v_cndmask_b32_e32 v51, v51, v1, vcc
	v_lshrrev_b32_e32 v55, 16, v1
	s_cselect_b64 vcc, -1, 0
	s_cmp_eq_u32 s0, 4
	v_cndmask_b32_e32 v51, v51, v55, vcc
	s_cselect_b64 vcc, -1, 0
	s_cmp_eq_u32 s0, 5
	v_cndmask_b32_e32 v51, v51, v4, vcc
	;; [unrolled: 7-line block ×31, first 2 shown]
	s_cselect_b64 vcc, -1, 0
	s_add_i32 s0, s10, -14
	v_lshrrev_b32_e32 v85, 16, v31
	s_cmp_eq_u32 s0, 1
	v_cndmask_b32_e32 v51, v51, v85, vcc
	s_cselect_b64 vcc, -1, 0
	s_cmp_eq_u32 s0, 2
	v_cndmask_b32_e32 v87, v0, v54, vcc
	s_cselect_b64 vcc, -1, 0
	;; [unrolled: 3-line block ×63, first 2 shown]
	v_cndmask_b32_e32 v87, v87, v85, vcc
	v_add_f16_e32 v51, v51, v87
	v_add_f16_e32 v87, v51, v50
	v_mad_i64_i32 v[50:51], s[0:1], v53, s13, 0
	v_lshl_add_u64 v[50:51], v[50:51], 1, s[8:9]
	v_lshl_add_u64 v[88:89], v[32:33], 1, v[50:51]
	s_and_b64 vcc, exec, s[2:3]
	flat_store_short v[88:89], v87
	s_cbranch_vccnz .LBB237_29
; %bb.28:                               ;   in Loop: Header=BB237_25 Depth=1
	v_lshl_add_u64 v[86:87], v[34:35], 1, v[48:49]
	flat_load_ushort v86, v[86:87]
	s_waitcnt vmcnt(0) lgkmcnt(0)
	v_mul_f16_e32 v86, v52, v86
.LBB237_29:                             ;   in Loop: Header=BB237_25 Depth=1
	s_add_i32 s0, s10, -13
	s_cmp_eq_u32 s0, 1
	s_cselect_b64 vcc, -1, 0
	s_cmp_eq_u32 s0, 2
	v_cndmask_b32_e32 v87, v0, v54, vcc
	s_cselect_b64 vcc, -1, 0
	s_cmp_eq_u32 s0, 3
	v_cndmask_b32_e32 v87, v87, v1, vcc
	;; [unrolled: 3-line block ×62, first 2 shown]
	s_cselect_b64 vcc, -1, 0
	s_add_i32 s0, s10, -12
	s_cmp_eq_u32 s0, 1
	v_cndmask_b32_e32 v87, v87, v85, vcc
	s_cselect_b64 vcc, -1, 0
	s_cmp_eq_u32 s0, 2
	v_cndmask_b32_e32 v88, v0, v54, vcc
	s_cselect_b64 vcc, -1, 0
	;; [unrolled: 3-line block ×63, first 2 shown]
	v_cndmask_b32_e32 v88, v88, v85, vcc
	v_add_f16_e32 v87, v87, v88
	v_add_f16_e32 v88, v87, v86
	v_lshl_add_u64 v[86:87], v[34:35], 1, v[50:51]
	flat_store_short v[86:87], v88
	s_and_b64 vcc, exec, s[2:3]
	v_mov_b32_e32 v86, 0
	v_mov_b32_e32 v87, 0
	s_cbranch_vccnz .LBB237_31
; %bb.30:                               ;   in Loop: Header=BB237_25 Depth=1
	v_lshl_add_u64 v[88:89], v[36:37], 1, v[48:49]
	flat_load_ushort v87, v[88:89]
	s_waitcnt vmcnt(0) lgkmcnt(0)
	v_mul_f16_e32 v87, v52, v87
.LBB237_31:                             ;   in Loop: Header=BB237_25 Depth=1
	s_add_i32 s0, s10, -11
	s_cmp_eq_u32 s0, 1
	s_cselect_b64 vcc, -1, 0
	s_cmp_eq_u32 s0, 2
	v_cndmask_b32_e32 v88, v0, v54, vcc
	s_cselect_b64 vcc, -1, 0
	s_cmp_eq_u32 s0, 3
	v_cndmask_b32_e32 v88, v88, v1, vcc
	;; [unrolled: 3-line block ×62, first 2 shown]
	s_cselect_b64 vcc, -1, 0
	s_add_i32 s0, s10, -10
	s_cmp_eq_u32 s0, 1
	v_cndmask_b32_e32 v88, v88, v85, vcc
	s_cselect_b64 vcc, -1, 0
	s_cmp_eq_u32 s0, 2
	v_cndmask_b32_e32 v89, v0, v54, vcc
	s_cselect_b64 vcc, -1, 0
	;; [unrolled: 3-line block ×63, first 2 shown]
	v_cndmask_b32_e32 v89, v89, v85, vcc
	v_add_f16_e32 v88, v88, v89
	v_add_f16_e32 v87, v88, v87
	v_lshl_add_u64 v[88:89], v[36:37], 1, v[50:51]
	s_and_b64 vcc, exec, s[2:3]
	flat_store_short v[88:89], v87
	s_cbranch_vccnz .LBB237_33
; %bb.32:                               ;   in Loop: Header=BB237_25 Depth=1
	v_lshl_add_u64 v[86:87], v[38:39], 1, v[48:49]
	flat_load_ushort v86, v[86:87]
	s_waitcnt vmcnt(0) lgkmcnt(0)
	v_mul_f16_e32 v86, v52, v86
.LBB237_33:                             ;   in Loop: Header=BB237_25 Depth=1
	s_add_i32 s0, s10, -9
	s_cmp_eq_u32 s0, 1
	s_cselect_b64 vcc, -1, 0
	s_cmp_eq_u32 s0, 2
	v_cndmask_b32_e32 v87, v0, v54, vcc
	s_cselect_b64 vcc, -1, 0
	s_cmp_eq_u32 s0, 3
	v_cndmask_b32_e32 v87, v87, v1, vcc
	;; [unrolled: 3-line block ×62, first 2 shown]
	s_cselect_b64 vcc, -1, 0
	s_add_i32 s0, s10, -8
	s_cmp_eq_u32 s0, 1
	v_cndmask_b32_e32 v87, v87, v85, vcc
	s_cselect_b64 vcc, -1, 0
	s_cmp_eq_u32 s0, 2
	v_cndmask_b32_e32 v88, v0, v54, vcc
	s_cselect_b64 vcc, -1, 0
	;; [unrolled: 3-line block ×63, first 2 shown]
	v_cndmask_b32_e32 v88, v88, v85, vcc
	v_add_f16_e32 v87, v87, v88
	v_add_f16_e32 v88, v87, v86
	v_lshl_add_u64 v[86:87], v[38:39], 1, v[50:51]
	flat_store_short v[86:87], v88
	s_and_b64 vcc, exec, s[2:3]
	v_mov_b32_e32 v86, 0
	v_mov_b32_e32 v87, 0
	s_cbranch_vccnz .LBB237_35
; %bb.34:                               ;   in Loop: Header=BB237_25 Depth=1
	v_lshl_add_u64 v[88:89], v[40:41], 1, v[48:49]
	flat_load_ushort v87, v[88:89]
	s_waitcnt vmcnt(0) lgkmcnt(0)
	v_mul_f16_e32 v87, v52, v87
.LBB237_35:                             ;   in Loop: Header=BB237_25 Depth=1
	s_add_i32 s0, s10, -7
	s_cmp_eq_u32 s0, 1
	s_cselect_b64 vcc, -1, 0
	s_cmp_eq_u32 s0, 2
	v_cndmask_b32_e32 v88, v0, v54, vcc
	s_cselect_b64 vcc, -1, 0
	s_cmp_eq_u32 s0, 3
	v_cndmask_b32_e32 v88, v88, v1, vcc
	;; [unrolled: 3-line block ×62, first 2 shown]
	s_cselect_b64 vcc, -1, 0
	s_add_i32 s0, s10, -6
	s_cmp_eq_u32 s0, 1
	v_cndmask_b32_e32 v88, v88, v85, vcc
	s_cselect_b64 vcc, -1, 0
	s_cmp_eq_u32 s0, 2
	v_cndmask_b32_e32 v89, v0, v54, vcc
	s_cselect_b64 vcc, -1, 0
	;; [unrolled: 3-line block ×63, first 2 shown]
	v_cndmask_b32_e32 v89, v89, v85, vcc
	v_add_f16_e32 v88, v88, v89
	v_add_f16_e32 v87, v88, v87
	v_lshl_add_u64 v[88:89], v[40:41], 1, v[50:51]
	s_and_b64 vcc, exec, s[2:3]
	flat_store_short v[88:89], v87
	s_cbranch_vccnz .LBB237_37
; %bb.36:                               ;   in Loop: Header=BB237_25 Depth=1
	v_lshl_add_u64 v[86:87], v[42:43], 1, v[48:49]
	flat_load_ushort v86, v[86:87]
	s_waitcnt vmcnt(0) lgkmcnt(0)
	v_mul_f16_e32 v86, v52, v86
.LBB237_37:                             ;   in Loop: Header=BB237_25 Depth=1
	s_add_i32 s0, s10, -5
	s_cmp_eq_u32 s0, 1
	s_cselect_b64 vcc, -1, 0
	s_cmp_eq_u32 s0, 2
	v_cndmask_b32_e32 v87, v0, v54, vcc
	s_cselect_b64 vcc, -1, 0
	s_cmp_eq_u32 s0, 3
	v_cndmask_b32_e32 v87, v87, v1, vcc
	;; [unrolled: 3-line block ×62, first 2 shown]
	s_cselect_b64 vcc, -1, 0
	s_add_i32 s0, s10, -4
	s_cmp_eq_u32 s0, 1
	v_cndmask_b32_e32 v87, v87, v85, vcc
	s_cselect_b64 vcc, -1, 0
	s_cmp_eq_u32 s0, 2
	v_cndmask_b32_e32 v88, v0, v54, vcc
	s_cselect_b64 vcc, -1, 0
	;; [unrolled: 3-line block ×63, first 2 shown]
	v_cndmask_b32_e32 v88, v88, v85, vcc
	v_add_f16_e32 v87, v87, v88
	v_add_f16_e32 v88, v87, v86
	v_lshl_add_u64 v[86:87], v[42:43], 1, v[50:51]
	flat_store_short v[86:87], v88
	s_and_b64 vcc, exec, s[2:3]
	v_mov_b32_e32 v86, 0
	v_mov_b32_e32 v87, 0
	s_cbranch_vccnz .LBB237_39
; %bb.38:                               ;   in Loop: Header=BB237_25 Depth=1
	v_lshl_add_u64 v[88:89], v[44:45], 1, v[48:49]
	flat_load_ushort v87, v[88:89]
	s_waitcnt vmcnt(0) lgkmcnt(0)
	v_mul_f16_e32 v87, v52, v87
.LBB237_39:                             ;   in Loop: Header=BB237_25 Depth=1
	s_add_i32 s0, s10, -3
	s_cmp_eq_u32 s0, 1
	s_cselect_b64 vcc, -1, 0
	s_cmp_eq_u32 s0, 2
	v_cndmask_b32_e32 v88, v0, v54, vcc
	s_cselect_b64 vcc, -1, 0
	s_cmp_eq_u32 s0, 3
	v_cndmask_b32_e32 v88, v88, v1, vcc
	;; [unrolled: 3-line block ×62, first 2 shown]
	s_cselect_b64 vcc, -1, 0
	s_add_i32 s0, s10, -2
	s_cmp_eq_u32 s0, 1
	v_cndmask_b32_e32 v88, v88, v85, vcc
	s_cselect_b64 vcc, -1, 0
	s_cmp_eq_u32 s0, 2
	v_cndmask_b32_e32 v89, v0, v54, vcc
	s_cselect_b64 vcc, -1, 0
	;; [unrolled: 3-line block ×63, first 2 shown]
	v_cndmask_b32_e32 v89, v89, v85, vcc
	v_add_f16_e32 v88, v88, v89
	v_add_f16_e32 v87, v88, v87
	v_lshl_add_u64 v[88:89], v[44:45], 1, v[50:51]
	s_and_b64 vcc, exec, s[2:3]
	flat_store_short v[88:89], v87
	s_cbranch_vccnz .LBB237_24
; %bb.40:                               ;   in Loop: Header=BB237_25 Depth=1
	v_lshl_add_u64 v[48:49], v[46:47], 1, v[48:49]
	flat_load_ushort v48, v[48:49]
	s_waitcnt vmcnt(0) lgkmcnt(0)
	v_mul_f16_e32 v86, v52, v48
	s_branch .LBB237_24
.LBB237_41:
	s_endpgm
	.section	.rodata,"a",@progbits
	.p2align	6, 0x0
	.amdhsa_kernel _ZN12_GLOBAL__N_120geam_min_plus_kernelIDF16_Dv2_DF16_S1_Li8ELi32ELi64ELi128ELi4ELi4ELi64ELi4ELi64ELc84ELc78ELb0ELb0ELb0EPKDF16_KS3_KPDF16_EEviiiT16_PT17_ilS9_ilS7_S9_ilPT18_ili26rocblas_geam_ex_operation_
		.amdhsa_group_segment_fixed_size 3072
		.amdhsa_private_segment_fixed_size 0
		.amdhsa_kernarg_size 136
		.amdhsa_user_sgpr_count 2
		.amdhsa_user_sgpr_dispatch_ptr 0
		.amdhsa_user_sgpr_queue_ptr 0
		.amdhsa_user_sgpr_kernarg_segment_ptr 1
		.amdhsa_user_sgpr_dispatch_id 0
		.amdhsa_user_sgpr_kernarg_preload_length 0
		.amdhsa_user_sgpr_kernarg_preload_offset 0
		.amdhsa_user_sgpr_private_segment_size 0
		.amdhsa_uses_dynamic_stack 0
		.amdhsa_enable_private_segment 0
		.amdhsa_system_sgpr_workgroup_id_x 1
		.amdhsa_system_sgpr_workgroup_id_y 0
		.amdhsa_system_sgpr_workgroup_id_z 1
		.amdhsa_system_sgpr_workgroup_info 0
		.amdhsa_system_vgpr_workitem_id 1
		.amdhsa_next_free_vgpr 123
		.amdhsa_next_free_sgpr 26
		.amdhsa_accum_offset 124
		.amdhsa_reserve_vcc 1
		.amdhsa_float_round_mode_32 0
		.amdhsa_float_round_mode_16_64 0
		.amdhsa_float_denorm_mode_32 3
		.amdhsa_float_denorm_mode_16_64 3
		.amdhsa_dx10_clamp 1
		.amdhsa_ieee_mode 1
		.amdhsa_fp16_overflow 0
		.amdhsa_tg_split 0
		.amdhsa_exception_fp_ieee_invalid_op 0
		.amdhsa_exception_fp_denorm_src 0
		.amdhsa_exception_fp_ieee_div_zero 0
		.amdhsa_exception_fp_ieee_overflow 0
		.amdhsa_exception_fp_ieee_underflow 0
		.amdhsa_exception_fp_ieee_inexact 0
		.amdhsa_exception_int_div_zero 0
	.end_amdhsa_kernel
	.section	.text._ZN12_GLOBAL__N_120geam_min_plus_kernelIDF16_Dv2_DF16_S1_Li8ELi32ELi64ELi128ELi4ELi4ELi64ELi4ELi64ELc84ELc78ELb0ELb0ELb0EPKDF16_KS3_KPDF16_EEviiiT16_PT17_ilS9_ilS7_S9_ilPT18_ili26rocblas_geam_ex_operation_,"axG",@progbits,_ZN12_GLOBAL__N_120geam_min_plus_kernelIDF16_Dv2_DF16_S1_Li8ELi32ELi64ELi128ELi4ELi4ELi64ELi4ELi64ELc84ELc78ELb0ELb0ELb0EPKDF16_KS3_KPDF16_EEviiiT16_PT17_ilS9_ilS7_S9_ilPT18_ili26rocblas_geam_ex_operation_,comdat
.Lfunc_end237:
	.size	_ZN12_GLOBAL__N_120geam_min_plus_kernelIDF16_Dv2_DF16_S1_Li8ELi32ELi64ELi128ELi4ELi4ELi64ELi4ELi64ELc84ELc78ELb0ELb0ELb0EPKDF16_KS3_KPDF16_EEviiiT16_PT17_ilS9_ilS7_S9_ilPT18_ili26rocblas_geam_ex_operation_, .Lfunc_end237-_ZN12_GLOBAL__N_120geam_min_plus_kernelIDF16_Dv2_DF16_S1_Li8ELi32ELi64ELi128ELi4ELi4ELi64ELi4ELi64ELc84ELc78ELb0ELb0ELb0EPKDF16_KS3_KPDF16_EEviiiT16_PT17_ilS9_ilS7_S9_ilPT18_ili26rocblas_geam_ex_operation_
                                        ; -- End function
	.set _ZN12_GLOBAL__N_120geam_min_plus_kernelIDF16_Dv2_DF16_S1_Li8ELi32ELi64ELi128ELi4ELi4ELi64ELi4ELi64ELc84ELc78ELb0ELb0ELb0EPKDF16_KS3_KPDF16_EEviiiT16_PT17_ilS9_ilS7_S9_ilPT18_ili26rocblas_geam_ex_operation_.num_vgpr, 123
	.set _ZN12_GLOBAL__N_120geam_min_plus_kernelIDF16_Dv2_DF16_S1_Li8ELi32ELi64ELi128ELi4ELi4ELi64ELi4ELi64ELc84ELc78ELb0ELb0ELb0EPKDF16_KS3_KPDF16_EEviiiT16_PT17_ilS9_ilS7_S9_ilPT18_ili26rocblas_geam_ex_operation_.num_agpr, 0
	.set _ZN12_GLOBAL__N_120geam_min_plus_kernelIDF16_Dv2_DF16_S1_Li8ELi32ELi64ELi128ELi4ELi4ELi64ELi4ELi64ELc84ELc78ELb0ELb0ELb0EPKDF16_KS3_KPDF16_EEviiiT16_PT17_ilS9_ilS7_S9_ilPT18_ili26rocblas_geam_ex_operation_.numbered_sgpr, 26
	.set _ZN12_GLOBAL__N_120geam_min_plus_kernelIDF16_Dv2_DF16_S1_Li8ELi32ELi64ELi128ELi4ELi4ELi64ELi4ELi64ELc84ELc78ELb0ELb0ELb0EPKDF16_KS3_KPDF16_EEviiiT16_PT17_ilS9_ilS7_S9_ilPT18_ili26rocblas_geam_ex_operation_.num_named_barrier, 0
	.set _ZN12_GLOBAL__N_120geam_min_plus_kernelIDF16_Dv2_DF16_S1_Li8ELi32ELi64ELi128ELi4ELi4ELi64ELi4ELi64ELc84ELc78ELb0ELb0ELb0EPKDF16_KS3_KPDF16_EEviiiT16_PT17_ilS9_ilS7_S9_ilPT18_ili26rocblas_geam_ex_operation_.private_seg_size, 0
	.set _ZN12_GLOBAL__N_120geam_min_plus_kernelIDF16_Dv2_DF16_S1_Li8ELi32ELi64ELi128ELi4ELi4ELi64ELi4ELi64ELc84ELc78ELb0ELb0ELb0EPKDF16_KS3_KPDF16_EEviiiT16_PT17_ilS9_ilS7_S9_ilPT18_ili26rocblas_geam_ex_operation_.uses_vcc, 1
	.set _ZN12_GLOBAL__N_120geam_min_plus_kernelIDF16_Dv2_DF16_S1_Li8ELi32ELi64ELi128ELi4ELi4ELi64ELi4ELi64ELc84ELc78ELb0ELb0ELb0EPKDF16_KS3_KPDF16_EEviiiT16_PT17_ilS9_ilS7_S9_ilPT18_ili26rocblas_geam_ex_operation_.uses_flat_scratch, 0
	.set _ZN12_GLOBAL__N_120geam_min_plus_kernelIDF16_Dv2_DF16_S1_Li8ELi32ELi64ELi128ELi4ELi4ELi64ELi4ELi64ELc84ELc78ELb0ELb0ELb0EPKDF16_KS3_KPDF16_EEviiiT16_PT17_ilS9_ilS7_S9_ilPT18_ili26rocblas_geam_ex_operation_.has_dyn_sized_stack, 0
	.set _ZN12_GLOBAL__N_120geam_min_plus_kernelIDF16_Dv2_DF16_S1_Li8ELi32ELi64ELi128ELi4ELi4ELi64ELi4ELi64ELc84ELc78ELb0ELb0ELb0EPKDF16_KS3_KPDF16_EEviiiT16_PT17_ilS9_ilS7_S9_ilPT18_ili26rocblas_geam_ex_operation_.has_recursion, 0
	.set _ZN12_GLOBAL__N_120geam_min_plus_kernelIDF16_Dv2_DF16_S1_Li8ELi32ELi64ELi128ELi4ELi4ELi64ELi4ELi64ELc84ELc78ELb0ELb0ELb0EPKDF16_KS3_KPDF16_EEviiiT16_PT17_ilS9_ilS7_S9_ilPT18_ili26rocblas_geam_ex_operation_.has_indirect_call, 0
	.section	.AMDGPU.csdata,"",@progbits
; Kernel info:
; codeLenInByte = 19756
; TotalNumSgprs: 32
; NumVgprs: 123
; NumAgprs: 0
; TotalNumVgprs: 123
; ScratchSize: 0
; MemoryBound: 0
; FloatMode: 240
; IeeeMode: 1
; LDSByteSize: 3072 bytes/workgroup (compile time only)
; SGPRBlocks: 3
; VGPRBlocks: 15
; NumSGPRsForWavesPerEU: 32
; NumVGPRsForWavesPerEU: 123
; AccumOffset: 124
; Occupancy: 4
; WaveLimiterHint : 1
; COMPUTE_PGM_RSRC2:SCRATCH_EN: 0
; COMPUTE_PGM_RSRC2:USER_SGPR: 2
; COMPUTE_PGM_RSRC2:TRAP_HANDLER: 0
; COMPUTE_PGM_RSRC2:TGID_X_EN: 1
; COMPUTE_PGM_RSRC2:TGID_Y_EN: 0
; COMPUTE_PGM_RSRC2:TGID_Z_EN: 1
; COMPUTE_PGM_RSRC2:TIDIG_COMP_CNT: 1
; COMPUTE_PGM_RSRC3_GFX90A:ACCUM_OFFSET: 30
; COMPUTE_PGM_RSRC3_GFX90A:TG_SPLIT: 0
	.section	.text._ZN12_GLOBAL__N_120geam_min_plus_kernelIDF16_Dv2_DF16_S1_Li8ELi32ELi64ELi128ELi4ELi4ELi64ELi4ELi64ELc84ELc78ELb1ELb0ELb0EDF16_KPKDF16_KPDF16_EEviiiT16_PT17_ilS9_ilS7_S9_ilPT18_ili26rocblas_geam_ex_operation_,"axG",@progbits,_ZN12_GLOBAL__N_120geam_min_plus_kernelIDF16_Dv2_DF16_S1_Li8ELi32ELi64ELi128ELi4ELi4ELi64ELi4ELi64ELc84ELc78ELb1ELb0ELb0EDF16_KPKDF16_KPDF16_EEviiiT16_PT17_ilS9_ilS7_S9_ilPT18_ili26rocblas_geam_ex_operation_,comdat
	.globl	_ZN12_GLOBAL__N_120geam_min_plus_kernelIDF16_Dv2_DF16_S1_Li8ELi32ELi64ELi128ELi4ELi4ELi64ELi4ELi64ELc84ELc78ELb1ELb0ELb0EDF16_KPKDF16_KPDF16_EEviiiT16_PT17_ilS9_ilS7_S9_ilPT18_ili26rocblas_geam_ex_operation_ ; -- Begin function _ZN12_GLOBAL__N_120geam_min_plus_kernelIDF16_Dv2_DF16_S1_Li8ELi32ELi64ELi128ELi4ELi4ELi64ELi4ELi64ELc84ELc78ELb1ELb0ELb0EDF16_KPKDF16_KPDF16_EEviiiT16_PT17_ilS9_ilS7_S9_ilPT18_ili26rocblas_geam_ex_operation_
	.p2align	8
	.type	_ZN12_GLOBAL__N_120geam_min_plus_kernelIDF16_Dv2_DF16_S1_Li8ELi32ELi64ELi128ELi4ELi4ELi64ELi4ELi64ELc84ELc78ELb1ELb0ELb0EDF16_KPKDF16_KPDF16_EEviiiT16_PT17_ilS9_ilS7_S9_ilPT18_ili26rocblas_geam_ex_operation_,@function
_ZN12_GLOBAL__N_120geam_min_plus_kernelIDF16_Dv2_DF16_S1_Li8ELi32ELi64ELi128ELi4ELi4ELi64ELi4ELi64ELc84ELc78ELb1ELb0ELb0EDF16_KPKDF16_KPDF16_EEviiiT16_PT17_ilS9_ilS7_S9_ilPT18_ili26rocblas_geam_ex_operation_: ; @_ZN12_GLOBAL__N_120geam_min_plus_kernelIDF16_Dv2_DF16_S1_Li8ELi32ELi64ELi128ELi4ELi4ELi64ELi4ELi64ELc84ELc78ELb1ELb0ELb0EDF16_KPKDF16_KPDF16_EEviiiT16_PT17_ilS9_ilS7_S9_ilPT18_ili26rocblas_geam_ex_operation_
; %bb.0:
	s_load_dwordx2 s[10:11], s[0:1], 0x8
	s_load_dwordx4 s[4:7], s[0:1], 0x20
	s_mov_b32 s16, s3
	s_mov_b32 s17, 0
	s_waitcnt lgkmcnt(0)
	v_cmp_eq_f16_e64 s[8:9], s11, 0
	s_and_b64 vcc, exec, s[8:9]
	s_cbranch_vccnz .LBB238_3
; %bb.1:
	s_load_dwordx2 s[12:13], s[0:1], 0x10
	s_lshl_b64 s[14:15], s[16:17], 3
	s_waitcnt lgkmcnt(0)
	s_add_u32 s12, s12, s14
	s_addc_u32 s13, s13, s15
	s_load_dwordx2 s[12:13], s[12:13], 0x0
	s_lshl_b64 s[4:5], s[4:5], 1
	s_waitcnt lgkmcnt(0)
	s_add_u32 s14, s12, s4
	s_addc_u32 s15, s13, s5
	s_andn2_b64 vcc, exec, s[8:9]
	s_cbranch_vccnz .LBB238_4
.LBB238_2:
	s_mov_b32 s19, 0
	s_mov_b32 s18, s16
	s_mov_b64 s[8:9], 0
	s_mov_b64 s[12:13], 0
	s_cbranch_execz .LBB238_5
	s_branch .LBB238_6
.LBB238_3:
	s_mov_b64 s[14:15], 0
	s_andn2_b64 vcc, exec, s[8:9]
	s_cbranch_vccz .LBB238_2
.LBB238_4:
	s_mov_b64 s[18:19], s[16:17]
	s_mov_b64 s[8:9], 0
	;; [unrolled: 1-line block ×3, first 2 shown]
.LBB238_5:
	s_lshl_b64 s[12:13], s[16:17], 3
	s_add_u32 s6, s6, s12
	s_load_dwordx2 s[4:5], s[0:1], 0x38
	s_addc_u32 s7, s7, s13
	s_load_dwordx2 s[6:7], s[6:7], 0x0
	s_waitcnt lgkmcnt(0)
	s_lshl_b64 s[4:5], s[4:5], 1
	s_add_u32 s12, s6, s4
	s_addc_u32 s13, s7, s5
.LBB238_6:
	s_load_dword s11, s[0:1], 0x40
	s_load_dwordx4 s[4:7], s[0:1], 0x58
	s_waitcnt lgkmcnt(0)
	v_cmp_eq_f16_e64 s[16:17], s11, 0
	s_and_b64 vcc, exec, s[16:17]
	s_cbranch_vccnz .LBB238_8
; %bb.7:
	s_load_dwordx2 s[8:9], s[0:1], 0x48
	s_lshl_b64 s[16:17], s[18:19], 3
	s_waitcnt lgkmcnt(0)
	s_add_u32 s8, s8, s16
	s_addc_u32 s9, s9, s17
	s_load_dwordx2 s[8:9], s[8:9], 0x0
	s_lshl_b64 s[4:5], s[4:5], 1
	s_waitcnt lgkmcnt(0)
	s_add_u32 s8, s8, s4
	s_addc_u32 s9, s9, s5
.LBB238_8:
	s_load_dword s3, s[0:1], 0x0
	s_load_dword s16, s[0:1], 0x18
	;; [unrolled: 1-line block ×3, first 2 shown]
	s_lshl_b64 s[4:5], s[18:19], 3
	s_add_u32 s4, s6, s4
	s_addc_u32 s5, s7, s5
	s_waitcnt lgkmcnt(0)
	s_add_i32 s3, s3, -1
	s_ashr_i32 s6, s3, 31
	s_lshr_b32 s6, s6, 26
	s_add_i32 s3, s3, s6
	s_ashr_i32 s3, s3, 6
	s_add_i32 s6, s3, 1
	v_cvt_f32_u32_e32 v1, s6
	s_not_b32 s3, s3
	v_bfe_u32 v48, v0, 10, 10
	v_and_b32_e32 v32, 0x3ff, v0
	v_rcp_iflag_f32_e32 v1, v1
	v_lshlrev_b32_e32 v33, 3, v48
	v_add_u32_e32 v2, v33, v32
	v_lshrrev_b32_e32 v10, 2, v2
	v_mul_f32_e32 v1, 0x4f7ffffe, v1
	v_cvt_u32_f32_e32 v1, v1
	v_lshlrev_b32_e32 v0, 1, v0
	v_and_b32_e32 v26, 6, v0
	v_mov_b32_e32 v27, 0
	v_readfirstlane_b32 s7, v1
	s_mul_i32 s3, s3, s7
	s_mul_hi_u32 s3, s7, s3
	s_add_i32 s7, s7, s3
	s_mul_hi_u32 s3, s2, s7
	s_mul_i32 s7, s3, s6
	s_sub_i32 s7, s2, s7
	s_add_i32 s18, s3, 1
	s_sub_i32 s19, s7, s6
	s_cmp_ge_u32 s7, s6
	s_cselect_b32 s3, s18, s3
	s_cselect_b32 s7, s19, s7
	s_add_i32 s18, s3, 1
	s_cmp_ge_u32 s7, s6
	s_cselect_b32 s3, s18, s3
	s_mul_i32 s6, s3, s6
	s_sub_i32 s2, s2, s6
	s_lshl_b32 s7, s2, 6
	s_lshl_b32 s6, s3, 7
	v_add_u32_e32 v1, s7, v10
	v_mad_i64_i32 v[2:3], s[2:3], v1, s16, 0
	v_add_u32_e32 v6, s6, v10
	v_lshl_add_u64 v[24:25], v[2:3], 1, s[14:15]
	v_lshl_add_u64 v[2:3], s[12:13], 0, v[26:27]
	v_mad_i64_i32 v[4:5], s[2:3], v6, s17, 0
	v_add_u32_e32 v6, 64, v6
	v_lshl_add_u64 v[8:9], v[4:5], 1, v[2:3]
	v_mad_i64_i32 v[6:7], s[2:3], v6, s17, 0
	v_lshl_add_u64 v[0:1], v[24:25], 0, v[26:27]
	v_lshl_add_u64 v[2:3], v[6:7], 1, v[2:3]
	flat_load_ushort v11, v[8:9]
	flat_load_ushort v12, v[2:3]
	;; [unrolled: 1-line block ×3, first 2 shown]
	s_load_dwordx2 s[4:5], s[4:5], 0x0
	v_lshl_or_b32 v36, v10, 3, v26
	flat_load_ushort v26, v[2:3] offset:8
	flat_load_ushort v37, v[8:9] offset:8
	;; [unrolled: 1-line block ×3, first 2 shown]
	v_lshlrev_b32_e32 v34, 3, v32
	v_add_u32_e32 v35, 0x800, v34
	s_cmp_lt_i32 s10, 9
	s_waitcnt vmcnt(0) lgkmcnt(0)
	ds_write_b16 v36, v11
	ds_write_b16 v36, v12 offset:512
	ds_write_b16 v36, v13 offset:2048
	s_waitcnt lgkmcnt(0)
	s_barrier
	ds_read2_b64 v[0:3], v35 offset0:48 offset1:56
	ds_read2_b64 v[8:11], v33 offset1:32
	ds_read2_b64 v[12:15], v33 offset0:64 offset1:96
	ds_read2_b64 v[16:19], v35 offset1:8
	ds_read2_b64 v[20:23], v35 offset0:16 offset1:24
	ds_read2_b64 v[28:31], v35 offset0:32 offset1:40
	s_waitcnt lgkmcnt(4)
	v_pk_max_f16 v8, v8, v8
	v_pk_max_f16 v2, v2, v2
	;; [unrolled: 1-line block ×3, first 2 shown]
	s_waitcnt lgkmcnt(3)
	v_pk_max_f16 v12, v12, v12
	s_waitcnt lgkmcnt(2)
	v_pk_max_f16 v16, v16, v16
	v_pk_max_f16 v18, v18, v18
	s_waitcnt lgkmcnt(1)
	v_pk_max_f16 v20, v20, v20
	;; [unrolled: 3-line block ×3, first 2 shown]
	v_pk_max_f16 v30, v30, v30
	v_pk_max_f16 v39, v9, v9
	;; [unrolled: 1-line block ×4, first 2 shown]
	v_pk_min_f16 v13, v2, v8
	v_pk_max_f16 v3, v3, v3
	v_pk_max_f16 v40, v11, v11
	;; [unrolled: 1-line block ×5, first 2 shown]
	v_pk_min_f16 v15, v16, v8
	v_pk_min_f16 v23, v16, v10
	;; [unrolled: 1-line block ×23, first 2 shown]
	v_pk_add_f16 v12, v13, 0
	v_pk_min_f16 v13, v3, v39
	v_pk_max_f16 v9, v17, v17
	v_pk_max_f16 v17, v21, v21
	v_pk_add_f16 v21, v12, v13
	v_pk_add_f16 v8, v8, 0
	v_pk_min_f16 v12, v3, v40
	v_pk_max_f16 v14, v14, v14
	v_pk_add_f16 v13, v8, v12
	v_pk_add_f16 v8, v10, 0
	v_pk_min_f16 v10, v3, v41
	v_pk_min_f16 v12, v9, v39
	v_pk_add_f16 v8, v8, v10
	v_pk_add_f16 v10, v15, 0
	v_pk_min_f16 v16, v16, v14
	v_pk_add_f16 v49, v10, v12
	v_pk_add_f16 v10, v23, 0
	v_pk_min_f16 v12, v9, v40
	v_pk_min_f16 v50, v18, v14
	v_pk_add_f16 v18, v10, v12
	v_pk_add_f16 v10, v43, 0
	v_pk_min_f16 v12, v9, v41
	v_pk_min_f16 v20, v20, v14
	;; [unrolled: 1-line block ×7, first 2 shown]
	v_pk_add_f16 v14, v10, v12
	v_pk_add_f16 v10, v16, 0
	v_pk_min_f16 v9, v9, v42
	v_pk_min_f16 v12, v11, v39
	v_pk_add_f16 v9, v10, v9
	v_pk_add_f16 v10, v44, 0
	v_pk_max_f16 v29, v29, v29
	v_pk_add_f16 v53, v10, v12
	v_pk_add_f16 v10, v45, 0
	v_pk_min_f16 v12, v11, v40
	v_pk_max_f16 v31, v31, v31
	v_pk_add_f16 v46, v10, v12
	v_pk_add_f16 v10, v47, 0
	v_pk_min_f16 v12, v11, v41
	v_pk_min_f16 v11, v11, v42
	v_pk_add_f16 v15, v10, v12
	v_pk_add_f16 v10, v50, 0
	v_pk_min_f16 v12, v17, v39
	v_pk_add_f16 v10, v10, v11
	v_pk_add_f16 v11, v51, 0
	v_pk_max_f16 v1, v1, v1
	v_pk_add_f16 v51, v11, v12
	v_pk_add_f16 v11, v52, 0
	v_pk_min_f16 v12, v17, v40
	v_pk_add_f16 v44, v65, 0
	v_pk_add_f16 v23, v11, v12
	;; [unrolled: 1-line block ×3, first 2 shown]
	v_pk_min_f16 v12, v17, v41
	v_pk_add_f16 v45, v66, 0
	v_pk_add_f16 v16, v11, v12
	;; [unrolled: 1-line block ×3, first 2 shown]
	v_pk_min_f16 v12, v17, v42
	v_pk_min_f16 v17, v19, v39
	v_pk_add_f16 v11, v11, v12
	v_pk_add_f16 v12, v55, 0
	v_pk_min_f16 v20, v29, v39
	v_pk_add_f16 v56, v12, v17
	v_pk_add_f16 v12, v57, 0
	;; [unrolled: 3-line block ×3, first 2 shown]
	v_pk_add_f16 v12, v58, 0
	v_pk_min_f16 v17, v19, v41
	v_pk_min_f16 v19, v19, v42
	v_pk_add_f16 v17, v12, v17
	v_pk_add_f16 v12, v22, 0
	;; [unrolled: 1-line block ×8, first 2 shown]
	v_pk_min_f16 v20, v29, v40
	v_pk_add_f16 v30, v30, 0
	v_pk_add_f16 v50, v19, v20
	;; [unrolled: 1-line block ×3, first 2 shown]
	v_pk_min_f16 v20, v29, v41
	v_pk_min_f16 v29, v29, v42
	v_pk_add_f16 v22, v19, v20
	v_pk_add_f16 v19, v28, 0
	;; [unrolled: 1-line block ×4, first 2 shown]
	v_pk_min_f16 v29, v31, v39
	v_pk_add_f16 v28, v63, 0
	v_pk_add_f16 v60, v20, v29
	v_pk_min_f16 v20, v31, v40
	v_pk_add_f16 v2, v2, 0
	v_pk_add_f16 v58, v28, v20
	v_pk_min_f16 v28, v1, v39
	v_pk_min_f16 v20, v31, v41
	v_pk_add_f16 v61, v44, v28
	v_pk_min_f16 v28, v1, v40
	v_pk_add_f16 v55, v43, v20
	v_pk_add_f16 v59, v45, v28
	v_pk_min_f16 v28, v1, v41
	v_pk_min_f16 v1, v1, v42
	v_pk_min_f16 v20, v31, v42
	v_pk_add_f16 v57, v47, v28
	v_pk_add_f16 v47, v0, v1
	v_pk_min_f16 v0, v3, v42
	v_pk_add_f16 v20, v30, v20
	v_pk_add_f16 v45, v2, v0
	ds_write_b16 v36, v38 offset:2560
	ds_write_b16 v36, v37 offset:1024
	;; [unrolled: 1-line block ×3, first 2 shown]
	s_waitcnt lgkmcnt(0)
	s_barrier
	s_cbranch_scc1 .LBB238_11
; %bb.9:
	v_mov_b32_e32 v0, 0xa00
	v_lshl_add_u32 v40, v32, 3, v0
	v_mov_b32_e32 v0, 0x400
	v_lshl_add_u32 v41, v48, 3, v0
	v_and_b32_e32 v0, 3, v32
	v_add_u32_e32 v37, 0x800, v36
	v_add_u32_e32 v38, 0xa00, v36
	;; [unrolled: 1-line block ×3, first 2 shown]
	s_add_i32 s2, s10, -8
	v_lshlrev_b32_e32 v26, 1, v0
	v_lshl_add_u64 v[28:29], v[6:7], 1, s[12:13]
	v_lshl_add_u64 v[30:31], v[4:5], 1, s[12:13]
	s_mov_b32 s3, 0
.LBB238_10:                             ; =>This Inner Loop Header: Depth=1
	ds_read2_b64 v[4:7], v40 offset0:48 offset1:56
	ds_read2_b64 v[62:65], v41 offset1:32
	ds_read2_b64 v[66:69], v40 offset1:8
	ds_read2_b64 v[0:3], v41 offset0:64 offset1:96
	ds_read2_b64 v[70:73], v40 offset0:16 offset1:24
	;; [unrolled: 1-line block ×3, first 2 shown]
	s_waitcnt lgkmcnt(4)
	v_pk_max_f16 v42, v62, v62
	s_waitcnt lgkmcnt(3)
	v_pk_max_f16 v43, v66, v66
	v_pk_max_f16 v44, v63, v63
	;; [unrolled: 1-line block ×3, first 2 shown]
	s_waitcnt lgkmcnt(1)
	v_pk_max_f16 v69, v72, v72
	v_pk_max_f16 v4, v4, v4
	v_pk_max_f16 v5, v5, v5
	v_pk_max_f16 v64, v64, v64
	v_pk_max_f16 v65, v65, v65
	v_pk_max_f16 v0, v0, v0
	v_pk_max_f16 v1, v1, v1
	v_pk_max_f16 v2, v2, v2
	v_pk_max_f16 v3, v3, v3
	v_pk_max_f16 v62, v67, v67
	v_pk_max_f16 v63, v68, v68
	v_pk_max_f16 v67, v70, v70
	v_pk_max_f16 v68, v71, v71
	v_pk_max_f16 v70, v73, v73
	s_waitcnt lgkmcnt(0)
	v_pk_max_f16 v71, v74, v74
	v_pk_max_f16 v72, v75, v75
	;; [unrolled: 1-line block ×6, first 2 shown]
	v_pk_min_f16 v78, v69, v42
	v_pk_min_f16 v81, v4, v42
	;; [unrolled: 1-line block ×9, first 2 shown]
	v_lshl_add_u64 v[4:5], v[24:25], 0, v[26:27]
	v_pk_min_f16 v75, v43, v42
	v_pk_min_f16 v76, v63, v42
	;; [unrolled: 1-line block ×50, first 2 shown]
	v_pk_add_f16 v56, v56, v78
	v_lshl_add_u64 v[2:3], v[30:31], 0, v[26:27]
	flat_load_ushort v78, v[4:5] offset:16
	v_pk_min_f16 v112, v62, v1
	v_pk_min_f16 v113, v66, v1
	;; [unrolled: 1-line block ×5, first 2 shown]
	v_lshl_add_u64 v[0:1], v[28:29], 0, v[26:27]
	v_pk_add_f16 v9, v9, v43
	flat_load_ushort v43, v[2:3] offset:16
	v_pk_add_f16 v54, v54, v79
	flat_load_ushort v79, v[0:1] offset:16
	v_pk_add_f16 v21, v21, v42
	v_pk_add_f16 v42, v46, v83
	;; [unrolled: 1-line block ×6, first 2 shown]
	s_waitcnt vmcnt(0) lgkmcnt(0)
	ds_write_b16 v37, v78
	ds_write_b16 v36, v43
	ds_write_b16 v36, v79 offset:512
	s_waitcnt lgkmcnt(0)
	s_barrier
	flat_load_ushort v42, v[0:1] offset:24
	flat_load_ushort v43, v[2:3] offset:24
	;; [unrolled: 1-line block ×3, first 2 shown]
	v_pk_add_f16 v49, v49, v75
	v_pk_add_f16 v53, v53, v76
	;; [unrolled: 1-line block ×50, first 2 shown]
	ds_read2_b64 v[0:3], v35 offset0:48 offset1:56
	ds_read2_b64 v[20:23], v33 offset1:32
	ds_read2_b64 v[12:15], v33 offset0:64 offset1:96
	ds_read2_b64 v[16:19], v35 offset1:8
	ds_read2_b64 v[8:11], v35 offset0:16 offset1:24
	ds_read2_b64 v[4:7], v35 offset0:32 offset1:40
	v_pk_add_f16 v52, v52, v85
	v_pk_add_f16 v46, v60, v103
	;; [unrolled: 1-line block ×4, first 2 shown]
	s_waitcnt lgkmcnt(0)
	v_pk_max_f16 v20, v20, v20
	v_pk_max_f16 v78, v2, v2
	;; [unrolled: 1-line block ×12, first 2 shown]
	v_pk_add_f16 v56, v56, v101
	v_pk_max_f16 v2, v21, v21
	v_pk_max_f16 v0, v3, v3
	;; [unrolled: 1-line block ×12, first 2 shown]
	v_pk_min_f16 v94, v16, v20
	v_pk_min_f16 v95, v16, v22
	;; [unrolled: 1-line block ×64, first 2 shown]
	v_pk_add_f16 v6, v69, v114
	v_pk_add_f16 v69, v74, v115
	;; [unrolled: 1-line block ×23, first 2 shown]
	s_add_i32 s3, s3, 8
	v_pk_add_f16 v1, v46, v1
	v_pk_add_f16 v5, v49, v5
	;; [unrolled: 1-line block ×9, first 2 shown]
	v_lshl_add_u64 v[28:29], v[28:29], 0, 16
	v_lshl_add_u64 v[30:31], v[30:31], 0, 16
	;; [unrolled: 1-line block ×3, first 2 shown]
	s_cmp_ge_i32 s3, s2
	v_pk_add_f16 v21, v6, v92
	v_pk_add_f16 v13, v69, v117
	;; [unrolled: 1-line block ×32, first 2 shown]
	s_waitcnt vmcnt(0)
	ds_write_b16 v38, v44
	ds_write_b16 v39, v43
	ds_write_b16 v39, v42 offset:512
	s_waitcnt lgkmcnt(0)
	s_barrier
	s_cbranch_scc0 .LBB238_10
.LBB238_11:
	v_add_u32_e32 v38, 0x800, v34
	s_load_dwordx2 s[14:15], s[0:1], 0x70
	s_load_dword s10, s[0:1], 0x50
	s_load_dword s12, s[0:1], 0x68
	ds_read2_b64 v[0:3], v33 offset0:128 offset1:160
	ds_read2_b64 v[4:7], v38 offset0:112 offset1:120
	;; [unrolled: 1-line block ×4, first 2 shown]
	s_waitcnt lgkmcnt(0)
	s_lshl_b64 s[0:1], s[14:15], 1
	v_pk_max_f16 v0, v0, v0
	v_pk_max_f16 v6, v6, v6
	;; [unrolled: 1-line block ×3, first 2 shown]
	v_pk_min_f16 v28, v6, v0
	v_pk_min_f16 v33, v6, v2
	v_pk_add_f16 v21, v21, v28
	ds_read2_b64 v[28:31], v38 offset0:64 offset1:72
	v_pk_max_f16 v24, v24, v24
	v_pk_add_f16 v13, v13, v33
	v_pk_min_f16 v33, v6, v24
	v_pk_max_f16 v26, v26, v26
	v_pk_add_f16 v62, v8, v33
	s_waitcnt lgkmcnt(0)
	v_pk_max_f16 v8, v28, v28
	v_pk_max_f16 v4, v4, v4
	v_pk_min_f16 v33, v8, v2
	v_pk_min_f16 v28, v8, v0
	v_pk_add_f16 v18, v18, v33
	v_pk_min_f16 v33, v8, v24
	v_pk_min_f16 v8, v8, v26
	v_pk_add_f16 v28, v49, v28
	v_pk_add_f16 v49, v9, v8
	v_pk_max_f16 v8, v30, v30
	v_pk_add_f16 v14, v14, v33
	v_pk_min_f16 v9, v8, v0
	v_pk_max_f16 v3, v3, v3
	v_pk_add_f16 v30, v53, v9
	v_pk_min_f16 v9, v8, v2
	;; [unrolled: 3-line block ×3, first 2 shown]
	v_pk_min_f16 v8, v8, v26
	v_pk_add_f16 v63, v15, v9
	v_pk_add_f16 v64, v10, v8
	v_pk_max_f16 v8, v34, v34
	v_pk_max_f16 v15, v36, v36
	v_pk_min_f16 v9, v8, v0
	v_pk_min_f16 v33, v15, v24
	v_pk_add_f16 v51, v51, v9
	v_pk_min_f16 v9, v8, v2
	v_pk_add_f16 v67, v17, v33
	v_pk_add_f16 v23, v23, v9
	v_pk_min_f16 v9, v8, v24
	v_pk_min_f16 v8, v8, v26
	v_pk_add_f16 v16, v16, v9
	v_pk_add_f16 v65, v11, v8
	v_pk_min_f16 v8, v15, v0
	v_add_u32_e32 v32, s7, v32
	v_pk_add_f16 v56, v56, v8
	v_pk_min_f16 v8, v15, v2
	v_pk_min_f16 v15, v15, v26
	v_pk_add_f16 v66, v52, v8
	ds_read2_b64 v[8:11], v38 offset0:96 offset1:104
	v_pk_add_f16 v68, v12, v15
	v_pk_max_f16 v15, v27, v27
	s_add_u32 s4, s4, s0
	v_pk_min_f16 v87, v5, v3
	s_waitcnt lgkmcnt(0)
	v_pk_max_f16 v8, v8, v8
	v_pk_min_f16 v89, v5, v15
	v_pk_min_f16 v12, v8, v0
	v_add_u32_e32 v34, 8, v32
	v_pk_add_f16 v54, v54, v12
	v_pk_min_f16 v12, v8, v2
	v_add_u32_e32 v36, 16, v32
	v_pk_add_f16 v50, v50, v12
	v_pk_min_f16 v12, v8, v24
	v_pk_min_f16 v8, v8, v26
	v_pk_add_f16 v22, v22, v12
	v_pk_add_f16 v69, v19, v8
	v_pk_max_f16 v8, v10, v10
	v_add_u32_e32 v38, 24, v32
	v_pk_min_f16 v10, v8, v0
	v_pk_min_f16 v0, v4, v0
	v_pk_add_f16 v60, v60, v10
	v_pk_add_f16 v61, v61, v0
	v_pk_min_f16 v0, v4, v2
	v_pk_min_f16 v10, v8, v2
	v_pk_add_f16 v59, v59, v0
	v_pk_min_f16 v0, v4, v24
	v_pk_add_f16 v58, v58, v10
	v_pk_add_f16 v57, v57, v0
	v_pk_min_f16 v0, v4, v26
	v_pk_min_f16 v10, v8, v24
	v_pk_add_f16 v71, v47, v0
	v_pk_min_f16 v0, v6, v26
	v_pk_max_f16 v6, v25, v25
	v_pk_add_f16 v72, v45, v0
	v_pk_max_f16 v0, v1, v1
	v_pk_max_f16 v1, v7, v7
	;; [unrolled: 1-line block ×3, first 2 shown]
	v_pk_add_f16 v55, v55, v10
	v_pk_min_f16 v8, v8, v26
	v_pk_min_f16 v10, v7, v0
	;; [unrolled: 1-line block ×5, first 2 shown]
	v_pk_max_f16 v7, v31, v31
	v_pk_add_f16 v70, v20, v8
	v_pk_min_f16 v20, v7, v0
	v_pk_min_f16 v24, v7, v3
	v_pk_min_f16 v25, v7, v6
	v_pk_min_f16 v26, v7, v15
	v_pk_max_f16 v7, v35, v35
	v_pk_min_f16 v2, v1, v0
	v_pk_min_f16 v27, v7, v0
	v_pk_min_f16 v29, v7, v3
	v_pk_min_f16 v31, v7, v6
	v_pk_min_f16 v73, v7, v15
	v_pk_max_f16 v7, v37, v37
	v_pk_min_f16 v4, v1, v3
	;; [unrolled: 6-line block ×4, first 2 shown]
	v_pk_min_f16 v82, v7, v0
	v_pk_min_f16 v83, v7, v3
	;; [unrolled: 1-line block ×6, first 2 shown]
	v_add_u32_e32 v40, 32, v32
	v_add_u32_e32 v42, 40, v32
	;; [unrolled: 1-line block ×4, first 2 shown]
	v_cmp_neq_f16_e64 s[2:3], s11, 0
	s_addc_u32 s5, s5, s1
	v_ashrrev_i32_e32 v33, 31, v32
	v_ashrrev_i32_e32 v35, 31, v34
	;; [unrolled: 1-line block ×8, first 2 shown]
	v_add_u32_e32 v52, s6, v48
	s_mov_b64 s[6:7], 15
	v_pk_add_f16 v7, v21, v2
	v_pk_add_f16 v15, v13, v4
	v_pk_add_f16 v9, v62, v8
	v_pk_add_f16 v0, v28, v10
	v_pk_add_f16 v8, v18, v12
	v_pk_add_f16 v2, v14, v17
	v_pk_add_f16 v10, v49, v19
	v_pk_add_f16 v1, v30, v20
	v_pk_add_f16 v11, v53, v24
	v_pk_add_f16 v3, v63, v25
	v_pk_add_f16 v13, v64, v26
	v_pk_add_f16 v4, v51, v27
	v_pk_add_f16 v12, v23, v29
	v_pk_add_f16 v6, v16, v31
	v_pk_add_f16 v14, v65, v73
	v_pk_add_f16 v5, v56, v74
	v_pk_add_f16 v17, v66, v75
	v_pk_add_f16 v19, v67, v76
	v_pk_add_f16 v21, v68, v77
	v_pk_add_f16 v16, v54, v78
	v_pk_add_f16 v18, v50, v79
	v_pk_add_f16 v20, v22, v80
	v_pk_add_f16 v22, v69, v81
	v_pk_add_f16 v23, v60, v82
	v_pk_add_f16 v25, v58, v83
	v_pk_add_f16 v27, v55, v84
	v_pk_add_f16 v29, v70, v85
	v_pk_add_f16 v24, v61, v86
	v_pk_add_f16 v26, v59, v87
	v_pk_add_f16 v28, v57, v88
	v_pk_add_f16 v30, v71, v89
	v_pk_add_f16 v31, v72, v90
	s_branch .LBB238_13
.LBB238_12:                             ;   in Loop: Header=BB238_13 Depth=1
	s_add_i32 s0, s6, -1
	s_cmp_eq_u32 s0, 1
	s_cselect_b64 vcc, -1, 0
	s_cmp_eq_u32 s0, 2
	v_cndmask_b32_e32 v48, v0, v53, vcc
	s_cselect_b64 vcc, -1, 0
	s_cmp_eq_u32 s0, 3
	v_cndmask_b32_e32 v48, v48, v1, vcc
	;; [unrolled: 3-line block ×62, first 2 shown]
	s_cselect_b64 vcc, -1, 0
	s_cmp_eq_u32 s6, 1
	s_cselect_b64 s[0:1], -1, 0
	s_cmp_eq_u32 s6, 2
	v_cndmask_b32_e64 v49, v0, v53, s[0:1]
	s_cselect_b64 s[0:1], -1, 0
	s_cmp_eq_u32 s6, 3
	v_cndmask_b32_e64 v49, v49, v1, s[0:1]
	;; [unrolled: 3-line block ×61, first 2 shown]
	v_cndmask_b32_e32 v48, v48, v84, vcc
	s_cselect_b64 vcc, -1, 0
	s_cmp_eq_u32 s6, 63
	v_cndmask_b32_e32 v49, v49, v31, vcc
	s_cselect_b64 vcc, -1, 0
	v_cndmask_b32_e32 v49, v49, v84, vcc
	s_add_u32 s6, s6, 16
	v_add_f16_e32 v48, v48, v49
	s_addc_u32 s7, s7, 0
	v_add_f16_e32 v53, v48, v85
	v_lshl_add_u64 v[48:49], v[46:47], 1, v[50:51]
	s_cmpk_lg_i32 s6, 0x4f
	v_add_u32_e32 v52, 32, v52
	flat_store_short v[48:49], v53
	s_cbranch_scc0 .LBB238_29
.LBB238_13:                             ; =>This Inner Loop Header: Depth=1
	v_mad_i64_i32 v[48:49], s[0:1], v52, s10, 0
	v_cndmask_b32_e64 v50, 0, 1, s[2:3]
	v_lshl_add_u64 v[48:49], v[48:49], 1, s[8:9]
	v_mov_b32_e32 v85, 0
	v_cmp_ne_u32_e64 s[0:1], 1, v50
	s_andn2_b64 vcc, exec, s[2:3]
	v_mov_b32_e32 v50, 0
	s_cbranch_vccnz .LBB238_15
; %bb.14:                               ;   in Loop: Header=BB238_13 Depth=1
	v_lshl_add_u64 v[50:51], v[32:33], 1, v[48:49]
	flat_load_ushort v50, v[50:51]
	s_waitcnt vmcnt(0) lgkmcnt(0)
	v_mul_f16_e32 v50, s11, v50
.LBB238_15:                             ;   in Loop: Header=BB238_13 Depth=1
	s_add_i32 s13, s6, -15
	s_cmp_eq_u32 s13, 1
	v_lshrrev_b32_e32 v53, 16, v0
	s_cselect_b64 vcc, -1, 0
	s_cmp_eq_u32 s13, 2
	v_cndmask_b32_e32 v51, v0, v53, vcc
	s_cselect_b64 vcc, -1, 0
	s_cmp_eq_u32 s13, 3
	v_cndmask_b32_e32 v51, v51, v1, vcc
	v_lshrrev_b32_e32 v54, 16, v1
	s_cselect_b64 vcc, -1, 0
	s_cmp_eq_u32 s13, 4
	v_cndmask_b32_e32 v51, v51, v54, vcc
	s_cselect_b64 vcc, -1, 0
	s_cmp_eq_u32 s13, 5
	v_cndmask_b32_e32 v51, v51, v4, vcc
	;; [unrolled: 7-line block ×31, first 2 shown]
	s_cselect_b64 vcc, -1, 0
	s_add_i32 s13, s6, -14
	v_lshrrev_b32_e32 v84, 16, v31
	s_cmp_eq_u32 s13, 1
	v_cndmask_b32_e32 v51, v51, v84, vcc
	s_cselect_b64 vcc, -1, 0
	s_cmp_eq_u32 s13, 2
	v_cndmask_b32_e32 v86, v0, v53, vcc
	s_cselect_b64 vcc, -1, 0
	;; [unrolled: 3-line block ×63, first 2 shown]
	v_cndmask_b32_e32 v86, v86, v84, vcc
	v_add_f16_e32 v51, v51, v86
	v_add_f16_e32 v88, v51, v50
	v_mad_i64_i32 v[50:51], s[14:15], v52, s12, 0
	v_lshl_add_u64 v[50:51], v[50:51], 1, s[4:5]
	v_lshl_add_u64 v[86:87], v[32:33], 1, v[50:51]
	s_and_b64 vcc, exec, s[0:1]
	flat_store_short v[86:87], v88
	s_cbranch_vccnz .LBB238_17
; %bb.16:                               ;   in Loop: Header=BB238_13 Depth=1
	v_lshl_add_u64 v[86:87], v[34:35], 1, v[48:49]
	flat_load_ushort v85, v[86:87]
	s_waitcnt vmcnt(0) lgkmcnt(0)
	v_mul_f16_e32 v85, s11, v85
.LBB238_17:                             ;   in Loop: Header=BB238_13 Depth=1
	s_add_i32 s13, s6, -13
	s_cmp_eq_u32 s13, 1
	s_cselect_b64 vcc, -1, 0
	s_cmp_eq_u32 s13, 2
	v_cndmask_b32_e32 v86, v0, v53, vcc
	s_cselect_b64 vcc, -1, 0
	s_cmp_eq_u32 s13, 3
	v_cndmask_b32_e32 v86, v86, v1, vcc
	;; [unrolled: 3-line block ×62, first 2 shown]
	s_cselect_b64 vcc, -1, 0
	s_add_i32 s13, s6, -12
	s_cmp_eq_u32 s13, 1
	v_cndmask_b32_e32 v86, v86, v84, vcc
	s_cselect_b64 vcc, -1, 0
	s_cmp_eq_u32 s13, 2
	v_cndmask_b32_e32 v87, v0, v53, vcc
	s_cselect_b64 vcc, -1, 0
	s_cmp_eq_u32 s13, 3
	v_cndmask_b32_e32 v87, v87, v1, vcc
	s_cselect_b64 vcc, -1, 0
	s_cmp_eq_u32 s13, 4
	v_cndmask_b32_e32 v87, v87, v54, vcc
	s_cselect_b64 vcc, -1, 0
	s_cmp_eq_u32 s13, 5
	v_cndmask_b32_e32 v87, v87, v4, vcc
	s_cselect_b64 vcc, -1, 0
	s_cmp_eq_u32 s13, 6
	v_cndmask_b32_e32 v87, v87, v55, vcc
	s_cselect_b64 vcc, -1, 0
	s_cmp_eq_u32 s13, 7
	v_cndmask_b32_e32 v87, v87, v5, vcc
	s_cselect_b64 vcc, -1, 0
	s_cmp_eq_u32 s13, 8
	v_cndmask_b32_e32 v87, v87, v56, vcc
	s_cselect_b64 vcc, -1, 0
	s_cmp_eq_u32 s13, 9
	v_cndmask_b32_e32 v87, v87, v16, vcc
	s_cselect_b64 vcc, -1, 0
	s_cmp_eq_u32 s13, 10
	v_cndmask_b32_e32 v87, v87, v57, vcc
	s_cselect_b64 vcc, -1, 0
	s_cmp_eq_u32 s13, 11
	v_cndmask_b32_e32 v87, v87, v23, vcc
	s_cselect_b64 vcc, -1, 0
	s_cmp_eq_u32 s13, 12
	v_cndmask_b32_e32 v87, v87, v58, vcc
	s_cselect_b64 vcc, -1, 0
	s_cmp_eq_u32 s13, 13
	v_cndmask_b32_e32 v87, v87, v24, vcc
	s_cselect_b64 vcc, -1, 0
	s_cmp_eq_u32 s13, 14
	v_cndmask_b32_e32 v87, v87, v59, vcc
	s_cselect_b64 vcc, -1, 0
	s_cmp_eq_u32 s13, 15
	v_cndmask_b32_e32 v87, v87, v7, vcc
	s_cselect_b64 vcc, -1, 0
	s_cmp_eq_u32 s13, 16
	v_cndmask_b32_e32 v87, v87, v60, vcc
	s_cselect_b64 vcc, -1, 0
	s_cmp_eq_u32 s13, 17
	v_cndmask_b32_e32 v87, v87, v8, vcc
	s_cselect_b64 vcc, -1, 0
	s_cmp_eq_u32 s13, 18
	v_cndmask_b32_e32 v87, v87, v61, vcc
	s_cselect_b64 vcc, -1, 0
	s_cmp_eq_u32 s13, 19
	v_cndmask_b32_e32 v87, v87, v11, vcc
	s_cselect_b64 vcc, -1, 0
	s_cmp_eq_u32 s13, 20
	v_cndmask_b32_e32 v87, v87, v62, vcc
	s_cselect_b64 vcc, -1, 0
	s_cmp_eq_u32 s13, 21
	v_cndmask_b32_e32 v87, v87, v12, vcc
	s_cselect_b64 vcc, -1, 0
	s_cmp_eq_u32 s13, 22
	v_cndmask_b32_e32 v87, v87, v63, vcc
	s_cselect_b64 vcc, -1, 0
	s_cmp_eq_u32 s13, 23
	v_cndmask_b32_e32 v87, v87, v17, vcc
	s_cselect_b64 vcc, -1, 0
	s_cmp_eq_u32 s13, 24
	v_cndmask_b32_e32 v87, v87, v64, vcc
	s_cselect_b64 vcc, -1, 0
	s_cmp_eq_u32 s13, 25
	v_cndmask_b32_e32 v87, v87, v18, vcc
	s_cselect_b64 vcc, -1, 0
	s_cmp_eq_u32 s13, 26
	v_cndmask_b32_e32 v87, v87, v65, vcc
	s_cselect_b64 vcc, -1, 0
	s_cmp_eq_u32 s13, 27
	v_cndmask_b32_e32 v87, v87, v25, vcc
	s_cselect_b64 vcc, -1, 0
	s_cmp_eq_u32 s13, 28
	v_cndmask_b32_e32 v87, v87, v66, vcc
	s_cselect_b64 vcc, -1, 0
	s_cmp_eq_u32 s13, 29
	v_cndmask_b32_e32 v87, v87, v26, vcc
	s_cselect_b64 vcc, -1, 0
	s_cmp_eq_u32 s13, 30
	v_cndmask_b32_e32 v87, v87, v67, vcc
	s_cselect_b64 vcc, -1, 0
	s_cmp_eq_u32 s13, 31
	v_cndmask_b32_e32 v87, v87, v15, vcc
	s_cselect_b64 vcc, -1, 0
	s_cmp_eq_u32 s13, 32
	v_cndmask_b32_e32 v87, v87, v68, vcc
	s_cselect_b64 vcc, -1, 0
	s_cmp_eq_u32 s13, 33
	v_cndmask_b32_e32 v87, v87, v2, vcc
	s_cselect_b64 vcc, -1, 0
	s_cmp_eq_u32 s13, 34
	v_cndmask_b32_e32 v87, v87, v69, vcc
	s_cselect_b64 vcc, -1, 0
	s_cmp_eq_u32 s13, 35
	v_cndmask_b32_e32 v87, v87, v3, vcc
	s_cselect_b64 vcc, -1, 0
	s_cmp_eq_u32 s13, 36
	v_cndmask_b32_e32 v87, v87, v70, vcc
	s_cselect_b64 vcc, -1, 0
	s_cmp_eq_u32 s13, 37
	v_cndmask_b32_e32 v87, v87, v6, vcc
	s_cselect_b64 vcc, -1, 0
	s_cmp_eq_u32 s13, 38
	v_cndmask_b32_e32 v87, v87, v71, vcc
	s_cselect_b64 vcc, -1, 0
	s_cmp_eq_u32 s13, 39
	v_cndmask_b32_e32 v87, v87, v19, vcc
	s_cselect_b64 vcc, -1, 0
	s_cmp_eq_u32 s13, 40
	v_cndmask_b32_e32 v87, v87, v72, vcc
	s_cselect_b64 vcc, -1, 0
	s_cmp_eq_u32 s13, 41
	v_cndmask_b32_e32 v87, v87, v20, vcc
	s_cselect_b64 vcc, -1, 0
	s_cmp_eq_u32 s13, 42
	v_cndmask_b32_e32 v87, v87, v73, vcc
	s_cselect_b64 vcc, -1, 0
	s_cmp_eq_u32 s13, 43
	v_cndmask_b32_e32 v87, v87, v27, vcc
	s_cselect_b64 vcc, -1, 0
	s_cmp_eq_u32 s13, 44
	v_cndmask_b32_e32 v87, v87, v74, vcc
	s_cselect_b64 vcc, -1, 0
	s_cmp_eq_u32 s13, 45
	v_cndmask_b32_e32 v87, v87, v28, vcc
	s_cselect_b64 vcc, -1, 0
	s_cmp_eq_u32 s13, 46
	v_cndmask_b32_e32 v87, v87, v75, vcc
	s_cselect_b64 vcc, -1, 0
	s_cmp_eq_u32 s13, 47
	v_cndmask_b32_e32 v87, v87, v9, vcc
	s_cselect_b64 vcc, -1, 0
	s_cmp_eq_u32 s13, 48
	v_cndmask_b32_e32 v87, v87, v76, vcc
	s_cselect_b64 vcc, -1, 0
	s_cmp_eq_u32 s13, 49
	v_cndmask_b32_e32 v87, v87, v10, vcc
	s_cselect_b64 vcc, -1, 0
	s_cmp_eq_u32 s13, 50
	v_cndmask_b32_e32 v87, v87, v77, vcc
	s_cselect_b64 vcc, -1, 0
	s_cmp_eq_u32 s13, 51
	v_cndmask_b32_e32 v87, v87, v13, vcc
	s_cselect_b64 vcc, -1, 0
	s_cmp_eq_u32 s13, 52
	v_cndmask_b32_e32 v87, v87, v78, vcc
	s_cselect_b64 vcc, -1, 0
	s_cmp_eq_u32 s13, 53
	v_cndmask_b32_e32 v87, v87, v14, vcc
	s_cselect_b64 vcc, -1, 0
	s_cmp_eq_u32 s13, 54
	v_cndmask_b32_e32 v87, v87, v79, vcc
	s_cselect_b64 vcc, -1, 0
	s_cmp_eq_u32 s13, 55
	v_cndmask_b32_e32 v87, v87, v21, vcc
	s_cselect_b64 vcc, -1, 0
	s_cmp_eq_u32 s13, 56
	v_cndmask_b32_e32 v87, v87, v80, vcc
	s_cselect_b64 vcc, -1, 0
	s_cmp_eq_u32 s13, 57
	v_cndmask_b32_e32 v87, v87, v22, vcc
	s_cselect_b64 vcc, -1, 0
	s_cmp_eq_u32 s13, 58
	v_cndmask_b32_e32 v87, v87, v81, vcc
	s_cselect_b64 vcc, -1, 0
	s_cmp_eq_u32 s13, 59
	v_cndmask_b32_e32 v87, v87, v29, vcc
	s_cselect_b64 vcc, -1, 0
	s_cmp_eq_u32 s13, 60
	v_cndmask_b32_e32 v87, v87, v82, vcc
	s_cselect_b64 vcc, -1, 0
	s_cmp_eq_u32 s13, 61
	v_cndmask_b32_e32 v87, v87, v30, vcc
	s_cselect_b64 vcc, -1, 0
	s_cmp_eq_u32 s13, 62
	v_cndmask_b32_e32 v87, v87, v83, vcc
	s_cselect_b64 vcc, -1, 0
	s_cmp_eq_u32 s13, 63
	v_cndmask_b32_e32 v87, v87, v31, vcc
	s_cselect_b64 vcc, -1, 0
	v_cndmask_b32_e32 v87, v87, v84, vcc
	v_add_f16_e32 v86, v86, v87
	v_add_f16_e32 v85, v86, v85
	v_lshl_add_u64 v[86:87], v[34:35], 1, v[50:51]
	flat_store_short v[86:87], v85
	s_and_b64 vcc, exec, s[0:1]
	v_mov_b32_e32 v85, 0
	v_mov_b32_e32 v86, 0
	s_cbranch_vccnz .LBB238_19
; %bb.18:                               ;   in Loop: Header=BB238_13 Depth=1
	v_lshl_add_u64 v[86:87], v[36:37], 1, v[48:49]
	flat_load_ushort v86, v[86:87]
	s_waitcnt vmcnt(0) lgkmcnt(0)
	v_mul_f16_e32 v86, s11, v86
.LBB238_19:                             ;   in Loop: Header=BB238_13 Depth=1
	s_add_i32 s13, s6, -11
	s_cmp_eq_u32 s13, 1
	s_cselect_b64 vcc, -1, 0
	s_cmp_eq_u32 s13, 2
	v_cndmask_b32_e32 v87, v0, v53, vcc
	s_cselect_b64 vcc, -1, 0
	s_cmp_eq_u32 s13, 3
	v_cndmask_b32_e32 v87, v87, v1, vcc
	;; [unrolled: 3-line block ×62, first 2 shown]
	s_cselect_b64 vcc, -1, 0
	s_add_i32 s13, s6, -10
	s_cmp_eq_u32 s13, 1
	v_cndmask_b32_e32 v87, v87, v84, vcc
	s_cselect_b64 vcc, -1, 0
	s_cmp_eq_u32 s13, 2
	v_cndmask_b32_e32 v88, v0, v53, vcc
	s_cselect_b64 vcc, -1, 0
	;; [unrolled: 3-line block ×63, first 2 shown]
	v_cndmask_b32_e32 v88, v88, v84, vcc
	v_add_f16_e32 v87, v87, v88
	v_add_f16_e32 v88, v87, v86
	v_lshl_add_u64 v[86:87], v[36:37], 1, v[50:51]
	s_and_b64 vcc, exec, s[0:1]
	flat_store_short v[86:87], v88
	s_cbranch_vccnz .LBB238_21
; %bb.20:                               ;   in Loop: Header=BB238_13 Depth=1
	v_lshl_add_u64 v[86:87], v[38:39], 1, v[48:49]
	flat_load_ushort v85, v[86:87]
	s_waitcnt vmcnt(0) lgkmcnt(0)
	v_mul_f16_e32 v85, s11, v85
.LBB238_21:                             ;   in Loop: Header=BB238_13 Depth=1
	s_add_i32 s13, s6, -9
	s_cmp_eq_u32 s13, 1
	s_cselect_b64 vcc, -1, 0
	s_cmp_eq_u32 s13, 2
	v_cndmask_b32_e32 v86, v0, v53, vcc
	s_cselect_b64 vcc, -1, 0
	s_cmp_eq_u32 s13, 3
	v_cndmask_b32_e32 v86, v86, v1, vcc
	;; [unrolled: 3-line block ×62, first 2 shown]
	s_cselect_b64 vcc, -1, 0
	s_add_i32 s13, s6, -8
	s_cmp_eq_u32 s13, 1
	v_cndmask_b32_e32 v86, v86, v84, vcc
	s_cselect_b64 vcc, -1, 0
	s_cmp_eq_u32 s13, 2
	v_cndmask_b32_e32 v87, v0, v53, vcc
	s_cselect_b64 vcc, -1, 0
	;; [unrolled: 3-line block ×63, first 2 shown]
	v_cndmask_b32_e32 v87, v87, v84, vcc
	v_add_f16_e32 v86, v86, v87
	v_add_f16_e32 v85, v86, v85
	v_lshl_add_u64 v[86:87], v[38:39], 1, v[50:51]
	flat_store_short v[86:87], v85
	s_and_b64 vcc, exec, s[0:1]
	v_mov_b32_e32 v85, 0
	v_mov_b32_e32 v86, 0
	s_cbranch_vccnz .LBB238_23
; %bb.22:                               ;   in Loop: Header=BB238_13 Depth=1
	v_lshl_add_u64 v[86:87], v[40:41], 1, v[48:49]
	flat_load_ushort v86, v[86:87]
	s_waitcnt vmcnt(0) lgkmcnt(0)
	v_mul_f16_e32 v86, s11, v86
.LBB238_23:                             ;   in Loop: Header=BB238_13 Depth=1
	s_add_i32 s13, s6, -7
	s_cmp_eq_u32 s13, 1
	s_cselect_b64 vcc, -1, 0
	s_cmp_eq_u32 s13, 2
	v_cndmask_b32_e32 v87, v0, v53, vcc
	s_cselect_b64 vcc, -1, 0
	s_cmp_eq_u32 s13, 3
	v_cndmask_b32_e32 v87, v87, v1, vcc
	;; [unrolled: 3-line block ×62, first 2 shown]
	s_cselect_b64 vcc, -1, 0
	s_add_i32 s13, s6, -6
	s_cmp_eq_u32 s13, 1
	v_cndmask_b32_e32 v87, v87, v84, vcc
	s_cselect_b64 vcc, -1, 0
	s_cmp_eq_u32 s13, 2
	v_cndmask_b32_e32 v88, v0, v53, vcc
	s_cselect_b64 vcc, -1, 0
	;; [unrolled: 3-line block ×63, first 2 shown]
	v_cndmask_b32_e32 v88, v88, v84, vcc
	v_add_f16_e32 v87, v87, v88
	v_add_f16_e32 v88, v87, v86
	v_lshl_add_u64 v[86:87], v[40:41], 1, v[50:51]
	s_and_b64 vcc, exec, s[0:1]
	flat_store_short v[86:87], v88
	s_cbranch_vccnz .LBB238_25
; %bb.24:                               ;   in Loop: Header=BB238_13 Depth=1
	v_lshl_add_u64 v[86:87], v[42:43], 1, v[48:49]
	flat_load_ushort v85, v[86:87]
	s_waitcnt vmcnt(0) lgkmcnt(0)
	v_mul_f16_e32 v85, s11, v85
.LBB238_25:                             ;   in Loop: Header=BB238_13 Depth=1
	s_add_i32 s13, s6, -5
	s_cmp_eq_u32 s13, 1
	s_cselect_b64 vcc, -1, 0
	s_cmp_eq_u32 s13, 2
	v_cndmask_b32_e32 v86, v0, v53, vcc
	s_cselect_b64 vcc, -1, 0
	s_cmp_eq_u32 s13, 3
	v_cndmask_b32_e32 v86, v86, v1, vcc
	;; [unrolled: 3-line block ×62, first 2 shown]
	s_cselect_b64 vcc, -1, 0
	s_add_i32 s13, s6, -4
	s_cmp_eq_u32 s13, 1
	v_cndmask_b32_e32 v86, v86, v84, vcc
	s_cselect_b64 vcc, -1, 0
	s_cmp_eq_u32 s13, 2
	v_cndmask_b32_e32 v87, v0, v53, vcc
	s_cselect_b64 vcc, -1, 0
	;; [unrolled: 3-line block ×63, first 2 shown]
	v_cndmask_b32_e32 v87, v87, v84, vcc
	v_add_f16_e32 v86, v86, v87
	v_add_f16_e32 v85, v86, v85
	v_lshl_add_u64 v[86:87], v[42:43], 1, v[50:51]
	flat_store_short v[86:87], v85
	s_and_b64 vcc, exec, s[0:1]
	v_mov_b32_e32 v85, 0
	v_mov_b32_e32 v86, 0
	s_cbranch_vccnz .LBB238_27
; %bb.26:                               ;   in Loop: Header=BB238_13 Depth=1
	v_lshl_add_u64 v[86:87], v[44:45], 1, v[48:49]
	flat_load_ushort v86, v[86:87]
	s_waitcnt vmcnt(0) lgkmcnt(0)
	v_mul_f16_e32 v86, s11, v86
.LBB238_27:                             ;   in Loop: Header=BB238_13 Depth=1
	s_add_i32 s13, s6, -3
	s_cmp_eq_u32 s13, 1
	s_cselect_b64 vcc, -1, 0
	s_cmp_eq_u32 s13, 2
	v_cndmask_b32_e32 v87, v0, v53, vcc
	s_cselect_b64 vcc, -1, 0
	s_cmp_eq_u32 s13, 3
	v_cndmask_b32_e32 v87, v87, v1, vcc
	;; [unrolled: 3-line block ×62, first 2 shown]
	s_cselect_b64 vcc, -1, 0
	s_add_i32 s13, s6, -2
	s_cmp_eq_u32 s13, 1
	v_cndmask_b32_e32 v87, v87, v84, vcc
	s_cselect_b64 vcc, -1, 0
	s_cmp_eq_u32 s13, 2
	v_cndmask_b32_e32 v88, v0, v53, vcc
	s_cselect_b64 vcc, -1, 0
	;; [unrolled: 3-line block ×63, first 2 shown]
	v_cndmask_b32_e32 v88, v88, v84, vcc
	v_add_f16_e32 v87, v87, v88
	v_add_f16_e32 v88, v87, v86
	v_lshl_add_u64 v[86:87], v[44:45], 1, v[50:51]
	s_and_b64 vcc, exec, s[0:1]
	flat_store_short v[86:87], v88
	s_cbranch_vccnz .LBB238_12
; %bb.28:                               ;   in Loop: Header=BB238_13 Depth=1
	v_lshl_add_u64 v[48:49], v[46:47], 1, v[48:49]
	flat_load_ushort v48, v[48:49]
	s_waitcnt vmcnt(0) lgkmcnt(0)
	v_mul_f16_e32 v85, s11, v48
	s_branch .LBB238_12
.LBB238_29:
	s_endpgm
	.section	.rodata,"a",@progbits
	.p2align	6, 0x0
	.amdhsa_kernel _ZN12_GLOBAL__N_120geam_min_plus_kernelIDF16_Dv2_DF16_S1_Li8ELi32ELi64ELi128ELi4ELi4ELi64ELi4ELi64ELc84ELc78ELb1ELb0ELb0EDF16_KPKDF16_KPDF16_EEviiiT16_PT17_ilS9_ilS7_S9_ilPT18_ili26rocblas_geam_ex_operation_
		.amdhsa_group_segment_fixed_size 3072
		.amdhsa_private_segment_fixed_size 0
		.amdhsa_kernarg_size 128
		.amdhsa_user_sgpr_count 2
		.amdhsa_user_sgpr_dispatch_ptr 0
		.amdhsa_user_sgpr_queue_ptr 0
		.amdhsa_user_sgpr_kernarg_segment_ptr 1
		.amdhsa_user_sgpr_dispatch_id 0
		.amdhsa_user_sgpr_kernarg_preload_length 0
		.amdhsa_user_sgpr_kernarg_preload_offset 0
		.amdhsa_user_sgpr_private_segment_size 0
		.amdhsa_uses_dynamic_stack 0
		.amdhsa_enable_private_segment 0
		.amdhsa_system_sgpr_workgroup_id_x 1
		.amdhsa_system_sgpr_workgroup_id_y 0
		.amdhsa_system_sgpr_workgroup_id_z 1
		.amdhsa_system_sgpr_workgroup_info 0
		.amdhsa_system_vgpr_workitem_id 1
		.amdhsa_next_free_vgpr 126
		.amdhsa_next_free_sgpr 20
		.amdhsa_accum_offset 128
		.amdhsa_reserve_vcc 1
		.amdhsa_float_round_mode_32 0
		.amdhsa_float_round_mode_16_64 0
		.amdhsa_float_denorm_mode_32 3
		.amdhsa_float_denorm_mode_16_64 3
		.amdhsa_dx10_clamp 1
		.amdhsa_ieee_mode 1
		.amdhsa_fp16_overflow 0
		.amdhsa_tg_split 0
		.amdhsa_exception_fp_ieee_invalid_op 0
		.amdhsa_exception_fp_denorm_src 0
		.amdhsa_exception_fp_ieee_div_zero 0
		.amdhsa_exception_fp_ieee_overflow 0
		.amdhsa_exception_fp_ieee_underflow 0
		.amdhsa_exception_fp_ieee_inexact 0
		.amdhsa_exception_int_div_zero 0
	.end_amdhsa_kernel
	.section	.text._ZN12_GLOBAL__N_120geam_min_plus_kernelIDF16_Dv2_DF16_S1_Li8ELi32ELi64ELi128ELi4ELi4ELi64ELi4ELi64ELc84ELc78ELb1ELb0ELb0EDF16_KPKDF16_KPDF16_EEviiiT16_PT17_ilS9_ilS7_S9_ilPT18_ili26rocblas_geam_ex_operation_,"axG",@progbits,_ZN12_GLOBAL__N_120geam_min_plus_kernelIDF16_Dv2_DF16_S1_Li8ELi32ELi64ELi128ELi4ELi4ELi64ELi4ELi64ELc84ELc78ELb1ELb0ELb0EDF16_KPKDF16_KPDF16_EEviiiT16_PT17_ilS9_ilS7_S9_ilPT18_ili26rocblas_geam_ex_operation_,comdat
.Lfunc_end238:
	.size	_ZN12_GLOBAL__N_120geam_min_plus_kernelIDF16_Dv2_DF16_S1_Li8ELi32ELi64ELi128ELi4ELi4ELi64ELi4ELi64ELc84ELc78ELb1ELb0ELb0EDF16_KPKDF16_KPDF16_EEviiiT16_PT17_ilS9_ilS7_S9_ilPT18_ili26rocblas_geam_ex_operation_, .Lfunc_end238-_ZN12_GLOBAL__N_120geam_min_plus_kernelIDF16_Dv2_DF16_S1_Li8ELi32ELi64ELi128ELi4ELi4ELi64ELi4ELi64ELc84ELc78ELb1ELb0ELb0EDF16_KPKDF16_KPDF16_EEviiiT16_PT17_ilS9_ilS7_S9_ilPT18_ili26rocblas_geam_ex_operation_
                                        ; -- End function
	.set _ZN12_GLOBAL__N_120geam_min_plus_kernelIDF16_Dv2_DF16_S1_Li8ELi32ELi64ELi128ELi4ELi4ELi64ELi4ELi64ELc84ELc78ELb1ELb0ELb0EDF16_KPKDF16_KPDF16_EEviiiT16_PT17_ilS9_ilS7_S9_ilPT18_ili26rocblas_geam_ex_operation_.num_vgpr, 126
	.set _ZN12_GLOBAL__N_120geam_min_plus_kernelIDF16_Dv2_DF16_S1_Li8ELi32ELi64ELi128ELi4ELi4ELi64ELi4ELi64ELc84ELc78ELb1ELb0ELb0EDF16_KPKDF16_KPDF16_EEviiiT16_PT17_ilS9_ilS7_S9_ilPT18_ili26rocblas_geam_ex_operation_.num_agpr, 0
	.set _ZN12_GLOBAL__N_120geam_min_plus_kernelIDF16_Dv2_DF16_S1_Li8ELi32ELi64ELi128ELi4ELi4ELi64ELi4ELi64ELc84ELc78ELb1ELb0ELb0EDF16_KPKDF16_KPDF16_EEviiiT16_PT17_ilS9_ilS7_S9_ilPT18_ili26rocblas_geam_ex_operation_.numbered_sgpr, 20
	.set _ZN12_GLOBAL__N_120geam_min_plus_kernelIDF16_Dv2_DF16_S1_Li8ELi32ELi64ELi128ELi4ELi4ELi64ELi4ELi64ELc84ELc78ELb1ELb0ELb0EDF16_KPKDF16_KPDF16_EEviiiT16_PT17_ilS9_ilS7_S9_ilPT18_ili26rocblas_geam_ex_operation_.num_named_barrier, 0
	.set _ZN12_GLOBAL__N_120geam_min_plus_kernelIDF16_Dv2_DF16_S1_Li8ELi32ELi64ELi128ELi4ELi4ELi64ELi4ELi64ELc84ELc78ELb1ELb0ELb0EDF16_KPKDF16_KPDF16_EEviiiT16_PT17_ilS9_ilS7_S9_ilPT18_ili26rocblas_geam_ex_operation_.private_seg_size, 0
	.set _ZN12_GLOBAL__N_120geam_min_plus_kernelIDF16_Dv2_DF16_S1_Li8ELi32ELi64ELi128ELi4ELi4ELi64ELi4ELi64ELc84ELc78ELb1ELb0ELb0EDF16_KPKDF16_KPDF16_EEviiiT16_PT17_ilS9_ilS7_S9_ilPT18_ili26rocblas_geam_ex_operation_.uses_vcc, 1
	.set _ZN12_GLOBAL__N_120geam_min_plus_kernelIDF16_Dv2_DF16_S1_Li8ELi32ELi64ELi128ELi4ELi4ELi64ELi4ELi64ELc84ELc78ELb1ELb0ELb0EDF16_KPKDF16_KPDF16_EEviiiT16_PT17_ilS9_ilS7_S9_ilPT18_ili26rocblas_geam_ex_operation_.uses_flat_scratch, 0
	.set _ZN12_GLOBAL__N_120geam_min_plus_kernelIDF16_Dv2_DF16_S1_Li8ELi32ELi64ELi128ELi4ELi4ELi64ELi4ELi64ELc84ELc78ELb1ELb0ELb0EDF16_KPKDF16_KPDF16_EEviiiT16_PT17_ilS9_ilS7_S9_ilPT18_ili26rocblas_geam_ex_operation_.has_dyn_sized_stack, 0
	.set _ZN12_GLOBAL__N_120geam_min_plus_kernelIDF16_Dv2_DF16_S1_Li8ELi32ELi64ELi128ELi4ELi4ELi64ELi4ELi64ELc84ELc78ELb1ELb0ELb0EDF16_KPKDF16_KPDF16_EEviiiT16_PT17_ilS9_ilS7_S9_ilPT18_ili26rocblas_geam_ex_operation_.has_recursion, 0
	.set _ZN12_GLOBAL__N_120geam_min_plus_kernelIDF16_Dv2_DF16_S1_Li8ELi32ELi64ELi128ELi4ELi4ELi64ELi4ELi64ELc84ELc78ELb1ELb0ELb0EDF16_KPKDF16_KPDF16_EEviiiT16_PT17_ilS9_ilS7_S9_ilPT18_ili26rocblas_geam_ex_operation_.has_indirect_call, 0
	.section	.AMDGPU.csdata,"",@progbits
; Kernel info:
; codeLenInByte = 19296
; TotalNumSgprs: 26
; NumVgprs: 126
; NumAgprs: 0
; TotalNumVgprs: 126
; ScratchSize: 0
; MemoryBound: 0
; FloatMode: 240
; IeeeMode: 1
; LDSByteSize: 3072 bytes/workgroup (compile time only)
; SGPRBlocks: 3
; VGPRBlocks: 15
; NumSGPRsForWavesPerEU: 26
; NumVGPRsForWavesPerEU: 126
; AccumOffset: 128
; Occupancy: 4
; WaveLimiterHint : 1
; COMPUTE_PGM_RSRC2:SCRATCH_EN: 0
; COMPUTE_PGM_RSRC2:USER_SGPR: 2
; COMPUTE_PGM_RSRC2:TRAP_HANDLER: 0
; COMPUTE_PGM_RSRC2:TGID_X_EN: 1
; COMPUTE_PGM_RSRC2:TGID_Y_EN: 0
; COMPUTE_PGM_RSRC2:TGID_Z_EN: 1
; COMPUTE_PGM_RSRC2:TIDIG_COMP_CNT: 1
; COMPUTE_PGM_RSRC3_GFX90A:ACCUM_OFFSET: 31
; COMPUTE_PGM_RSRC3_GFX90A:TG_SPLIT: 0
	.section	.text._ZN12_GLOBAL__N_120geam_min_plus_kernelIDF16_Dv2_DF16_S1_Li8ELi32ELi64ELi128ELi4ELi4ELi64ELi4ELi64ELc84ELc78ELb0ELb0ELb0EDF16_KPKDF16_KPDF16_EEviiiT16_PT17_ilS9_ilS7_S9_ilPT18_ili26rocblas_geam_ex_operation_,"axG",@progbits,_ZN12_GLOBAL__N_120geam_min_plus_kernelIDF16_Dv2_DF16_S1_Li8ELi32ELi64ELi128ELi4ELi4ELi64ELi4ELi64ELc84ELc78ELb0ELb0ELb0EDF16_KPKDF16_KPDF16_EEviiiT16_PT17_ilS9_ilS7_S9_ilPT18_ili26rocblas_geam_ex_operation_,comdat
	.globl	_ZN12_GLOBAL__N_120geam_min_plus_kernelIDF16_Dv2_DF16_S1_Li8ELi32ELi64ELi128ELi4ELi4ELi64ELi4ELi64ELc84ELc78ELb0ELb0ELb0EDF16_KPKDF16_KPDF16_EEviiiT16_PT17_ilS9_ilS7_S9_ilPT18_ili26rocblas_geam_ex_operation_ ; -- Begin function _ZN12_GLOBAL__N_120geam_min_plus_kernelIDF16_Dv2_DF16_S1_Li8ELi32ELi64ELi128ELi4ELi4ELi64ELi4ELi64ELc84ELc78ELb0ELb0ELb0EDF16_KPKDF16_KPDF16_EEviiiT16_PT17_ilS9_ilS7_S9_ilPT18_ili26rocblas_geam_ex_operation_
	.p2align	8
	.type	_ZN12_GLOBAL__N_120geam_min_plus_kernelIDF16_Dv2_DF16_S1_Li8ELi32ELi64ELi128ELi4ELi4ELi64ELi4ELi64ELc84ELc78ELb0ELb0ELb0EDF16_KPKDF16_KPDF16_EEviiiT16_PT17_ilS9_ilS7_S9_ilPT18_ili26rocblas_geam_ex_operation_,@function
_ZN12_GLOBAL__N_120geam_min_plus_kernelIDF16_Dv2_DF16_S1_Li8ELi32ELi64ELi128ELi4ELi4ELi64ELi4ELi64ELc84ELc78ELb0ELb0ELb0EDF16_KPKDF16_KPDF16_EEviiiT16_PT17_ilS9_ilS7_S9_ilPT18_ili26rocblas_geam_ex_operation_: ; @_ZN12_GLOBAL__N_120geam_min_plus_kernelIDF16_Dv2_DF16_S1_Li8ELi32ELi64ELi128ELi4ELi4ELi64ELi4ELi64ELc84ELc78ELb0ELb0ELb0EDF16_KPKDF16_KPDF16_EEviiiT16_PT17_ilS9_ilS7_S9_ilPT18_ili26rocblas_geam_ex_operation_
; %bb.0:
	s_load_dwordx2 s[14:15], s[0:1], 0x8
	s_load_dwordx4 s[8:11], s[0:1], 0x20
	s_mov_b32 s20, s3
	s_mov_b32 s21, 0
	s_waitcnt lgkmcnt(0)
	v_cmp_eq_f16_e64 s[4:5], s15, 0
	s_and_b64 s[6:7], exec, s[4:5]
	s_mov_b64 vcc, s[6:7]
	s_cbranch_vccnz .LBB239_3
; %bb.1:
	s_load_dwordx2 s[12:13], s[0:1], 0x10
	s_lshl_b64 s[16:17], s[20:21], 3
	s_waitcnt lgkmcnt(0)
	s_add_u32 s12, s12, s16
	s_addc_u32 s13, s13, s17
	s_load_dwordx2 s[12:13], s[12:13], 0x0
	s_lshl_b64 s[8:9], s[8:9], 1
	s_waitcnt lgkmcnt(0)
	s_add_u32 s16, s12, s8
	s_addc_u32 s17, s13, s9
	s_andn2_b64 vcc, exec, s[4:5]
	s_cbranch_vccnz .LBB239_4
.LBB239_2:
	s_mov_b32 s5, 0
	s_mov_b32 s4, s20
	s_mov_b64 s[12:13], 0
	s_mov_b64 s[18:19], 0
	s_cbranch_execz .LBB239_5
	s_branch .LBB239_6
.LBB239_3:
	s_mov_b64 s[16:17], 0
	s_andn2_b64 vcc, exec, s[4:5]
	s_cbranch_vccz .LBB239_2
.LBB239_4:
	s_mov_b64 s[4:5], s[20:21]
	s_mov_b64 s[12:13], 0
	;; [unrolled: 1-line block ×3, first 2 shown]
.LBB239_5:
	s_lshl_b64 s[18:19], s[20:21], 3
	s_add_u32 s10, s10, s18
	s_load_dwordx2 s[8:9], s[0:1], 0x38
	s_addc_u32 s11, s11, s19
	s_load_dwordx2 s[10:11], s[10:11], 0x0
	s_waitcnt lgkmcnt(0)
	s_lshl_b64 s[8:9], s[8:9], 1
	s_add_u32 s18, s10, s8
	s_addc_u32 s19, s11, s9
.LBB239_6:
	s_load_dword s22, s[0:1], 0x40
	s_load_dwordx4 s[8:11], s[0:1], 0x58
	v_cmp_neq_f16_e64 s[20:21], s15, 0
	s_waitcnt lgkmcnt(0)
	v_cmp_eq_f16_e64 s[24:25], s22, 0
	s_and_b64 vcc, exec, s[24:25]
	s_cbranch_vccnz .LBB239_8
; %bb.7:
	s_load_dwordx2 s[12:13], s[0:1], 0x48
	s_lshl_b64 s[24:25], s[4:5], 3
	s_waitcnt lgkmcnt(0)
	s_add_u32 s12, s12, s24
	s_addc_u32 s13, s13, s25
	s_load_dwordx2 s[12:13], s[12:13], 0x0
	s_lshl_b64 s[8:9], s[8:9], 1
	s_waitcnt lgkmcnt(0)
	s_add_u32 s12, s12, s8
	s_addc_u32 s13, s13, s9
.LBB239_8:
	s_load_dword s24, s[0:1], 0x0
	s_load_dword s23, s[0:1], 0x18
	;; [unrolled: 1-line block ×3, first 2 shown]
	s_lshl_b64 s[4:5], s[4:5], 3
	s_add_u32 s8, s10, s4
	s_addc_u32 s9, s11, s5
	s_waitcnt lgkmcnt(0)
	s_add_i32 s4, s24, -1
	s_ashr_i32 s5, s4, 31
	s_lshr_b32 s5, s5, 26
	s_add_i32 s4, s4, s5
	s_ashr_i32 s4, s4, 6
	s_add_i32 s5, s4, 1
	v_cvt_f32_u32_e32 v1, s5
	v_and_b32_e32 v38, 0x3ff, v0
	v_bfe_u32 v48, v0, 10, 10
	v_and_b32_e32 v9, 3, v0
	v_rcp_iflag_f32_e32 v1, v1
	s_not_b32 s4, s4
	v_mov_b32_e32 v7, 0
	v_mul_f32_e32 v0, 0x4f7ffffe, v1
	v_cvt_u32_f32_e32 v0, v0
	v_lshl_add_u32 v1, v48, 3, v38
	v_lshrrev_b32_e32 v10, 2, v1
	v_readfirstlane_b32 s10, v0
	s_mul_i32 s4, s4, s10
	s_mul_hi_u32 s4, s10, s4
	s_add_i32 s10, s10, s4
	s_mul_hi_u32 s4, s2, s10
	s_mul_i32 s10, s4, s5
	s_sub_i32 s10, s2, s10
	s_add_i32 s11, s4, 1
	s_sub_i32 s24, s10, s5
	s_cmp_ge_u32 s10, s5
	s_cselect_b32 s4, s11, s4
	s_cselect_b32 s10, s24, s10
	s_add_i32 s11, s4, 1
	s_cmp_ge_u32 s10, s5
	s_cselect_b32 s4, s11, s4
	s_mul_i32 s5, s4, s5
	s_sub_i32 s2, s2, s5
	s_lshl_b32 s10, s4, 7
	s_lshl_b32 s11, s2, 6
	v_cndmask_b32_e64 v0, 0, 1, s[20:21]
	v_add_u32_e32 v2, s10, v10
	v_cmp_ne_u32_e64 s[4:5], 1, v0
	s_andn2_b64 vcc, exec, s[20:21]
	v_add_u32_e32 v4, s11, v10
	v_lshlrev_b32_e32 v0, 1, v9
	v_add_u32_e32 v3, 64, v2
	s_cbranch_vccnz .LBB239_11
; %bb.9:
	v_mad_i64_i32 v[12:13], s[20:21], v4, s23, 0
	v_lshl_add_u64 v[12:13], v[12:13], 1, s[16:17]
	v_mov_b32_e32 v1, 0
	v_lshl_add_u64 v[12:13], v[12:13], 0, v[0:1]
	flat_load_ushort v5, v[12:13]
	v_lshl_add_u64 v[12:13], s[18:19], 0, v[0:1]
	v_mad_i64_i32 v[14:15], s[20:21], v2, s3, 0
	v_lshl_add_u64 v[14:15], v[14:15], 1, v[12:13]
	flat_load_ushort v1, v[14:15]
	v_mad_i64_i32 v[14:15], s[20:21], v3, s3, 0
	v_lshl_add_u64 v[12:13], v[14:15], 1, v[12:13]
	flat_load_ushort v6, v[12:13]
	s_waitcnt vmcnt(0) lgkmcnt(0)
	v_mul_f16_e32 v11, s15, v5
	v_mul_f16_e32 v1, s15, v1
	v_pack_b32_f16 v5, v1, 0
	v_mul_f16_e32 v6, s15, v6
	s_and_b64 vcc, exec, s[4:5]
	s_cbranch_vccnz .LBB239_12
.LBB239_10:
	v_mad_i64_i32 v[12:13], s[4:5], v4, s23, 0
	v_lshl_add_u64 v[12:13], v[12:13], 1, s[16:17]
	v_mov_b32_e32 v1, 0
	v_lshl_add_u64 v[12:13], v[12:13], 0, v[0:1]
	flat_load_ushort v7, v[12:13] offset:8
	v_lshl_add_u64 v[0:1], s[18:19], 0, v[0:1]
	v_mad_i64_i32 v[12:13], s[4:5], v2, s3, 0
	v_lshl_add_u64 v[12:13], v[12:13], 1, v[0:1]
	flat_load_ushort v8, v[12:13] offset:8
	v_mad_i64_i32 v[12:13], s[4:5], v3, s3, 0
	v_lshl_add_u64 v[0:1], v[12:13], 1, v[0:1]
	flat_load_ushort v0, v[0:1] offset:8
	s_waitcnt vmcnt(0) lgkmcnt(0)
	v_mul_f16_e32 v7, s15, v7
	v_mul_f16_e32 v1, s15, v8
	v_pack_b32_f16 v1, v1, 0
	v_mul_f16_e32 v8, s15, v0
	s_branch .LBB239_13
.LBB239_11:
	v_mov_b32_e32 v5, 0
	v_mov_b32_e32 v11, 0
	;; [unrolled: 1-line block ×3, first 2 shown]
	s_and_b64 vcc, exec, s[4:5]
	s_cbranch_vccz .LBB239_10
.LBB239_12:
	v_mov_b32_e32 v1, 0
	v_mov_b32_e32 v8, 0
.LBB239_13:
	v_lshlrev_b32_e32 v0, 3, v10
	v_lshl_or_b32 v41, v9, 1, v0
	v_lshlrev_b32_e32 v40, 3, v38
	v_lshlrev_b32_e32 v39, 3, v48
	s_load_dwordx2 s[4:5], s[8:9], 0x0
	ds_write_b16 v41, v11 offset:2048
	ds_write_b16 v41, v5
	ds_write_b16 v41, v6 offset:512
	s_waitcnt lgkmcnt(0)
	s_barrier
	ds_read2_b64 v[10:13], v39 offset1:32
	v_add_u32_e32 v42, 0x800, v40
	ds_read2_b64 v[14:17], v42 offset0:48 offset1:56
	ds_read2_b64 v[18:21], v39 offset0:64 offset1:96
	ds_read2_b64 v[22:25], v42 offset1:8
	ds_read2_b64 v[26:29], v42 offset0:16 offset1:24
	ds_read2_b64 v[30:33], v42 offset0:32 offset1:40
	s_waitcnt lgkmcnt(5)
	v_pk_max_f16 v0, v10, v10
	s_waitcnt lgkmcnt(4)
	v_pk_max_f16 v9, v16, v16
	v_pk_max_f16 v12, v12, v12
	v_pk_min_f16 v10, v9, v0
	s_waitcnt lgkmcnt(3)
	v_pk_max_f16 v16, v18, v18
	s_waitcnt lgkmcnt(2)
	v_pk_max_f16 v18, v22, v22
	v_pk_max_f16 v20, v20, v20
	;; [unrolled: 1-line block ×3, first 2 shown]
	s_waitcnt lgkmcnt(1)
	v_pk_max_f16 v26, v26, v26
	v_pk_max_f16 v28, v28, v28
	s_waitcnt lgkmcnt(0)
	v_pk_max_f16 v30, v30, v30
	v_pk_max_f16 v11, v11, v11
	v_pk_max_f16 v32, v32, v32
	v_pk_max_f16 v14, v14, v14
	v_pk_max_f16 v17, v17, v17
	v_pk_min_f16 v22, v18, v0
	v_pk_min_f16 v34, v18, v12
	;; [unrolled: 1-line block ×17, first 2 shown]
	v_pk_max_f16 v13, v13, v13
	v_pk_min_f16 v63, v30, v12
	v_pk_min_f16 v64, v30, v16
	;; [unrolled: 1-line block ×14, first 2 shown]
	v_pk_add_f16 v10, v10, 0
	v_pk_min_f16 v20, v17, v11
	v_pk_max_f16 v19, v19, v19
	v_pk_add_f16 v46, v10, v20
	v_pk_add_f16 v10, v43, 0
	v_pk_min_f16 v20, v17, v13
	v_pk_max_f16 v23, v23, v23
	v_pk_add_f16 v43, v10, v20
	;; [unrolled: 4-line block ×5, first 2 shown]
	v_pk_add_f16 v10, v35, 0
	v_pk_min_f16 v20, v23, v19
	v_pk_min_f16 v34, v29, v11
	v_pk_add_f16 v49, v10, v20
	v_pk_add_f16 v10, v18, 0
	v_pk_min_f16 v18, v23, v21
	v_pk_add_f16 v22, v28, 0
	v_pk_add_f16 v50, v10, v18
	v_pk_add_f16 v10, v36, 0
	v_pk_min_f16 v18, v25, v11
	v_pk_add_f16 v23, v62, 0
	;; [unrolled: 4-line block ×5, first 2 shown]
	v_pk_add_f16 v53, v10, v18
	v_pk_max_f16 v18, v27, v27
	v_pk_add_f16 v10, v54, 0
	v_pk_min_f16 v20, v18, v11
	v_pk_add_f16 v27, v65, 0
	v_pk_add_f16 v54, v10, v20
	;; [unrolled: 1-line block ×3, first 2 shown]
	v_pk_min_f16 v20, v18, v13
	v_pk_add_f16 v25, v64, 0
	v_pk_add_f16 v56, v10, v20
	;; [unrolled: 1-line block ×3, first 2 shown]
	v_pk_min_f16 v20, v18, v19
	v_pk_min_f16 v18, v18, v21
	v_pk_add_f16 v57, v10, v20
	v_pk_add_f16 v10, v26, 0
	;; [unrolled: 1-line block ×7, first 2 shown]
	v_pk_min_f16 v10, v29, v13
	v_pk_add_f16 v26, v30, 0
	v_pk_add_f16 v65, v18, v10
	v_pk_min_f16 v10, v29, v19
	v_pk_add_f16 v30, v67, 0
	v_pk_add_f16 v59, v20, v10
	;; [unrolled: 3-line block ×3, first 2 shown]
	v_pk_max_f16 v10, v31, v31
	v_pk_add_f16 v12, v12, 0
	v_pk_min_f16 v18, v10, v11
	v_pk_add_f16 v16, v16, 0
	v_pk_add_f16 v60, v23, v18
	v_pk_min_f16 v18, v10, v13
	v_pk_add_f16 v14, v14, 0
	v_pk_add_f16 v62, v24, v18
	v_pk_min_f16 v18, v10, v19
	v_pk_min_f16 v10, v10, v21
	v_pk_add_f16 v64, v25, v18
	v_pk_add_f16 v66, v26, v10
	v_pk_max_f16 v10, v33, v33
	v_pk_add_f16 v9, v9, 0
	v_pk_min_f16 v18, v10, v11
	s_cmp_lt_i32 s14, 9
	v_pk_add_f16 v67, v27, v18
	v_pk_min_f16 v18, v10, v13
	ds_write_b16 v41, v7 offset:2560
	ds_write_b16 v41, v1 offset:1024
	ds_write_b16 v41, v8 offset:1536
	v_pk_add_f16 v68, v28, v18
	v_pk_min_f16 v18, v10, v19
	v_pk_min_f16 v10, v10, v21
	v_pk_add_f16 v69, v30, v18
	v_pk_add_f16 v70, v32, v10
	v_pk_max_f16 v10, v15, v15
	s_waitcnt lgkmcnt(0)
	v_pk_min_f16 v11, v10, v11
	s_barrier
	v_pk_add_f16 v71, v0, v11
	v_pk_min_f16 v0, v10, v13
	s_nop 0
	v_pk_add_f16 v72, v12, v0
	v_pk_min_f16 v0, v10, v19
	s_nop 0
	;; [unrolled: 3-line block ×4, first 2 shown]
	v_pk_add_f16 v75, v9, v0
	s_cbranch_scc1 .LBB239_24
; %bb.14:
	s_mov_b32 s9, 0x5040100
	v_perm_b32 v86, v8, v1, s9
	v_mov_b32_e32 v1, 0xa00
	v_perm_b32 v0, v6, v5, s9
	v_mad_i64_i32 v[4:5], s[20:21], v4, s23, 0
	v_lshl_add_u32 v79, v38, 3, v1
	v_mov_b32_e32 v1, 0x400
	v_lshl_add_u64 v[24:25], v[4:5], 1, s[16:17]
	v_lshl_add_u32 v80, v48, 3, v1
	v_and_b32_e32 v1, 3, v38
	v_mad_i64_i32 v[4:5], s[16:17], s3, v3, 0
	v_mad_i64_i32 v[2:3], s[2:3], s3, v2, 0
	v_add_u32_e32 v76, 0x800, v41
	v_add_u32_e32 v77, 0xa00, v41
	v_add_u32_e32 v78, 0x400, v41
	s_add_i32 s8, s14, -8
	v_lshlrev_b32_e32 v26, 1, v1
	v_mov_b32_e32 v27, 0
	v_lshl_add_u64 v[28:29], v[4:5], 1, s[18:19]
	v_lshl_add_u64 v[30:31], v[2:3], 1, s[18:19]
	s_mov_b32 s14, 0
	s_mov_b32 s16, 0xffff
	s_branch .LBB239_16
.LBB239_15:                             ;   in Loop: Header=BB239_16 Depth=1
	v_pk_max_f16 v2, v2, v2
	v_pk_max_f16 v20, v20, v20
	v_pk_max_f16 v22, v22, v22
	v_pk_max_f16 v16, v16, v16
	v_pk_max_f16 v18, v18, v18
	v_pk_max_f16 v8, v8, v8
	v_pk_max_f16 v4, v4, v4
	v_pk_max_f16 v6, v6, v6
	v_pk_max_f16 v12, v12, v12
	v_pk_max_f16 v14, v14, v14
	v_pk_max_f16 v21, v21, v21
	v_pk_max_f16 v23, v23, v23
	v_pk_min_f16 v86, v8, v20
	v_pk_max_f16 v17, v17, v17
	v_pk_max_f16 v19, v19, v19
	v_pk_min_f16 v87, v8, v22
	v_pk_min_f16 v88, v8, v16
	v_pk_min_f16 v8, v8, v18
	v_pk_max_f16 v13, v13, v13
	v_pk_max_f16 v15, v15, v15
	;; [unrolled: 1-line block ×10, first 2 shown]
	v_pk_min_f16 v92, v4, v20
	v_pk_min_f16 v93, v4, v22
	;; [unrolled: 1-line block ×60, first 2 shown]
	v_pk_add_f16 v3, v46, v98
	v_pk_add_f16 v8, v58, v8
	;; [unrolled: 1-line block ×17, first 2 shown]
	ds_read2_b64 v[2:5], v42 offset0:48 offset1:56
	ds_read2_b64 v[6:9], v39 offset1:32
	v_pk_add_f16 v33, v47, v33
	v_pk_add_f16 v12, v50, v12
	;; [unrolled: 1-line block ×3, first 2 shown]
	s_waitcnt lgkmcnt(1)
	v_pk_max_f16 v4, v4, v4
	s_waitcnt lgkmcnt(0)
	v_pk_max_f16 v6, v6, v6
	v_pk_add_f16 v35, v52, v35
	v_pk_add_f16 v52, v60, v92
	;; [unrolled: 1-line block ×11, first 2 shown]
	ds_read2_b64 v[10:13], v39 offset0:64 offset1:96
	v_pk_min_f16 v14, v4, v6
	v_pk_add_f16 v22, v22, v23
	v_pk_add_f16 v23, v16, v17
	;; [unrolled: 1-line block ×3, first 2 shown]
	ds_read2_b64 v[14:17], v42 offset1:8
	v_pk_add_f16 v43, v43, v99
	v_pk_max_f16 v8, v8, v8
	v_pk_add_f16 v45, v45, v100
	v_pk_add_f16 v43, v43, v119
	;; [unrolled: 1-line block ×3, first 2 shown]
	v_pk_min_f16 v19, v4, v8
	s_waitcnt lgkmcnt(1)
	v_pk_max_f16 v10, v10, v10
	v_pk_add_f16 v45, v45, v120
	v_pk_add_f16 v43, v43, v19
	v_pk_min_f16 v19, v4, v10
	s_waitcnt lgkmcnt(0)
	v_pk_max_f16 v14, v14, v14
	v_pk_add_f16 v45, v45, v19
	v_pk_min_f16 v19, v14, v6
	v_pk_add_f16 v36, v55, v36
	v_pk_add_f16 v66, v18, v19
	v_pk_min_f16 v18, v14, v8
	v_pk_add_f16 v55, v67, v95
	v_pk_add_f16 v67, v32, v18
	v_pk_min_f16 v18, v14, v10
	v_pk_max_f16 v16, v16, v16
	v_pk_add_f16 v46, v56, v87
	v_pk_add_f16 v56, v68, v96
	;; [unrolled: 1-line block ×4, first 2 shown]
	v_pk_min_f16 v18, v16, v6
	v_pk_add_f16 v47, v57, v88
	v_pk_add_f16 v57, v69, v97
	;; [unrolled: 1-line block ×5, first 2 shown]
	v_pk_min_f16 v18, v16, v8
	v_pk_add_f16 v50, v65, v90
	v_pk_add_f16 v65, v20, v21
	;; [unrolled: 1-line block ×3, first 2 shown]
	ds_read2_b64 v[18:21], v42 offset0:16 offset1:24
	v_pk_add_f16 v37, v37, v105
	v_pk_max_f16 v12, v12, v12
	v_pk_min_f16 v32, v16, v10
	v_pk_add_f16 v44, v44, v106
	s_waitcnt lgkmcnt(0)
	v_pk_max_f16 v18, v18, v18
	v_pk_add_f16 v37, v37, v32
	v_pk_min_f16 v16, v16, v12
	v_pk_min_f16 v32, v18, v6
	v_pk_add_f16 v46, v46, v107
	v_pk_add_f16 v16, v60, v16
	;; [unrolled: 1-line block ×3, first 2 shown]
	v_pk_min_f16 v32, v18, v8
	v_pk_add_f16 v47, v47, v108
	v_pk_add_f16 v70, v46, v32
	v_pk_min_f16 v32, v18, v10
	v_pk_max_f16 v20, v20, v20
	v_pk_add_f16 v49, v49, v109
	v_pk_add_f16 v71, v47, v32
	v_pk_min_f16 v18, v18, v12
	v_pk_min_f16 v32, v20, v6
	v_pk_add_f16 v50, v50, v110
	v_pk_min_f16 v14, v14, v12
	v_pk_add_f16 v18, v61, v18
	v_pk_add_f16 v61, v49, v32
	v_pk_min_f16 v32, v20, v8
	v_pk_add_f16 v14, v34, v14
	v_pk_add_f16 v72, v50, v32
	ds_read2_b64 v[32:35], v42 offset0:32 offset1:40
	v_pk_add_f16 v51, v51, v111
	v_pk_min_f16 v44, v20, v10
	v_pk_add_f16 v52, v52, v112
	v_pk_add_f16 v73, v51, v44
	s_waitcnt lgkmcnt(0)
	v_pk_max_f16 v32, v32, v32
	v_pk_min_f16 v20, v20, v12
	v_pk_min_f16 v44, v32, v6
	v_pk_add_f16 v53, v53, v113
	v_pk_add_f16 v20, v62, v20
	;; [unrolled: 1-line block ×3, first 2 shown]
	v_pk_min_f16 v44, v32, v8
	v_pk_add_f16 v0, v74, v0
	v_pk_add_f16 v54, v54, v114
	;; [unrolled: 1-line block ×3, first 2 shown]
	v_pk_min_f16 v44, v32, v10
	v_pk_max_f16 v34, v34, v34
	v_pk_add_f16 v55, v55, v115
	v_pk_add_f16 v75, v54, v44
	v_pk_min_f16 v44, v34, v6
	v_pk_add_f16 v56, v56, v116
	v_pk_add_f16 v1, v0, v1
	v_perm_b32 v0, v85, v84, s9
	v_pk_add_f16 v84, v55, v44
	v_pk_min_f16 v44, v34, v8
	v_pk_max_f16 v2, v2, v2
	v_pk_add_f16 v85, v56, v44
	v_pk_min_f16 v44, v34, v10
	v_pk_min_f16 v6, v2, v6
	;; [unrolled: 1-line block ×5, first 2 shown]
	v_pk_add_f16 v57, v57, v117
	v_pk_add_f16 v1, v1, v2
	v_pk_min_f16 v2, v4, v12
	v_pk_max_f16 v4, v5, v5
	v_pk_max_f16 v5, v7, v7
	v_pk_min_f16 v32, v32, v12
	v_pk_min_f16 v7, v4, v5
	;; [unrolled: 1-line block ×3, first 2 shown]
	v_pk_add_f16 v46, v59, v7
	v_pk_max_f16 v7, v9, v9
	v_pk_add_f16 v86, v57, v44
	v_pk_min_f16 v9, v4, v7
	v_pk_add_f16 v2, v58, v2
	v_pk_add_f16 v43, v43, v9
	v_pk_max_f16 v9, v11, v11
	v_pk_add_f16 v32, v63, v32
	v_pk_min_f16 v11, v4, v9
	v_pk_add_f16 v6, v65, v6
	v_pk_add_f16 v45, v45, v11
	v_pk_max_f16 v11, v15, v15
	v_pk_max_f16 v3, v3, v3
	v_pk_min_f16 v12, v11, v5
	v_pk_add_f16 v34, v64, v34
	v_pk_add_f16 v44, v66, v12
	v_pk_min_f16 v12, v11, v7
	v_pk_add_f16 v8, v22, v8
	v_pk_add_f16 v47, v67, v12
	;; [unrolled: 3-line block ×3, first 2 shown]
	v_pk_max_f16 v12, v13, v13
	s_add_i32 s14, s14, 8
	v_pk_min_f16 v11, v11, v12
	v_lshl_add_u64 v[28:29], v[28:29], 0, 16
	v_pk_add_f16 v50, v14, v11
	v_pk_max_f16 v11, v17, v17
	v_lshl_add_u64 v[30:31], v[30:31], 0, 16
	v_pk_min_f16 v13, v11, v5
	s_cmp_ge_i32 s14, s8
	v_pk_add_f16 v52, v69, v13
	v_pk_min_f16 v13, v11, v7
	v_lshl_add_u64 v[24:25], v[24:25], 0, 16
	v_pk_add_f16 v55, v36, v13
	v_pk_min_f16 v13, v11, v9
	v_pk_min_f16 v11, v11, v12
	v_pk_add_f16 v51, v37, v13
	v_pk_add_f16 v53, v16, v11
	v_pk_max_f16 v11, v19, v19
	ds_write_b16 v77, v82
	ds_write_b16 v78, v81
	ds_write_b16 v78, v83 offset:512
	v_pk_min_f16 v13, v11, v5
	s_waitcnt lgkmcnt(0)
	v_pk_add_f16 v54, v60, v13
	v_pk_min_f16 v13, v11, v7
	s_barrier
	v_pk_add_f16 v56, v70, v13
	v_pk_min_f16 v13, v11, v9
	v_pk_min_f16 v11, v11, v12
	v_pk_add_f16 v57, v71, v13
	v_pk_add_f16 v58, v18, v11
	v_pk_max_f16 v11, v21, v21
	s_nop 0
	v_pk_min_f16 v13, v11, v5
	s_nop 0
	v_pk_add_f16 v63, v61, v13
	v_pk_min_f16 v13, v11, v7
	s_nop 0
	v_pk_add_f16 v65, v72, v13
	v_pk_min_f16 v13, v11, v9
	v_pk_min_f16 v11, v11, v12
	v_pk_add_f16 v59, v73, v13
	v_pk_add_f16 v61, v20, v11
	v_pk_max_f16 v11, v33, v33
	s_nop 0
	v_pk_min_f16 v13, v11, v5
	s_nop 0
	v_pk_add_f16 v60, v62, v13
	v_pk_min_f16 v13, v11, v7
	s_nop 0
	v_pk_add_f16 v62, v74, v13
	v_pk_min_f16 v13, v11, v9
	v_pk_min_f16 v11, v11, v12
	v_pk_add_f16 v64, v75, v13
	v_pk_add_f16 v66, v32, v11
	v_pk_max_f16 v11, v35, v35
	s_nop 0
	v_pk_min_f16 v13, v11, v5
	v_pk_min_f16 v5, v3, v5
	v_pk_add_f16 v67, v84, v13
	v_pk_add_f16 v71, v6, v5
	v_pk_min_f16 v5, v3, v7
	v_pk_min_f16 v13, v11, v7
	v_pk_add_f16 v72, v8, v5
	v_pk_min_f16 v5, v3, v9
	v_pk_min_f16 v3, v3, v12
	;; [unrolled: 3-line block ×3, first 2 shown]
	v_pk_add_f16 v74, v1, v3
	v_pk_min_f16 v1, v4, v12
	v_pk_add_f16 v69, v86, v13
	v_pk_add_f16 v70, v34, v11
	;; [unrolled: 1-line block ×4, first 2 shown]
	v_perm_b32 v86, v83, v81, s9
	s_cbranch_scc1 .LBB239_24
.LBB239_16:                             ; =>This Inner Loop Header: Depth=1
	s_mov_b64 s[2:3], -1
	s_mov_b64 vcc, s[6:7]
                                        ; implicit-def: $vgpr84
	s_cbranch_vccz .LBB239_18
; %bb.17:                               ;   in Loop: Header=BB239_16 Depth=1
	v_and_b32_e32 v84, 0xffff0000, v0
	s_mov_b64 s[2:3], 0
.LBB239_18:                             ;   in Loop: Header=BB239_16 Depth=1
	v_mov_b32_e32 v81, 0
	s_andn2_b64 vcc, exec, s[2:3]
	v_lshl_add_u64 v[32:33], v[24:25], 0, v[26:27]
	v_lshl_add_u64 v[34:35], v[30:31], 0, v[26:27]
	;; [unrolled: 1-line block ×3, first 2 shown]
	v_mov_b32_e32 v85, 0
	s_cbranch_vccnz .LBB239_20
; %bb.19:                               ;   in Loop: Header=BB239_16 Depth=1
	flat_load_ushort v1, v[32:33] offset:16
	flat_load_ushort v2, v[34:35] offset:16
	;; [unrolled: 1-line block ×3, first 2 shown]
	s_waitcnt vmcnt(0) lgkmcnt(0)
	v_mul_f16_e32 v81, s15, v1
	v_mul_f16_e32 v1, s15, v2
	v_bfi_b32 v84, s16, v1, v0
	v_mul_f16_e32 v85, s15, v3
.LBB239_20:                             ;   in Loop: Header=BB239_16 Depth=1
	ds_read2_b64 v[0:3], v79 offset0:48 offset1:56
	ds_read2_b64 v[16:19], v80 offset0:64 offset1:96
	ds_read2_b64 v[20:23], v80 offset1:32
	ds_read2_b64 v[12:15], v79 offset1:8
	ds_read2_b64 v[8:11], v79 offset0:16 offset1:24
	ds_read2_b64 v[4:7], v79 offset0:32 offset1:40
	s_mov_b64 s[2:3], -1
	s_mov_b64 vcc, s[6:7]
	ds_write_b16 v76, v81
	ds_write_b16 v41, v84
	ds_write_b16 v41, v85 offset:512
	s_waitcnt lgkmcnt(0)
	s_barrier
                                        ; implicit-def: $vgpr81
	s_cbranch_vccz .LBB239_22
; %bb.21:                               ;   in Loop: Header=BB239_16 Depth=1
	v_and_b32_e32 v81, 0xffff0000, v86
	s_mov_b64 s[2:3], 0
.LBB239_22:                             ;   in Loop: Header=BB239_16 Depth=1
	v_mov_b32_e32 v82, 0
	s_andn2_b64 vcc, exec, s[2:3]
	v_mov_b32_e32 v83, 0
	s_cbranch_vccnz .LBB239_15
; %bb.23:                               ;   in Loop: Header=BB239_16 Depth=1
	flat_load_ushort v81, v[32:33] offset:24
	flat_load_ushort v83, v[34:35] offset:24
	flat_load_ushort v87, v[36:37] offset:24
	s_waitcnt vmcnt(0) lgkmcnt(0)
	v_mul_f16_e32 v82, s15, v81
	v_mul_f16_e32 v32, s15, v83
	v_bfi_b32 v81, s16, v32, v86
	v_mul_f16_e32 v83, s15, v87
	s_branch .LBB239_15
.LBB239_24:
	v_add_u32_e32 v12, 0x800, v40
	s_load_dwordx2 s[6:7], s[0:1], 0x70
	s_load_dword s8, s[0:1], 0x50
	s_load_dword s9, s[0:1], 0x68
	ds_read2_b64 v[4:7], v12 offset0:112 offset1:120
	ds_read2_b64 v[8:11], v39 offset0:192 offset1:224
	;; [unrolled: 1-line block ×4, first 2 shown]
	s_waitcnt lgkmcnt(0)
	s_lshl_b64 s[0:1], s[6:7], 1
	v_pk_max_f16 v6, v6, v6
	v_pk_max_f16 v8, v8, v8
	;; [unrolled: 1-line block ×3, first 2 shown]
	v_pk_min_f16 v15, v6, v8
	v_pk_max_f16 v0, v0, v0
	v_pk_add_f16 v28, v45, v15
	v_pk_max_f16 v15, v16, v16
	v_pk_max_f16 v10, v10, v10
	v_pk_min_f16 v20, v15, v2
	v_pk_min_f16 v16, v15, v0
	v_pk_add_f16 v29, v47, v20
	v_pk_min_f16 v20, v15, v8
	v_pk_min_f16 v15, v15, v10
	v_pk_add_f16 v30, v49, v20
	v_pk_add_f16 v31, v50, v15
	v_pk_max_f16 v15, v18, v18
	v_pk_max_f16 v4, v4, v4
	v_pk_min_f16 v20, v15, v2
	v_pk_min_f16 v18, v15, v0
	v_pk_add_f16 v49, v55, v20
	ds_read2_b64 v[20:23], v12 offset0:80 offset1:88
	v_pk_min_f16 v24, v15, v8
	v_pk_min_f16 v15, v15, v10
	v_pk_add_f16 v50, v51, v24
	v_pk_add_f16 v51, v53, v15
	s_waitcnt lgkmcnt(0)
	v_pk_max_f16 v15, v20, v20
	v_pk_min_f16 v13, v6, v0
	v_pk_min_f16 v24, v15, v2
	;; [unrolled: 1-line block ×3, first 2 shown]
	v_pk_add_f16 v53, v56, v24
	v_pk_min_f16 v24, v15, v8
	v_pk_min_f16 v15, v15, v10
	v_pk_add_f16 v20, v54, v20
	v_pk_add_f16 v55, v58, v15
	v_pk_max_f16 v15, v22, v22
	v_pk_add_f16 v54, v57, v24
	v_pk_min_f16 v24, v15, v2
	v_pk_min_f16 v22, v15, v0
	v_pk_add_f16 v56, v65, v24
	ds_read2_b64 v[24:27], v12 offset0:96 offset1:104
	v_pk_min_f16 v12, v15, v8
	v_pk_add_f16 v22, v63, v22
	v_pk_add_f16 v57, v59, v12
	v_pk_min_f16 v12, v15, v10
	v_pk_add_f16 v13, v46, v13
	v_pk_add_f16 v58, v61, v12
	s_waitcnt lgkmcnt(0)
	v_pk_max_f16 v12, v24, v24
	v_pk_min_f16 v14, v6, v2
	v_pk_min_f16 v15, v12, v0
	v_pk_add_f16 v14, v43, v14
	v_pk_add_f16 v24, v60, v15
	v_pk_min_f16 v15, v12, v2
	v_pk_max_f16 v11, v11, v11
	v_pk_add_f16 v59, v62, v15
	v_pk_min_f16 v15, v12, v8
	v_pk_min_f16 v12, v12, v10
	v_pk_add_f16 v60, v64, v15
	v_pk_add_f16 v61, v66, v12
	v_pk_max_f16 v12, v26, v26
	v_pk_max_f16 v23, v23, v23
	v_pk_min_f16 v15, v12, v0
	v_pk_min_f16 v0, v4, v0
	v_pk_add_f16 v26, v67, v15
	v_pk_add_f16 v65, v71, v0
	v_pk_min_f16 v0, v4, v2
	v_pk_min_f16 v15, v12, v2
	v_pk_add_f16 v66, v72, v0
	v_pk_min_f16 v0, v4, v8
	v_pk_add_f16 v62, v68, v15
	v_pk_add_f16 v67, v73, v0
	v_pk_min_f16 v0, v4, v10
	v_pk_min_f16 v15, v12, v8
	v_pk_add_f16 v68, v74, v0
	v_pk_min_f16 v0, v6, v10
	v_pk_add_f16 v63, v69, v15
	v_pk_add_f16 v69, v75, v0
	v_pk_max_f16 v0, v1, v1
	v_pk_max_f16 v1, v7, v7
	v_pk_min_f16 v12, v12, v10
	v_pk_min_f16 v2, v1, v0
	v_pk_add_f16 v64, v70, v12
	v_pk_add_f16 v7, v13, v2
	v_pk_max_f16 v2, v3, v3
	v_pk_max_f16 v12, v19, v19
	v_pk_min_f16 v3, v1, v2
	v_pk_max_f16 v19, v21, v21
	v_pk_add_f16 v15, v14, v3
	v_pk_max_f16 v3, v9, v9
	v_pk_max_f16 v25, v25, v25
	v_pk_min_f16 v4, v1, v3
	v_pk_max_f16 v27, v27, v27
	v_pk_add_f16 v9, v28, v4
	v_pk_max_f16 v4, v17, v17
	v_pk_max_f16 v5, v5, v5
	v_add_u32_e32 v32, s11, v38
	s_add_u32 s4, s4, s0
	v_pk_add_f16 v16, v44, v16
	v_pk_add_f16 v18, v52, v18
	v_pk_min_f16 v6, v4, v0
	v_pk_min_f16 v8, v4, v2
	;; [unrolled: 1-line block ×29, first 2 shown]
	v_add_u32_e32 v34, 8, v32
	v_add_u32_e32 v36, 16, v32
	;; [unrolled: 1-line block ×7, first 2 shown]
	v_cmp_neq_f16_e64 s[2:3], s22, 0
	s_addc_u32 s5, s5, s1
	v_ashrrev_i32_e32 v33, 31, v32
	v_ashrrev_i32_e32 v35, 31, v34
	v_ashrrev_i32_e32 v37, 31, v36
	v_ashrrev_i32_e32 v39, 31, v38
	v_ashrrev_i32_e32 v41, 31, v40
	v_ashrrev_i32_e32 v43, 31, v42
	v_ashrrev_i32_e32 v45, 31, v44
	v_ashrrev_i32_e32 v47, 31, v46
	v_add_u32_e32 v52, s10, v48
	s_mov_b64 s[6:7], 15
	v_pk_add_f16 v0, v16, v6
	v_pk_add_f16 v8, v29, v8
	;; [unrolled: 1-line block ×29, first 2 shown]
	s_branch .LBB239_26
.LBB239_25:                             ;   in Loop: Header=BB239_26 Depth=1
	s_add_i32 s0, s6, -1
	s_cmp_eq_u32 s0, 1
	s_cselect_b64 vcc, -1, 0
	s_cmp_eq_u32 s0, 2
	v_cndmask_b32_e32 v48, v0, v53, vcc
	s_cselect_b64 vcc, -1, 0
	s_cmp_eq_u32 s0, 3
	v_cndmask_b32_e32 v48, v48, v1, vcc
	;; [unrolled: 3-line block ×62, first 2 shown]
	s_cselect_b64 vcc, -1, 0
	s_cmp_eq_u32 s6, 1
	s_cselect_b64 s[0:1], -1, 0
	s_cmp_eq_u32 s6, 2
	v_cndmask_b32_e64 v49, v0, v53, s[0:1]
	s_cselect_b64 s[0:1], -1, 0
	s_cmp_eq_u32 s6, 3
	v_cndmask_b32_e64 v49, v49, v1, s[0:1]
	;; [unrolled: 3-line block ×61, first 2 shown]
	v_cndmask_b32_e32 v48, v48, v84, vcc
	s_cselect_b64 vcc, -1, 0
	s_cmp_eq_u32 s6, 63
	v_cndmask_b32_e32 v49, v49, v31, vcc
	s_cselect_b64 vcc, -1, 0
	v_cndmask_b32_e32 v49, v49, v84, vcc
	s_add_u32 s6, s6, 16
	v_add_f16_e32 v48, v48, v49
	s_addc_u32 s7, s7, 0
	v_add_f16_e32 v53, v48, v85
	v_lshl_add_u64 v[48:49], v[46:47], 1, v[50:51]
	s_cmpk_lg_i32 s6, 0x4f
	v_add_u32_e32 v52, 32, v52
	flat_store_short v[48:49], v53
	s_cbranch_scc0 .LBB239_42
.LBB239_26:                             ; =>This Inner Loop Header: Depth=1
	v_mad_i64_i32 v[48:49], s[0:1], v52, s8, 0
	v_cndmask_b32_e64 v50, 0, 1, s[2:3]
	v_lshl_add_u64 v[48:49], v[48:49], 1, s[12:13]
	v_mov_b32_e32 v85, 0
	v_cmp_ne_u32_e64 s[0:1], 1, v50
	s_andn2_b64 vcc, exec, s[2:3]
	v_mov_b32_e32 v50, 0
	s_cbranch_vccnz .LBB239_28
; %bb.27:                               ;   in Loop: Header=BB239_26 Depth=1
	v_lshl_add_u64 v[50:51], v[32:33], 1, v[48:49]
	flat_load_ushort v50, v[50:51]
	s_waitcnt vmcnt(0) lgkmcnt(0)
	v_mul_f16_e32 v50, s22, v50
.LBB239_28:                             ;   in Loop: Header=BB239_26 Depth=1
	s_add_i32 s10, s6, -15
	s_cmp_eq_u32 s10, 1
	v_lshrrev_b32_e32 v53, 16, v0
	s_cselect_b64 vcc, -1, 0
	s_cmp_eq_u32 s10, 2
	v_cndmask_b32_e32 v51, v0, v53, vcc
	s_cselect_b64 vcc, -1, 0
	s_cmp_eq_u32 s10, 3
	v_cndmask_b32_e32 v51, v51, v1, vcc
	v_lshrrev_b32_e32 v54, 16, v1
	s_cselect_b64 vcc, -1, 0
	s_cmp_eq_u32 s10, 4
	v_cndmask_b32_e32 v51, v51, v54, vcc
	s_cselect_b64 vcc, -1, 0
	s_cmp_eq_u32 s10, 5
	v_cndmask_b32_e32 v51, v51, v4, vcc
	;; [unrolled: 7-line block ×31, first 2 shown]
	s_cselect_b64 vcc, -1, 0
	s_add_i32 s10, s6, -14
	v_lshrrev_b32_e32 v84, 16, v31
	s_cmp_eq_u32 s10, 1
	v_cndmask_b32_e32 v51, v51, v84, vcc
	s_cselect_b64 vcc, -1, 0
	s_cmp_eq_u32 s10, 2
	v_cndmask_b32_e32 v86, v0, v53, vcc
	s_cselect_b64 vcc, -1, 0
	;; [unrolled: 3-line block ×63, first 2 shown]
	v_cndmask_b32_e32 v86, v86, v84, vcc
	v_add_f16_e32 v51, v51, v86
	v_add_f16_e32 v88, v51, v50
	v_mad_i64_i32 v[50:51], s[10:11], v52, s9, 0
	v_lshl_add_u64 v[50:51], v[50:51], 1, s[4:5]
	v_lshl_add_u64 v[86:87], v[32:33], 1, v[50:51]
	s_and_b64 vcc, exec, s[0:1]
	flat_store_short v[86:87], v88
	s_cbranch_vccnz .LBB239_30
; %bb.29:                               ;   in Loop: Header=BB239_26 Depth=1
	v_lshl_add_u64 v[86:87], v[34:35], 1, v[48:49]
	flat_load_ushort v85, v[86:87]
	s_waitcnt vmcnt(0) lgkmcnt(0)
	v_mul_f16_e32 v85, s22, v85
.LBB239_30:                             ;   in Loop: Header=BB239_26 Depth=1
	s_add_i32 s10, s6, -13
	s_cmp_eq_u32 s10, 1
	s_cselect_b64 vcc, -1, 0
	s_cmp_eq_u32 s10, 2
	v_cndmask_b32_e32 v86, v0, v53, vcc
	s_cselect_b64 vcc, -1, 0
	s_cmp_eq_u32 s10, 3
	v_cndmask_b32_e32 v86, v86, v1, vcc
	;; [unrolled: 3-line block ×62, first 2 shown]
	s_cselect_b64 vcc, -1, 0
	s_add_i32 s10, s6, -12
	s_cmp_eq_u32 s10, 1
	v_cndmask_b32_e32 v86, v86, v84, vcc
	s_cselect_b64 vcc, -1, 0
	s_cmp_eq_u32 s10, 2
	v_cndmask_b32_e32 v87, v0, v53, vcc
	s_cselect_b64 vcc, -1, 0
	;; [unrolled: 3-line block ×63, first 2 shown]
	v_cndmask_b32_e32 v87, v87, v84, vcc
	v_add_f16_e32 v86, v86, v87
	v_add_f16_e32 v85, v86, v85
	v_lshl_add_u64 v[86:87], v[34:35], 1, v[50:51]
	flat_store_short v[86:87], v85
	s_and_b64 vcc, exec, s[0:1]
	v_mov_b32_e32 v85, 0
	v_mov_b32_e32 v86, 0
	s_cbranch_vccnz .LBB239_32
; %bb.31:                               ;   in Loop: Header=BB239_26 Depth=1
	v_lshl_add_u64 v[86:87], v[36:37], 1, v[48:49]
	flat_load_ushort v86, v[86:87]
	s_waitcnt vmcnt(0) lgkmcnt(0)
	v_mul_f16_e32 v86, s22, v86
.LBB239_32:                             ;   in Loop: Header=BB239_26 Depth=1
	s_add_i32 s10, s6, -11
	s_cmp_eq_u32 s10, 1
	s_cselect_b64 vcc, -1, 0
	s_cmp_eq_u32 s10, 2
	v_cndmask_b32_e32 v87, v0, v53, vcc
	s_cselect_b64 vcc, -1, 0
	s_cmp_eq_u32 s10, 3
	v_cndmask_b32_e32 v87, v87, v1, vcc
	s_cselect_b64 vcc, -1, 0
	s_cmp_eq_u32 s10, 4
	v_cndmask_b32_e32 v87, v87, v54, vcc
	s_cselect_b64 vcc, -1, 0
	s_cmp_eq_u32 s10, 5
	v_cndmask_b32_e32 v87, v87, v4, vcc
	s_cselect_b64 vcc, -1, 0
	s_cmp_eq_u32 s10, 6
	v_cndmask_b32_e32 v87, v87, v55, vcc
	s_cselect_b64 vcc, -1, 0
	s_cmp_eq_u32 s10, 7
	v_cndmask_b32_e32 v87, v87, v5, vcc
	s_cselect_b64 vcc, -1, 0
	s_cmp_eq_u32 s10, 8
	v_cndmask_b32_e32 v87, v87, v56, vcc
	s_cselect_b64 vcc, -1, 0
	s_cmp_eq_u32 s10, 9
	v_cndmask_b32_e32 v87, v87, v16, vcc
	s_cselect_b64 vcc, -1, 0
	s_cmp_eq_u32 s10, 10
	v_cndmask_b32_e32 v87, v87, v57, vcc
	s_cselect_b64 vcc, -1, 0
	s_cmp_eq_u32 s10, 11
	v_cndmask_b32_e32 v87, v87, v23, vcc
	s_cselect_b64 vcc, -1, 0
	s_cmp_eq_u32 s10, 12
	v_cndmask_b32_e32 v87, v87, v58, vcc
	s_cselect_b64 vcc, -1, 0
	s_cmp_eq_u32 s10, 13
	v_cndmask_b32_e32 v87, v87, v24, vcc
	s_cselect_b64 vcc, -1, 0
	s_cmp_eq_u32 s10, 14
	v_cndmask_b32_e32 v87, v87, v59, vcc
	s_cselect_b64 vcc, -1, 0
	s_cmp_eq_u32 s10, 15
	v_cndmask_b32_e32 v87, v87, v7, vcc
	s_cselect_b64 vcc, -1, 0
	s_cmp_eq_u32 s10, 16
	v_cndmask_b32_e32 v87, v87, v60, vcc
	s_cselect_b64 vcc, -1, 0
	s_cmp_eq_u32 s10, 17
	v_cndmask_b32_e32 v87, v87, v8, vcc
	s_cselect_b64 vcc, -1, 0
	s_cmp_eq_u32 s10, 18
	v_cndmask_b32_e32 v87, v87, v61, vcc
	s_cselect_b64 vcc, -1, 0
	s_cmp_eq_u32 s10, 19
	v_cndmask_b32_e32 v87, v87, v11, vcc
	s_cselect_b64 vcc, -1, 0
	s_cmp_eq_u32 s10, 20
	v_cndmask_b32_e32 v87, v87, v62, vcc
	s_cselect_b64 vcc, -1, 0
	s_cmp_eq_u32 s10, 21
	v_cndmask_b32_e32 v87, v87, v12, vcc
	s_cselect_b64 vcc, -1, 0
	s_cmp_eq_u32 s10, 22
	v_cndmask_b32_e32 v87, v87, v63, vcc
	s_cselect_b64 vcc, -1, 0
	s_cmp_eq_u32 s10, 23
	v_cndmask_b32_e32 v87, v87, v17, vcc
	s_cselect_b64 vcc, -1, 0
	s_cmp_eq_u32 s10, 24
	v_cndmask_b32_e32 v87, v87, v64, vcc
	s_cselect_b64 vcc, -1, 0
	s_cmp_eq_u32 s10, 25
	v_cndmask_b32_e32 v87, v87, v18, vcc
	s_cselect_b64 vcc, -1, 0
	s_cmp_eq_u32 s10, 26
	v_cndmask_b32_e32 v87, v87, v65, vcc
	s_cselect_b64 vcc, -1, 0
	s_cmp_eq_u32 s10, 27
	v_cndmask_b32_e32 v87, v87, v25, vcc
	s_cselect_b64 vcc, -1, 0
	s_cmp_eq_u32 s10, 28
	v_cndmask_b32_e32 v87, v87, v66, vcc
	s_cselect_b64 vcc, -1, 0
	s_cmp_eq_u32 s10, 29
	v_cndmask_b32_e32 v87, v87, v26, vcc
	s_cselect_b64 vcc, -1, 0
	s_cmp_eq_u32 s10, 30
	v_cndmask_b32_e32 v87, v87, v67, vcc
	s_cselect_b64 vcc, -1, 0
	s_cmp_eq_u32 s10, 31
	v_cndmask_b32_e32 v87, v87, v15, vcc
	s_cselect_b64 vcc, -1, 0
	s_cmp_eq_u32 s10, 32
	v_cndmask_b32_e32 v87, v87, v68, vcc
	s_cselect_b64 vcc, -1, 0
	s_cmp_eq_u32 s10, 33
	v_cndmask_b32_e32 v87, v87, v2, vcc
	s_cselect_b64 vcc, -1, 0
	s_cmp_eq_u32 s10, 34
	v_cndmask_b32_e32 v87, v87, v69, vcc
	s_cselect_b64 vcc, -1, 0
	s_cmp_eq_u32 s10, 35
	v_cndmask_b32_e32 v87, v87, v3, vcc
	s_cselect_b64 vcc, -1, 0
	s_cmp_eq_u32 s10, 36
	v_cndmask_b32_e32 v87, v87, v70, vcc
	s_cselect_b64 vcc, -1, 0
	s_cmp_eq_u32 s10, 37
	v_cndmask_b32_e32 v87, v87, v6, vcc
	s_cselect_b64 vcc, -1, 0
	s_cmp_eq_u32 s10, 38
	v_cndmask_b32_e32 v87, v87, v71, vcc
	s_cselect_b64 vcc, -1, 0
	s_cmp_eq_u32 s10, 39
	v_cndmask_b32_e32 v87, v87, v19, vcc
	s_cselect_b64 vcc, -1, 0
	s_cmp_eq_u32 s10, 40
	v_cndmask_b32_e32 v87, v87, v72, vcc
	s_cselect_b64 vcc, -1, 0
	s_cmp_eq_u32 s10, 41
	v_cndmask_b32_e32 v87, v87, v20, vcc
	s_cselect_b64 vcc, -1, 0
	s_cmp_eq_u32 s10, 42
	v_cndmask_b32_e32 v87, v87, v73, vcc
	s_cselect_b64 vcc, -1, 0
	s_cmp_eq_u32 s10, 43
	v_cndmask_b32_e32 v87, v87, v27, vcc
	s_cselect_b64 vcc, -1, 0
	s_cmp_eq_u32 s10, 44
	v_cndmask_b32_e32 v87, v87, v74, vcc
	s_cselect_b64 vcc, -1, 0
	s_cmp_eq_u32 s10, 45
	v_cndmask_b32_e32 v87, v87, v28, vcc
	s_cselect_b64 vcc, -1, 0
	s_cmp_eq_u32 s10, 46
	v_cndmask_b32_e32 v87, v87, v75, vcc
	s_cselect_b64 vcc, -1, 0
	s_cmp_eq_u32 s10, 47
	v_cndmask_b32_e32 v87, v87, v9, vcc
	s_cselect_b64 vcc, -1, 0
	s_cmp_eq_u32 s10, 48
	v_cndmask_b32_e32 v87, v87, v76, vcc
	s_cselect_b64 vcc, -1, 0
	s_cmp_eq_u32 s10, 49
	v_cndmask_b32_e32 v87, v87, v10, vcc
	s_cselect_b64 vcc, -1, 0
	s_cmp_eq_u32 s10, 50
	v_cndmask_b32_e32 v87, v87, v77, vcc
	s_cselect_b64 vcc, -1, 0
	s_cmp_eq_u32 s10, 51
	v_cndmask_b32_e32 v87, v87, v13, vcc
	s_cselect_b64 vcc, -1, 0
	s_cmp_eq_u32 s10, 52
	v_cndmask_b32_e32 v87, v87, v78, vcc
	s_cselect_b64 vcc, -1, 0
	s_cmp_eq_u32 s10, 53
	v_cndmask_b32_e32 v87, v87, v14, vcc
	s_cselect_b64 vcc, -1, 0
	s_cmp_eq_u32 s10, 54
	v_cndmask_b32_e32 v87, v87, v79, vcc
	s_cselect_b64 vcc, -1, 0
	s_cmp_eq_u32 s10, 55
	v_cndmask_b32_e32 v87, v87, v21, vcc
	s_cselect_b64 vcc, -1, 0
	s_cmp_eq_u32 s10, 56
	v_cndmask_b32_e32 v87, v87, v80, vcc
	s_cselect_b64 vcc, -1, 0
	s_cmp_eq_u32 s10, 57
	v_cndmask_b32_e32 v87, v87, v22, vcc
	s_cselect_b64 vcc, -1, 0
	s_cmp_eq_u32 s10, 58
	v_cndmask_b32_e32 v87, v87, v81, vcc
	s_cselect_b64 vcc, -1, 0
	s_cmp_eq_u32 s10, 59
	v_cndmask_b32_e32 v87, v87, v29, vcc
	s_cselect_b64 vcc, -1, 0
	s_cmp_eq_u32 s10, 60
	v_cndmask_b32_e32 v87, v87, v82, vcc
	s_cselect_b64 vcc, -1, 0
	s_cmp_eq_u32 s10, 61
	v_cndmask_b32_e32 v87, v87, v30, vcc
	s_cselect_b64 vcc, -1, 0
	s_cmp_eq_u32 s10, 62
	v_cndmask_b32_e32 v87, v87, v83, vcc
	s_cselect_b64 vcc, -1, 0
	s_cmp_eq_u32 s10, 63
	v_cndmask_b32_e32 v87, v87, v31, vcc
	s_cselect_b64 vcc, -1, 0
	s_add_i32 s10, s6, -10
	s_cmp_eq_u32 s10, 1
	v_cndmask_b32_e32 v87, v87, v84, vcc
	s_cselect_b64 vcc, -1, 0
	s_cmp_eq_u32 s10, 2
	v_cndmask_b32_e32 v88, v0, v53, vcc
	s_cselect_b64 vcc, -1, 0
	s_cmp_eq_u32 s10, 3
	v_cndmask_b32_e32 v88, v88, v1, vcc
	s_cselect_b64 vcc, -1, 0
	s_cmp_eq_u32 s10, 4
	v_cndmask_b32_e32 v88, v88, v54, vcc
	s_cselect_b64 vcc, -1, 0
	s_cmp_eq_u32 s10, 5
	v_cndmask_b32_e32 v88, v88, v4, vcc
	s_cselect_b64 vcc, -1, 0
	s_cmp_eq_u32 s10, 6
	v_cndmask_b32_e32 v88, v88, v55, vcc
	s_cselect_b64 vcc, -1, 0
	s_cmp_eq_u32 s10, 7
	v_cndmask_b32_e32 v88, v88, v5, vcc
	s_cselect_b64 vcc, -1, 0
	s_cmp_eq_u32 s10, 8
	v_cndmask_b32_e32 v88, v88, v56, vcc
	s_cselect_b64 vcc, -1, 0
	s_cmp_eq_u32 s10, 9
	v_cndmask_b32_e32 v88, v88, v16, vcc
	s_cselect_b64 vcc, -1, 0
	s_cmp_eq_u32 s10, 10
	v_cndmask_b32_e32 v88, v88, v57, vcc
	s_cselect_b64 vcc, -1, 0
	s_cmp_eq_u32 s10, 11
	v_cndmask_b32_e32 v88, v88, v23, vcc
	s_cselect_b64 vcc, -1, 0
	s_cmp_eq_u32 s10, 12
	v_cndmask_b32_e32 v88, v88, v58, vcc
	s_cselect_b64 vcc, -1, 0
	s_cmp_eq_u32 s10, 13
	v_cndmask_b32_e32 v88, v88, v24, vcc
	s_cselect_b64 vcc, -1, 0
	s_cmp_eq_u32 s10, 14
	v_cndmask_b32_e32 v88, v88, v59, vcc
	s_cselect_b64 vcc, -1, 0
	s_cmp_eq_u32 s10, 15
	v_cndmask_b32_e32 v88, v88, v7, vcc
	s_cselect_b64 vcc, -1, 0
	s_cmp_eq_u32 s10, 16
	v_cndmask_b32_e32 v88, v88, v60, vcc
	s_cselect_b64 vcc, -1, 0
	s_cmp_eq_u32 s10, 17
	v_cndmask_b32_e32 v88, v88, v8, vcc
	s_cselect_b64 vcc, -1, 0
	s_cmp_eq_u32 s10, 18
	v_cndmask_b32_e32 v88, v88, v61, vcc
	s_cselect_b64 vcc, -1, 0
	s_cmp_eq_u32 s10, 19
	v_cndmask_b32_e32 v88, v88, v11, vcc
	s_cselect_b64 vcc, -1, 0
	s_cmp_eq_u32 s10, 20
	v_cndmask_b32_e32 v88, v88, v62, vcc
	s_cselect_b64 vcc, -1, 0
	s_cmp_eq_u32 s10, 21
	v_cndmask_b32_e32 v88, v88, v12, vcc
	s_cselect_b64 vcc, -1, 0
	s_cmp_eq_u32 s10, 22
	v_cndmask_b32_e32 v88, v88, v63, vcc
	s_cselect_b64 vcc, -1, 0
	s_cmp_eq_u32 s10, 23
	v_cndmask_b32_e32 v88, v88, v17, vcc
	s_cselect_b64 vcc, -1, 0
	s_cmp_eq_u32 s10, 24
	v_cndmask_b32_e32 v88, v88, v64, vcc
	s_cselect_b64 vcc, -1, 0
	s_cmp_eq_u32 s10, 25
	v_cndmask_b32_e32 v88, v88, v18, vcc
	s_cselect_b64 vcc, -1, 0
	s_cmp_eq_u32 s10, 26
	v_cndmask_b32_e32 v88, v88, v65, vcc
	s_cselect_b64 vcc, -1, 0
	s_cmp_eq_u32 s10, 27
	v_cndmask_b32_e32 v88, v88, v25, vcc
	s_cselect_b64 vcc, -1, 0
	s_cmp_eq_u32 s10, 28
	v_cndmask_b32_e32 v88, v88, v66, vcc
	s_cselect_b64 vcc, -1, 0
	s_cmp_eq_u32 s10, 29
	v_cndmask_b32_e32 v88, v88, v26, vcc
	s_cselect_b64 vcc, -1, 0
	s_cmp_eq_u32 s10, 30
	v_cndmask_b32_e32 v88, v88, v67, vcc
	s_cselect_b64 vcc, -1, 0
	s_cmp_eq_u32 s10, 31
	v_cndmask_b32_e32 v88, v88, v15, vcc
	s_cselect_b64 vcc, -1, 0
	s_cmp_eq_u32 s10, 32
	v_cndmask_b32_e32 v88, v88, v68, vcc
	s_cselect_b64 vcc, -1, 0
	s_cmp_eq_u32 s10, 33
	v_cndmask_b32_e32 v88, v88, v2, vcc
	s_cselect_b64 vcc, -1, 0
	s_cmp_eq_u32 s10, 34
	v_cndmask_b32_e32 v88, v88, v69, vcc
	s_cselect_b64 vcc, -1, 0
	s_cmp_eq_u32 s10, 35
	v_cndmask_b32_e32 v88, v88, v3, vcc
	s_cselect_b64 vcc, -1, 0
	s_cmp_eq_u32 s10, 36
	v_cndmask_b32_e32 v88, v88, v70, vcc
	s_cselect_b64 vcc, -1, 0
	s_cmp_eq_u32 s10, 37
	v_cndmask_b32_e32 v88, v88, v6, vcc
	s_cselect_b64 vcc, -1, 0
	s_cmp_eq_u32 s10, 38
	v_cndmask_b32_e32 v88, v88, v71, vcc
	s_cselect_b64 vcc, -1, 0
	s_cmp_eq_u32 s10, 39
	v_cndmask_b32_e32 v88, v88, v19, vcc
	s_cselect_b64 vcc, -1, 0
	s_cmp_eq_u32 s10, 40
	v_cndmask_b32_e32 v88, v88, v72, vcc
	s_cselect_b64 vcc, -1, 0
	s_cmp_eq_u32 s10, 41
	v_cndmask_b32_e32 v88, v88, v20, vcc
	s_cselect_b64 vcc, -1, 0
	s_cmp_eq_u32 s10, 42
	v_cndmask_b32_e32 v88, v88, v73, vcc
	s_cselect_b64 vcc, -1, 0
	s_cmp_eq_u32 s10, 43
	v_cndmask_b32_e32 v88, v88, v27, vcc
	s_cselect_b64 vcc, -1, 0
	s_cmp_eq_u32 s10, 44
	v_cndmask_b32_e32 v88, v88, v74, vcc
	s_cselect_b64 vcc, -1, 0
	s_cmp_eq_u32 s10, 45
	v_cndmask_b32_e32 v88, v88, v28, vcc
	s_cselect_b64 vcc, -1, 0
	s_cmp_eq_u32 s10, 46
	v_cndmask_b32_e32 v88, v88, v75, vcc
	s_cselect_b64 vcc, -1, 0
	s_cmp_eq_u32 s10, 47
	v_cndmask_b32_e32 v88, v88, v9, vcc
	s_cselect_b64 vcc, -1, 0
	s_cmp_eq_u32 s10, 48
	v_cndmask_b32_e32 v88, v88, v76, vcc
	s_cselect_b64 vcc, -1, 0
	s_cmp_eq_u32 s10, 49
	v_cndmask_b32_e32 v88, v88, v10, vcc
	s_cselect_b64 vcc, -1, 0
	s_cmp_eq_u32 s10, 50
	v_cndmask_b32_e32 v88, v88, v77, vcc
	s_cselect_b64 vcc, -1, 0
	s_cmp_eq_u32 s10, 51
	v_cndmask_b32_e32 v88, v88, v13, vcc
	s_cselect_b64 vcc, -1, 0
	s_cmp_eq_u32 s10, 52
	v_cndmask_b32_e32 v88, v88, v78, vcc
	s_cselect_b64 vcc, -1, 0
	s_cmp_eq_u32 s10, 53
	v_cndmask_b32_e32 v88, v88, v14, vcc
	s_cselect_b64 vcc, -1, 0
	s_cmp_eq_u32 s10, 54
	v_cndmask_b32_e32 v88, v88, v79, vcc
	s_cselect_b64 vcc, -1, 0
	s_cmp_eq_u32 s10, 55
	v_cndmask_b32_e32 v88, v88, v21, vcc
	s_cselect_b64 vcc, -1, 0
	s_cmp_eq_u32 s10, 56
	v_cndmask_b32_e32 v88, v88, v80, vcc
	s_cselect_b64 vcc, -1, 0
	s_cmp_eq_u32 s10, 57
	v_cndmask_b32_e32 v88, v88, v22, vcc
	s_cselect_b64 vcc, -1, 0
	s_cmp_eq_u32 s10, 58
	v_cndmask_b32_e32 v88, v88, v81, vcc
	s_cselect_b64 vcc, -1, 0
	s_cmp_eq_u32 s10, 59
	v_cndmask_b32_e32 v88, v88, v29, vcc
	s_cselect_b64 vcc, -1, 0
	s_cmp_eq_u32 s10, 60
	v_cndmask_b32_e32 v88, v88, v82, vcc
	s_cselect_b64 vcc, -1, 0
	s_cmp_eq_u32 s10, 61
	v_cndmask_b32_e32 v88, v88, v30, vcc
	s_cselect_b64 vcc, -1, 0
	s_cmp_eq_u32 s10, 62
	v_cndmask_b32_e32 v88, v88, v83, vcc
	s_cselect_b64 vcc, -1, 0
	s_cmp_eq_u32 s10, 63
	v_cndmask_b32_e32 v88, v88, v31, vcc
	s_cselect_b64 vcc, -1, 0
	v_cndmask_b32_e32 v88, v88, v84, vcc
	v_add_f16_e32 v87, v87, v88
	v_add_f16_e32 v88, v87, v86
	v_lshl_add_u64 v[86:87], v[36:37], 1, v[50:51]
	s_and_b64 vcc, exec, s[0:1]
	flat_store_short v[86:87], v88
	s_cbranch_vccnz .LBB239_34
; %bb.33:                               ;   in Loop: Header=BB239_26 Depth=1
	v_lshl_add_u64 v[86:87], v[38:39], 1, v[48:49]
	flat_load_ushort v85, v[86:87]
	s_waitcnt vmcnt(0) lgkmcnt(0)
	v_mul_f16_e32 v85, s22, v85
.LBB239_34:                             ;   in Loop: Header=BB239_26 Depth=1
	s_add_i32 s10, s6, -9
	s_cmp_eq_u32 s10, 1
	s_cselect_b64 vcc, -1, 0
	s_cmp_eq_u32 s10, 2
	v_cndmask_b32_e32 v86, v0, v53, vcc
	s_cselect_b64 vcc, -1, 0
	s_cmp_eq_u32 s10, 3
	v_cndmask_b32_e32 v86, v86, v1, vcc
	;; [unrolled: 3-line block ×62, first 2 shown]
	s_cselect_b64 vcc, -1, 0
	s_add_i32 s10, s6, -8
	s_cmp_eq_u32 s10, 1
	v_cndmask_b32_e32 v86, v86, v84, vcc
	s_cselect_b64 vcc, -1, 0
	s_cmp_eq_u32 s10, 2
	v_cndmask_b32_e32 v87, v0, v53, vcc
	s_cselect_b64 vcc, -1, 0
	;; [unrolled: 3-line block ×63, first 2 shown]
	v_cndmask_b32_e32 v87, v87, v84, vcc
	v_add_f16_e32 v86, v86, v87
	v_add_f16_e32 v85, v86, v85
	v_lshl_add_u64 v[86:87], v[38:39], 1, v[50:51]
	flat_store_short v[86:87], v85
	s_and_b64 vcc, exec, s[0:1]
	v_mov_b32_e32 v85, 0
	v_mov_b32_e32 v86, 0
	s_cbranch_vccnz .LBB239_36
; %bb.35:                               ;   in Loop: Header=BB239_26 Depth=1
	v_lshl_add_u64 v[86:87], v[40:41], 1, v[48:49]
	flat_load_ushort v86, v[86:87]
	s_waitcnt vmcnt(0) lgkmcnt(0)
	v_mul_f16_e32 v86, s22, v86
.LBB239_36:                             ;   in Loop: Header=BB239_26 Depth=1
	s_add_i32 s10, s6, -7
	s_cmp_eq_u32 s10, 1
	s_cselect_b64 vcc, -1, 0
	s_cmp_eq_u32 s10, 2
	v_cndmask_b32_e32 v87, v0, v53, vcc
	s_cselect_b64 vcc, -1, 0
	s_cmp_eq_u32 s10, 3
	v_cndmask_b32_e32 v87, v87, v1, vcc
	;; [unrolled: 3-line block ×62, first 2 shown]
	s_cselect_b64 vcc, -1, 0
	s_add_i32 s10, s6, -6
	s_cmp_eq_u32 s10, 1
	v_cndmask_b32_e32 v87, v87, v84, vcc
	s_cselect_b64 vcc, -1, 0
	s_cmp_eq_u32 s10, 2
	v_cndmask_b32_e32 v88, v0, v53, vcc
	s_cselect_b64 vcc, -1, 0
	;; [unrolled: 3-line block ×63, first 2 shown]
	v_cndmask_b32_e32 v88, v88, v84, vcc
	v_add_f16_e32 v87, v87, v88
	v_add_f16_e32 v88, v87, v86
	v_lshl_add_u64 v[86:87], v[40:41], 1, v[50:51]
	s_and_b64 vcc, exec, s[0:1]
	flat_store_short v[86:87], v88
	s_cbranch_vccnz .LBB239_38
; %bb.37:                               ;   in Loop: Header=BB239_26 Depth=1
	v_lshl_add_u64 v[86:87], v[42:43], 1, v[48:49]
	flat_load_ushort v85, v[86:87]
	s_waitcnt vmcnt(0) lgkmcnt(0)
	v_mul_f16_e32 v85, s22, v85
.LBB239_38:                             ;   in Loop: Header=BB239_26 Depth=1
	s_add_i32 s10, s6, -5
	s_cmp_eq_u32 s10, 1
	s_cselect_b64 vcc, -1, 0
	s_cmp_eq_u32 s10, 2
	v_cndmask_b32_e32 v86, v0, v53, vcc
	s_cselect_b64 vcc, -1, 0
	s_cmp_eq_u32 s10, 3
	v_cndmask_b32_e32 v86, v86, v1, vcc
	;; [unrolled: 3-line block ×62, first 2 shown]
	s_cselect_b64 vcc, -1, 0
	s_add_i32 s10, s6, -4
	s_cmp_eq_u32 s10, 1
	v_cndmask_b32_e32 v86, v86, v84, vcc
	s_cselect_b64 vcc, -1, 0
	s_cmp_eq_u32 s10, 2
	v_cndmask_b32_e32 v87, v0, v53, vcc
	s_cselect_b64 vcc, -1, 0
	;; [unrolled: 3-line block ×63, first 2 shown]
	v_cndmask_b32_e32 v87, v87, v84, vcc
	v_add_f16_e32 v86, v86, v87
	v_add_f16_e32 v85, v86, v85
	v_lshl_add_u64 v[86:87], v[42:43], 1, v[50:51]
	flat_store_short v[86:87], v85
	s_and_b64 vcc, exec, s[0:1]
	v_mov_b32_e32 v85, 0
	v_mov_b32_e32 v86, 0
	s_cbranch_vccnz .LBB239_40
; %bb.39:                               ;   in Loop: Header=BB239_26 Depth=1
	v_lshl_add_u64 v[86:87], v[44:45], 1, v[48:49]
	flat_load_ushort v86, v[86:87]
	s_waitcnt vmcnt(0) lgkmcnt(0)
	v_mul_f16_e32 v86, s22, v86
.LBB239_40:                             ;   in Loop: Header=BB239_26 Depth=1
	s_add_i32 s10, s6, -3
	s_cmp_eq_u32 s10, 1
	s_cselect_b64 vcc, -1, 0
	s_cmp_eq_u32 s10, 2
	v_cndmask_b32_e32 v87, v0, v53, vcc
	s_cselect_b64 vcc, -1, 0
	s_cmp_eq_u32 s10, 3
	v_cndmask_b32_e32 v87, v87, v1, vcc
	;; [unrolled: 3-line block ×62, first 2 shown]
	s_cselect_b64 vcc, -1, 0
	s_add_i32 s10, s6, -2
	s_cmp_eq_u32 s10, 1
	v_cndmask_b32_e32 v87, v87, v84, vcc
	s_cselect_b64 vcc, -1, 0
	s_cmp_eq_u32 s10, 2
	v_cndmask_b32_e32 v88, v0, v53, vcc
	s_cselect_b64 vcc, -1, 0
	;; [unrolled: 3-line block ×63, first 2 shown]
	v_cndmask_b32_e32 v88, v88, v84, vcc
	v_add_f16_e32 v87, v87, v88
	v_add_f16_e32 v88, v87, v86
	v_lshl_add_u64 v[86:87], v[44:45], 1, v[50:51]
	s_and_b64 vcc, exec, s[0:1]
	flat_store_short v[86:87], v88
	s_cbranch_vccnz .LBB239_25
; %bb.41:                               ;   in Loop: Header=BB239_26 Depth=1
	v_lshl_add_u64 v[48:49], v[46:47], 1, v[48:49]
	flat_load_ushort v48, v[48:49]
	s_waitcnt vmcnt(0) lgkmcnt(0)
	v_mul_f16_e32 v85, s22, v48
	s_branch .LBB239_25
.LBB239_42:
	s_endpgm
	.section	.rodata,"a",@progbits
	.p2align	6, 0x0
	.amdhsa_kernel _ZN12_GLOBAL__N_120geam_min_plus_kernelIDF16_Dv2_DF16_S1_Li8ELi32ELi64ELi128ELi4ELi4ELi64ELi4ELi64ELc84ELc78ELb0ELb0ELb0EDF16_KPKDF16_KPDF16_EEviiiT16_PT17_ilS9_ilS7_S9_ilPT18_ili26rocblas_geam_ex_operation_
		.amdhsa_group_segment_fixed_size 3072
		.amdhsa_private_segment_fixed_size 0
		.amdhsa_kernarg_size 128
		.amdhsa_user_sgpr_count 2
		.amdhsa_user_sgpr_dispatch_ptr 0
		.amdhsa_user_sgpr_queue_ptr 0
		.amdhsa_user_sgpr_kernarg_segment_ptr 1
		.amdhsa_user_sgpr_dispatch_id 0
		.amdhsa_user_sgpr_kernarg_preload_length 0
		.amdhsa_user_sgpr_kernarg_preload_offset 0
		.amdhsa_user_sgpr_private_segment_size 0
		.amdhsa_uses_dynamic_stack 0
		.amdhsa_enable_private_segment 0
		.amdhsa_system_sgpr_workgroup_id_x 1
		.amdhsa_system_sgpr_workgroup_id_y 0
		.amdhsa_system_sgpr_workgroup_id_z 1
		.amdhsa_system_sgpr_workgroup_info 0
		.amdhsa_system_vgpr_workitem_id 1
		.amdhsa_next_free_vgpr 121
		.amdhsa_next_free_sgpr 26
		.amdhsa_accum_offset 124
		.amdhsa_reserve_vcc 1
		.amdhsa_float_round_mode_32 0
		.amdhsa_float_round_mode_16_64 0
		.amdhsa_float_denorm_mode_32 3
		.amdhsa_float_denorm_mode_16_64 3
		.amdhsa_dx10_clamp 1
		.amdhsa_ieee_mode 1
		.amdhsa_fp16_overflow 0
		.amdhsa_tg_split 0
		.amdhsa_exception_fp_ieee_invalid_op 0
		.amdhsa_exception_fp_denorm_src 0
		.amdhsa_exception_fp_ieee_div_zero 0
		.amdhsa_exception_fp_ieee_overflow 0
		.amdhsa_exception_fp_ieee_underflow 0
		.amdhsa_exception_fp_ieee_inexact 0
		.amdhsa_exception_int_div_zero 0
	.end_amdhsa_kernel
	.section	.text._ZN12_GLOBAL__N_120geam_min_plus_kernelIDF16_Dv2_DF16_S1_Li8ELi32ELi64ELi128ELi4ELi4ELi64ELi4ELi64ELc84ELc78ELb0ELb0ELb0EDF16_KPKDF16_KPDF16_EEviiiT16_PT17_ilS9_ilS7_S9_ilPT18_ili26rocblas_geam_ex_operation_,"axG",@progbits,_ZN12_GLOBAL__N_120geam_min_plus_kernelIDF16_Dv2_DF16_S1_Li8ELi32ELi64ELi128ELi4ELi4ELi64ELi4ELi64ELc84ELc78ELb0ELb0ELb0EDF16_KPKDF16_KPDF16_EEviiiT16_PT17_ilS9_ilS7_S9_ilPT18_ili26rocblas_geam_ex_operation_,comdat
.Lfunc_end239:
	.size	_ZN12_GLOBAL__N_120geam_min_plus_kernelIDF16_Dv2_DF16_S1_Li8ELi32ELi64ELi128ELi4ELi4ELi64ELi4ELi64ELc84ELc78ELb0ELb0ELb0EDF16_KPKDF16_KPDF16_EEviiiT16_PT17_ilS9_ilS7_S9_ilPT18_ili26rocblas_geam_ex_operation_, .Lfunc_end239-_ZN12_GLOBAL__N_120geam_min_plus_kernelIDF16_Dv2_DF16_S1_Li8ELi32ELi64ELi128ELi4ELi4ELi64ELi4ELi64ELc84ELc78ELb0ELb0ELb0EDF16_KPKDF16_KPDF16_EEviiiT16_PT17_ilS9_ilS7_S9_ilPT18_ili26rocblas_geam_ex_operation_
                                        ; -- End function
	.set _ZN12_GLOBAL__N_120geam_min_plus_kernelIDF16_Dv2_DF16_S1_Li8ELi32ELi64ELi128ELi4ELi4ELi64ELi4ELi64ELc84ELc78ELb0ELb0ELb0EDF16_KPKDF16_KPDF16_EEviiiT16_PT17_ilS9_ilS7_S9_ilPT18_ili26rocblas_geam_ex_operation_.num_vgpr, 121
	.set _ZN12_GLOBAL__N_120geam_min_plus_kernelIDF16_Dv2_DF16_S1_Li8ELi32ELi64ELi128ELi4ELi4ELi64ELi4ELi64ELc84ELc78ELb0ELb0ELb0EDF16_KPKDF16_KPDF16_EEviiiT16_PT17_ilS9_ilS7_S9_ilPT18_ili26rocblas_geam_ex_operation_.num_agpr, 0
	.set _ZN12_GLOBAL__N_120geam_min_plus_kernelIDF16_Dv2_DF16_S1_Li8ELi32ELi64ELi128ELi4ELi4ELi64ELi4ELi64ELc84ELc78ELb0ELb0ELb0EDF16_KPKDF16_KPDF16_EEviiiT16_PT17_ilS9_ilS7_S9_ilPT18_ili26rocblas_geam_ex_operation_.numbered_sgpr, 26
	.set _ZN12_GLOBAL__N_120geam_min_plus_kernelIDF16_Dv2_DF16_S1_Li8ELi32ELi64ELi128ELi4ELi4ELi64ELi4ELi64ELc84ELc78ELb0ELb0ELb0EDF16_KPKDF16_KPDF16_EEviiiT16_PT17_ilS9_ilS7_S9_ilPT18_ili26rocblas_geam_ex_operation_.num_named_barrier, 0
	.set _ZN12_GLOBAL__N_120geam_min_plus_kernelIDF16_Dv2_DF16_S1_Li8ELi32ELi64ELi128ELi4ELi4ELi64ELi4ELi64ELc84ELc78ELb0ELb0ELb0EDF16_KPKDF16_KPDF16_EEviiiT16_PT17_ilS9_ilS7_S9_ilPT18_ili26rocblas_geam_ex_operation_.private_seg_size, 0
	.set _ZN12_GLOBAL__N_120geam_min_plus_kernelIDF16_Dv2_DF16_S1_Li8ELi32ELi64ELi128ELi4ELi4ELi64ELi4ELi64ELc84ELc78ELb0ELb0ELb0EDF16_KPKDF16_KPDF16_EEviiiT16_PT17_ilS9_ilS7_S9_ilPT18_ili26rocblas_geam_ex_operation_.uses_vcc, 1
	.set _ZN12_GLOBAL__N_120geam_min_plus_kernelIDF16_Dv2_DF16_S1_Li8ELi32ELi64ELi128ELi4ELi4ELi64ELi4ELi64ELc84ELc78ELb0ELb0ELb0EDF16_KPKDF16_KPDF16_EEviiiT16_PT17_ilS9_ilS7_S9_ilPT18_ili26rocblas_geam_ex_operation_.uses_flat_scratch, 0
	.set _ZN12_GLOBAL__N_120geam_min_plus_kernelIDF16_Dv2_DF16_S1_Li8ELi32ELi64ELi128ELi4ELi4ELi64ELi4ELi64ELc84ELc78ELb0ELb0ELb0EDF16_KPKDF16_KPDF16_EEviiiT16_PT17_ilS9_ilS7_S9_ilPT18_ili26rocblas_geam_ex_operation_.has_dyn_sized_stack, 0
	.set _ZN12_GLOBAL__N_120geam_min_plus_kernelIDF16_Dv2_DF16_S1_Li8ELi32ELi64ELi128ELi4ELi4ELi64ELi4ELi64ELc84ELc78ELb0ELb0ELb0EDF16_KPKDF16_KPDF16_EEviiiT16_PT17_ilS9_ilS7_S9_ilPT18_ili26rocblas_geam_ex_operation_.has_recursion, 0
	.set _ZN12_GLOBAL__N_120geam_min_plus_kernelIDF16_Dv2_DF16_S1_Li8ELi32ELi64ELi128ELi4ELi4ELi64ELi4ELi64ELc84ELc78ELb0ELb0ELb0EDF16_KPKDF16_KPDF16_EEviiiT16_PT17_ilS9_ilS7_S9_ilPT18_ili26rocblas_geam_ex_operation_.has_indirect_call, 0
	.section	.AMDGPU.csdata,"",@progbits
; Kernel info:
; codeLenInByte = 19760
; TotalNumSgprs: 32
; NumVgprs: 121
; NumAgprs: 0
; TotalNumVgprs: 121
; ScratchSize: 0
; MemoryBound: 0
; FloatMode: 240
; IeeeMode: 1
; LDSByteSize: 3072 bytes/workgroup (compile time only)
; SGPRBlocks: 3
; VGPRBlocks: 15
; NumSGPRsForWavesPerEU: 32
; NumVGPRsForWavesPerEU: 121
; AccumOffset: 124
; Occupancy: 4
; WaveLimiterHint : 1
; COMPUTE_PGM_RSRC2:SCRATCH_EN: 0
; COMPUTE_PGM_RSRC2:USER_SGPR: 2
; COMPUTE_PGM_RSRC2:TRAP_HANDLER: 0
; COMPUTE_PGM_RSRC2:TGID_X_EN: 1
; COMPUTE_PGM_RSRC2:TGID_Y_EN: 0
; COMPUTE_PGM_RSRC2:TGID_Z_EN: 1
; COMPUTE_PGM_RSRC2:TIDIG_COMP_CNT: 1
; COMPUTE_PGM_RSRC3_GFX90A:ACCUM_OFFSET: 30
; COMPUTE_PGM_RSRC3_GFX90A:TG_SPLIT: 0
	.section	.text._ZN12_GLOBAL__N_120geam_min_plus_kernelIDF16_Dv2_DF16_S1_Li8ELi32ELi64ELi128ELi4ELi4ELi64ELi4ELi64ELc84ELc78ELb0ELb1ELb0EPKDF16_KS3_KPDF16_EEviiiT16_PT17_ilS9_ilS7_S9_ilPT18_ili26rocblas_geam_ex_operation_,"axG",@progbits,_ZN12_GLOBAL__N_120geam_min_plus_kernelIDF16_Dv2_DF16_S1_Li8ELi32ELi64ELi128ELi4ELi4ELi64ELi4ELi64ELc84ELc78ELb0ELb1ELb0EPKDF16_KS3_KPDF16_EEviiiT16_PT17_ilS9_ilS7_S9_ilPT18_ili26rocblas_geam_ex_operation_,comdat
	.globl	_ZN12_GLOBAL__N_120geam_min_plus_kernelIDF16_Dv2_DF16_S1_Li8ELi32ELi64ELi128ELi4ELi4ELi64ELi4ELi64ELc84ELc78ELb0ELb1ELb0EPKDF16_KS3_KPDF16_EEviiiT16_PT17_ilS9_ilS7_S9_ilPT18_ili26rocblas_geam_ex_operation_ ; -- Begin function _ZN12_GLOBAL__N_120geam_min_plus_kernelIDF16_Dv2_DF16_S1_Li8ELi32ELi64ELi128ELi4ELi4ELi64ELi4ELi64ELc84ELc78ELb0ELb1ELb0EPKDF16_KS3_KPDF16_EEviiiT16_PT17_ilS9_ilS7_S9_ilPT18_ili26rocblas_geam_ex_operation_
	.p2align	8
	.type	_ZN12_GLOBAL__N_120geam_min_plus_kernelIDF16_Dv2_DF16_S1_Li8ELi32ELi64ELi128ELi4ELi4ELi64ELi4ELi64ELc84ELc78ELb0ELb1ELb0EPKDF16_KS3_KPDF16_EEviiiT16_PT17_ilS9_ilS7_S9_ilPT18_ili26rocblas_geam_ex_operation_,@function
_ZN12_GLOBAL__N_120geam_min_plus_kernelIDF16_Dv2_DF16_S1_Li8ELi32ELi64ELi128ELi4ELi4ELi64ELi4ELi64ELc84ELc78ELb0ELb1ELb0EPKDF16_KS3_KPDF16_EEviiiT16_PT17_ilS9_ilS7_S9_ilPT18_ili26rocblas_geam_ex_operation_: ; @_ZN12_GLOBAL__N_120geam_min_plus_kernelIDF16_Dv2_DF16_S1_Li8ELi32ELi64ELi128ELi4ELi4ELi64ELi4ELi64ELc84ELc78ELb0ELb1ELb0EPKDF16_KS3_KPDF16_EEviiiT16_PT17_ilS9_ilS7_S9_ilPT18_ili26rocblas_geam_ex_operation_
; %bb.0:
	s_load_dwordx4 s[4:7], s[0:1], 0x10
	s_load_dwordx4 s[12:15], s[0:1], 0x28
	s_load_dwordx4 s[8:11], s[0:1], 0x40
	s_mov_b32 s26, s3
	s_mov_b32 s27, 0
	s_lshl_b64 s[16:17], s[26:27], 1
	s_waitcnt lgkmcnt(0)
	s_add_u32 s4, s4, s16
	s_addc_u32 s5, s5, s17
	v_mov_b32_e32 v1, 0
	global_load_ushort v34, v1, s[4:5]
	s_add_u32 s4, s10, s16
	s_addc_u32 s5, s11, s17
	global_load_ushort v44, v1, s[4:5]
	s_load_dwordx2 s[20:21], s[0:1], 0x50
	s_mov_b64 s[16:17], 0
	s_mov_b64 s[18:19], 0
	s_waitcnt vmcnt(1)
	v_cmp_eq_f16_e32 vcc, 0, v34
	v_cmp_neq_f16_e64 s[4:5], 0, v34
	s_cbranch_vccnz .LBB240_2
; %bb.1:
	s_lshl_b64 s[10:11], s[26:27], 3
	s_add_u32 s6, s6, s10
	s_addc_u32 s7, s7, s11
	s_load_dwordx2 s[6:7], s[6:7], 0x0
	s_lshl_b64 s[10:11], s[12:13], 1
	s_waitcnt lgkmcnt(0)
	s_add_u32 s18, s6, s10
	s_addc_u32 s19, s7, s11
.LBB240_2:
	s_andn2_b64 vcc, exec, s[4:5]
	s_cbranch_vccnz .LBB240_4
; %bb.3:
	s_lshl_b64 s[6:7], s[26:27], 3
	s_add_u32 s6, s14, s6
	s_addc_u32 s7, s15, s7
	s_load_dwordx2 s[6:7], s[6:7], 0x0
	s_lshl_b64 s[8:9], s[8:9], 1
	s_waitcnt lgkmcnt(0)
	s_add_u32 s16, s6, s8
	s_addc_u32 s17, s7, s9
.LBB240_4:
	s_load_dwordx4 s[12:15], s[0:1], 0x60
	s_waitcnt vmcnt(0)
	v_cmp_eq_f16_e32 vcc, 0, v44
	v_cmp_neq_f16_e64 s[8:9], 0, v44
	s_cbranch_vccnz .LBB240_6
; %bb.5:
	s_lshl_b64 s[6:7], s[26:27], 3
	s_waitcnt lgkmcnt(0)
	s_add_u32 s6, s20, s6
	s_addc_u32 s7, s21, s7
	s_load_dwordx2 s[6:7], s[6:7], 0x0
	s_lshl_b64 s[10:11], s[12:13], 1
	s_waitcnt lgkmcnt(0)
	s_add_u32 s24, s6, s10
	s_addc_u32 s25, s7, s11
	s_branch .LBB240_7
.LBB240_6:
	s_mov_b64 s[24:25], 0
.LBB240_7:
	s_waitcnt lgkmcnt(0)
	s_load_dwordx4 s[20:23], s[0:1], 0x0
	s_load_dword s3, s[0:1], 0x20
	s_lshl_b64 s[6:7], s[26:27], 3
	s_add_u32 s26, s14, s6
	s_addc_u32 s27, s15, s7
	s_waitcnt lgkmcnt(0)
	s_add_i32 s6, s20, -1
	s_ashr_i32 s7, s6, 31
	s_lshr_b32 s7, s7, 26
	s_add_i32 s6, s6, s7
	s_ashr_i32 s10, s6, 6
	s_add_i32 s11, s10, 1
	v_cvt_f32_u32_e32 v1, s11
	s_not_b32 s10, s10
	v_and_b32_e32 v32, 0x3ff, v0
	v_bfe_u32 v33, v0, 10, 10
	v_rcp_iflag_f32_e32 v1, v1
	v_and_b32_e32 v35, 3, v0
	v_lshl_add_u32 v0, v33, 3, v32
	v_lshrrev_b32_e32 v4, 2, v0
	v_mul_f32_e32 v1, 0x4f7ffffe, v1
	v_cvt_u32_f32_e32 v1, v1
	v_cmp_gt_i32_e64 s[6:7], s22, v35
	v_mov_b32_e32 v8, 0
	v_lshlrev_b32_e32 v0, 1, v35
	v_readfirstlane_b32 s12, v1
	s_mul_i32 s10, s10, s12
	s_mul_hi_u32 s10, s12, s10
	s_add_i32 s12, s12, s10
	s_mul_hi_u32 s10, s2, s12
	s_mul_i32 s12, s10, s11
	s_sub_i32 s12, s2, s12
	s_add_i32 s13, s10, 1
	s_sub_i32 s14, s12, s11
	s_cmp_ge_u32 s12, s11
	s_cselect_b32 s10, s13, s10
	s_cselect_b32 s12, s14, s12
	s_add_i32 s13, s10, 1
	s_cmp_ge_u32 s12, s11
	s_cselect_b32 s10, s13, s10
	s_mul_i32 s30, s10, s11
	s_sub_i32 s11, s2, s30
	s_lshl_b32 s28, s11, 6
	v_add_u32_e32 v10, s28, v4
	v_cmp_gt_i32_e32 vcc, s20, v10
	s_and_b64 s[6:7], s[6:7], vcc
	s_and_b64 s[12:13], s[4:5], s[6:7]
	v_mov_b32_e32 v9, 0
	s_and_saveexec_b64 s[6:7], s[12:13]
	s_cbranch_execz .LBB240_9
; %bb.8:
	v_mad_i64_i32 v[2:3], s[12:13], v10, s3, 0
	v_lshl_add_u64 v[2:3], v[2:3], 1, s[18:19]
	v_mov_b32_e32 v1, 0
	v_lshl_add_u64 v[2:3], v[2:3], 0, v[0:1]
	flat_load_ushort v1, v[2:3]
	s_waitcnt vmcnt(0) lgkmcnt(0)
	v_mul_f16_e32 v9, v34, v1
.LBB240_9:
	s_or_b64 exec, exec, s[6:7]
	s_load_dword s31, s[0:1], 0x38
	s_lshl_b32 s29, s10, 7
	v_add_u32_e32 v5, s29, v4
	s_add_i32 s23, s22, -1
	v_min_i32_e32 v2, s23, v35
	v_cmp_le_i32_e64 s[10:11], s21, v5
	s_xor_b64 s[14:15], s[4:5], -1
	v_cmp_le_i32_e64 s[6:7], s22, v35
	v_ashrrev_i32_e32 v3, 31, v2
	s_or_b64 s[12:13], s[10:11], s[14:15]
	v_lshl_add_u64 v[2:3], v[2:3], 1, s[16:17]
	s_nor_b64 s[34:35], s[6:7], s[12:13]
	s_and_saveexec_b64 s[10:11], s[34:35]
	s_cbranch_execz .LBB240_11
; %bb.10:
	s_waitcnt lgkmcnt(0)
	v_mad_i64_i32 v[6:7], s[34:35], v5, s31, 0
	v_lshl_add_u64 v[6:7], v[6:7], 1, v[2:3]
	flat_load_ushort v1, v[6:7]
	s_waitcnt vmcnt(0) lgkmcnt(0)
	v_mul_f16_e32 v8, v34, v1
.LBB240_11:
	s_or_b64 exec, exec, s[10:11]
	v_add_u32_e32 v6, 64, v5
	v_cmp_le_i32_e64 s[10:11], s21, v6
	s_or_b64 s[14:15], s[10:11], s[14:15]
	s_nor_b64 s[10:11], s[6:7], s[14:15]
	v_mov_b32_e32 v7, 0
	v_mov_b32_e32 v11, 0
	s_and_saveexec_b64 s[6:7], s[10:11]
	s_cbranch_execz .LBB240_13
; %bb.12:
	s_waitcnt lgkmcnt(0)
	v_mad_i64_i32 v[12:13], s[10:11], v6, s31, 0
	v_lshl_add_u64 v[2:3], v[12:13], 1, v[2:3]
	flat_load_ushort v1, v[2:3]
	s_waitcnt vmcnt(0) lgkmcnt(0)
	v_mul_f16_e32 v11, v34, v1
.LBB240_13:
	s_or_b64 exec, exec, s[6:7]
	v_or_b32_e32 v2, 4, v35
	v_cmp_gt_i32_e64 s[6:7], s22, v2
	s_and_b64 s[6:7], s[6:7], vcc
	s_and_b64 s[10:11], s[4:5], s[6:7]
	s_and_saveexec_b64 s[6:7], s[10:11]
	s_cbranch_execz .LBB240_15
; %bb.14:
	v_mad_i64_i32 v[12:13], s[10:11], v10, s3, 0
	v_lshl_add_u64 v[12:13], v[12:13], 1, s[18:19]
	v_mov_b32_e32 v1, 0
	v_lshl_add_u64 v[0:1], v[12:13], 0, v[0:1]
	flat_load_ushort v0, v[0:1] offset:8
	s_waitcnt vmcnt(0) lgkmcnt(0)
	v_mul_f16_e32 v7, v34, v0
.LBB240_15:
	s_or_b64 exec, exec, s[6:7]
	v_min_i32_e32 v0, s23, v2
	v_cmp_le_i32_e64 s[6:7], s22, v2
	v_ashrrev_i32_e32 v1, 31, v0
	v_lshl_add_u64 v[0:1], v[0:1], 1, s[16:17]
	s_nor_b64 s[34:35], s[6:7], s[12:13]
	v_mov_b32_e32 v2, 0
	v_mov_b32_e32 v3, 0
	s_and_saveexec_b64 s[10:11], s[34:35]
	s_cbranch_execz .LBB240_17
; %bb.16:
	s_waitcnt lgkmcnt(0)
	v_mad_i64_i32 v[12:13], s[34:35], v5, s31, 0
	v_lshl_add_u64 v[12:13], v[12:13], 1, v[0:1]
	flat_load_ushort v3, v[12:13]
	s_waitcnt vmcnt(0) lgkmcnt(0)
	v_mul_f16_e32 v3, v34, v3
.LBB240_17:
	s_or_b64 exec, exec, s[10:11]
	s_nor_b64 s[10:11], s[6:7], s[14:15]
	s_and_saveexec_b64 s[6:7], s[10:11]
	s_cbranch_execz .LBB240_19
; %bb.18:
	s_waitcnt lgkmcnt(0)
	v_mad_i64_i32 v[12:13], s[10:11], v6, s31, 0
	v_lshl_add_u64 v[0:1], v[12:13], 1, v[0:1]
	flat_load_ushort v0, v[0:1]
	s_waitcnt vmcnt(0) lgkmcnt(0)
	v_mul_f16_e32 v2, v34, v0
.LBB240_19:
	s_or_b64 exec, exec, s[6:7]
	v_lshlrev_b32_e32 v0, 3, v4
	v_lshl_or_b32 v38, v35, 1, v0
	v_lshlrev_b32_e32 v37, 3, v32
	v_lshlrev_b32_e32 v36, 3, v33
	s_load_dwordx2 s[10:11], s[26:27], 0x0
	ds_write_b16 v38, v9 offset:2048
	ds_write_b16 v38, v8
	ds_write_b16 v38, v11 offset:512
	s_waitcnt lgkmcnt(0)
	s_barrier
	ds_read2_b64 v[8:11], v36 offset1:32
	v_add_u32_e32 v39, 0x800, v37
	ds_read2_b64 v[12:15], v39 offset0:48 offset1:56
	ds_read2_b64 v[16:19], v36 offset0:64 offset1:96
	ds_read2_b64 v[20:23], v39 offset1:8
	ds_read2_b64 v[24:27], v39 offset0:16 offset1:24
	ds_read2_b64 v[28:31], v39 offset0:32 offset1:40
	s_waitcnt lgkmcnt(5)
	v_pk_max_f16 v0, v8, v8
	s_waitcnt lgkmcnt(4)
	v_pk_max_f16 v1, v14, v14
	v_pk_max_f16 v10, v10, v10
	v_pk_min_f16 v8, v1, v0
	s_waitcnt lgkmcnt(3)
	v_pk_max_f16 v14, v16, v16
	s_waitcnt lgkmcnt(2)
	v_pk_max_f16 v16, v20, v20
	v_pk_max_f16 v18, v18, v18
	;; [unrolled: 1-line block ×3, first 2 shown]
	s_waitcnt lgkmcnt(1)
	v_pk_max_f16 v24, v24, v24
	v_pk_max_f16 v26, v26, v26
	s_waitcnt lgkmcnt(0)
	v_pk_max_f16 v28, v28, v28
	v_pk_max_f16 v9, v9, v9
	;; [unrolled: 1-line block ×5, first 2 shown]
	v_pk_min_f16 v20, v16, v0
	v_pk_min_f16 v40, v16, v10
	;; [unrolled: 1-line block ×17, first 2 shown]
	v_pk_max_f16 v11, v11, v11
	v_pk_min_f16 v57, v28, v10
	v_pk_min_f16 v62, v28, v14
	;; [unrolled: 1-line block ×14, first 2 shown]
	v_pk_add_f16 v8, v8, 0
	v_pk_min_f16 v18, v15, v9
	v_pk_max_f16 v17, v17, v17
	v_pk_add_f16 v69, v8, v18
	v_pk_add_f16 v8, v50, 0
	v_pk_min_f16 v18, v15, v11
	v_pk_max_f16 v21, v21, v21
	v_pk_add_f16 v61, v8, v18
	;; [unrolled: 4-line block ×5, first 2 shown]
	v_pk_add_f16 v8, v41, 0
	v_pk_min_f16 v18, v21, v17
	v_pk_min_f16 v40, v27, v9
	v_pk_add_f16 v60, v8, v18
	v_pk_add_f16 v8, v16, 0
	v_pk_min_f16 v16, v21, v19
	v_pk_add_f16 v20, v26, 0
	v_pk_add_f16 v52, v8, v16
	v_pk_add_f16 v8, v42, 0
	v_pk_min_f16 v16, v23, v9
	v_pk_add_f16 v21, v56, 0
	;; [unrolled: 4-line block ×5, first 2 shown]
	v_pk_add_f16 v51, v8, v16
	v_pk_max_f16 v16, v25, v25
	v_pk_add_f16 v8, v46, 0
	v_pk_min_f16 v18, v16, v9
	v_pk_add_f16 v23, v62, 0
	v_pk_add_f16 v75, v8, v18
	;; [unrolled: 1-line block ×3, first 2 shown]
	v_pk_min_f16 v18, v16, v11
	v_pk_add_f16 v25, v63, 0
	v_pk_add_f16 v66, v8, v18
	;; [unrolled: 1-line block ×3, first 2 shown]
	v_pk_min_f16 v18, v16, v17
	v_pk_min_f16 v16, v16, v19
	v_pk_add_f16 v58, v8, v18
	v_pk_add_f16 v8, v24, 0
	;; [unrolled: 1-line block ×7, first 2 shown]
	v_pk_min_f16 v8, v27, v11
	v_pk_add_f16 v24, v28, 0
	v_pk_add_f16 v28, v65, 0
	;; [unrolled: 1-line block ×3, first 2 shown]
	v_pk_min_f16 v8, v27, v17
	v_pk_add_f16 v0, v0, 0
	v_pk_add_f16 v57, v18, v8
	v_pk_min_f16 v8, v27, v19
	v_pk_add_f16 v10, v10, 0
	v_pk_add_f16 v49, v20, v8
	v_pk_max_f16 v8, v29, v29
	v_pk_add_f16 v14, v14, 0
	v_pk_min_f16 v16, v8, v9
	v_pk_add_f16 v12, v12, 0
	v_pk_add_f16 v73, v21, v16
	v_pk_min_f16 v16, v8, v11
	v_pk_add_f16 v1, v1, 0
	v_pk_add_f16 v64, v22, v16
	v_pk_min_f16 v16, v8, v17
	v_pk_min_f16 v8, v8, v19
	v_pk_add_f16 v56, v23, v16
	v_pk_add_f16 v48, v24, v8
	v_pk_max_f16 v8, v31, v31
	s_mov_b32 s26, 0
	v_pk_min_f16 v16, v8, v9
	s_cmp_lt_i32 s22, 9
	v_pk_add_f16 v72, v25, v16
	v_pk_min_f16 v16, v8, v11
	ds_write_b16 v38, v7 offset:2560
	ds_write_b16 v38, v3 offset:1024
	;; [unrolled: 1-line block ×3, first 2 shown]
	v_pk_add_f16 v63, v26, v16
	v_pk_min_f16 v16, v8, v17
	v_pk_min_f16 v8, v8, v19
	v_pk_add_f16 v55, v28, v16
	v_pk_add_f16 v47, v30, v8
	v_pk_max_f16 v8, v13, v13
	s_waitcnt lgkmcnt(0)
	v_pk_min_f16 v9, v8, v9
	s_barrier
	v_pk_add_f16 v71, v0, v9
	v_pk_min_f16 v0, v8, v11
	s_nop 0
	v_pk_add_f16 v62, v10, v0
	v_pk_min_f16 v0, v8, v17
	s_nop 0
	;; [unrolled: 3-line block ×4, first 2 shown]
	v_pk_add_f16 v45, v1, v0
	s_cbranch_scc1 .LBB240_34
; %bb.20:
	v_mov_b32_e32 v0, 0xa00
	v_lshl_add_u32 v43, v32, 3, v0
	v_mov_b32_e32 v0, 0x400
	v_lshl_add_u32 v70, v33, 3, v0
	v_lshl_add_u32 v0, s2, 6, v4
	s_lshl_b32 s2, s30, 6
	v_subrev_u32_e32 v0, s2, v0
	v_and_b32_e32 v2, 3, v32
	v_mad_i64_i32 v[0:1], s[2:3], s3, v0, 0
	v_lshlrev_b32_e32 v2, 1, v2
	v_mov_b32_e32 v3, 0
	v_lshl_add_u64 v[0:1], v[0:1], 1, v[2:3]
	v_lshl_add_u64 v[0:1], s[18:19], 0, v[0:1]
	v_add_u32_e32 v40, 0x800, v38
	v_add_u32_e32 v41, 0xa00, v38
	;; [unrolled: 1-line block ×3, first 2 shown]
	s_add_i32 s27, s22, -8
	v_mad_i64_i32 v[24:25], s[6:7], v5, s31, 0
	v_mad_i64_i32 v[26:27], s[6:7], v6, s31, 0
	v_lshl_add_u64 v[28:29], v[0:1], 0, 24
	s_branch .LBB240_22
.LBB240_21:                             ;   in Loop: Header=BB240_22 Depth=1
	s_or_b64 exec, exec, s[2:3]
	v_pk_max_f16 v2, v2, v2
	v_pk_max_f16 v20, v20, v20
	;; [unrolled: 1-line block ×7, first 2 shown]
	v_pk_min_f16 v30, v2, v20
	v_pk_min_f16 v31, v2, v22
	v_pk_max_f16 v12, v12, v12
	v_pk_max_f16 v14, v14, v14
	;; [unrolled: 1-line block ×10, first 2 shown]
	v_pk_min_f16 v93, v4, v20
	v_pk_max_f16 v9, v9, v9
	v_pk_max_f16 v11, v11, v11
	v_pk_min_f16 v94, v4, v22
	v_pk_max_f16 v5, v5, v5
	v_pk_max_f16 v7, v7, v7
	v_pk_min_f16 v95, v4, v16
	v_pk_min_f16 v4, v4, v18
	v_pk_max_f16 v0, v0, v0
	v_pk_max_f16 v3, v3, v3
	;; [unrolled: 1-line block ×3, first 2 shown]
	v_pk_min_f16 v96, v6, v20
	v_pk_min_f16 v97, v6, v22
	;; [unrolled: 1-line block ×58, first 2 shown]
	v_pk_add_f16 v1, v69, v30
	v_pk_add_f16 v3, v61, v31
	;; [unrolled: 1-line block ×12, first 2 shown]
	ds_read2_b64 v[0:3], v39 offset0:48 offset1:56
	ds_read2_b64 v[4:7], v36 offset1:32
	v_pk_add_f16 v30, v53, v99
	v_pk_add_f16 v31, v77, v81
	;; [unrolled: 1-line block ×7, first 2 shown]
	s_waitcnt lgkmcnt(1)
	v_pk_max_f16 v2, v2, v2
	s_waitcnt lgkmcnt(0)
	v_pk_max_f16 v4, v4, v4
	v_pk_add_f16 v61, v67, v85
	v_pk_add_f16 v14, v51, v14
	;; [unrolled: 1-line block ×8, first 2 shown]
	ds_read2_b64 v[8:11], v36 offset0:64 offset1:96
	v_pk_min_f16 v12, v2, v4
	v_pk_add_f16 v22, v62, v22
	v_pk_add_f16 v62, v14, v15
	;; [unrolled: 1-line block ×3, first 2 shown]
	ds_read2_b64 v[12:15], v39 offset1:8
	v_pk_max_f16 v6, v6, v6
	v_pk_add_f16 v50, v74, v90
	v_pk_add_f16 v74, v16, v17
	v_pk_min_f16 v16, v2, v6
	s_waitcnt lgkmcnt(1)
	v_pk_max_f16 v8, v8, v8
	v_pk_add_f16 v30, v30, v119
	v_pk_add_f16 v54, v54, v16
	v_pk_min_f16 v16, v2, v8
	s_waitcnt lgkmcnt(0)
	v_pk_max_f16 v12, v12, v12
	v_pk_add_f16 v30, v30, v16
	v_pk_min_f16 v16, v12, v4
	v_pk_add_f16 v51, v75, v87
	v_pk_add_f16 v75, v18, v16
	v_pk_min_f16 v16, v12, v6
	v_pk_add_f16 v52, v76, v84
	v_pk_add_f16 v31, v31, v16
	v_pk_min_f16 v16, v12, v8
	v_pk_max_f16 v14, v14, v14
	v_pk_add_f16 v52, v52, v102
	v_pk_add_f16 v76, v53, v16
	v_pk_min_f16 v16, v14, v4
	v_pk_add_f16 v61, v61, v103
	v_pk_add_f16 v81, v52, v16
	v_pk_min_f16 v16, v14, v6
	v_pk_add_f16 v45, v45, v19
	v_pk_add_f16 v82, v61, v16
	ds_read2_b64 v[16:19], v39 offset0:16 offset1:24
	v_pk_add_f16 v59, v59, v86
	v_pk_add_f16 v48, v72, v96
	;; [unrolled: 1-line block ×4, first 2 shown]
	v_pk_max_f16 v10, v10, v10
	v_pk_min_f16 v20, v14, v8
	s_waitcnt lgkmcnt(0)
	v_pk_max_f16 v16, v16, v16
	v_pk_add_f16 v66, v66, v88
	v_pk_add_f16 v51, v51, v105
	;; [unrolled: 1-line block ×3, first 2 shown]
	v_pk_min_f16 v14, v14, v10
	v_pk_min_f16 v20, v16, v4
	v_pk_add_f16 v58, v58, v89
	v_pk_add_f16 v66, v66, v106
	;; [unrolled: 1-line block ×4, first 2 shown]
	v_pk_min_f16 v20, v16, v6
	v_pk_add_f16 v58, v58, v107
	v_pk_add_f16 v66, v66, v20
	v_pk_min_f16 v20, v16, v8
	v_pk_max_f16 v18, v18, v18
	v_pk_add_f16 v65, v65, v91
	v_pk_add_f16 v50, v50, v108
	;; [unrolled: 1-line block ×3, first 2 shown]
	v_pk_min_f16 v20, v18, v4
	v_pk_add_f16 v65, v65, v109
	v_pk_add_f16 v83, v50, v20
	v_pk_min_f16 v20, v18, v6
	v_pk_add_f16 v49, v73, v93
	v_pk_add_f16 v73, v22, v23
	;; [unrolled: 1-line block ×3, first 2 shown]
	ds_read2_b64 v[20:23], v39 offset0:32 offset1:40
	v_pk_add_f16 v57, v57, v92
	v_pk_min_f16 v50, v18, v8
	v_pk_add_f16 v57, v57, v110
	v_pk_add_f16 v64, v64, v94
	s_waitcnt lgkmcnt(0)
	v_pk_max_f16 v20, v20, v20
	v_pk_add_f16 v49, v49, v111
	v_pk_add_f16 v57, v57, v50
	v_pk_min_f16 v50, v20, v4
	v_pk_add_f16 v56, v56, v95
	v_pk_add_f16 v64, v64, v112
	;; [unrolled: 1-line block ×3, first 2 shown]
	v_pk_min_f16 v49, v20, v6
	v_pk_add_f16 v56, v56, v113
	v_pk_add_f16 v64, v64, v49
	v_pk_min_f16 v49, v20, v8
	v_pk_max_f16 v22, v22, v22
	v_pk_add_f16 v63, v63, v97
	v_pk_add_f16 v48, v48, v114
	;; [unrolled: 1-line block ×3, first 2 shown]
	v_pk_min_f16 v49, v22, v4
	v_pk_add_f16 v63, v63, v115
	v_pk_add_f16 v85, v48, v49
	v_pk_min_f16 v48, v22, v6
	v_pk_max_f16 v0, v0, v0
	v_pk_max_f16 v3, v3, v3
	;; [unrolled: 1-line block ×3, first 2 shown]
	v_pk_min_f16 v12, v12, v10
	v_pk_min_f16 v16, v16, v10
	;; [unrolled: 1-line block ×4, first 2 shown]
	v_pk_add_f16 v63, v63, v48
	v_pk_min_f16 v48, v22, v8
	v_pk_min_f16 v22, v22, v10
	;; [unrolled: 1-line block ×8, first 2 shown]
	v_pk_max_f16 v7, v7, v7
	v_pk_add_f16 v20, v69, v20
	v_pk_add_f16 v69, v47, v10
	v_pk_min_f16 v10, v3, v7
	v_pk_max_f16 v9, v9, v9
	v_pk_add_f16 v61, v54, v10
	v_pk_min_f16 v10, v3, v9
	v_pk_max_f16 v11, v11, v11
	v_pk_add_f16 v53, v30, v10
	v_pk_max_f16 v10, v13, v13
	v_pk_add_f16 v12, v60, v12
	v_pk_min_f16 v13, v10, v5
	v_pk_add_f16 v18, v68, v18
	v_pk_add_f16 v77, v75, v13
	v_pk_min_f16 v13, v10, v7
	v_pk_add_f16 v16, v67, v16
	v_pk_add_f16 v68, v31, v13
	v_pk_min_f16 v13, v10, v9
	v_pk_min_f16 v10, v10, v11
	v_pk_add_f16 v60, v76, v13
	v_pk_add_f16 v52, v12, v10
	v_pk_max_f16 v10, v15, v15
	v_pk_add_f16 v8, v74, v8
	v_pk_min_f16 v12, v10, v5
	v_pk_add_f16 v55, v55, v98
	v_pk_add_f16 v76, v81, v12
	v_pk_min_f16 v12, v10, v7
	v_pk_add_f16 v6, v73, v6
	v_pk_add_f16 v67, v82, v12
	v_pk_min_f16 v12, v10, v9
	v_pk_min_f16 v10, v10, v11
	v_pk_add_f16 v59, v59, v12
	v_pk_add_f16 v51, v14, v10
	v_pk_max_f16 v10, v17, v17
	v_pk_add_f16 v55, v55, v116
	v_pk_min_f16 v12, v10, v5
	v_pk_add_f16 v55, v55, v48
	v_pk_add_f16 v75, v62, v12
	v_pk_min_f16 v12, v10, v7
	v_pk_max_f16 v1, v1, v1
	v_pk_add_f16 v66, v66, v12
	v_pk_min_f16 v12, v10, v9
	v_pk_min_f16 v10, v10, v11
	v_pk_add_f16 v58, v58, v12
	v_pk_add_f16 v50, v16, v10
	v_pk_max_f16 v10, v19, v19
	v_pk_add_f16 v4, v72, v4
	v_pk_min_f16 v12, v10, v5
	v_pk_add_f16 v46, v46, v120
	v_pk_add_f16 v74, v83, v12
	v_pk_min_f16 v12, v10, v7
	v_pk_add_f16 v22, v71, v22
	v_pk_add_f16 v65, v65, v12
	v_pk_min_f16 v12, v10, v9
	v_pk_min_f16 v10, v10, v11
	v_pk_add_f16 v57, v57, v12
	v_pk_add_f16 v49, v18, v10
	v_pk_max_f16 v10, v21, v21
	v_pk_add_f16 v0, v46, v0
	v_pk_min_f16 v12, v10, v5
	v_pk_add_f16 v2, v45, v2
	v_pk_add_f16 v73, v84, v12
	v_pk_min_f16 v12, v10, v7
	s_add_i32 s26, s26, 8
	v_pk_add_f16 v64, v64, v12
	v_pk_min_f16 v12, v10, v9
	v_pk_min_f16 v10, v10, v11
	v_pk_add_f16 v56, v56, v12
	v_pk_add_f16 v48, v20, v10
	v_pk_max_f16 v10, v23, v23
	s_cmp_ge_i32 s26, s27
	v_pk_min_f16 v12, v10, v5
	v_pk_min_f16 v5, v1, v5
	v_pk_add_f16 v72, v85, v12
	v_pk_add_f16 v71, v4, v5
	v_pk_min_f16 v4, v1, v7
	v_pk_min_f16 v12, v10, v7
	v_pk_add_f16 v62, v6, v4
	v_pk_min_f16 v4, v1, v9
	v_pk_min_f16 v1, v1, v11
	;; [unrolled: 3-line block ×3, first 2 shown]
	v_pk_add_f16 v46, v0, v1
	v_pk_min_f16 v0, v3, v11
	v_pk_add_f16 v55, v55, v12
	v_pk_add_f16 v47, v22, v10
	v_pk_add_f16 v54, v8, v4
	v_pk_add_f16 v45, v2, v0
	v_lshl_add_u64 v[28:29], v[28:29], 0, 16
	ds_write_b16 v41, v79
	ds_write_b16 v42, v78
	ds_write_b16 v42, v80 offset:512
	s_waitcnt lgkmcnt(0)
	s_barrier
	s_cbranch_scc1 .LBB240_34
.LBB240_22:                             ; =>This Inner Loop Header: Depth=1
	v_add_u32_e32 v30, s26, v35
	v_add_u32_e32 v0, 8, v30
	v_cmp_gt_i32_e64 s[2:3], s22, v0
	s_and_b64 s[2:3], s[2:3], vcc
	s_and_b64 s[2:3], s[4:5], s[2:3]
	v_mov_b32_e32 v31, 0
	s_and_saveexec_b64 s[6:7], s[2:3]
	s_cbranch_execz .LBB240_24
; %bb.23:                               ;   in Loop: Header=BB240_22 Depth=1
	v_add_co_u32_e64 v2, s[2:3], -8, v28
	s_nop 1
	v_addc_co_u32_e64 v3, s[2:3], -1, v29, s[2:3]
	flat_load_ushort v1, v[2:3]
	s_waitcnt vmcnt(0) lgkmcnt(0)
	v_mul_f16_e32 v31, v34, v1
.LBB240_24:                             ;   in Loop: Header=BB240_22 Depth=1
	s_or_b64 exec, exec, s[6:7]
	v_cmp_le_i32_e64 s[6:7], s22, v0
	v_min_i32_e32 v0, s23, v0
	v_ashrrev_i32_e32 v1, 31, v0
	v_lshl_add_u64 v[0:1], v[0:1], 1, s[16:17]
	s_nor_b64 s[18:19], s[12:13], s[6:7]
	v_mov_b32_e32 v78, 0
	v_mov_b32_e32 v79, 0
	s_and_saveexec_b64 s[2:3], s[18:19]
	s_cbranch_execz .LBB240_26
; %bb.25:                               ;   in Loop: Header=BB240_22 Depth=1
	v_lshl_add_u64 v[2:3], v[24:25], 1, v[0:1]
	flat_load_ushort v2, v[2:3]
	s_waitcnt vmcnt(0) lgkmcnt(0)
	v_mul_f16_e32 v79, v34, v2
.LBB240_26:                             ;   in Loop: Header=BB240_22 Depth=1
	s_or_b64 exec, exec, s[2:3]
	s_nor_b64 s[6:7], s[14:15], s[6:7]
	s_and_saveexec_b64 s[2:3], s[6:7]
	s_cbranch_execz .LBB240_28
; %bb.27:                               ;   in Loop: Header=BB240_22 Depth=1
	v_lshl_add_u64 v[0:1], v[26:27], 1, v[0:1]
	flat_load_ushort v0, v[0:1]
	s_waitcnt vmcnt(0) lgkmcnt(0)
	v_mul_f16_e32 v78, v34, v0
.LBB240_28:                             ;   in Loop: Header=BB240_22 Depth=1
	s_or_b64 exec, exec, s[2:3]
	ds_read2_b64 v[0:3], v43 offset0:48 offset1:56
	ds_read2_b64 v[16:19], v70 offset0:64 offset1:96
	ds_read2_b64 v[20:23], v70 offset1:32
	ds_read2_b64 v[12:15], v43 offset1:8
	ds_read2_b64 v[8:11], v43 offset0:16 offset1:24
	ds_read2_b64 v[4:7], v43 offset0:32 offset1:40
	v_add_u32_e32 v30, 12, v30
	v_cmp_gt_i32_e64 s[2:3], s22, v30
	s_and_b64 s[2:3], s[2:3], vcc
	ds_write_b16 v40, v31
	ds_write_b16 v38, v79
	ds_write_b16 v38, v78 offset:512
	s_and_b64 s[2:3], s[4:5], s[2:3]
	v_mov_b32_e32 v78, 0
	v_mov_b32_e32 v79, 0
	s_waitcnt lgkmcnt(0)
	s_barrier
	s_and_saveexec_b64 s[6:7], s[2:3]
	s_xor_b64 s[2:3], exec, s[6:7]
	s_cbranch_execz .LBB240_30
; %bb.29:                               ;   in Loop: Header=BB240_22 Depth=1
	flat_load_ushort v31, v[28:29]
	s_waitcnt vmcnt(0) lgkmcnt(0)
	v_mul_f16_e32 v79, v34, v31
.LBB240_30:                             ;   in Loop: Header=BB240_22 Depth=1
	s_or_b64 exec, exec, s[2:3]
	v_cmp_le_i32_e64 s[6:7], s22, v30
	v_min_i32_e32 v30, s23, v30
	v_ashrrev_i32_e32 v31, 31, v30
	v_lshl_add_u64 v[30:31], v[30:31], 1, s[16:17]
	s_nor_b64 s[18:19], s[12:13], s[6:7]
	s_and_saveexec_b64 s[2:3], s[18:19]
	s_cbranch_execz .LBB240_32
; %bb.31:                               ;   in Loop: Header=BB240_22 Depth=1
	v_lshl_add_u64 v[80:81], v[24:25], 1, v[30:31]
	flat_load_ushort v78, v[80:81]
	s_waitcnt vmcnt(0) lgkmcnt(0)
	v_mul_f16_e32 v78, v34, v78
.LBB240_32:                             ;   in Loop: Header=BB240_22 Depth=1
	s_or_b64 exec, exec, s[2:3]
	s_nor_b64 s[6:7], s[14:15], s[6:7]
	v_mov_b32_e32 v80, 0
	s_and_saveexec_b64 s[2:3], s[6:7]
	s_cbranch_execz .LBB240_21
; %bb.33:                               ;   in Loop: Header=BB240_22 Depth=1
	v_lshl_add_u64 v[30:31], v[26:27], 1, v[30:31]
	flat_load_ushort v30, v[30:31]
	s_waitcnt vmcnt(0) lgkmcnt(0)
	v_mul_f16_e32 v80, v34, v30
	s_branch .LBB240_21
.LBB240_34:
	s_load_dwordx2 s[2:3], s[0:1], 0x78
	s_load_dword s31, s[0:1], 0x58
	s_load_dword s30, s[0:1], 0x70
	v_add_u32_e32 v8, 0x800, v37
	ds_read2_b64 v[0:3], v8 offset0:112 offset1:120
	ds_read2_b64 v[4:7], v36 offset0:192 offset1:224
	;; [unrolled: 1-line block ×6, first 2 shown]
	s_waitcnt lgkmcnt(0)
	s_lshl_b64 s[0:1], s[2:3], 1
	s_add_u32 s22, s10, s0
	v_add_u32_e32 v70, s29, v33
	s_addc_u32 s23, s11, s1
	v_mad_i64_i32 v[26:27], s[0:1], v70, s31, 0
	v_add_u32_e32 v24, s28, v32
	v_lshl_add_u64 v[42:43], v[26:27], 1, s[24:25]
	v_mad_i64_i32 v[26:27], s[0:1], v70, s30, 0
	v_cmp_gt_i32_e64 s[18:19], s21, v70
	v_lshl_add_u64 v[40:41], v[26:27], 1, s[22:23]
	v_cmp_gt_i32_e64 s[4:5], s20, v24
	v_cndmask_b32_e64 v26, 0, 1, s[8:9]
	s_and_b64 s[2:3], s[4:5], s[18:19]
	v_ashrrev_i32_e32 v25, 31, v24
	v_cmp_ne_u32_e64 s[0:1], 1, v26
	s_and_saveexec_b64 s[6:7], s[2:3]
	s_xor_b64 s[2:3], exec, s[6:7]
	s_cbranch_execz .LBB240_39
; %bb.35:
	s_and_b64 vcc, exec, s[0:1]
	s_cbranch_vccnz .LBB240_37
; %bb.36:
	v_lshl_add_u64 v[26:27], v[24:25], 1, v[42:43]
	flat_load_ushort v26, v[26:27]
	s_waitcnt vmcnt(0) lgkmcnt(0)
	v_mul_f16_e32 v26, v44, v26
	s_branch .LBB240_38
.LBB240_37:
	v_mov_b32_e32 v26, 0
.LBB240_38:
	v_pk_max_f16 v27, v20, v20
	v_pk_max_f16 v28, v16, v16
	v_pk_max_f16 v29, v17, v17
	v_pk_min_f16 v27, v28, v27
	v_pk_max_f16 v28, v21, v21
	v_pk_add_f16 v27, v77, v27
	v_pk_min_f16 v28, v29, v28
	s_nop 0
	v_pk_add_f16 v27, v27, v28
	s_nop 0
	v_add_f16_sdwa v27, v27, v27 dst_sel:DWORD dst_unused:UNUSED_PAD src0_sel:DWORD src1_sel:WORD_1
	v_add_f16_e32 v28, v27, v26
	v_lshl_add_u64 v[26:27], v[24:25], 1, v[40:41]
	flat_store_short v[26:27], v28
.LBB240_39:
	s_or_b64 exec, exec, s[2:3]
	v_add_u32_e32 v26, 8, v24
	v_cmp_gt_i32_e64 s[2:3], s20, v26
	s_and_b64 s[8:9], s[2:3], s[18:19]
	v_ashrrev_i32_e32 v27, 31, v26
	s_and_saveexec_b64 s[6:7], s[8:9]
	s_cbranch_execz .LBB240_44
; %bb.40:
	s_and_b64 vcc, exec, s[0:1]
	s_cbranch_vccnz .LBB240_42
; %bb.41:
	v_lshl_add_u64 v[28:29], v[26:27], 1, v[42:43]
	flat_load_ushort v28, v[28:29]
	s_waitcnt vmcnt(0) lgkmcnt(0)
	v_mul_f16_e32 v28, v44, v28
	s_branch .LBB240_43
.LBB240_42:
	v_mov_b32_e32 v28, 0
.LBB240_43:
	v_pk_max_f16 v29, v20, v20
	v_pk_max_f16 v30, v18, v18
	v_pk_max_f16 v31, v19, v19
	v_pk_min_f16 v29, v30, v29
	v_pk_max_f16 v30, v21, v21
	v_pk_add_f16 v29, v76, v29
	v_pk_min_f16 v30, v31, v30
	s_nop 0
	v_pk_add_f16 v29, v29, v30
	s_nop 0
	v_add_f16_sdwa v29, v29, v29 dst_sel:DWORD dst_unused:UNUSED_PAD src0_sel:DWORD src1_sel:WORD_1
	v_add_f16_e32 v30, v29, v28
	v_lshl_add_u64 v[28:29], v[26:27], 1, v[40:41]
	flat_store_short v[28:29], v30
.LBB240_44:
	s_or_b64 exec, exec, s[6:7]
	v_add_u32_e32 v28, 16, v24
	v_cmp_gt_i32_e64 s[6:7], s20, v28
	s_and_b64 s[10:11], s[6:7], s[18:19]
	v_ashrrev_i32_e32 v29, 31, v28
	s_and_saveexec_b64 s[8:9], s[10:11]
	;; [unrolled: 34-line block ×6, first 2 shown]
	s_cbranch_execz .LBB240_69
; %bb.65:
	s_and_b64 vcc, exec, s[0:1]
	s_cbranch_vccnz .LBB240_67
; %bb.66:
	v_lshl_add_u64 v[38:39], v[36:37], 1, v[42:43]
	flat_load_ushort v38, v[38:39]
	s_waitcnt vmcnt(0) lgkmcnt(0)
	v_mul_f16_e32 v38, v44, v38
	s_branch .LBB240_68
.LBB240_67:
	v_mov_b32_e32 v38, 0
.LBB240_68:
	v_pk_max_f16 v39, v20, v20
	v_pk_max_f16 v72, v0, v0
	s_nop 0
	v_pk_min_f16 v39, v72, v39
	v_pk_max_f16 v72, v1, v1
	v_pk_add_f16 v39, v71, v39
	v_pk_max_f16 v71, v21, v21
	s_nop 0
	v_pk_min_f16 v71, v72, v71
	s_nop 0
	v_pk_add_f16 v39, v39, v71
	s_nop 0
	v_add_f16_sdwa v39, v39, v39 dst_sel:DWORD dst_unused:UNUSED_PAD src0_sel:DWORD src1_sel:WORD_1
	v_add_f16_e32 v71, v39, v38
	v_lshl_add_u64 v[38:39], v[36:37], 1, v[40:41]
	flat_store_short v[38:39], v71
.LBB240_69:
	s_or_b64 exec, exec, s[16:17]
	v_add_u32_e32 v38, 56, v24
	v_cmp_gt_i32_e64 s[16:17], s20, v38
	s_and_b64 s[26:27], s[16:17], s[18:19]
	v_ashrrev_i32_e32 v39, 31, v38
	s_and_saveexec_b64 s[18:19], s[26:27]
	s_cbranch_execz .LBB240_74
; %bb.70:
	s_and_b64 vcc, exec, s[0:1]
	s_cbranch_vccnz .LBB240_72
; %bb.71:
	v_lshl_add_u64 v[42:43], v[38:39], 1, v[42:43]
	flat_load_ushort v42, v[42:43]
	s_waitcnt vmcnt(0) lgkmcnt(0)
	v_mul_f16_e32 v42, v44, v42
	s_branch .LBB240_73
.LBB240_72:
	v_mov_b32_e32 v42, 0
.LBB240_73:
	v_pk_max_f16 v20, v20, v20
	v_pk_max_f16 v43, v2, v2
	;; [unrolled: 1-line block ×3, first 2 shown]
	v_pk_min_f16 v20, v43, v20
	v_pk_max_f16 v43, v3, v3
	v_pk_add_f16 v20, v69, v20
	v_pk_min_f16 v21, v43, v21
	s_nop 0
	v_pk_add_f16 v20, v20, v21
	s_nop 0
	v_add_f16_sdwa v20, v20, v20 dst_sel:DWORD dst_unused:UNUSED_PAD src0_sel:DWORD src1_sel:WORD_1
	v_add_f16_e32 v42, v20, v42
	v_lshl_add_u64 v[20:21], v[38:39], 1, v[40:41]
	flat_store_short v[20:21], v42
.LBB240_74:
	s_or_b64 exec, exec, s[18:19]
	v_add_u32_e32 v42, 32, v70
	v_mad_i64_i32 v[20:21], s[26:27], v42, s31, 0
	v_cmp_gt_i32_e64 s[18:19], s21, v42
	v_lshl_add_u64 v[40:41], v[20:21], 1, s[24:25]
	v_mad_i64_i32 v[20:21], s[26:27], v42, s30, 0
	v_lshl_add_u64 v[20:21], v[20:21], 1, s[22:23]
	s_and_b64 s[28:29], s[4:5], s[18:19]
	s_and_saveexec_b64 s[26:27], s[28:29]
	s_cbranch_execnz .LBB240_82
; %bb.75:
	s_or_b64 exec, exec, s[26:27]
	s_and_b64 s[28:29], s[2:3], s[18:19]
	s_and_saveexec_b64 s[26:27], s[28:29]
	s_cbranch_execnz .LBB240_86
.LBB240_76:
	s_or_b64 exec, exec, s[26:27]
	s_and_b64 s[28:29], s[6:7], s[18:19]
	s_and_saveexec_b64 s[26:27], s[28:29]
	s_cbranch_execnz .LBB240_90
.LBB240_77:
	s_or_b64 exec, exec, s[26:27]
	s_and_b64 s[28:29], s[8:9], s[18:19]
	s_and_saveexec_b64 s[26:27], s[28:29]
	s_cbranch_execnz .LBB240_94
.LBB240_78:
	s_or_b64 exec, exec, s[26:27]
	s_and_b64 s[28:29], s[10:11], s[18:19]
	s_and_saveexec_b64 s[26:27], s[28:29]
	s_cbranch_execnz .LBB240_98
.LBB240_79:
	s_or_b64 exec, exec, s[26:27]
	s_and_b64 s[28:29], s[12:13], s[18:19]
	s_and_saveexec_b64 s[26:27], s[28:29]
	s_cbranch_execnz .LBB240_102
.LBB240_80:
	s_or_b64 exec, exec, s[26:27]
	s_and_b64 s[28:29], s[14:15], s[18:19]
	s_and_saveexec_b64 s[26:27], s[28:29]
	s_cbranch_execnz .LBB240_106
.LBB240_81:
	s_or_b64 exec, exec, s[26:27]
	s_and_b64 s[26:27], s[16:17], s[18:19]
	s_and_saveexec_b64 s[18:19], s[26:27]
	s_cbranch_execnz .LBB240_110
	s_branch .LBB240_114
.LBB240_82:
	s_and_b64 vcc, exec, s[0:1]
	s_cbranch_vccnz .LBB240_84
; %bb.83:
	v_lshl_add_u64 v[42:43], v[24:25], 1, v[40:41]
	flat_load_ushort v42, v[42:43]
	s_waitcnt vmcnt(0) lgkmcnt(0)
	v_mul_f16_e32 v42, v44, v42
	s_branch .LBB240_85
.LBB240_84:
	v_mov_b32_e32 v42, 0
.LBB240_85:
	v_pk_max_f16 v43, v22, v22
	v_pk_max_f16 v69, v16, v16
	s_nop 0
	v_pk_min_f16 v43, v69, v43
	v_pk_max_f16 v69, v17, v17
	v_pk_add_f16 v43, v68, v43
	v_pk_max_f16 v68, v23, v23
	s_nop 0
	v_pk_min_f16 v68, v69, v68
	s_nop 0
	v_pk_add_f16 v43, v43, v68
	s_nop 0
	v_add_f16_sdwa v43, v43, v43 dst_sel:DWORD dst_unused:UNUSED_PAD src0_sel:DWORD src1_sel:WORD_1
	v_add_f16_e32 v68, v43, v42
	v_lshl_add_u64 v[42:43], v[24:25], 1, v[20:21]
	flat_store_short v[42:43], v68
	s_or_b64 exec, exec, s[26:27]
	s_and_b64 s[28:29], s[2:3], s[18:19]
	s_and_saveexec_b64 s[26:27], s[28:29]
	s_cbranch_execz .LBB240_76
.LBB240_86:
	s_and_b64 vcc, exec, s[0:1]
	s_cbranch_vccnz .LBB240_88
; %bb.87:
	v_lshl_add_u64 v[42:43], v[26:27], 1, v[40:41]
	flat_load_ushort v42, v[42:43]
	s_waitcnt vmcnt(0) lgkmcnt(0)
	v_mul_f16_e32 v42, v44, v42
	s_branch .LBB240_89
.LBB240_88:
	v_mov_b32_e32 v42, 0
.LBB240_89:
	v_pk_max_f16 v43, v22, v22
	v_pk_max_f16 v68, v18, v18
	s_nop 0
	v_pk_min_f16 v43, v68, v43
	v_pk_max_f16 v68, v19, v19
	v_pk_add_f16 v43, v67, v43
	v_pk_max_f16 v67, v23, v23
	s_nop 0
	v_pk_min_f16 v67, v68, v67
	s_nop 0
	v_pk_add_f16 v43, v43, v67
	s_nop 0
	v_add_f16_sdwa v43, v43, v43 dst_sel:DWORD dst_unused:UNUSED_PAD src0_sel:DWORD src1_sel:WORD_1
	v_add_f16_e32 v67, v43, v42
	v_lshl_add_u64 v[42:43], v[26:27], 1, v[20:21]
	flat_store_short v[42:43], v67
	s_or_b64 exec, exec, s[26:27]
	s_and_b64 s[28:29], s[6:7], s[18:19]
	s_and_saveexec_b64 s[26:27], s[28:29]
	s_cbranch_execz .LBB240_77
.LBB240_90:
	s_and_b64 vcc, exec, s[0:1]
	s_cbranch_vccnz .LBB240_92
; %bb.91:
	v_lshl_add_u64 v[42:43], v[28:29], 1, v[40:41]
	flat_load_ushort v42, v[42:43]
	s_waitcnt vmcnt(0) lgkmcnt(0)
	v_mul_f16_e32 v42, v44, v42
	s_branch .LBB240_93
.LBB240_92:
	v_mov_b32_e32 v42, 0
.LBB240_93:
	v_pk_max_f16 v43, v22, v22
	v_pk_max_f16 v67, v12, v12
	s_nop 0
	v_pk_min_f16 v43, v67, v43
	v_pk_max_f16 v67, v13, v13
	v_pk_add_f16 v43, v66, v43
	v_pk_max_f16 v66, v23, v23
	s_nop 0
	v_pk_min_f16 v66, v67, v66
	s_nop 0
	v_pk_add_f16 v43, v43, v66
	s_nop 0
	v_add_f16_sdwa v43, v43, v43 dst_sel:DWORD dst_unused:UNUSED_PAD src0_sel:DWORD src1_sel:WORD_1
	v_add_f16_e32 v66, v43, v42
	v_lshl_add_u64 v[42:43], v[28:29], 1, v[20:21]
	flat_store_short v[42:43], v66
	s_or_b64 exec, exec, s[26:27]
	s_and_b64 s[28:29], s[8:9], s[18:19]
	s_and_saveexec_b64 s[26:27], s[28:29]
	s_cbranch_execz .LBB240_78
.LBB240_94:
	s_and_b64 vcc, exec, s[0:1]
	s_cbranch_vccnz .LBB240_96
; %bb.95:
	v_lshl_add_u64 v[42:43], v[30:31], 1, v[40:41]
	flat_load_ushort v42, v[42:43]
	s_waitcnt vmcnt(0) lgkmcnt(0)
	v_mul_f16_e32 v42, v44, v42
	s_branch .LBB240_97
.LBB240_96:
	v_mov_b32_e32 v42, 0
.LBB240_97:
	v_pk_max_f16 v43, v22, v22
	v_pk_max_f16 v66, v14, v14
	s_nop 0
	v_pk_min_f16 v43, v66, v43
	v_pk_max_f16 v66, v15, v15
	v_pk_add_f16 v43, v65, v43
	v_pk_max_f16 v65, v23, v23
	s_nop 0
	v_pk_min_f16 v65, v66, v65
	s_nop 0
	v_pk_add_f16 v43, v43, v65
	s_nop 0
	v_add_f16_sdwa v43, v43, v43 dst_sel:DWORD dst_unused:UNUSED_PAD src0_sel:DWORD src1_sel:WORD_1
	v_add_f16_e32 v65, v43, v42
	v_lshl_add_u64 v[42:43], v[30:31], 1, v[20:21]
	flat_store_short v[42:43], v65
	s_or_b64 exec, exec, s[26:27]
	s_and_b64 s[28:29], s[10:11], s[18:19]
	s_and_saveexec_b64 s[26:27], s[28:29]
	s_cbranch_execz .LBB240_79
.LBB240_98:
	s_and_b64 vcc, exec, s[0:1]
	s_cbranch_vccnz .LBB240_100
; %bb.99:
	v_lshl_add_u64 v[42:43], v[32:33], 1, v[40:41]
	flat_load_ushort v42, v[42:43]
	s_waitcnt vmcnt(0) lgkmcnt(0)
	v_mul_f16_e32 v42, v44, v42
	s_branch .LBB240_101
.LBB240_100:
	v_mov_b32_e32 v42, 0
.LBB240_101:
	v_pk_max_f16 v43, v22, v22
	v_pk_max_f16 v65, v8, v8
	s_nop 0
	v_pk_min_f16 v43, v65, v43
	v_pk_max_f16 v65, v9, v9
	v_pk_add_f16 v43, v64, v43
	v_pk_max_f16 v64, v23, v23
	s_nop 0
	v_pk_min_f16 v64, v65, v64
	s_nop 0
	v_pk_add_f16 v43, v43, v64
	s_nop 0
	v_add_f16_sdwa v43, v43, v43 dst_sel:DWORD dst_unused:UNUSED_PAD src0_sel:DWORD src1_sel:WORD_1
	v_add_f16_e32 v64, v43, v42
	v_lshl_add_u64 v[42:43], v[32:33], 1, v[20:21]
	flat_store_short v[42:43], v64
	s_or_b64 exec, exec, s[26:27]
	s_and_b64 s[28:29], s[12:13], s[18:19]
	s_and_saveexec_b64 s[26:27], s[28:29]
	s_cbranch_execz .LBB240_80
.LBB240_102:
	s_and_b64 vcc, exec, s[0:1]
	s_cbranch_vccnz .LBB240_104
; %bb.103:
	v_lshl_add_u64 v[42:43], v[34:35], 1, v[40:41]
	flat_load_ushort v42, v[42:43]
	s_waitcnt vmcnt(0) lgkmcnt(0)
	v_mul_f16_e32 v42, v44, v42
	s_branch .LBB240_105
.LBB240_104:
	v_mov_b32_e32 v42, 0
.LBB240_105:
	v_pk_max_f16 v43, v22, v22
	v_pk_max_f16 v64, v10, v10
	s_nop 0
	v_pk_min_f16 v43, v64, v43
	v_pk_max_f16 v64, v11, v11
	v_pk_add_f16 v43, v63, v43
	v_pk_max_f16 v63, v23, v23
	s_nop 0
	v_pk_min_f16 v63, v64, v63
	s_nop 0
	v_pk_add_f16 v43, v43, v63
	s_nop 0
	v_add_f16_sdwa v43, v43, v43 dst_sel:DWORD dst_unused:UNUSED_PAD src0_sel:DWORD src1_sel:WORD_1
	v_add_f16_e32 v63, v43, v42
	v_lshl_add_u64 v[42:43], v[34:35], 1, v[20:21]
	flat_store_short v[42:43], v63
	s_or_b64 exec, exec, s[26:27]
	s_and_b64 s[28:29], s[14:15], s[18:19]
	s_and_saveexec_b64 s[26:27], s[28:29]
	s_cbranch_execz .LBB240_81
.LBB240_106:
	s_and_b64 vcc, exec, s[0:1]
	s_cbranch_vccnz .LBB240_108
; %bb.107:
	v_lshl_add_u64 v[42:43], v[36:37], 1, v[40:41]
	flat_load_ushort v42, v[42:43]
	s_waitcnt vmcnt(0) lgkmcnt(0)
	v_mul_f16_e32 v42, v44, v42
	s_branch .LBB240_109
.LBB240_108:
	v_mov_b32_e32 v42, 0
.LBB240_109:
	v_pk_max_f16 v43, v22, v22
	v_pk_max_f16 v63, v0, v0
	s_nop 0
	v_pk_min_f16 v43, v63, v43
	v_pk_max_f16 v63, v1, v1
	v_pk_add_f16 v43, v62, v43
	v_pk_max_f16 v62, v23, v23
	s_nop 0
	v_pk_min_f16 v62, v63, v62
	s_nop 0
	v_pk_add_f16 v43, v43, v62
	s_nop 0
	v_add_f16_sdwa v43, v43, v43 dst_sel:DWORD dst_unused:UNUSED_PAD src0_sel:DWORD src1_sel:WORD_1
	v_add_f16_e32 v62, v43, v42
	v_lshl_add_u64 v[42:43], v[36:37], 1, v[20:21]
	flat_store_short v[42:43], v62
	s_or_b64 exec, exec, s[26:27]
	s_and_b64 s[26:27], s[16:17], s[18:19]
	s_and_saveexec_b64 s[18:19], s[26:27]
	s_cbranch_execz .LBB240_114
.LBB240_110:
	s_and_b64 vcc, exec, s[0:1]
	s_cbranch_vccnz .LBB240_112
; %bb.111:
	v_lshl_add_u64 v[40:41], v[38:39], 1, v[40:41]
	flat_load_ushort v40, v[40:41]
	s_waitcnt vmcnt(0) lgkmcnt(0)
	v_mul_f16_e32 v40, v44, v40
	s_branch .LBB240_113
.LBB240_112:
	v_mov_b32_e32 v40, 0
.LBB240_113:
	v_pk_max_f16 v22, v22, v22
	v_pk_max_f16 v41, v2, v2
	;; [unrolled: 1-line block ×3, first 2 shown]
	v_pk_min_f16 v22, v41, v22
	v_pk_max_f16 v41, v3, v3
	v_pk_add_f16 v22, v61, v22
	v_pk_min_f16 v23, v41, v23
	v_lshl_add_u64 v[20:21], v[38:39], 1, v[20:21]
	v_pk_add_f16 v22, v22, v23
	s_nop 0
	v_add_f16_sdwa v22, v22, v22 dst_sel:DWORD dst_unused:UNUSED_PAD src0_sel:DWORD src1_sel:WORD_1
	v_add_f16_e32 v22, v22, v40
	flat_store_short v[20:21], v22
.LBB240_114:
	s_or_b64 exec, exec, s[18:19]
	v_add_u32_e32 v40, 64, v70
	v_mad_i64_i32 v[20:21], s[26:27], v40, s31, 0
	v_cmp_gt_i32_e64 s[18:19], s21, v40
	v_lshl_add_u64 v[22:23], v[20:21], 1, s[24:25]
	v_mad_i64_i32 v[20:21], s[26:27], v40, s30, 0
	v_lshl_add_u64 v[20:21], v[20:21], 1, s[22:23]
	s_and_b64 s[28:29], s[4:5], s[18:19]
	s_and_saveexec_b64 s[26:27], s[28:29]
	s_cbranch_execnz .LBB240_122
; %bb.115:
	s_or_b64 exec, exec, s[26:27]
	s_and_b64 s[28:29], s[2:3], s[18:19]
	s_and_saveexec_b64 s[26:27], s[28:29]
	s_cbranch_execnz .LBB240_126
.LBB240_116:
	s_or_b64 exec, exec, s[26:27]
	s_and_b64 s[28:29], s[6:7], s[18:19]
	s_and_saveexec_b64 s[26:27], s[28:29]
	s_cbranch_execnz .LBB240_130
.LBB240_117:
	s_or_b64 exec, exec, s[26:27]
	s_and_b64 s[28:29], s[8:9], s[18:19]
	s_and_saveexec_b64 s[26:27], s[28:29]
	s_cbranch_execnz .LBB240_134
.LBB240_118:
	s_or_b64 exec, exec, s[26:27]
	s_and_b64 s[28:29], s[10:11], s[18:19]
	s_and_saveexec_b64 s[26:27], s[28:29]
	s_cbranch_execnz .LBB240_138
.LBB240_119:
	s_or_b64 exec, exec, s[26:27]
	s_and_b64 s[28:29], s[12:13], s[18:19]
	s_and_saveexec_b64 s[26:27], s[28:29]
	s_cbranch_execnz .LBB240_142
.LBB240_120:
	s_or_b64 exec, exec, s[26:27]
	s_and_b64 s[28:29], s[14:15], s[18:19]
	s_and_saveexec_b64 s[26:27], s[28:29]
	s_cbranch_execnz .LBB240_146
.LBB240_121:
	s_or_b64 exec, exec, s[26:27]
	s_and_b64 s[26:27], s[16:17], s[18:19]
	s_and_saveexec_b64 s[18:19], s[26:27]
	s_cbranch_execnz .LBB240_150
	s_branch .LBB240_154
.LBB240_122:
	s_and_b64 vcc, exec, s[0:1]
	s_cbranch_vccnz .LBB240_124
; %bb.123:
	v_lshl_add_u64 v[40:41], v[24:25], 1, v[22:23]
	flat_load_ushort v40, v[40:41]
	s_waitcnt vmcnt(0) lgkmcnt(0)
	v_mul_f16_e32 v40, v44, v40
	s_branch .LBB240_125
.LBB240_124:
	v_mov_b32_e32 v40, 0
.LBB240_125:
	v_pk_max_f16 v41, v4, v4
	v_pk_max_f16 v42, v16, v16
	;; [unrolled: 1-line block ×3, first 2 shown]
	v_pk_min_f16 v41, v42, v41
	v_pk_max_f16 v42, v5, v5
	v_pk_add_f16 v41, v60, v41
	v_pk_min_f16 v42, v43, v42
	s_nop 0
	v_pk_add_f16 v41, v41, v42
	s_nop 0
	v_add_f16_sdwa v41, v41, v41 dst_sel:DWORD dst_unused:UNUSED_PAD src0_sel:DWORD src1_sel:WORD_1
	v_add_f16_e32 v42, v41, v40
	v_lshl_add_u64 v[40:41], v[24:25], 1, v[20:21]
	flat_store_short v[40:41], v42
	s_or_b64 exec, exec, s[26:27]
	s_and_b64 s[28:29], s[2:3], s[18:19]
	s_and_saveexec_b64 s[26:27], s[28:29]
	s_cbranch_execz .LBB240_116
.LBB240_126:
	s_and_b64 vcc, exec, s[0:1]
	s_cbranch_vccnz .LBB240_128
; %bb.127:
	v_lshl_add_u64 v[40:41], v[26:27], 1, v[22:23]
	flat_load_ushort v40, v[40:41]
	s_waitcnt vmcnt(0) lgkmcnt(0)
	v_mul_f16_e32 v40, v44, v40
	s_branch .LBB240_129
.LBB240_128:
	v_mov_b32_e32 v40, 0
.LBB240_129:
	v_pk_max_f16 v41, v4, v4
	v_pk_max_f16 v42, v18, v18
	;; [unrolled: 1-line block ×3, first 2 shown]
	v_pk_min_f16 v41, v42, v41
	v_pk_max_f16 v42, v5, v5
	v_pk_add_f16 v41, v59, v41
	v_pk_min_f16 v42, v43, v42
	s_nop 0
	v_pk_add_f16 v41, v41, v42
	s_nop 0
	v_add_f16_sdwa v41, v41, v41 dst_sel:DWORD dst_unused:UNUSED_PAD src0_sel:DWORD src1_sel:WORD_1
	v_add_f16_e32 v42, v41, v40
	v_lshl_add_u64 v[40:41], v[26:27], 1, v[20:21]
	flat_store_short v[40:41], v42
	s_or_b64 exec, exec, s[26:27]
	s_and_b64 s[28:29], s[6:7], s[18:19]
	s_and_saveexec_b64 s[26:27], s[28:29]
	s_cbranch_execz .LBB240_117
.LBB240_130:
	s_and_b64 vcc, exec, s[0:1]
	s_cbranch_vccnz .LBB240_132
; %bb.131:
	v_lshl_add_u64 v[40:41], v[28:29], 1, v[22:23]
	flat_load_ushort v40, v[40:41]
	s_waitcnt vmcnt(0) lgkmcnt(0)
	v_mul_f16_e32 v40, v44, v40
	s_branch .LBB240_133
.LBB240_132:
	v_mov_b32_e32 v40, 0
.LBB240_133:
	v_pk_max_f16 v41, v4, v4
	v_pk_max_f16 v42, v12, v12
	;; [unrolled: 1-line block ×3, first 2 shown]
	v_pk_min_f16 v41, v42, v41
	v_pk_max_f16 v42, v5, v5
	v_pk_add_f16 v41, v58, v41
	v_pk_min_f16 v42, v43, v42
	s_nop 0
	v_pk_add_f16 v41, v41, v42
	s_nop 0
	v_add_f16_sdwa v41, v41, v41 dst_sel:DWORD dst_unused:UNUSED_PAD src0_sel:DWORD src1_sel:WORD_1
	v_add_f16_e32 v42, v41, v40
	v_lshl_add_u64 v[40:41], v[28:29], 1, v[20:21]
	flat_store_short v[40:41], v42
	s_or_b64 exec, exec, s[26:27]
	s_and_b64 s[28:29], s[8:9], s[18:19]
	s_and_saveexec_b64 s[26:27], s[28:29]
	s_cbranch_execz .LBB240_118
.LBB240_134:
	s_and_b64 vcc, exec, s[0:1]
	s_cbranch_vccnz .LBB240_136
; %bb.135:
	v_lshl_add_u64 v[40:41], v[30:31], 1, v[22:23]
	flat_load_ushort v40, v[40:41]
	s_waitcnt vmcnt(0) lgkmcnt(0)
	v_mul_f16_e32 v40, v44, v40
	s_branch .LBB240_137
.LBB240_136:
	v_mov_b32_e32 v40, 0
.LBB240_137:
	v_pk_max_f16 v41, v4, v4
	v_pk_max_f16 v42, v14, v14
	;; [unrolled: 1-line block ×3, first 2 shown]
	v_pk_min_f16 v41, v42, v41
	v_pk_max_f16 v42, v5, v5
	v_pk_add_f16 v41, v57, v41
	v_pk_min_f16 v42, v43, v42
	s_nop 0
	v_pk_add_f16 v41, v41, v42
	s_nop 0
	v_add_f16_sdwa v41, v41, v41 dst_sel:DWORD dst_unused:UNUSED_PAD src0_sel:DWORD src1_sel:WORD_1
	v_add_f16_e32 v42, v41, v40
	v_lshl_add_u64 v[40:41], v[30:31], 1, v[20:21]
	flat_store_short v[40:41], v42
	s_or_b64 exec, exec, s[26:27]
	s_and_b64 s[28:29], s[10:11], s[18:19]
	s_and_saveexec_b64 s[26:27], s[28:29]
	s_cbranch_execz .LBB240_119
.LBB240_138:
	s_and_b64 vcc, exec, s[0:1]
	s_cbranch_vccnz .LBB240_140
; %bb.139:
	v_lshl_add_u64 v[40:41], v[32:33], 1, v[22:23]
	flat_load_ushort v40, v[40:41]
	s_waitcnt vmcnt(0) lgkmcnt(0)
	v_mul_f16_e32 v40, v44, v40
	s_branch .LBB240_141
.LBB240_140:
	v_mov_b32_e32 v40, 0
.LBB240_141:
	v_pk_max_f16 v41, v4, v4
	v_pk_max_f16 v42, v8, v8
	;; [unrolled: 1-line block ×3, first 2 shown]
	v_pk_min_f16 v41, v42, v41
	v_pk_max_f16 v42, v5, v5
	v_pk_add_f16 v41, v56, v41
	v_pk_min_f16 v42, v43, v42
	s_nop 0
	v_pk_add_f16 v41, v41, v42
	s_nop 0
	v_add_f16_sdwa v41, v41, v41 dst_sel:DWORD dst_unused:UNUSED_PAD src0_sel:DWORD src1_sel:WORD_1
	v_add_f16_e32 v42, v41, v40
	v_lshl_add_u64 v[40:41], v[32:33], 1, v[20:21]
	flat_store_short v[40:41], v42
	s_or_b64 exec, exec, s[26:27]
	s_and_b64 s[28:29], s[12:13], s[18:19]
	s_and_saveexec_b64 s[26:27], s[28:29]
	s_cbranch_execz .LBB240_120
.LBB240_142:
	s_and_b64 vcc, exec, s[0:1]
	s_cbranch_vccnz .LBB240_144
; %bb.143:
	v_lshl_add_u64 v[40:41], v[34:35], 1, v[22:23]
	flat_load_ushort v40, v[40:41]
	s_waitcnt vmcnt(0) lgkmcnt(0)
	v_mul_f16_e32 v40, v44, v40
	s_branch .LBB240_145
.LBB240_144:
	v_mov_b32_e32 v40, 0
.LBB240_145:
	v_pk_max_f16 v41, v4, v4
	v_pk_max_f16 v42, v10, v10
	;; [unrolled: 1-line block ×3, first 2 shown]
	v_pk_min_f16 v41, v42, v41
	v_pk_max_f16 v42, v5, v5
	v_pk_add_f16 v41, v55, v41
	v_pk_min_f16 v42, v43, v42
	s_nop 0
	v_pk_add_f16 v41, v41, v42
	s_nop 0
	v_add_f16_sdwa v41, v41, v41 dst_sel:DWORD dst_unused:UNUSED_PAD src0_sel:DWORD src1_sel:WORD_1
	v_add_f16_e32 v42, v41, v40
	v_lshl_add_u64 v[40:41], v[34:35], 1, v[20:21]
	flat_store_short v[40:41], v42
	s_or_b64 exec, exec, s[26:27]
	s_and_b64 s[28:29], s[14:15], s[18:19]
	s_and_saveexec_b64 s[26:27], s[28:29]
	s_cbranch_execz .LBB240_121
.LBB240_146:
	s_and_b64 vcc, exec, s[0:1]
	s_cbranch_vccnz .LBB240_148
; %bb.147:
	v_lshl_add_u64 v[40:41], v[36:37], 1, v[22:23]
	flat_load_ushort v40, v[40:41]
	s_waitcnt vmcnt(0) lgkmcnt(0)
	v_mul_f16_e32 v40, v44, v40
	s_branch .LBB240_149
.LBB240_148:
	v_mov_b32_e32 v40, 0
.LBB240_149:
	v_pk_max_f16 v41, v4, v4
	v_pk_max_f16 v42, v0, v0
	;; [unrolled: 1-line block ×3, first 2 shown]
	v_pk_min_f16 v41, v42, v41
	v_pk_max_f16 v42, v5, v5
	v_pk_add_f16 v41, v54, v41
	v_pk_min_f16 v42, v43, v42
	s_nop 0
	v_pk_add_f16 v41, v41, v42
	s_nop 0
	v_add_f16_sdwa v41, v41, v41 dst_sel:DWORD dst_unused:UNUSED_PAD src0_sel:DWORD src1_sel:WORD_1
	v_add_f16_e32 v42, v41, v40
	v_lshl_add_u64 v[40:41], v[36:37], 1, v[20:21]
	flat_store_short v[40:41], v42
	s_or_b64 exec, exec, s[26:27]
	s_and_b64 s[26:27], s[16:17], s[18:19]
	s_and_saveexec_b64 s[18:19], s[26:27]
	s_cbranch_execz .LBB240_154
.LBB240_150:
	s_and_b64 vcc, exec, s[0:1]
	s_cbranch_vccnz .LBB240_152
; %bb.151:
	v_lshl_add_u64 v[22:23], v[38:39], 1, v[22:23]
	flat_load_ushort v22, v[22:23]
	s_waitcnt vmcnt(0) lgkmcnt(0)
	v_mul_f16_e32 v22, v44, v22
	s_branch .LBB240_153
.LBB240_152:
	v_mov_b32_e32 v22, 0
.LBB240_153:
	v_pk_max_f16 v4, v4, v4
	v_pk_max_f16 v23, v2, v2
	;; [unrolled: 1-line block ×3, first 2 shown]
	v_pk_min_f16 v4, v23, v4
	v_pk_max_f16 v23, v3, v3
	v_pk_add_f16 v4, v53, v4
	v_pk_min_f16 v5, v23, v5
	s_nop 0
	v_pk_add_f16 v4, v4, v5
	s_nop 0
	v_add_f16_sdwa v4, v4, v4 dst_sel:DWORD dst_unused:UNUSED_PAD src0_sel:DWORD src1_sel:WORD_1
	v_add_f16_e32 v22, v4, v22
	v_lshl_add_u64 v[4:5], v[38:39], 1, v[20:21]
	flat_store_short v[4:5], v22
.LBB240_154:
	s_or_b64 exec, exec, s[18:19]
	v_add_u32_e32 v22, 0x60, v70
	v_cmp_gt_i32_e64 s[18:19], s21, v22
	v_mad_i64_i32 v[4:5], s[20:21], v22, s31, 0
	v_lshl_add_u64 v[20:21], v[4:5], 1, s[24:25]
	v_mad_i64_i32 v[4:5], s[20:21], v22, s30, 0
	v_lshl_add_u64 v[4:5], v[4:5], 1, s[22:23]
	s_and_b64 s[20:21], s[4:5], s[18:19]
	s_and_saveexec_b64 s[4:5], s[20:21]
	s_cbranch_execnz .LBB240_163
; %bb.155:
	s_or_b64 exec, exec, s[4:5]
	s_and_b64 s[4:5], s[2:3], s[18:19]
	s_and_saveexec_b64 s[2:3], s[4:5]
	s_cbranch_execnz .LBB240_167
.LBB240_156:
	s_or_b64 exec, exec, s[2:3]
	s_and_b64 s[4:5], s[6:7], s[18:19]
	s_and_saveexec_b64 s[2:3], s[4:5]
	s_cbranch_execnz .LBB240_171
.LBB240_157:
	s_or_b64 exec, exec, s[2:3]
	s_and_b64 s[4:5], s[8:9], s[18:19]
	s_and_saveexec_b64 s[2:3], s[4:5]
	s_cbranch_execnz .LBB240_175
.LBB240_158:
	s_or_b64 exec, exec, s[2:3]
	s_and_b64 s[4:5], s[10:11], s[18:19]
	s_and_saveexec_b64 s[2:3], s[4:5]
	s_cbranch_execnz .LBB240_179
.LBB240_159:
	s_or_b64 exec, exec, s[2:3]
	s_and_b64 s[4:5], s[12:13], s[18:19]
	s_and_saveexec_b64 s[2:3], s[4:5]
	s_cbranch_execnz .LBB240_183
.LBB240_160:
	s_or_b64 exec, exec, s[2:3]
	s_and_b64 s[4:5], s[14:15], s[18:19]
	s_and_saveexec_b64 s[2:3], s[4:5]
	s_cbranch_execnz .LBB240_187
.LBB240_161:
	s_or_b64 exec, exec, s[2:3]
	s_and_b64 s[2:3], s[16:17], s[18:19]
	s_and_saveexec_b64 s[4:5], s[2:3]
	s_cbranch_execnz .LBB240_191
.LBB240_162:
	s_endpgm
.LBB240_163:
	s_and_b64 vcc, exec, s[0:1]
	s_cbranch_vccnz .LBB240_165
; %bb.164:
	v_lshl_add_u64 v[22:23], v[24:25], 1, v[20:21]
	flat_load_ushort v22, v[22:23]
	s_waitcnt vmcnt(0) lgkmcnt(0)
	v_mul_f16_e32 v22, v44, v22
	s_branch .LBB240_166
.LBB240_165:
	v_mov_b32_e32 v22, 0
.LBB240_166:
	v_pk_max_f16 v23, v6, v6
	v_pk_max_f16 v16, v16, v16
	;; [unrolled: 1-line block ×3, first 2 shown]
	v_pk_min_f16 v16, v16, v23
	v_pk_max_f16 v23, v7, v7
	v_pk_add_f16 v16, v52, v16
	v_pk_min_f16 v17, v17, v23
	s_nop 0
	v_pk_add_f16 v16, v16, v17
	s_nop 0
	v_add_f16_sdwa v16, v16, v16 dst_sel:DWORD dst_unused:UNUSED_PAD src0_sel:DWORD src1_sel:WORD_1
	v_add_f16_e32 v22, v16, v22
	v_lshl_add_u64 v[16:17], v[24:25], 1, v[4:5]
	flat_store_short v[16:17], v22
	s_or_b64 exec, exec, s[4:5]
	s_and_b64 s[4:5], s[2:3], s[18:19]
	s_and_saveexec_b64 s[2:3], s[4:5]
	s_cbranch_execz .LBB240_156
.LBB240_167:
	s_and_b64 vcc, exec, s[0:1]
	s_cbranch_vccnz .LBB240_169
; %bb.168:
	v_lshl_add_u64 v[16:17], v[26:27], 1, v[20:21]
	flat_load_ushort v16, v[16:17]
	s_waitcnt vmcnt(0) lgkmcnt(0)
	v_mul_f16_e32 v16, v44, v16
	s_branch .LBB240_170
.LBB240_169:
	v_mov_b32_e32 v16, 0
.LBB240_170:
	v_pk_max_f16 v17, v6, v6
	v_pk_max_f16 v18, v18, v18
	;; [unrolled: 1-line block ×3, first 2 shown]
	v_pk_min_f16 v17, v18, v17
	v_pk_max_f16 v18, v7, v7
	v_pk_add_f16 v17, v51, v17
	v_pk_min_f16 v18, v19, v18
	s_nop 0
	v_pk_add_f16 v17, v17, v18
	s_nop 0
	v_add_f16_sdwa v17, v17, v17 dst_sel:DWORD dst_unused:UNUSED_PAD src0_sel:DWORD src1_sel:WORD_1
	v_add_f16_e32 v18, v17, v16
	v_lshl_add_u64 v[16:17], v[26:27], 1, v[4:5]
	flat_store_short v[16:17], v18
	s_or_b64 exec, exec, s[2:3]
	s_and_b64 s[4:5], s[6:7], s[18:19]
	s_and_saveexec_b64 s[2:3], s[4:5]
	s_cbranch_execz .LBB240_157
.LBB240_171:
	s_and_b64 vcc, exec, s[0:1]
	s_cbranch_vccnz .LBB240_173
; %bb.172:
	v_lshl_add_u64 v[16:17], v[28:29], 1, v[20:21]
	flat_load_ushort v16, v[16:17]
	s_waitcnt vmcnt(0) lgkmcnt(0)
	v_mul_f16_e32 v16, v44, v16
	s_branch .LBB240_174
.LBB240_173:
	v_mov_b32_e32 v16, 0
.LBB240_174:
	v_pk_max_f16 v17, v6, v6
	v_pk_max_f16 v12, v12, v12
	;; [unrolled: 1-line block ×3, first 2 shown]
	v_pk_min_f16 v12, v12, v17
	v_pk_max_f16 v17, v7, v7
	v_pk_add_f16 v12, v50, v12
	v_pk_min_f16 v13, v13, v17
	s_nop 0
	v_pk_add_f16 v12, v12, v13
	s_nop 0
	v_add_f16_sdwa v12, v12, v12 dst_sel:DWORD dst_unused:UNUSED_PAD src0_sel:DWORD src1_sel:WORD_1
	v_add_f16_e32 v16, v12, v16
	v_lshl_add_u64 v[12:13], v[28:29], 1, v[4:5]
	flat_store_short v[12:13], v16
	s_or_b64 exec, exec, s[2:3]
	s_and_b64 s[4:5], s[8:9], s[18:19]
	s_and_saveexec_b64 s[2:3], s[4:5]
	s_cbranch_execz .LBB240_158
.LBB240_175:
	s_and_b64 vcc, exec, s[0:1]
	s_cbranch_vccnz .LBB240_177
; %bb.176:
	v_lshl_add_u64 v[12:13], v[30:31], 1, v[20:21]
	flat_load_ushort v12, v[12:13]
	s_waitcnt vmcnt(0) lgkmcnt(0)
	v_mul_f16_e32 v12, v44, v12
	s_branch .LBB240_178
.LBB240_177:
	v_mov_b32_e32 v12, 0
.LBB240_178:
	v_pk_max_f16 v13, v6, v6
	v_pk_max_f16 v14, v14, v14
	;; [unrolled: 1-line block ×3, first 2 shown]
	v_pk_min_f16 v13, v14, v13
	v_pk_max_f16 v14, v7, v7
	v_pk_add_f16 v13, v49, v13
	v_pk_min_f16 v14, v15, v14
	s_nop 0
	v_pk_add_f16 v13, v13, v14
	s_nop 0
	v_add_f16_sdwa v13, v13, v13 dst_sel:DWORD dst_unused:UNUSED_PAD src0_sel:DWORD src1_sel:WORD_1
	v_add_f16_e32 v14, v13, v12
	v_lshl_add_u64 v[12:13], v[30:31], 1, v[4:5]
	flat_store_short v[12:13], v14
	s_or_b64 exec, exec, s[2:3]
	s_and_b64 s[4:5], s[10:11], s[18:19]
	s_and_saveexec_b64 s[2:3], s[4:5]
	s_cbranch_execz .LBB240_159
.LBB240_179:
	s_and_b64 vcc, exec, s[0:1]
	s_cbranch_vccnz .LBB240_181
; %bb.180:
	v_lshl_add_u64 v[12:13], v[32:33], 1, v[20:21]
	flat_load_ushort v12, v[12:13]
	s_waitcnt vmcnt(0) lgkmcnt(0)
	v_mul_f16_e32 v12, v44, v12
	s_branch .LBB240_182
.LBB240_181:
	v_mov_b32_e32 v12, 0
.LBB240_182:
	v_pk_max_f16 v13, v6, v6
	v_pk_max_f16 v8, v8, v8
	;; [unrolled: 1-line block ×3, first 2 shown]
	v_pk_min_f16 v8, v8, v13
	v_pk_max_f16 v13, v7, v7
	v_pk_add_f16 v8, v48, v8
	v_pk_min_f16 v9, v9, v13
	s_nop 0
	v_pk_add_f16 v8, v8, v9
	s_nop 0
	v_add_f16_sdwa v8, v8, v8 dst_sel:DWORD dst_unused:UNUSED_PAD src0_sel:DWORD src1_sel:WORD_1
	v_add_f16_e32 v12, v8, v12
	v_lshl_add_u64 v[8:9], v[32:33], 1, v[4:5]
	flat_store_short v[8:9], v12
	s_or_b64 exec, exec, s[2:3]
	s_and_b64 s[4:5], s[12:13], s[18:19]
	s_and_saveexec_b64 s[2:3], s[4:5]
	s_cbranch_execz .LBB240_160
.LBB240_183:
	s_and_b64 vcc, exec, s[0:1]
	s_cbranch_vccnz .LBB240_185
; %bb.184:
	v_lshl_add_u64 v[8:9], v[34:35], 1, v[20:21]
	flat_load_ushort v8, v[8:9]
	s_waitcnt vmcnt(0) lgkmcnt(0)
	v_mul_f16_e32 v8, v44, v8
	s_branch .LBB240_186
.LBB240_185:
	v_mov_b32_e32 v8, 0
.LBB240_186:
	v_pk_max_f16 v9, v6, v6
	v_pk_max_f16 v10, v10, v10
	;; [unrolled: 1-line block ×3, first 2 shown]
	v_pk_min_f16 v9, v10, v9
	v_pk_max_f16 v10, v7, v7
	v_pk_add_f16 v9, v47, v9
	v_pk_min_f16 v10, v11, v10
	s_nop 0
	v_pk_add_f16 v9, v9, v10
	s_nop 0
	v_add_f16_sdwa v9, v9, v9 dst_sel:DWORD dst_unused:UNUSED_PAD src0_sel:DWORD src1_sel:WORD_1
	v_add_f16_e32 v10, v9, v8
	v_lshl_add_u64 v[8:9], v[34:35], 1, v[4:5]
	flat_store_short v[8:9], v10
	s_or_b64 exec, exec, s[2:3]
	s_and_b64 s[4:5], s[14:15], s[18:19]
	s_and_saveexec_b64 s[2:3], s[4:5]
	s_cbranch_execz .LBB240_161
.LBB240_187:
	s_and_b64 vcc, exec, s[0:1]
	s_cbranch_vccnz .LBB240_189
; %bb.188:
	v_lshl_add_u64 v[8:9], v[36:37], 1, v[20:21]
	flat_load_ushort v8, v[8:9]
	s_waitcnt vmcnt(0) lgkmcnt(0)
	v_mul_f16_e32 v8, v44, v8
	s_branch .LBB240_190
.LBB240_189:
	v_mov_b32_e32 v8, 0
.LBB240_190:
	v_pk_max_f16 v9, v6, v6
	v_pk_max_f16 v0, v0, v0
	;; [unrolled: 1-line block ×3, first 2 shown]
	v_pk_min_f16 v0, v0, v9
	v_pk_max_f16 v9, v7, v7
	v_pk_add_f16 v0, v46, v0
	v_pk_min_f16 v1, v1, v9
	s_nop 0
	v_pk_add_f16 v0, v0, v1
	s_nop 0
	v_add_f16_sdwa v0, v0, v0 dst_sel:DWORD dst_unused:UNUSED_PAD src0_sel:DWORD src1_sel:WORD_1
	v_add_f16_e32 v8, v0, v8
	v_lshl_add_u64 v[0:1], v[36:37], 1, v[4:5]
	flat_store_short v[0:1], v8
	s_or_b64 exec, exec, s[2:3]
	s_and_b64 s[2:3], s[16:17], s[18:19]
	s_and_saveexec_b64 s[4:5], s[2:3]
	s_cbranch_execz .LBB240_162
.LBB240_191:
	s_and_b64 vcc, exec, s[0:1]
	s_cbranch_vccnz .LBB240_193
; %bb.192:
	v_lshl_add_u64 v[0:1], v[38:39], 1, v[20:21]
	flat_load_ushort v0, v[0:1]
	s_waitcnt vmcnt(0) lgkmcnt(0)
	v_mul_f16_e32 v0, v44, v0
	s_branch .LBB240_194
.LBB240_193:
	v_mov_b32_e32 v0, 0
.LBB240_194:
	v_pk_max_f16 v1, v6, v6
	v_pk_max_f16 v2, v2, v2
	;; [unrolled: 1-line block ×3, first 2 shown]
	v_pk_min_f16 v1, v2, v1
	v_pk_max_f16 v2, v7, v7
	v_pk_add_f16 v1, v45, v1
	v_pk_min_f16 v2, v3, v2
	s_nop 0
	v_pk_add_f16 v1, v1, v2
	s_nop 0
	v_add_f16_sdwa v1, v1, v1 dst_sel:DWORD dst_unused:UNUSED_PAD src0_sel:DWORD src1_sel:WORD_1
	v_add_f16_e32 v2, v1, v0
	v_lshl_add_u64 v[0:1], v[38:39], 1, v[4:5]
	flat_store_short v[0:1], v2
	s_endpgm
	.section	.rodata,"a",@progbits
	.p2align	6, 0x0
	.amdhsa_kernel _ZN12_GLOBAL__N_120geam_min_plus_kernelIDF16_Dv2_DF16_S1_Li8ELi32ELi64ELi128ELi4ELi4ELi64ELi4ELi64ELc84ELc78ELb0ELb1ELb0EPKDF16_KS3_KPDF16_EEviiiT16_PT17_ilS9_ilS7_S9_ilPT18_ili26rocblas_geam_ex_operation_
		.amdhsa_group_segment_fixed_size 3072
		.amdhsa_private_segment_fixed_size 0
		.amdhsa_kernarg_size 136
		.amdhsa_user_sgpr_count 2
		.amdhsa_user_sgpr_dispatch_ptr 0
		.amdhsa_user_sgpr_queue_ptr 0
		.amdhsa_user_sgpr_kernarg_segment_ptr 1
		.amdhsa_user_sgpr_dispatch_id 0
		.amdhsa_user_sgpr_kernarg_preload_length 0
		.amdhsa_user_sgpr_kernarg_preload_offset 0
		.amdhsa_user_sgpr_private_segment_size 0
		.amdhsa_uses_dynamic_stack 0
		.amdhsa_enable_private_segment 0
		.amdhsa_system_sgpr_workgroup_id_x 1
		.amdhsa_system_sgpr_workgroup_id_y 0
		.amdhsa_system_sgpr_workgroup_id_z 1
		.amdhsa_system_sgpr_workgroup_info 0
		.amdhsa_system_vgpr_workitem_id 1
		.amdhsa_next_free_vgpr 121
		.amdhsa_next_free_sgpr 36
		.amdhsa_accum_offset 124
		.amdhsa_reserve_vcc 1
		.amdhsa_float_round_mode_32 0
		.amdhsa_float_round_mode_16_64 0
		.amdhsa_float_denorm_mode_32 3
		.amdhsa_float_denorm_mode_16_64 3
		.amdhsa_dx10_clamp 1
		.amdhsa_ieee_mode 1
		.amdhsa_fp16_overflow 0
		.amdhsa_tg_split 0
		.amdhsa_exception_fp_ieee_invalid_op 0
		.amdhsa_exception_fp_denorm_src 0
		.amdhsa_exception_fp_ieee_div_zero 0
		.amdhsa_exception_fp_ieee_overflow 0
		.amdhsa_exception_fp_ieee_underflow 0
		.amdhsa_exception_fp_ieee_inexact 0
		.amdhsa_exception_int_div_zero 0
	.end_amdhsa_kernel
	.section	.text._ZN12_GLOBAL__N_120geam_min_plus_kernelIDF16_Dv2_DF16_S1_Li8ELi32ELi64ELi128ELi4ELi4ELi64ELi4ELi64ELc84ELc78ELb0ELb1ELb0EPKDF16_KS3_KPDF16_EEviiiT16_PT17_ilS9_ilS7_S9_ilPT18_ili26rocblas_geam_ex_operation_,"axG",@progbits,_ZN12_GLOBAL__N_120geam_min_plus_kernelIDF16_Dv2_DF16_S1_Li8ELi32ELi64ELi128ELi4ELi4ELi64ELi4ELi64ELc84ELc78ELb0ELb1ELb0EPKDF16_KS3_KPDF16_EEviiiT16_PT17_ilS9_ilS7_S9_ilPT18_ili26rocblas_geam_ex_operation_,comdat
.Lfunc_end240:
	.size	_ZN12_GLOBAL__N_120geam_min_plus_kernelIDF16_Dv2_DF16_S1_Li8ELi32ELi64ELi128ELi4ELi4ELi64ELi4ELi64ELc84ELc78ELb0ELb1ELb0EPKDF16_KS3_KPDF16_EEviiiT16_PT17_ilS9_ilS7_S9_ilPT18_ili26rocblas_geam_ex_operation_, .Lfunc_end240-_ZN12_GLOBAL__N_120geam_min_plus_kernelIDF16_Dv2_DF16_S1_Li8ELi32ELi64ELi128ELi4ELi4ELi64ELi4ELi64ELc84ELc78ELb0ELb1ELb0EPKDF16_KS3_KPDF16_EEviiiT16_PT17_ilS9_ilS7_S9_ilPT18_ili26rocblas_geam_ex_operation_
                                        ; -- End function
	.set _ZN12_GLOBAL__N_120geam_min_plus_kernelIDF16_Dv2_DF16_S1_Li8ELi32ELi64ELi128ELi4ELi4ELi64ELi4ELi64ELc84ELc78ELb0ELb1ELb0EPKDF16_KS3_KPDF16_EEviiiT16_PT17_ilS9_ilS7_S9_ilPT18_ili26rocblas_geam_ex_operation_.num_vgpr, 121
	.set _ZN12_GLOBAL__N_120geam_min_plus_kernelIDF16_Dv2_DF16_S1_Li8ELi32ELi64ELi128ELi4ELi4ELi64ELi4ELi64ELc84ELc78ELb0ELb1ELb0EPKDF16_KS3_KPDF16_EEviiiT16_PT17_ilS9_ilS7_S9_ilPT18_ili26rocblas_geam_ex_operation_.num_agpr, 0
	.set _ZN12_GLOBAL__N_120geam_min_plus_kernelIDF16_Dv2_DF16_S1_Li8ELi32ELi64ELi128ELi4ELi4ELi64ELi4ELi64ELc84ELc78ELb0ELb1ELb0EPKDF16_KS3_KPDF16_EEviiiT16_PT17_ilS9_ilS7_S9_ilPT18_ili26rocblas_geam_ex_operation_.numbered_sgpr, 36
	.set _ZN12_GLOBAL__N_120geam_min_plus_kernelIDF16_Dv2_DF16_S1_Li8ELi32ELi64ELi128ELi4ELi4ELi64ELi4ELi64ELc84ELc78ELb0ELb1ELb0EPKDF16_KS3_KPDF16_EEviiiT16_PT17_ilS9_ilS7_S9_ilPT18_ili26rocblas_geam_ex_operation_.num_named_barrier, 0
	.set _ZN12_GLOBAL__N_120geam_min_plus_kernelIDF16_Dv2_DF16_S1_Li8ELi32ELi64ELi128ELi4ELi4ELi64ELi4ELi64ELc84ELc78ELb0ELb1ELb0EPKDF16_KS3_KPDF16_EEviiiT16_PT17_ilS9_ilS7_S9_ilPT18_ili26rocblas_geam_ex_operation_.private_seg_size, 0
	.set _ZN12_GLOBAL__N_120geam_min_plus_kernelIDF16_Dv2_DF16_S1_Li8ELi32ELi64ELi128ELi4ELi4ELi64ELi4ELi64ELc84ELc78ELb0ELb1ELb0EPKDF16_KS3_KPDF16_EEviiiT16_PT17_ilS9_ilS7_S9_ilPT18_ili26rocblas_geam_ex_operation_.uses_vcc, 1
	.set _ZN12_GLOBAL__N_120geam_min_plus_kernelIDF16_Dv2_DF16_S1_Li8ELi32ELi64ELi128ELi4ELi4ELi64ELi4ELi64ELc84ELc78ELb0ELb1ELb0EPKDF16_KS3_KPDF16_EEviiiT16_PT17_ilS9_ilS7_S9_ilPT18_ili26rocblas_geam_ex_operation_.uses_flat_scratch, 0
	.set _ZN12_GLOBAL__N_120geam_min_plus_kernelIDF16_Dv2_DF16_S1_Li8ELi32ELi64ELi128ELi4ELi4ELi64ELi4ELi64ELc84ELc78ELb0ELb1ELb0EPKDF16_KS3_KPDF16_EEviiiT16_PT17_ilS9_ilS7_S9_ilPT18_ili26rocblas_geam_ex_operation_.has_dyn_sized_stack, 0
	.set _ZN12_GLOBAL__N_120geam_min_plus_kernelIDF16_Dv2_DF16_S1_Li8ELi32ELi64ELi128ELi4ELi4ELi64ELi4ELi64ELc84ELc78ELb0ELb1ELb0EPKDF16_KS3_KPDF16_EEviiiT16_PT17_ilS9_ilS7_S9_ilPT18_ili26rocblas_geam_ex_operation_.has_recursion, 0
	.set _ZN12_GLOBAL__N_120geam_min_plus_kernelIDF16_Dv2_DF16_S1_Li8ELi32ELi64ELi128ELi4ELi4ELi64ELi4ELi64ELc84ELc78ELb0ELb1ELb0EPKDF16_KS3_KPDF16_EEviiiT16_PT17_ilS9_ilS7_S9_ilPT18_ili26rocblas_geam_ex_operation_.has_indirect_call, 0
	.section	.AMDGPU.csdata,"",@progbits
; Kernel info:
; codeLenInByte = 11324
; TotalNumSgprs: 42
; NumVgprs: 121
; NumAgprs: 0
; TotalNumVgprs: 121
; ScratchSize: 0
; MemoryBound: 0
; FloatMode: 240
; IeeeMode: 1
; LDSByteSize: 3072 bytes/workgroup (compile time only)
; SGPRBlocks: 5
; VGPRBlocks: 15
; NumSGPRsForWavesPerEU: 42
; NumVGPRsForWavesPerEU: 121
; AccumOffset: 124
; Occupancy: 4
; WaveLimiterHint : 1
; COMPUTE_PGM_RSRC2:SCRATCH_EN: 0
; COMPUTE_PGM_RSRC2:USER_SGPR: 2
; COMPUTE_PGM_RSRC2:TRAP_HANDLER: 0
; COMPUTE_PGM_RSRC2:TGID_X_EN: 1
; COMPUTE_PGM_RSRC2:TGID_Y_EN: 0
; COMPUTE_PGM_RSRC2:TGID_Z_EN: 1
; COMPUTE_PGM_RSRC2:TIDIG_COMP_CNT: 1
; COMPUTE_PGM_RSRC3_GFX90A:ACCUM_OFFSET: 30
; COMPUTE_PGM_RSRC3_GFX90A:TG_SPLIT: 0
	.section	.text._ZN12_GLOBAL__N_120geam_min_plus_kernelIDF16_Dv2_DF16_S1_Li8ELi32ELi64ELi128ELi4ELi4ELi64ELi4ELi64ELc84ELc78ELb1ELb1ELb0EDF16_KPKDF16_KPDF16_EEviiiT16_PT17_ilS9_ilS7_S9_ilPT18_ili26rocblas_geam_ex_operation_,"axG",@progbits,_ZN12_GLOBAL__N_120geam_min_plus_kernelIDF16_Dv2_DF16_S1_Li8ELi32ELi64ELi128ELi4ELi4ELi64ELi4ELi64ELc84ELc78ELb1ELb1ELb0EDF16_KPKDF16_KPDF16_EEviiiT16_PT17_ilS9_ilS7_S9_ilPT18_ili26rocblas_geam_ex_operation_,comdat
	.globl	_ZN12_GLOBAL__N_120geam_min_plus_kernelIDF16_Dv2_DF16_S1_Li8ELi32ELi64ELi128ELi4ELi4ELi64ELi4ELi64ELc84ELc78ELb1ELb1ELb0EDF16_KPKDF16_KPDF16_EEviiiT16_PT17_ilS9_ilS7_S9_ilPT18_ili26rocblas_geam_ex_operation_ ; -- Begin function _ZN12_GLOBAL__N_120geam_min_plus_kernelIDF16_Dv2_DF16_S1_Li8ELi32ELi64ELi128ELi4ELi4ELi64ELi4ELi64ELc84ELc78ELb1ELb1ELb0EDF16_KPKDF16_KPDF16_EEviiiT16_PT17_ilS9_ilS7_S9_ilPT18_ili26rocblas_geam_ex_operation_
	.p2align	8
	.type	_ZN12_GLOBAL__N_120geam_min_plus_kernelIDF16_Dv2_DF16_S1_Li8ELi32ELi64ELi128ELi4ELi4ELi64ELi4ELi64ELc84ELc78ELb1ELb1ELb0EDF16_KPKDF16_KPDF16_EEviiiT16_PT17_ilS9_ilS7_S9_ilPT18_ili26rocblas_geam_ex_operation_,@function
_ZN12_GLOBAL__N_120geam_min_plus_kernelIDF16_Dv2_DF16_S1_Li8ELi32ELi64ELi128ELi4ELi4ELi64ELi4ELi64ELc84ELc78ELb1ELb1ELb0EDF16_KPKDF16_KPDF16_EEviiiT16_PT17_ilS9_ilS7_S9_ilPT18_ili26rocblas_geam_ex_operation_: ; @_ZN12_GLOBAL__N_120geam_min_plus_kernelIDF16_Dv2_DF16_S1_Li8ELi32ELi64ELi128ELi4ELi4ELi64ELi4ELi64ELc84ELc78ELb1ELb1ELb0EDF16_KPKDF16_KPDF16_EEviiiT16_PT17_ilS9_ilS7_S9_ilPT18_ili26rocblas_geam_ex_operation_
; %bb.0:
	s_load_dwordx4 s[20:23], s[0:1], 0x0
	s_load_dwordx4 s[4:7], s[0:1], 0x20
	s_mov_b32 s8, s3
	s_mov_b32 s9, 0
	s_waitcnt lgkmcnt(0)
	v_cmp_eq_f16_e64 s[10:11], s23, 0
	s_and_b64 vcc, exec, s[10:11]
	s_cbranch_vccnz .LBB241_3
; %bb.1:
	s_load_dwordx2 s[12:13], s[0:1], 0x10
	s_lshl_b64 s[14:15], s[8:9], 3
	s_waitcnt lgkmcnt(0)
	s_add_u32 s12, s12, s14
	s_addc_u32 s13, s13, s15
	s_load_dwordx2 s[12:13], s[12:13], 0x0
	s_lshl_b64 s[4:5], s[4:5], 1
	s_waitcnt lgkmcnt(0)
	s_add_u32 s14, s12, s4
	s_addc_u32 s15, s13, s5
	s_andn2_b64 vcc, exec, s[10:11]
	s_cbranch_vccnz .LBB241_4
.LBB241_2:
	s_mov_b32 s13, 0
	s_mov_b32 s12, s8
	s_mov_b64 s[24:25], 0
	s_mov_b64 s[16:17], 0
	s_cbranch_execz .LBB241_5
	s_branch .LBB241_6
.LBB241_3:
	s_mov_b64 s[14:15], 0
	s_andn2_b64 vcc, exec, s[10:11]
	s_cbranch_vccz .LBB241_2
.LBB241_4:
	s_mov_b64 s[12:13], s[8:9]
	s_mov_b64 s[24:25], 0
	;; [unrolled: 1-line block ×3, first 2 shown]
.LBB241_5:
	s_lshl_b64 s[8:9], s[8:9], 3
	s_add_u32 s6, s6, s8
	s_load_dwordx2 s[4:5], s[0:1], 0x38
	s_addc_u32 s7, s7, s9
	s_load_dwordx2 s[6:7], s[6:7], 0x0
	s_waitcnt lgkmcnt(0)
	s_lshl_b64 s[4:5], s[4:5], 1
	s_add_u32 s16, s6, s4
	s_addc_u32 s17, s7, s5
.LBB241_6:
	s_load_dword s28, s[0:1], 0x40
	s_load_dwordx4 s[4:7], s[0:1], 0x58
	s_waitcnt lgkmcnt(0)
	v_cmp_eq_f16_e64 s[8:9], s28, 0
	v_cmp_neq_f16_e64 s[10:11], s28, 0
	s_and_b64 vcc, exec, s[8:9]
	s_cbranch_vccnz .LBB241_8
; %bb.7:
	s_load_dwordx2 s[8:9], s[0:1], 0x48
	s_lshl_b64 s[18:19], s[12:13], 3
	s_waitcnt lgkmcnt(0)
	s_add_u32 s8, s8, s18
	s_addc_u32 s9, s9, s19
	s_load_dwordx2 s[8:9], s[8:9], 0x0
	s_lshl_b64 s[4:5], s[4:5], 1
	s_waitcnt lgkmcnt(0)
	s_add_u32 s24, s8, s4
	s_addc_u32 s25, s9, s5
.LBB241_8:
	s_lshl_b64 s[4:5], s[12:13], 3
	s_add_u32 s12, s6, s4
	s_addc_u32 s13, s7, s5
	s_add_i32 s3, s20, -1
	s_ashr_i32 s4, s3, 31
	s_lshr_b32 s4, s4, 26
	s_add_i32 s3, s3, s4
	s_ashr_i32 s4, s3, 6
	s_add_i32 s5, s4, 1
	v_cvt_f32_u32_e32 v1, s5
	s_not_b32 s4, s4
	v_and_b32_e32 v25, 0x3ff, v0
	v_bfe_u32 v40, v0, 10, 10
	v_rcp_iflag_f32_e32 v1, v1
	s_load_dword s3, s[0:1], 0x18
	v_and_b32_e32 v24, 3, v0
	v_lshl_add_u32 v0, v40, 3, v25
	v_mul_f32_e32 v1, 0x4f7ffffe, v1
	v_cvt_u32_f32_e32 v1, v1
	v_lshrrev_b32_e32 v6, 2, v0
	v_lshlrev_b32_e32 v0, 1, v24
                                        ; implicit-def: $vgpr11
	v_readfirstlane_b32 s6, v1
	s_mul_i32 s4, s4, s6
	s_mul_hi_u32 s4, s6, s4
	s_add_i32 s6, s6, s4
	s_mul_hi_u32 s4, s2, s6
	s_mul_i32 s6, s4, s5
	s_sub_i32 s6, s2, s6
	s_add_i32 s7, s4, 1
	s_sub_i32 s8, s6, s5
	s_cmp_ge_u32 s6, s5
	s_cselect_b32 s4, s7, s4
	s_cselect_b32 s6, s8, s6
	s_add_i32 s7, s4, 1
	s_cmp_ge_u32 s6, s5
	s_cselect_b32 s8, s7, s4
	s_mul_i32 s23, s8, s5
	s_sub_i32 s4, s2, s23
	s_lshl_b32 s26, s4, 6
	v_add_u32_e32 v9, s26, v6
	v_cmp_le_i32_e64 s[6:7], s22, v24
	v_cmp_le_i32_e32 vcc, s20, v9
	s_nor_b64 s[4:5], s[6:7], vcc
	v_mov_b32_e32 v1, 0
	s_and_saveexec_b64 s[18:19], s[4:5]
	s_xor_b64 s[4:5], exec, s[18:19]
	s_cbranch_execz .LBB241_10
; %bb.9:
	s_waitcnt lgkmcnt(0)
	v_mad_i64_i32 v[2:3], s[18:19], v9, s3, 0
	v_lshl_add_u64 v[2:3], v[2:3], 1, s[14:15]
	v_lshl_add_u64 v[2:3], v[2:3], 0, v[0:1]
	flat_load_ushort v11, v[2:3]
.LBB241_10:
	s_andn2_saveexec_b64 s[4:5], s[4:5]
	s_cbranch_execz .LBB241_12
; %bb.11:
	s_waitcnt vmcnt(0) lgkmcnt(0)
	v_mov_b32_e32 v11, 0
.LBB241_12:
	s_or_b64 exec, exec, s[4:5]
	s_load_dword s29, s[0:1], 0x30
	s_lshl_b32 s27, s8, 7
	v_add_u32_e32 v7, s27, v6
	v_lshlrev_b32_e32 v2, 1, v24
	v_mov_b32_e32 v3, 0
	v_cmp_le_i32_e64 s[8:9], s21, v7
	v_lshl_add_u64 v[4:5], s[16:17], 0, v[2:3]
	s_nor_b64 s[18:19], s[6:7], s[8:9]
	v_mov_b32_e32 v12, 0
	s_and_saveexec_b64 s[4:5], s[18:19]
	s_cbranch_execz .LBB241_14
; %bb.13:
	s_waitcnt lgkmcnt(0)
	v_mad_i64_i32 v[12:13], s[18:19], v7, s29, 0
	v_lshl_add_u64 v[12:13], v[12:13], 1, v[4:5]
	flat_load_ushort v12, v[12:13]
.LBB241_14:
	s_or_b64 exec, exec, s[4:5]
	v_add_u32_e32 v8, 64, v7
	v_cmp_le_i32_e64 s[4:5], s21, v8
	s_nor_b64 s[18:19], s[6:7], s[4:5]
	s_and_saveexec_b64 s[6:7], s[18:19]
	s_cbranch_execz .LBB241_16
; %bb.15:
	s_waitcnt lgkmcnt(0)
	v_mad_i64_i32 v[2:3], s[18:19], v8, s29, 0
	v_lshl_add_u64 v[2:3], v[2:3], 1, v[4:5]
	flat_load_ushort v3, v[2:3]
.LBB241_16:
	s_or_b64 exec, exec, s[6:7]
	v_or_b32_e32 v2, 4, v24
	v_cmp_le_i32_e64 s[6:7], s22, v2
	s_nor_b64 s[18:19], s[6:7], vcc
	v_mov_b32_e32 v1, 0
                                        ; implicit-def: $vgpr10
	s_and_saveexec_b64 s[30:31], s[18:19]
	s_xor_b64 s[18:19], exec, s[30:31]
	s_cbranch_execz .LBB241_18
; %bb.17:
	s_waitcnt lgkmcnt(0)
	v_mad_i64_i32 v[4:5], s[30:31], v9, s3, 0
	v_lshl_add_u64 v[4:5], v[4:5], 1, s[14:15]
	v_lshl_add_u64 v[0:1], v[4:5], 0, v[0:1]
	flat_load_ushort v10, v[0:1] offset:8
.LBB241_18:
	s_andn2_saveexec_b64 s[18:19], s[18:19]
	s_cbranch_execz .LBB241_20
; %bb.19:
	s_waitcnt vmcnt(0) lgkmcnt(0)
	v_mov_b32_e32 v10, 0
.LBB241_20:
	s_or_b64 exec, exec, s[18:19]
	v_lshlrev_b32_e32 v0, 1, v2
	v_mov_b32_e32 v1, 0
	v_lshl_add_u64 v[4:5], s[16:17], 0, v[0:1]
	s_nor_b64 s[30:31], s[6:7], s[8:9]
	v_mov_b32_e32 v0, 0
	s_and_saveexec_b64 s[18:19], s[30:31]
	s_cbranch_execz .LBB241_22
; %bb.21:
	s_waitcnt lgkmcnt(0)
	v_mad_i64_i32 v[14:15], s[30:31], v7, s29, 0
	v_lshl_add_u64 v[14:15], v[14:15], 1, v[4:5]
	flat_load_ushort v0, v[14:15]
.LBB241_22:
	s_or_b64 exec, exec, s[18:19]
	s_nor_b64 s[18:19], s[6:7], s[4:5]
	s_and_saveexec_b64 s[6:7], s[18:19]
	s_cbranch_execz .LBB241_24
; %bb.23:
	s_waitcnt lgkmcnt(0)
	v_mad_i64_i32 v[14:15], s[18:19], v8, s29, 0
	v_lshl_add_u64 v[4:5], v[14:15], 1, v[4:5]
	flat_load_ushort v1, v[4:5]
.LBB241_24:
	s_or_b64 exec, exec, s[6:7]
	v_lshlrev_b32_e32 v2, 3, v6
	v_lshl_or_b32 v43, v24, 1, v2
	v_lshlrev_b32_e32 v42, 3, v25
	v_lshlrev_b32_e32 v41, 3, v40
	s_load_dwordx2 s[12:13], s[12:13], 0x0
	s_waitcnt vmcnt(0) lgkmcnt(0)
	ds_write_b16 v43, v11 offset:2048
	ds_write_b16 v43, v12
	ds_write_b16 v43, v3 offset:512
	s_waitcnt lgkmcnt(0)
	s_barrier
	ds_read2_b64 v[2:5], v41 offset1:32
	v_add_u32_e32 v69, 0x800, v42
	ds_read2_b64 v[12:15], v69 offset0:48 offset1:56
	ds_read2_b64 v[16:19], v41 offset0:64 offset1:96
	ds_read2_b64 v[20:23], v69 offset1:8
	ds_read2_b64 v[26:29], v69 offset0:16 offset1:24
	ds_read2_b64 v[30:33], v69 offset0:32 offset1:40
	s_waitcnt lgkmcnt(5)
	v_pk_max_f16 v2, v2, v2
	s_waitcnt lgkmcnt(4)
	v_pk_max_f16 v9, v14, v14
	v_pk_max_f16 v4, v4, v4
	v_pk_min_f16 v11, v9, v2
	s_waitcnt lgkmcnt(3)
	v_pk_max_f16 v14, v16, v16
	s_waitcnt lgkmcnt(2)
	v_pk_max_f16 v16, v20, v20
	v_pk_max_f16 v18, v18, v18
	;; [unrolled: 1-line block ×3, first 2 shown]
	s_waitcnt lgkmcnt(1)
	v_pk_max_f16 v26, v26, v26
	v_pk_max_f16 v28, v28, v28
	s_waitcnt lgkmcnt(0)
	v_pk_max_f16 v30, v30, v30
	v_pk_max_f16 v3, v3, v3
	;; [unrolled: 1-line block ×5, first 2 shown]
	v_pk_min_f16 v20, v16, v2
	v_pk_min_f16 v34, v16, v4
	;; [unrolled: 1-line block ×17, first 2 shown]
	v_pk_max_f16 v5, v5, v5
	v_pk_min_f16 v54, v30, v4
	v_pk_min_f16 v55, v30, v14
	;; [unrolled: 1-line block ×14, first 2 shown]
	v_pk_add_f16 v11, v11, 0
	v_pk_min_f16 v18, v15, v3
	v_pk_max_f16 v17, v17, v17
	v_pk_add_f16 v68, v11, v18
	v_pk_add_f16 v11, v49, 0
	v_pk_min_f16 v18, v15, v5
	v_pk_max_f16 v21, v21, v21
	v_pk_add_f16 v60, v11, v18
	;; [unrolled: 4-line block ×5, first 2 shown]
	v_pk_add_f16 v11, v35, 0
	v_pk_min_f16 v18, v21, v17
	v_pk_min_f16 v34, v29, v3
	v_pk_add_f16 v59, v11, v18
	v_pk_add_f16 v11, v16, 0
	v_pk_min_f16 v16, v21, v19
	v_pk_add_f16 v20, v28, 0
	v_pk_add_f16 v51, v11, v16
	v_pk_add_f16 v11, v36, 0
	v_pk_min_f16 v16, v23, v3
	v_pk_add_f16 v21, v53, 0
	;; [unrolled: 4-line block ×5, first 2 shown]
	v_pk_add_f16 v50, v11, v16
	v_pk_max_f16 v16, v27, v27
	v_pk_add_f16 v11, v39, 0
	v_pk_min_f16 v18, v16, v3
	v_pk_add_f16 v27, v56, 0
	v_pk_add_f16 v74, v11, v18
	;; [unrolled: 1-line block ×3, first 2 shown]
	v_pk_min_f16 v18, v16, v5
	v_pk_add_f16 v23, v55, 0
	v_pk_add_f16 v65, v11, v18
	;; [unrolled: 1-line block ×3, first 2 shown]
	v_pk_min_f16 v18, v16, v17
	v_pk_min_f16 v16, v16, v19
	v_pk_add_f16 v57, v11, v18
	v_pk_add_f16 v11, v26, 0
	;; [unrolled: 1-line block ×7, first 2 shown]
	v_pk_min_f16 v11, v29, v5
	v_pk_add_f16 v26, v30, 0
	v_pk_add_f16 v64, v16, v11
	v_pk_min_f16 v11, v29, v17
	v_pk_add_f16 v30, v62, 0
	v_pk_add_f16 v56, v18, v11
	;; [unrolled: 3-line block ×3, first 2 shown]
	v_pk_max_f16 v11, v31, v31
	v_pk_add_f16 v4, v4, 0
	v_pk_min_f16 v16, v11, v3
	v_pk_add_f16 v14, v14, 0
	v_pk_add_f16 v72, v21, v16
	v_pk_min_f16 v16, v11, v5
	v_pk_add_f16 v12, v12, 0
	v_pk_add_f16 v63, v22, v16
	v_pk_min_f16 v16, v11, v17
	v_pk_min_f16 v11, v11, v19
	v_pk_add_f16 v55, v23, v16
	v_pk_add_f16 v47, v26, v11
	v_pk_max_f16 v11, v33, v33
	v_pk_add_f16 v9, v9, 0
	v_pk_min_f16 v16, v11, v3
	s_mov_b32 s18, 0
	v_pk_add_f16 v71, v27, v16
	v_pk_min_f16 v16, v11, v5
	s_cmp_lt_i32 s22, 9
	v_pk_add_f16 v62, v28, v16
	v_pk_min_f16 v16, v11, v17
	v_pk_min_f16 v11, v11, v19
	v_pk_add_f16 v54, v30, v16
	v_pk_add_f16 v46, v32, v11
	v_pk_max_f16 v11, v13, v13
	ds_write_b16 v43, v10 offset:2560
	ds_write_b16 v43, v0 offset:1024
	ds_write_b16 v43, v1 offset:1536
	v_pk_min_f16 v3, v11, v3
	s_waitcnt lgkmcnt(0)
	v_pk_add_f16 v70, v2, v3
	v_pk_min_f16 v2, v11, v5
	s_barrier
	v_pk_add_f16 v61, v4, v2
	v_pk_min_f16 v2, v11, v17
	s_nop 0
	v_pk_add_f16 v53, v14, v2
	v_pk_min_f16 v2, v11, v19
	s_nop 0
	v_pk_add_f16 v45, v12, v2
	v_pk_min_f16 v2, v15, v19
	s_nop 0
	v_pk_add_f16 v44, v9, v2
	s_cbranch_scc1 .LBB241_39
; %bb.25:
	v_mov_b32_e32 v0, 0xa00
	v_lshl_add_u32 v80, v25, 3, v0
	v_mov_b32_e32 v0, 0x400
	v_lshl_add_u32 v81, v40, 3, v0
	v_and_b32_e32 v0, 3, v25
	v_lshlrev_b32_e32 v26, 1, v0
	v_lshl_add_u32 v0, s2, 6, v6
	s_lshl_b32 s2, s23, 6
	v_subrev_u32_e32 v0, s2, v0
	v_mad_i64_i32 v[0:1], s[2:3], s3, v0, 0
	v_lshl_add_u64 v[28:29], v[0:1], 1, s[14:15]
	v_mad_i64_i32 v[0:1], s[2:3], s29, v7, 0
	v_lshl_add_u64 v[30:31], v[0:1], 1, s[16:17]
	v_mad_i64_i32 v[0:1], s[2:3], s29, v8, 0
	v_add_u32_e32 v77, 0x800, v43
	v_add_u32_e32 v78, 0xa00, v43
	v_add_u32_e32 v79, 0x400, v43
	s_add_i32 s19, s22, -8
	v_mov_b32_e32 v27, 0
	v_lshl_add_u64 v[32:33], v[0:1], 1, s[16:17]
	s_branch .LBB241_27
.LBB241_26:                             ;   in Loop: Header=BB241_27 Depth=1
	s_or_b64 exec, exec, s[2:3]
	v_pk_max_f16 v2, v2, v2
	v_pk_max_f16 v20, v20, v20
	;; [unrolled: 1-line block ×7, first 2 shown]
	v_pk_min_f16 v35, v2, v20
	v_pk_max_f16 v12, v12, v12
	v_pk_max_f16 v14, v14, v14
	;; [unrolled: 1-line block ×10, first 2 shown]
	v_pk_min_f16 v92, v4, v20
	v_pk_max_f16 v9, v9, v9
	v_pk_max_f16 v11, v11, v11
	v_pk_min_f16 v93, v4, v22
	v_pk_max_f16 v5, v5, v5
	v_pk_max_f16 v7, v7, v7
	v_pk_min_f16 v94, v4, v16
	v_pk_min_f16 v4, v4, v18
	v_pk_max_f16 v0, v0, v0
	v_pk_max_f16 v3, v3, v3
	;; [unrolled: 1-line block ×3, first 2 shown]
	v_pk_min_f16 v95, v6, v20
	v_pk_min_f16 v96, v6, v22
	;; [unrolled: 1-line block ×59, first 2 shown]
	v_pk_add_f16 v1, v68, v35
	v_pk_add_f16 v3, v60, v98
	;; [unrolled: 1-line block ×16, first 2 shown]
	ds_read2_b64 v[0:3], v69 offset0:48 offset1:56
	ds_read2_b64 v[4:7], v41 offset1:32
	v_pk_add_f16 v36, v76, v36
	v_pk_add_f16 v37, v67, v37
	;; [unrolled: 1-line block ×5, first 2 shown]
	s_waitcnt lgkmcnt(0)
	v_pk_max_f16 v2, v2, v2
	v_pk_max_f16 v4, v4, v4
	v_pk_add_f16 v14, v50, v14
	v_pk_add_f16 v59, v64, v90
	;; [unrolled: 1-line block ×9, first 2 shown]
	ds_read2_b64 v[8:11], v41 offset0:64 offset1:96
	v_pk_min_f16 v12, v2, v4
	v_pk_add_f16 v22, v61, v22
	v_pk_add_f16 v61, v14, v15
	;; [unrolled: 1-line block ×3, first 2 shown]
	ds_read2_b64 v[12:15], v69 offset1:8
	v_pk_max_f16 v6, v6, v6
	v_pk_add_f16 v20, v70, v20
	v_pk_add_f16 v70, v16, v17
	v_pk_min_f16 v16, v2, v6
	s_waitcnt lgkmcnt(0)
	v_pk_max_f16 v8, v8, v8
	v_pk_add_f16 v35, v35, v119
	v_pk_add_f16 v53, v53, v16
	v_pk_min_f16 v16, v2, v8
	v_pk_max_f16 v12, v12, v12
	v_pk_add_f16 v35, v35, v16
	v_pk_min_f16 v16, v12, v4
	v_pk_add_f16 v47, v71, v95
	v_pk_add_f16 v71, v18, v16
	v_pk_min_f16 v16, v12, v6
	v_pk_add_f16 v39, v75, v39
	v_pk_add_f16 v36, v36, v16
	v_pk_min_f16 v16, v12, v8
	v_pk_max_f16 v10, v10, v10
	v_pk_max_f16 v14, v14, v14
	v_pk_add_f16 v39, v39, v102
	v_pk_add_f16 v37, v37, v16
	v_pk_min_f16 v12, v12, v10
	v_pk_min_f16 v16, v14, v4
	v_pk_add_f16 v51, v51, v103
	v_pk_add_f16 v12, v38, v12
	;; [unrolled: 1-line block ×3, first 2 shown]
	v_pk_min_f16 v16, v14, v6
	v_pk_add_f16 v44, v44, v19
	v_pk_add_f16 v39, v51, v16
	ds_read2_b64 v[16:19], v69 offset0:16 offset1:24
	v_pk_add_f16 v50, v74, v86
	v_pk_add_f16 v52, v52, v104
	v_pk_add_f16 v67, v20, v21
	v_pk_min_f16 v20, v14, v8
	s_waitcnt lgkmcnt(0)
	v_pk_max_f16 v16, v16, v16
	v_pk_add_f16 v48, v72, v92
	v_pk_add_f16 v50, v50, v105
	;; [unrolled: 1-line block ×3, first 2 shown]
	v_pk_min_f16 v14, v14, v10
	v_pk_min_f16 v20, v16, v4
	v_pk_add_f16 v57, v57, v88
	v_pk_add_f16 v58, v58, v106
	;; [unrolled: 1-line block ×4, first 2 shown]
	v_pk_min_f16 v20, v16, v6
	v_pk_add_f16 v49, v73, v89
	v_pk_add_f16 v57, v57, v107
	;; [unrolled: 1-line block ×3, first 2 shown]
	v_pk_min_f16 v20, v16, v8
	v_pk_max_f16 v18, v18, v18
	v_pk_add_f16 v49, v49, v108
	v_pk_add_f16 v57, v57, v20
	v_pk_min_f16 v16, v16, v10
	v_pk_min_f16 v20, v18, v4
	v_pk_add_f16 v59, v59, v109
	v_pk_add_f16 v16, v63, v16
	;; [unrolled: 1-line block ×3, first 2 shown]
	v_pk_min_f16 v20, v18, v6
	v_pk_add_f16 v68, v22, v23
	v_pk_add_f16 v84, v59, v20
	ds_read2_b64 v[20:23], v69 offset0:32 offset1:40
	v_pk_add_f16 v56, v56, v91
	v_pk_min_f16 v49, v18, v8
	v_pk_add_f16 v56, v56, v110
	v_pk_add_f16 v48, v48, v111
	s_waitcnt lgkmcnt(0)
	v_pk_max_f16 v20, v20, v20
	v_pk_add_f16 v56, v56, v49
	v_pk_min_f16 v49, v20, v4
	v_pk_add_f16 v55, v55, v94
	v_pk_add_f16 v60, v60, v112
	v_pk_add_f16 v85, v48, v49
	v_pk_min_f16 v48, v20, v6
	v_pk_add_f16 v55, v55, v113
	v_pk_add_f16 v86, v60, v48
	v_pk_min_f16 v48, v20, v8
	v_pk_max_f16 v22, v22, v22
	v_pk_add_f16 v62, v62, v96
	v_pk_add_f16 v47, v47, v114
	;; [unrolled: 1-line block ×3, first 2 shown]
	v_pk_min_f16 v48, v22, v4
	v_pk_add_f16 v62, v62, v115
	v_pk_add_f16 v87, v47, v48
	v_pk_min_f16 v47, v22, v6
	v_pk_max_f16 v0, v0, v0
	v_pk_max_f16 v3, v3, v3
	;; [unrolled: 1-line block ×3, first 2 shown]
	v_pk_min_f16 v18, v18, v10
	v_pk_min_f16 v20, v20, v10
	v_pk_add_f16 v62, v62, v47
	v_pk_min_f16 v47, v22, v8
	v_pk_min_f16 v22, v22, v10
	;; [unrolled: 1-line block ×8, first 2 shown]
	v_pk_max_f16 v7, v7, v7
	v_pk_add_f16 v6, v68, v6
	v_pk_add_f16 v68, v46, v10
	v_pk_min_f16 v10, v3, v7
	v_pk_max_f16 v9, v9, v9
	v_pk_add_f16 v60, v53, v10
	v_pk_min_f16 v10, v3, v9
	v_pk_max_f16 v11, v11, v11
	v_pk_add_f16 v52, v35, v10
	v_pk_max_f16 v10, v13, v13
	v_pk_add_f16 v4, v67, v4
	v_pk_min_f16 v13, v10, v5
	v_pk_add_f16 v22, v66, v22
	v_pk_add_f16 v76, v71, v13
	v_pk_min_f16 v13, v10, v7
	v_pk_add_f16 v20, v65, v20
	v_pk_add_f16 v67, v36, v13
	v_pk_min_f16 v13, v10, v9
	v_pk_min_f16 v10, v10, v11
	v_pk_add_f16 v18, v64, v18
	v_pk_add_f16 v51, v12, v10
	v_pk_max_f16 v10, v15, v15
	v_pk_add_f16 v54, v54, v97
	v_pk_min_f16 v12, v10, v5
	v_pk_add_f16 v54, v54, v116
	v_pk_add_f16 v75, v38, v12
	v_pk_min_f16 v12, v10, v7
	v_pk_add_f16 v54, v54, v47
	v_pk_add_f16 v66, v39, v12
	v_pk_min_f16 v12, v10, v9
	v_pk_min_f16 v10, v10, v11
	v_pk_add_f16 v58, v72, v12
	v_pk_add_f16 v50, v14, v10
	v_pk_max_f16 v10, v17, v17
	v_pk_max_f16 v1, v1, v1
	v_pk_min_f16 v12, v10, v5
	v_pk_add_f16 v45, v45, v120
	v_pk_add_f16 v74, v61, v12
	v_pk_min_f16 v12, v10, v7
	v_pk_add_f16 v8, v70, v8
	v_pk_add_f16 v65, v73, v12
	v_pk_min_f16 v12, v10, v9
	v_pk_min_f16 v10, v10, v11
	v_pk_add_f16 v57, v57, v12
	v_pk_add_f16 v49, v16, v10
	v_pk_max_f16 v10, v19, v19
	v_pk_add_f16 v0, v45, v0
	v_pk_min_f16 v12, v10, v5
	v_pk_add_f16 v2, v44, v2
	v_pk_add_f16 v73, v63, v12
	v_pk_min_f16 v12, v10, v7
	s_add_i32 s18, s18, 8
	v_pk_add_f16 v64, v84, v12
	v_pk_min_f16 v12, v10, v9
	v_pk_min_f16 v10, v10, v11
	v_pk_add_f16 v56, v56, v12
	v_pk_add_f16 v48, v18, v10
	v_pk_max_f16 v10, v21, v21
	v_pk_add_f16 v59, v37, v13
	v_pk_min_f16 v12, v10, v5
	v_lshl_add_u64 v[28:29], v[28:29], 0, 16
	v_pk_add_f16 v72, v85, v12
	v_pk_min_f16 v12, v10, v7
	v_lshl_add_u64 v[30:31], v[30:31], 0, 16
	v_pk_add_f16 v63, v86, v12
	v_pk_min_f16 v12, v10, v9
	v_pk_min_f16 v10, v10, v11
	v_pk_add_f16 v55, v55, v12
	v_pk_add_f16 v47, v20, v10
	v_pk_max_f16 v10, v23, v23
	s_cmp_ge_i32 s18, s19
	v_pk_min_f16 v12, v10, v5
	v_pk_min_f16 v5, v1, v5
	v_pk_add_f16 v71, v87, v12
	v_pk_add_f16 v70, v4, v5
	v_pk_min_f16 v4, v1, v7
	v_pk_min_f16 v12, v10, v7
	v_pk_add_f16 v61, v6, v4
	v_pk_min_f16 v4, v1, v9
	v_pk_min_f16 v1, v1, v11
	;; [unrolled: 3-line block ×3, first 2 shown]
	v_pk_add_f16 v45, v0, v1
	v_pk_min_f16 v0, v3, v11
	v_pk_add_f16 v54, v54, v12
	v_pk_add_f16 v46, v22, v10
	;; [unrolled: 1-line block ×4, first 2 shown]
	v_lshl_add_u64 v[32:33], v[32:33], 0, 16
	s_waitcnt vmcnt(0)
	ds_write_b16 v78, v83
	ds_write_b16 v79, v82
	ds_write_b16 v79, v34 offset:512
	s_waitcnt lgkmcnt(0)
	s_barrier
	s_cbranch_scc1 .LBB241_39
.LBB241_27:                             ; =>This Inner Loop Header: Depth=1
	v_add_u32_e32 v82, s18, v24
	v_add_u32_e32 v0, 8, v82
	v_cmp_le_i32_e64 s[6:7], s22, v0
	s_nor_b64 s[14:15], s[6:7], vcc
	v_lshl_add_u64 v[34:35], v[28:29], 0, v[26:27]
	v_mov_b32_e32 v83, 0
	s_and_saveexec_b64 s[2:3], s[14:15]
	s_cbranch_execz .LBB241_29
; %bb.28:                               ;   in Loop: Header=BB241_27 Depth=1
	flat_load_ushort v83, v[34:35] offset:16
.LBB241_29:                             ;   in Loop: Header=BB241_27 Depth=1
	s_or_b64 exec, exec, s[2:3]
	s_nor_b64 s[14:15], s[8:9], s[6:7]
	v_mov_b32_e32 v84, 0
	v_lshl_add_u64 v[38:39], v[30:31], 0, v[26:27]
	v_mov_b32_e32 v85, 0
	s_and_saveexec_b64 s[2:3], s[14:15]
	s_cbranch_execz .LBB241_31
; %bb.30:                               ;   in Loop: Header=BB241_27 Depth=1
	flat_load_ushort v85, v[38:39] offset:16
.LBB241_31:                             ;   in Loop: Header=BB241_27 Depth=1
	s_or_b64 exec, exec, s[2:3]
	s_nor_b64 s[6:7], s[4:5], s[6:7]
	v_lshl_add_u64 v[36:37], v[32:33], 0, v[26:27]
	s_and_saveexec_b64 s[2:3], s[6:7]
	s_cbranch_execz .LBB241_33
; %bb.32:                               ;   in Loop: Header=BB241_27 Depth=1
	flat_load_ushort v84, v[36:37] offset:16
.LBB241_33:                             ;   in Loop: Header=BB241_27 Depth=1
	s_or_b64 exec, exec, s[2:3]
	ds_read2_b64 v[0:3], v80 offset0:48 offset1:56
	ds_read2_b64 v[16:19], v81 offset0:64 offset1:96
	ds_read2_b64 v[20:23], v81 offset1:32
	ds_read2_b64 v[12:15], v80 offset1:8
	ds_read2_b64 v[8:11], v80 offset0:16 offset1:24
	ds_read2_b64 v[4:7], v80 offset0:32 offset1:40
	v_add_u32_e32 v82, 12, v82
	v_cmp_le_i32_e64 s[6:7], s22, v82
	s_waitcnt vmcnt(0) lgkmcnt(0)
	ds_write_b16 v77, v83
	ds_write_b16 v43, v85
	ds_write_b16 v43, v84 offset:512
	s_nor_b64 s[2:3], s[6:7], vcc
	v_mov_b32_e32 v82, 0
	v_mov_b32_e32 v83, 0
	s_waitcnt lgkmcnt(0)
	s_barrier
	s_and_saveexec_b64 s[14:15], s[2:3]
	s_xor_b64 s[2:3], exec, s[14:15]
	s_cbranch_execz .LBB241_35
; %bb.34:                               ;   in Loop: Header=BB241_27 Depth=1
	flat_load_ushort v83, v[34:35] offset:24
.LBB241_35:                             ;   in Loop: Header=BB241_27 Depth=1
	s_or_b64 exec, exec, s[2:3]
	s_nor_b64 s[14:15], s[8:9], s[6:7]
	s_and_saveexec_b64 s[2:3], s[14:15]
	s_cbranch_execz .LBB241_37
; %bb.36:                               ;   in Loop: Header=BB241_27 Depth=1
	flat_load_ushort v82, v[38:39] offset:24
.LBB241_37:                             ;   in Loop: Header=BB241_27 Depth=1
	s_or_b64 exec, exec, s[2:3]
	s_nor_b64 s[6:7], s[4:5], s[6:7]
	v_mov_b32_e32 v34, 0
	s_and_saveexec_b64 s[2:3], s[6:7]
	s_cbranch_execz .LBB241_26
; %bb.38:                               ;   in Loop: Header=BB241_27 Depth=1
	flat_load_ushort v34, v[36:37] offset:24
	s_branch .LBB241_26
.LBB241_39:
	s_load_dwordx2 s[2:3], s[0:1], 0x70
	s_load_dword s30, s[0:1], 0x50
	s_load_dword s29, s[0:1], 0x68
	v_add_u32_e32 v8, 0x800, v42
	ds_read2_b64 v[0:3], v8 offset0:112 offset1:120
	ds_read2_b64 v[4:7], v41 offset0:192 offset1:224
	;; [unrolled: 1-line block ×6, first 2 shown]
	s_waitcnt lgkmcnt(0)
	s_lshl_b64 s[0:1], s[2:3], 1
	s_add_u32 s22, s12, s0
	v_add_u32_e32 v69, s27, v40
	s_addc_u32 s23, s13, s1
	v_mad_i64_i32 v[26:27], s[0:1], v69, s30, 0
	v_add_u32_e32 v24, s26, v25
	v_lshl_add_u64 v[42:43], v[26:27], 1, s[24:25]
	v_mad_i64_i32 v[26:27], s[0:1], v69, s29, 0
	v_cmp_gt_i32_e64 s[18:19], s21, v69
	v_lshl_add_u64 v[40:41], v[26:27], 1, s[22:23]
	v_cmp_gt_i32_e64 s[2:3], s20, v24
	v_cndmask_b32_e64 v26, 0, 1, s[10:11]
	s_and_b64 s[4:5], s[2:3], s[18:19]
	v_ashrrev_i32_e32 v25, 31, v24
	v_cmp_ne_u32_e64 s[0:1], 1, v26
	s_and_saveexec_b64 s[6:7], s[4:5]
	s_xor_b64 s[4:5], exec, s[6:7]
	s_cbranch_execz .LBB241_44
; %bb.40:
	s_and_b64 vcc, exec, s[0:1]
	s_cbranch_vccnz .LBB241_42
; %bb.41:
	v_lshl_add_u64 v[26:27], v[24:25], 1, v[42:43]
	flat_load_ushort v26, v[26:27]
	s_waitcnt vmcnt(0) lgkmcnt(0)
	v_mul_f16_e32 v26, s28, v26
	s_branch .LBB241_43
.LBB241_42:
	v_mov_b32_e32 v26, 0
.LBB241_43:
	v_pk_max_f16 v27, v20, v20
	v_pk_max_f16 v28, v16, v16
	v_pk_max_f16 v29, v17, v17
	v_pk_min_f16 v27, v28, v27
	v_pk_max_f16 v28, v21, v21
	v_pk_add_f16 v27, v76, v27
	v_pk_min_f16 v28, v29, v28
	s_nop 0
	v_pk_add_f16 v27, v27, v28
	s_nop 0
	v_add_f16_sdwa v27, v27, v27 dst_sel:DWORD dst_unused:UNUSED_PAD src0_sel:DWORD src1_sel:WORD_1
	v_add_f16_e32 v28, v27, v26
	v_lshl_add_u64 v[26:27], v[24:25], 1, v[40:41]
	flat_store_short v[26:27], v28
.LBB241_44:
	s_or_b64 exec, exec, s[4:5]
	v_add_u32_e32 v26, 8, v24
	v_cmp_gt_i32_e64 s[4:5], s20, v26
	s_and_b64 s[8:9], s[4:5], s[18:19]
	v_ashrrev_i32_e32 v27, 31, v26
	s_and_saveexec_b64 s[6:7], s[8:9]
	s_cbranch_execz .LBB241_49
; %bb.45:
	s_and_b64 vcc, exec, s[0:1]
	s_cbranch_vccnz .LBB241_47
; %bb.46:
	v_lshl_add_u64 v[28:29], v[26:27], 1, v[42:43]
	flat_load_ushort v28, v[28:29]
	s_waitcnt vmcnt(0) lgkmcnt(0)
	v_mul_f16_e32 v28, s28, v28
	s_branch .LBB241_48
.LBB241_47:
	v_mov_b32_e32 v28, 0
.LBB241_48:
	v_pk_max_f16 v29, v20, v20
	v_pk_max_f16 v30, v18, v18
	v_pk_max_f16 v31, v19, v19
	v_pk_min_f16 v29, v30, v29
	v_pk_max_f16 v30, v21, v21
	v_pk_add_f16 v29, v75, v29
	v_pk_min_f16 v30, v31, v30
	s_nop 0
	v_pk_add_f16 v29, v29, v30
	s_nop 0
	v_add_f16_sdwa v29, v29, v29 dst_sel:DWORD dst_unused:UNUSED_PAD src0_sel:DWORD src1_sel:WORD_1
	v_add_f16_e32 v30, v29, v28
	v_lshl_add_u64 v[28:29], v[26:27], 1, v[40:41]
	flat_store_short v[28:29], v30
.LBB241_49:
	s_or_b64 exec, exec, s[6:7]
	v_add_u32_e32 v28, 16, v24
	v_cmp_gt_i32_e64 s[6:7], s20, v28
	s_and_b64 s[10:11], s[6:7], s[18:19]
	v_ashrrev_i32_e32 v29, 31, v28
	s_and_saveexec_b64 s[8:9], s[10:11]
	;; [unrolled: 34-line block ×6, first 2 shown]
	s_cbranch_execz .LBB241_74
; %bb.70:
	s_and_b64 vcc, exec, s[0:1]
	s_cbranch_vccnz .LBB241_72
; %bb.71:
	v_lshl_add_u64 v[38:39], v[36:37], 1, v[42:43]
	flat_load_ushort v38, v[38:39]
	s_waitcnt vmcnt(0) lgkmcnt(0)
	v_mul_f16_e32 v38, s28, v38
	s_branch .LBB241_73
.LBB241_72:
	v_mov_b32_e32 v38, 0
.LBB241_73:
	v_pk_max_f16 v39, v20, v20
	v_pk_max_f16 v71, v0, v0
	s_nop 0
	v_pk_min_f16 v39, v71, v39
	v_pk_max_f16 v71, v1, v1
	v_pk_add_f16 v39, v70, v39
	v_pk_max_f16 v70, v21, v21
	s_nop 0
	v_pk_min_f16 v70, v71, v70
	s_nop 0
	v_pk_add_f16 v39, v39, v70
	s_nop 0
	v_add_f16_sdwa v39, v39, v39 dst_sel:DWORD dst_unused:UNUSED_PAD src0_sel:DWORD src1_sel:WORD_1
	v_add_f16_e32 v70, v39, v38
	v_lshl_add_u64 v[38:39], v[36:37], 1, v[40:41]
	flat_store_short v[38:39], v70
.LBB241_74:
	s_or_b64 exec, exec, s[16:17]
	v_add_u32_e32 v38, 56, v24
	v_cmp_gt_i32_e64 s[16:17], s20, v38
	s_and_b64 s[26:27], s[16:17], s[18:19]
	v_ashrrev_i32_e32 v39, 31, v38
	s_and_saveexec_b64 s[18:19], s[26:27]
	s_cbranch_execz .LBB241_79
; %bb.75:
	s_and_b64 vcc, exec, s[0:1]
	s_cbranch_vccnz .LBB241_77
; %bb.76:
	v_lshl_add_u64 v[42:43], v[38:39], 1, v[42:43]
	flat_load_ushort v42, v[42:43]
	s_waitcnt vmcnt(0) lgkmcnt(0)
	v_mul_f16_e32 v42, s28, v42
	s_branch .LBB241_78
.LBB241_77:
	v_mov_b32_e32 v42, 0
.LBB241_78:
	v_pk_max_f16 v20, v20, v20
	v_pk_max_f16 v43, v2, v2
	;; [unrolled: 1-line block ×3, first 2 shown]
	v_pk_min_f16 v20, v43, v20
	v_pk_max_f16 v43, v3, v3
	v_pk_add_f16 v20, v68, v20
	v_pk_min_f16 v21, v43, v21
	s_nop 0
	v_pk_add_f16 v20, v20, v21
	s_nop 0
	v_add_f16_sdwa v20, v20, v20 dst_sel:DWORD dst_unused:UNUSED_PAD src0_sel:DWORD src1_sel:WORD_1
	v_add_f16_e32 v42, v20, v42
	v_lshl_add_u64 v[20:21], v[38:39], 1, v[40:41]
	flat_store_short v[20:21], v42
.LBB241_79:
	s_or_b64 exec, exec, s[18:19]
	v_add_u32_e32 v42, 32, v69
	v_mad_i64_i32 v[20:21], s[26:27], v42, s30, 0
	v_cmp_gt_i32_e64 s[18:19], s21, v42
	v_lshl_add_u64 v[40:41], v[20:21], 1, s[24:25]
	v_mad_i64_i32 v[20:21], s[26:27], v42, s29, 0
	v_lshl_add_u64 v[20:21], v[20:21], 1, s[22:23]
	s_and_b64 s[34:35], s[2:3], s[18:19]
	s_and_saveexec_b64 s[26:27], s[34:35]
	s_cbranch_execnz .LBB241_87
; %bb.80:
	s_or_b64 exec, exec, s[26:27]
	s_and_b64 s[34:35], s[4:5], s[18:19]
	s_and_saveexec_b64 s[26:27], s[34:35]
	s_cbranch_execnz .LBB241_91
.LBB241_81:
	s_or_b64 exec, exec, s[26:27]
	s_and_b64 s[34:35], s[6:7], s[18:19]
	s_and_saveexec_b64 s[26:27], s[34:35]
	s_cbranch_execnz .LBB241_95
.LBB241_82:
	s_or_b64 exec, exec, s[26:27]
	s_and_b64 s[34:35], s[8:9], s[18:19]
	s_and_saveexec_b64 s[26:27], s[34:35]
	s_cbranch_execnz .LBB241_99
.LBB241_83:
	s_or_b64 exec, exec, s[26:27]
	s_and_b64 s[34:35], s[10:11], s[18:19]
	s_and_saveexec_b64 s[26:27], s[34:35]
	s_cbranch_execnz .LBB241_103
.LBB241_84:
	s_or_b64 exec, exec, s[26:27]
	s_and_b64 s[34:35], s[12:13], s[18:19]
	s_and_saveexec_b64 s[26:27], s[34:35]
	s_cbranch_execnz .LBB241_107
.LBB241_85:
	s_or_b64 exec, exec, s[26:27]
	s_and_b64 s[34:35], s[14:15], s[18:19]
	s_and_saveexec_b64 s[26:27], s[34:35]
	s_cbranch_execnz .LBB241_111
.LBB241_86:
	s_or_b64 exec, exec, s[26:27]
	s_and_b64 s[26:27], s[16:17], s[18:19]
	s_and_saveexec_b64 s[18:19], s[26:27]
	s_cbranch_execnz .LBB241_115
	s_branch .LBB241_119
.LBB241_87:
	s_and_b64 vcc, exec, s[0:1]
	s_cbranch_vccnz .LBB241_89
; %bb.88:
	v_lshl_add_u64 v[42:43], v[24:25], 1, v[40:41]
	flat_load_ushort v42, v[42:43]
	s_waitcnt vmcnt(0) lgkmcnt(0)
	v_mul_f16_e32 v42, s28, v42
	s_branch .LBB241_90
.LBB241_89:
	v_mov_b32_e32 v42, 0
.LBB241_90:
	v_pk_max_f16 v43, v22, v22
	v_pk_max_f16 v68, v16, v16
	s_nop 0
	v_pk_min_f16 v43, v68, v43
	v_pk_max_f16 v68, v17, v17
	v_pk_add_f16 v43, v67, v43
	v_pk_max_f16 v67, v23, v23
	s_nop 0
	v_pk_min_f16 v67, v68, v67
	s_nop 0
	v_pk_add_f16 v43, v43, v67
	s_nop 0
	v_add_f16_sdwa v43, v43, v43 dst_sel:DWORD dst_unused:UNUSED_PAD src0_sel:DWORD src1_sel:WORD_1
	v_add_f16_e32 v67, v43, v42
	v_lshl_add_u64 v[42:43], v[24:25], 1, v[20:21]
	flat_store_short v[42:43], v67
	s_or_b64 exec, exec, s[26:27]
	s_and_b64 s[34:35], s[4:5], s[18:19]
	s_and_saveexec_b64 s[26:27], s[34:35]
	s_cbranch_execz .LBB241_81
.LBB241_91:
	s_and_b64 vcc, exec, s[0:1]
	s_cbranch_vccnz .LBB241_93
; %bb.92:
	v_lshl_add_u64 v[42:43], v[26:27], 1, v[40:41]
	flat_load_ushort v42, v[42:43]
	s_waitcnt vmcnt(0) lgkmcnt(0)
	v_mul_f16_e32 v42, s28, v42
	s_branch .LBB241_94
.LBB241_93:
	v_mov_b32_e32 v42, 0
.LBB241_94:
	v_pk_max_f16 v43, v22, v22
	v_pk_max_f16 v67, v18, v18
	s_nop 0
	v_pk_min_f16 v43, v67, v43
	v_pk_max_f16 v67, v19, v19
	v_pk_add_f16 v43, v66, v43
	v_pk_max_f16 v66, v23, v23
	s_nop 0
	v_pk_min_f16 v66, v67, v66
	s_nop 0
	v_pk_add_f16 v43, v43, v66
	s_nop 0
	v_add_f16_sdwa v43, v43, v43 dst_sel:DWORD dst_unused:UNUSED_PAD src0_sel:DWORD src1_sel:WORD_1
	v_add_f16_e32 v66, v43, v42
	v_lshl_add_u64 v[42:43], v[26:27], 1, v[20:21]
	flat_store_short v[42:43], v66
	s_or_b64 exec, exec, s[26:27]
	s_and_b64 s[34:35], s[6:7], s[18:19]
	s_and_saveexec_b64 s[26:27], s[34:35]
	s_cbranch_execz .LBB241_82
.LBB241_95:
	s_and_b64 vcc, exec, s[0:1]
	s_cbranch_vccnz .LBB241_97
; %bb.96:
	v_lshl_add_u64 v[42:43], v[28:29], 1, v[40:41]
	flat_load_ushort v42, v[42:43]
	s_waitcnt vmcnt(0) lgkmcnt(0)
	v_mul_f16_e32 v42, s28, v42
	s_branch .LBB241_98
.LBB241_97:
	v_mov_b32_e32 v42, 0
.LBB241_98:
	v_pk_max_f16 v43, v22, v22
	v_pk_max_f16 v66, v12, v12
	s_nop 0
	v_pk_min_f16 v43, v66, v43
	v_pk_max_f16 v66, v13, v13
	v_pk_add_f16 v43, v65, v43
	v_pk_max_f16 v65, v23, v23
	s_nop 0
	v_pk_min_f16 v65, v66, v65
	s_nop 0
	v_pk_add_f16 v43, v43, v65
	s_nop 0
	v_add_f16_sdwa v43, v43, v43 dst_sel:DWORD dst_unused:UNUSED_PAD src0_sel:DWORD src1_sel:WORD_1
	v_add_f16_e32 v65, v43, v42
	v_lshl_add_u64 v[42:43], v[28:29], 1, v[20:21]
	flat_store_short v[42:43], v65
	s_or_b64 exec, exec, s[26:27]
	s_and_b64 s[34:35], s[8:9], s[18:19]
	s_and_saveexec_b64 s[26:27], s[34:35]
	s_cbranch_execz .LBB241_83
.LBB241_99:
	s_and_b64 vcc, exec, s[0:1]
	s_cbranch_vccnz .LBB241_101
; %bb.100:
	v_lshl_add_u64 v[42:43], v[30:31], 1, v[40:41]
	flat_load_ushort v42, v[42:43]
	s_waitcnt vmcnt(0) lgkmcnt(0)
	v_mul_f16_e32 v42, s28, v42
	s_branch .LBB241_102
.LBB241_101:
	v_mov_b32_e32 v42, 0
.LBB241_102:
	v_pk_max_f16 v43, v22, v22
	v_pk_max_f16 v65, v14, v14
	s_nop 0
	v_pk_min_f16 v43, v65, v43
	v_pk_max_f16 v65, v15, v15
	v_pk_add_f16 v43, v64, v43
	v_pk_max_f16 v64, v23, v23
	s_nop 0
	v_pk_min_f16 v64, v65, v64
	s_nop 0
	v_pk_add_f16 v43, v43, v64
	s_nop 0
	v_add_f16_sdwa v43, v43, v43 dst_sel:DWORD dst_unused:UNUSED_PAD src0_sel:DWORD src1_sel:WORD_1
	v_add_f16_e32 v64, v43, v42
	v_lshl_add_u64 v[42:43], v[30:31], 1, v[20:21]
	flat_store_short v[42:43], v64
	s_or_b64 exec, exec, s[26:27]
	s_and_b64 s[34:35], s[10:11], s[18:19]
	s_and_saveexec_b64 s[26:27], s[34:35]
	s_cbranch_execz .LBB241_84
.LBB241_103:
	s_and_b64 vcc, exec, s[0:1]
	s_cbranch_vccnz .LBB241_105
; %bb.104:
	v_lshl_add_u64 v[42:43], v[32:33], 1, v[40:41]
	flat_load_ushort v42, v[42:43]
	s_waitcnt vmcnt(0) lgkmcnt(0)
	v_mul_f16_e32 v42, s28, v42
	s_branch .LBB241_106
.LBB241_105:
	v_mov_b32_e32 v42, 0
.LBB241_106:
	v_pk_max_f16 v43, v22, v22
	v_pk_max_f16 v64, v8, v8
	s_nop 0
	v_pk_min_f16 v43, v64, v43
	v_pk_max_f16 v64, v9, v9
	v_pk_add_f16 v43, v63, v43
	v_pk_max_f16 v63, v23, v23
	s_nop 0
	v_pk_min_f16 v63, v64, v63
	s_nop 0
	v_pk_add_f16 v43, v43, v63
	s_nop 0
	v_add_f16_sdwa v43, v43, v43 dst_sel:DWORD dst_unused:UNUSED_PAD src0_sel:DWORD src1_sel:WORD_1
	v_add_f16_e32 v63, v43, v42
	v_lshl_add_u64 v[42:43], v[32:33], 1, v[20:21]
	flat_store_short v[42:43], v63
	s_or_b64 exec, exec, s[26:27]
	s_and_b64 s[34:35], s[12:13], s[18:19]
	s_and_saveexec_b64 s[26:27], s[34:35]
	s_cbranch_execz .LBB241_85
.LBB241_107:
	s_and_b64 vcc, exec, s[0:1]
	s_cbranch_vccnz .LBB241_109
; %bb.108:
	v_lshl_add_u64 v[42:43], v[34:35], 1, v[40:41]
	flat_load_ushort v42, v[42:43]
	s_waitcnt vmcnt(0) lgkmcnt(0)
	v_mul_f16_e32 v42, s28, v42
	s_branch .LBB241_110
.LBB241_109:
	v_mov_b32_e32 v42, 0
.LBB241_110:
	v_pk_max_f16 v43, v22, v22
	v_pk_max_f16 v63, v10, v10
	s_nop 0
	v_pk_min_f16 v43, v63, v43
	v_pk_max_f16 v63, v11, v11
	v_pk_add_f16 v43, v62, v43
	v_pk_max_f16 v62, v23, v23
	s_nop 0
	v_pk_min_f16 v62, v63, v62
	s_nop 0
	v_pk_add_f16 v43, v43, v62
	s_nop 0
	v_add_f16_sdwa v43, v43, v43 dst_sel:DWORD dst_unused:UNUSED_PAD src0_sel:DWORD src1_sel:WORD_1
	v_add_f16_e32 v62, v43, v42
	v_lshl_add_u64 v[42:43], v[34:35], 1, v[20:21]
	flat_store_short v[42:43], v62
	s_or_b64 exec, exec, s[26:27]
	s_and_b64 s[34:35], s[14:15], s[18:19]
	s_and_saveexec_b64 s[26:27], s[34:35]
	s_cbranch_execz .LBB241_86
.LBB241_111:
	s_and_b64 vcc, exec, s[0:1]
	s_cbranch_vccnz .LBB241_113
; %bb.112:
	v_lshl_add_u64 v[42:43], v[36:37], 1, v[40:41]
	flat_load_ushort v42, v[42:43]
	s_waitcnt vmcnt(0) lgkmcnt(0)
	v_mul_f16_e32 v42, s28, v42
	s_branch .LBB241_114
.LBB241_113:
	v_mov_b32_e32 v42, 0
.LBB241_114:
	v_pk_max_f16 v43, v22, v22
	v_pk_max_f16 v62, v0, v0
	s_nop 0
	v_pk_min_f16 v43, v62, v43
	v_pk_max_f16 v62, v1, v1
	v_pk_add_f16 v43, v61, v43
	v_pk_max_f16 v61, v23, v23
	s_nop 0
	v_pk_min_f16 v61, v62, v61
	s_nop 0
	v_pk_add_f16 v43, v43, v61
	s_nop 0
	v_add_f16_sdwa v43, v43, v43 dst_sel:DWORD dst_unused:UNUSED_PAD src0_sel:DWORD src1_sel:WORD_1
	v_add_f16_e32 v61, v43, v42
	v_lshl_add_u64 v[42:43], v[36:37], 1, v[20:21]
	flat_store_short v[42:43], v61
	s_or_b64 exec, exec, s[26:27]
	s_and_b64 s[26:27], s[16:17], s[18:19]
	s_and_saveexec_b64 s[18:19], s[26:27]
	s_cbranch_execz .LBB241_119
.LBB241_115:
	s_and_b64 vcc, exec, s[0:1]
	s_cbranch_vccnz .LBB241_117
; %bb.116:
	v_lshl_add_u64 v[40:41], v[38:39], 1, v[40:41]
	flat_load_ushort v40, v[40:41]
	s_waitcnt vmcnt(0) lgkmcnt(0)
	v_mul_f16_e32 v40, s28, v40
	s_branch .LBB241_118
.LBB241_117:
	v_mov_b32_e32 v40, 0
.LBB241_118:
	v_pk_max_f16 v22, v22, v22
	v_pk_max_f16 v41, v2, v2
	;; [unrolled: 1-line block ×3, first 2 shown]
	v_pk_min_f16 v22, v41, v22
	v_pk_max_f16 v41, v3, v3
	v_pk_add_f16 v22, v60, v22
	v_pk_min_f16 v23, v41, v23
	v_lshl_add_u64 v[20:21], v[38:39], 1, v[20:21]
	v_pk_add_f16 v22, v22, v23
	s_nop 0
	v_add_f16_sdwa v22, v22, v22 dst_sel:DWORD dst_unused:UNUSED_PAD src0_sel:DWORD src1_sel:WORD_1
	v_add_f16_e32 v22, v22, v40
	flat_store_short v[20:21], v22
.LBB241_119:
	s_or_b64 exec, exec, s[18:19]
	v_add_u32_e32 v40, 64, v69
	v_mad_i64_i32 v[20:21], s[26:27], v40, s30, 0
	v_cmp_gt_i32_e64 s[18:19], s21, v40
	v_lshl_add_u64 v[22:23], v[20:21], 1, s[24:25]
	v_mad_i64_i32 v[20:21], s[26:27], v40, s29, 0
	v_lshl_add_u64 v[20:21], v[20:21], 1, s[22:23]
	s_and_b64 s[34:35], s[2:3], s[18:19]
	s_and_saveexec_b64 s[26:27], s[34:35]
	s_cbranch_execnz .LBB241_127
; %bb.120:
	s_or_b64 exec, exec, s[26:27]
	s_and_b64 s[34:35], s[4:5], s[18:19]
	s_and_saveexec_b64 s[26:27], s[34:35]
	s_cbranch_execnz .LBB241_131
.LBB241_121:
	s_or_b64 exec, exec, s[26:27]
	s_and_b64 s[34:35], s[6:7], s[18:19]
	s_and_saveexec_b64 s[26:27], s[34:35]
	s_cbranch_execnz .LBB241_135
.LBB241_122:
	s_or_b64 exec, exec, s[26:27]
	s_and_b64 s[34:35], s[8:9], s[18:19]
	s_and_saveexec_b64 s[26:27], s[34:35]
	s_cbranch_execnz .LBB241_139
.LBB241_123:
	s_or_b64 exec, exec, s[26:27]
	s_and_b64 s[34:35], s[10:11], s[18:19]
	s_and_saveexec_b64 s[26:27], s[34:35]
	s_cbranch_execnz .LBB241_143
.LBB241_124:
	s_or_b64 exec, exec, s[26:27]
	s_and_b64 s[34:35], s[12:13], s[18:19]
	s_and_saveexec_b64 s[26:27], s[34:35]
	s_cbranch_execnz .LBB241_147
.LBB241_125:
	s_or_b64 exec, exec, s[26:27]
	s_and_b64 s[34:35], s[14:15], s[18:19]
	s_and_saveexec_b64 s[26:27], s[34:35]
	s_cbranch_execnz .LBB241_151
.LBB241_126:
	s_or_b64 exec, exec, s[26:27]
	s_and_b64 s[26:27], s[16:17], s[18:19]
	s_and_saveexec_b64 s[18:19], s[26:27]
	s_cbranch_execnz .LBB241_155
	s_branch .LBB241_159
.LBB241_127:
	s_and_b64 vcc, exec, s[0:1]
	s_cbranch_vccnz .LBB241_129
; %bb.128:
	v_lshl_add_u64 v[40:41], v[24:25], 1, v[22:23]
	flat_load_ushort v40, v[40:41]
	s_waitcnt vmcnt(0) lgkmcnt(0)
	v_mul_f16_e32 v40, s28, v40
	s_branch .LBB241_130
.LBB241_129:
	v_mov_b32_e32 v40, 0
.LBB241_130:
	v_pk_max_f16 v41, v4, v4
	v_pk_max_f16 v42, v16, v16
	;; [unrolled: 1-line block ×3, first 2 shown]
	v_pk_min_f16 v41, v42, v41
	v_pk_max_f16 v42, v5, v5
	v_pk_add_f16 v41, v59, v41
	v_pk_min_f16 v42, v43, v42
	s_nop 0
	v_pk_add_f16 v41, v41, v42
	s_nop 0
	v_add_f16_sdwa v41, v41, v41 dst_sel:DWORD dst_unused:UNUSED_PAD src0_sel:DWORD src1_sel:WORD_1
	v_add_f16_e32 v42, v41, v40
	v_lshl_add_u64 v[40:41], v[24:25], 1, v[20:21]
	flat_store_short v[40:41], v42
	s_or_b64 exec, exec, s[26:27]
	s_and_b64 s[34:35], s[4:5], s[18:19]
	s_and_saveexec_b64 s[26:27], s[34:35]
	s_cbranch_execz .LBB241_121
.LBB241_131:
	s_and_b64 vcc, exec, s[0:1]
	s_cbranch_vccnz .LBB241_133
; %bb.132:
	v_lshl_add_u64 v[40:41], v[26:27], 1, v[22:23]
	flat_load_ushort v40, v[40:41]
	s_waitcnt vmcnt(0) lgkmcnt(0)
	v_mul_f16_e32 v40, s28, v40
	s_branch .LBB241_134
.LBB241_133:
	v_mov_b32_e32 v40, 0
.LBB241_134:
	v_pk_max_f16 v41, v4, v4
	v_pk_max_f16 v42, v18, v18
	;; [unrolled: 1-line block ×3, first 2 shown]
	v_pk_min_f16 v41, v42, v41
	v_pk_max_f16 v42, v5, v5
	v_pk_add_f16 v41, v58, v41
	v_pk_min_f16 v42, v43, v42
	s_nop 0
	v_pk_add_f16 v41, v41, v42
	s_nop 0
	v_add_f16_sdwa v41, v41, v41 dst_sel:DWORD dst_unused:UNUSED_PAD src0_sel:DWORD src1_sel:WORD_1
	v_add_f16_e32 v42, v41, v40
	v_lshl_add_u64 v[40:41], v[26:27], 1, v[20:21]
	flat_store_short v[40:41], v42
	s_or_b64 exec, exec, s[26:27]
	s_and_b64 s[34:35], s[6:7], s[18:19]
	s_and_saveexec_b64 s[26:27], s[34:35]
	s_cbranch_execz .LBB241_122
.LBB241_135:
	s_and_b64 vcc, exec, s[0:1]
	s_cbranch_vccnz .LBB241_137
; %bb.136:
	v_lshl_add_u64 v[40:41], v[28:29], 1, v[22:23]
	flat_load_ushort v40, v[40:41]
	s_waitcnt vmcnt(0) lgkmcnt(0)
	v_mul_f16_e32 v40, s28, v40
	s_branch .LBB241_138
.LBB241_137:
	v_mov_b32_e32 v40, 0
.LBB241_138:
	v_pk_max_f16 v41, v4, v4
	v_pk_max_f16 v42, v12, v12
	;; [unrolled: 1-line block ×3, first 2 shown]
	v_pk_min_f16 v41, v42, v41
	v_pk_max_f16 v42, v5, v5
	v_pk_add_f16 v41, v57, v41
	v_pk_min_f16 v42, v43, v42
	s_nop 0
	v_pk_add_f16 v41, v41, v42
	s_nop 0
	v_add_f16_sdwa v41, v41, v41 dst_sel:DWORD dst_unused:UNUSED_PAD src0_sel:DWORD src1_sel:WORD_1
	v_add_f16_e32 v42, v41, v40
	v_lshl_add_u64 v[40:41], v[28:29], 1, v[20:21]
	flat_store_short v[40:41], v42
	s_or_b64 exec, exec, s[26:27]
	s_and_b64 s[34:35], s[8:9], s[18:19]
	s_and_saveexec_b64 s[26:27], s[34:35]
	s_cbranch_execz .LBB241_123
.LBB241_139:
	s_and_b64 vcc, exec, s[0:1]
	s_cbranch_vccnz .LBB241_141
; %bb.140:
	v_lshl_add_u64 v[40:41], v[30:31], 1, v[22:23]
	flat_load_ushort v40, v[40:41]
	s_waitcnt vmcnt(0) lgkmcnt(0)
	v_mul_f16_e32 v40, s28, v40
	s_branch .LBB241_142
.LBB241_141:
	v_mov_b32_e32 v40, 0
.LBB241_142:
	v_pk_max_f16 v41, v4, v4
	v_pk_max_f16 v42, v14, v14
	v_pk_max_f16 v43, v15, v15
	v_pk_min_f16 v41, v42, v41
	v_pk_max_f16 v42, v5, v5
	v_pk_add_f16 v41, v56, v41
	v_pk_min_f16 v42, v43, v42
	s_nop 0
	v_pk_add_f16 v41, v41, v42
	s_nop 0
	v_add_f16_sdwa v41, v41, v41 dst_sel:DWORD dst_unused:UNUSED_PAD src0_sel:DWORD src1_sel:WORD_1
	v_add_f16_e32 v42, v41, v40
	v_lshl_add_u64 v[40:41], v[30:31], 1, v[20:21]
	flat_store_short v[40:41], v42
	s_or_b64 exec, exec, s[26:27]
	s_and_b64 s[34:35], s[10:11], s[18:19]
	s_and_saveexec_b64 s[26:27], s[34:35]
	s_cbranch_execz .LBB241_124
.LBB241_143:
	s_and_b64 vcc, exec, s[0:1]
	s_cbranch_vccnz .LBB241_145
; %bb.144:
	v_lshl_add_u64 v[40:41], v[32:33], 1, v[22:23]
	flat_load_ushort v40, v[40:41]
	s_waitcnt vmcnt(0) lgkmcnt(0)
	v_mul_f16_e32 v40, s28, v40
	s_branch .LBB241_146
.LBB241_145:
	v_mov_b32_e32 v40, 0
.LBB241_146:
	v_pk_max_f16 v41, v4, v4
	v_pk_max_f16 v42, v8, v8
	;; [unrolled: 1-line block ×3, first 2 shown]
	v_pk_min_f16 v41, v42, v41
	v_pk_max_f16 v42, v5, v5
	v_pk_add_f16 v41, v55, v41
	v_pk_min_f16 v42, v43, v42
	s_nop 0
	v_pk_add_f16 v41, v41, v42
	s_nop 0
	v_add_f16_sdwa v41, v41, v41 dst_sel:DWORD dst_unused:UNUSED_PAD src0_sel:DWORD src1_sel:WORD_1
	v_add_f16_e32 v42, v41, v40
	v_lshl_add_u64 v[40:41], v[32:33], 1, v[20:21]
	flat_store_short v[40:41], v42
	s_or_b64 exec, exec, s[26:27]
	s_and_b64 s[34:35], s[12:13], s[18:19]
	s_and_saveexec_b64 s[26:27], s[34:35]
	s_cbranch_execz .LBB241_125
.LBB241_147:
	s_and_b64 vcc, exec, s[0:1]
	s_cbranch_vccnz .LBB241_149
; %bb.148:
	v_lshl_add_u64 v[40:41], v[34:35], 1, v[22:23]
	flat_load_ushort v40, v[40:41]
	s_waitcnt vmcnt(0) lgkmcnt(0)
	v_mul_f16_e32 v40, s28, v40
	s_branch .LBB241_150
.LBB241_149:
	v_mov_b32_e32 v40, 0
.LBB241_150:
	v_pk_max_f16 v41, v4, v4
	v_pk_max_f16 v42, v10, v10
	;; [unrolled: 1-line block ×3, first 2 shown]
	v_pk_min_f16 v41, v42, v41
	v_pk_max_f16 v42, v5, v5
	v_pk_add_f16 v41, v54, v41
	v_pk_min_f16 v42, v43, v42
	s_nop 0
	v_pk_add_f16 v41, v41, v42
	s_nop 0
	v_add_f16_sdwa v41, v41, v41 dst_sel:DWORD dst_unused:UNUSED_PAD src0_sel:DWORD src1_sel:WORD_1
	v_add_f16_e32 v42, v41, v40
	v_lshl_add_u64 v[40:41], v[34:35], 1, v[20:21]
	flat_store_short v[40:41], v42
	s_or_b64 exec, exec, s[26:27]
	s_and_b64 s[34:35], s[14:15], s[18:19]
	s_and_saveexec_b64 s[26:27], s[34:35]
	s_cbranch_execz .LBB241_126
.LBB241_151:
	s_and_b64 vcc, exec, s[0:1]
	s_cbranch_vccnz .LBB241_153
; %bb.152:
	v_lshl_add_u64 v[40:41], v[36:37], 1, v[22:23]
	flat_load_ushort v40, v[40:41]
	s_waitcnt vmcnt(0) lgkmcnt(0)
	v_mul_f16_e32 v40, s28, v40
	s_branch .LBB241_154
.LBB241_153:
	v_mov_b32_e32 v40, 0
.LBB241_154:
	v_pk_max_f16 v41, v4, v4
	v_pk_max_f16 v42, v0, v0
	;; [unrolled: 1-line block ×3, first 2 shown]
	v_pk_min_f16 v41, v42, v41
	v_pk_max_f16 v42, v5, v5
	v_pk_add_f16 v41, v53, v41
	v_pk_min_f16 v42, v43, v42
	s_nop 0
	v_pk_add_f16 v41, v41, v42
	s_nop 0
	v_add_f16_sdwa v41, v41, v41 dst_sel:DWORD dst_unused:UNUSED_PAD src0_sel:DWORD src1_sel:WORD_1
	v_add_f16_e32 v42, v41, v40
	v_lshl_add_u64 v[40:41], v[36:37], 1, v[20:21]
	flat_store_short v[40:41], v42
	s_or_b64 exec, exec, s[26:27]
	s_and_b64 s[26:27], s[16:17], s[18:19]
	s_and_saveexec_b64 s[18:19], s[26:27]
	s_cbranch_execz .LBB241_159
.LBB241_155:
	s_and_b64 vcc, exec, s[0:1]
	s_cbranch_vccnz .LBB241_157
; %bb.156:
	v_lshl_add_u64 v[22:23], v[38:39], 1, v[22:23]
	flat_load_ushort v22, v[22:23]
	s_waitcnt vmcnt(0) lgkmcnt(0)
	v_mul_f16_e32 v22, s28, v22
	s_branch .LBB241_158
.LBB241_157:
	v_mov_b32_e32 v22, 0
.LBB241_158:
	v_pk_max_f16 v4, v4, v4
	v_pk_max_f16 v23, v2, v2
	;; [unrolled: 1-line block ×3, first 2 shown]
	v_pk_min_f16 v4, v23, v4
	v_pk_max_f16 v23, v3, v3
	v_pk_add_f16 v4, v52, v4
	v_pk_min_f16 v5, v23, v5
	s_nop 0
	v_pk_add_f16 v4, v4, v5
	s_nop 0
	v_add_f16_sdwa v4, v4, v4 dst_sel:DWORD dst_unused:UNUSED_PAD src0_sel:DWORD src1_sel:WORD_1
	v_add_f16_e32 v22, v4, v22
	v_lshl_add_u64 v[4:5], v[38:39], 1, v[20:21]
	flat_store_short v[4:5], v22
.LBB241_159:
	s_or_b64 exec, exec, s[18:19]
	v_add_u32_e32 v22, 0x60, v69
	v_cmp_gt_i32_e64 s[18:19], s21, v22
	v_mad_i64_i32 v[4:5], s[20:21], v22, s30, 0
	v_lshl_add_u64 v[20:21], v[4:5], 1, s[24:25]
	v_mad_i64_i32 v[4:5], s[20:21], v22, s29, 0
	v_lshl_add_u64 v[4:5], v[4:5], 1, s[22:23]
	s_and_b64 s[20:21], s[2:3], s[18:19]
	s_and_saveexec_b64 s[2:3], s[20:21]
	s_cbranch_execnz .LBB241_168
; %bb.160:
	s_or_b64 exec, exec, s[2:3]
	s_and_b64 s[4:5], s[4:5], s[18:19]
	s_and_saveexec_b64 s[2:3], s[4:5]
	s_cbranch_execnz .LBB241_172
.LBB241_161:
	s_or_b64 exec, exec, s[2:3]
	s_and_b64 s[4:5], s[6:7], s[18:19]
	s_and_saveexec_b64 s[2:3], s[4:5]
	s_cbranch_execnz .LBB241_176
.LBB241_162:
	s_or_b64 exec, exec, s[2:3]
	s_and_b64 s[4:5], s[8:9], s[18:19]
	s_and_saveexec_b64 s[2:3], s[4:5]
	s_cbranch_execnz .LBB241_180
.LBB241_163:
	s_or_b64 exec, exec, s[2:3]
	s_and_b64 s[4:5], s[10:11], s[18:19]
	s_and_saveexec_b64 s[2:3], s[4:5]
	s_cbranch_execnz .LBB241_184
.LBB241_164:
	s_or_b64 exec, exec, s[2:3]
	s_and_b64 s[4:5], s[12:13], s[18:19]
	s_and_saveexec_b64 s[2:3], s[4:5]
	s_cbranch_execnz .LBB241_188
.LBB241_165:
	s_or_b64 exec, exec, s[2:3]
	s_and_b64 s[4:5], s[14:15], s[18:19]
	s_and_saveexec_b64 s[2:3], s[4:5]
	s_cbranch_execnz .LBB241_192
.LBB241_166:
	s_or_b64 exec, exec, s[2:3]
	s_and_b64 s[2:3], s[16:17], s[18:19]
	s_and_saveexec_b64 s[4:5], s[2:3]
	s_cbranch_execnz .LBB241_196
.LBB241_167:
	s_endpgm
.LBB241_168:
	s_and_b64 vcc, exec, s[0:1]
	s_cbranch_vccnz .LBB241_170
; %bb.169:
	v_lshl_add_u64 v[22:23], v[24:25], 1, v[20:21]
	flat_load_ushort v22, v[22:23]
	s_waitcnt vmcnt(0) lgkmcnt(0)
	v_mul_f16_e32 v22, s28, v22
	s_branch .LBB241_171
.LBB241_170:
	v_mov_b32_e32 v22, 0
.LBB241_171:
	v_pk_max_f16 v23, v6, v6
	v_pk_max_f16 v16, v16, v16
	;; [unrolled: 1-line block ×3, first 2 shown]
	v_pk_min_f16 v16, v16, v23
	v_pk_max_f16 v23, v7, v7
	v_pk_add_f16 v16, v51, v16
	v_pk_min_f16 v17, v17, v23
	s_nop 0
	v_pk_add_f16 v16, v16, v17
	s_nop 0
	v_add_f16_sdwa v16, v16, v16 dst_sel:DWORD dst_unused:UNUSED_PAD src0_sel:DWORD src1_sel:WORD_1
	v_add_f16_e32 v22, v16, v22
	v_lshl_add_u64 v[16:17], v[24:25], 1, v[4:5]
	flat_store_short v[16:17], v22
	s_or_b64 exec, exec, s[2:3]
	s_and_b64 s[4:5], s[4:5], s[18:19]
	s_and_saveexec_b64 s[2:3], s[4:5]
	s_cbranch_execz .LBB241_161
.LBB241_172:
	s_and_b64 vcc, exec, s[0:1]
	s_cbranch_vccnz .LBB241_174
; %bb.173:
	v_lshl_add_u64 v[16:17], v[26:27], 1, v[20:21]
	flat_load_ushort v16, v[16:17]
	s_waitcnt vmcnt(0) lgkmcnt(0)
	v_mul_f16_e32 v16, s28, v16
	s_branch .LBB241_175
.LBB241_174:
	v_mov_b32_e32 v16, 0
.LBB241_175:
	v_pk_max_f16 v17, v6, v6
	v_pk_max_f16 v18, v18, v18
	;; [unrolled: 1-line block ×3, first 2 shown]
	v_pk_min_f16 v17, v18, v17
	v_pk_max_f16 v18, v7, v7
	v_pk_add_f16 v17, v50, v17
	v_pk_min_f16 v18, v19, v18
	s_nop 0
	v_pk_add_f16 v17, v17, v18
	s_nop 0
	v_add_f16_sdwa v17, v17, v17 dst_sel:DWORD dst_unused:UNUSED_PAD src0_sel:DWORD src1_sel:WORD_1
	v_add_f16_e32 v18, v17, v16
	v_lshl_add_u64 v[16:17], v[26:27], 1, v[4:5]
	flat_store_short v[16:17], v18
	s_or_b64 exec, exec, s[2:3]
	s_and_b64 s[4:5], s[6:7], s[18:19]
	s_and_saveexec_b64 s[2:3], s[4:5]
	s_cbranch_execz .LBB241_162
.LBB241_176:
	s_and_b64 vcc, exec, s[0:1]
	s_cbranch_vccnz .LBB241_178
; %bb.177:
	v_lshl_add_u64 v[16:17], v[28:29], 1, v[20:21]
	flat_load_ushort v16, v[16:17]
	s_waitcnt vmcnt(0) lgkmcnt(0)
	v_mul_f16_e32 v16, s28, v16
	s_branch .LBB241_179
.LBB241_178:
	v_mov_b32_e32 v16, 0
.LBB241_179:
	v_pk_max_f16 v17, v6, v6
	v_pk_max_f16 v12, v12, v12
	;; [unrolled: 1-line block ×3, first 2 shown]
	v_pk_min_f16 v12, v12, v17
	v_pk_max_f16 v17, v7, v7
	v_pk_add_f16 v12, v49, v12
	v_pk_min_f16 v13, v13, v17
	s_nop 0
	v_pk_add_f16 v12, v12, v13
	s_nop 0
	v_add_f16_sdwa v12, v12, v12 dst_sel:DWORD dst_unused:UNUSED_PAD src0_sel:DWORD src1_sel:WORD_1
	v_add_f16_e32 v16, v12, v16
	v_lshl_add_u64 v[12:13], v[28:29], 1, v[4:5]
	flat_store_short v[12:13], v16
	s_or_b64 exec, exec, s[2:3]
	s_and_b64 s[4:5], s[8:9], s[18:19]
	s_and_saveexec_b64 s[2:3], s[4:5]
	s_cbranch_execz .LBB241_163
.LBB241_180:
	s_and_b64 vcc, exec, s[0:1]
	s_cbranch_vccnz .LBB241_182
; %bb.181:
	v_lshl_add_u64 v[12:13], v[30:31], 1, v[20:21]
	flat_load_ushort v12, v[12:13]
	s_waitcnt vmcnt(0) lgkmcnt(0)
	v_mul_f16_e32 v12, s28, v12
	s_branch .LBB241_183
.LBB241_182:
	v_mov_b32_e32 v12, 0
.LBB241_183:
	v_pk_max_f16 v13, v6, v6
	v_pk_max_f16 v14, v14, v14
	;; [unrolled: 1-line block ×3, first 2 shown]
	v_pk_min_f16 v13, v14, v13
	v_pk_max_f16 v14, v7, v7
	v_pk_add_f16 v13, v48, v13
	v_pk_min_f16 v14, v15, v14
	s_nop 0
	v_pk_add_f16 v13, v13, v14
	s_nop 0
	v_add_f16_sdwa v13, v13, v13 dst_sel:DWORD dst_unused:UNUSED_PAD src0_sel:DWORD src1_sel:WORD_1
	v_add_f16_e32 v14, v13, v12
	v_lshl_add_u64 v[12:13], v[30:31], 1, v[4:5]
	flat_store_short v[12:13], v14
	s_or_b64 exec, exec, s[2:3]
	s_and_b64 s[4:5], s[10:11], s[18:19]
	s_and_saveexec_b64 s[2:3], s[4:5]
	s_cbranch_execz .LBB241_164
.LBB241_184:
	s_and_b64 vcc, exec, s[0:1]
	s_cbranch_vccnz .LBB241_186
; %bb.185:
	v_lshl_add_u64 v[12:13], v[32:33], 1, v[20:21]
	flat_load_ushort v12, v[12:13]
	s_waitcnt vmcnt(0) lgkmcnt(0)
	v_mul_f16_e32 v12, s28, v12
	s_branch .LBB241_187
.LBB241_186:
	v_mov_b32_e32 v12, 0
.LBB241_187:
	v_pk_max_f16 v13, v6, v6
	v_pk_max_f16 v8, v8, v8
	;; [unrolled: 1-line block ×3, first 2 shown]
	v_pk_min_f16 v8, v8, v13
	v_pk_max_f16 v13, v7, v7
	v_pk_add_f16 v8, v47, v8
	v_pk_min_f16 v9, v9, v13
	s_nop 0
	v_pk_add_f16 v8, v8, v9
	s_nop 0
	v_add_f16_sdwa v8, v8, v8 dst_sel:DWORD dst_unused:UNUSED_PAD src0_sel:DWORD src1_sel:WORD_1
	v_add_f16_e32 v12, v8, v12
	v_lshl_add_u64 v[8:9], v[32:33], 1, v[4:5]
	flat_store_short v[8:9], v12
	s_or_b64 exec, exec, s[2:3]
	s_and_b64 s[4:5], s[12:13], s[18:19]
	s_and_saveexec_b64 s[2:3], s[4:5]
	s_cbranch_execz .LBB241_165
.LBB241_188:
	s_and_b64 vcc, exec, s[0:1]
	s_cbranch_vccnz .LBB241_190
; %bb.189:
	v_lshl_add_u64 v[8:9], v[34:35], 1, v[20:21]
	flat_load_ushort v8, v[8:9]
	s_waitcnt vmcnt(0) lgkmcnt(0)
	v_mul_f16_e32 v8, s28, v8
	s_branch .LBB241_191
.LBB241_190:
	v_mov_b32_e32 v8, 0
.LBB241_191:
	v_pk_max_f16 v9, v6, v6
	v_pk_max_f16 v10, v10, v10
	;; [unrolled: 1-line block ×3, first 2 shown]
	v_pk_min_f16 v9, v10, v9
	v_pk_max_f16 v10, v7, v7
	v_pk_add_f16 v9, v46, v9
	v_pk_min_f16 v10, v11, v10
	s_nop 0
	v_pk_add_f16 v9, v9, v10
	s_nop 0
	v_add_f16_sdwa v9, v9, v9 dst_sel:DWORD dst_unused:UNUSED_PAD src0_sel:DWORD src1_sel:WORD_1
	v_add_f16_e32 v10, v9, v8
	v_lshl_add_u64 v[8:9], v[34:35], 1, v[4:5]
	flat_store_short v[8:9], v10
	s_or_b64 exec, exec, s[2:3]
	s_and_b64 s[4:5], s[14:15], s[18:19]
	s_and_saveexec_b64 s[2:3], s[4:5]
	s_cbranch_execz .LBB241_166
.LBB241_192:
	s_and_b64 vcc, exec, s[0:1]
	s_cbranch_vccnz .LBB241_194
; %bb.193:
	v_lshl_add_u64 v[8:9], v[36:37], 1, v[20:21]
	flat_load_ushort v8, v[8:9]
	s_waitcnt vmcnt(0) lgkmcnt(0)
	v_mul_f16_e32 v8, s28, v8
	s_branch .LBB241_195
.LBB241_194:
	v_mov_b32_e32 v8, 0
.LBB241_195:
	v_pk_max_f16 v9, v6, v6
	v_pk_max_f16 v0, v0, v0
	;; [unrolled: 1-line block ×3, first 2 shown]
	v_pk_min_f16 v0, v0, v9
	v_pk_max_f16 v9, v7, v7
	v_pk_add_f16 v0, v45, v0
	v_pk_min_f16 v1, v1, v9
	s_nop 0
	v_pk_add_f16 v0, v0, v1
	s_nop 0
	v_add_f16_sdwa v0, v0, v0 dst_sel:DWORD dst_unused:UNUSED_PAD src0_sel:DWORD src1_sel:WORD_1
	v_add_f16_e32 v8, v0, v8
	v_lshl_add_u64 v[0:1], v[36:37], 1, v[4:5]
	flat_store_short v[0:1], v8
	s_or_b64 exec, exec, s[2:3]
	s_and_b64 s[2:3], s[16:17], s[18:19]
	s_and_saveexec_b64 s[4:5], s[2:3]
	s_cbranch_execz .LBB241_167
.LBB241_196:
	s_and_b64 vcc, exec, s[0:1]
	s_cbranch_vccnz .LBB241_198
; %bb.197:
	v_lshl_add_u64 v[0:1], v[38:39], 1, v[20:21]
	flat_load_ushort v0, v[0:1]
	s_waitcnt vmcnt(0) lgkmcnt(0)
	v_mul_f16_e32 v0, s28, v0
	s_branch .LBB241_199
.LBB241_198:
	v_mov_b32_e32 v0, 0
.LBB241_199:
	v_pk_max_f16 v1, v6, v6
	v_pk_max_f16 v2, v2, v2
	;; [unrolled: 1-line block ×3, first 2 shown]
	v_pk_min_f16 v1, v2, v1
	v_pk_max_f16 v2, v7, v7
	v_pk_add_f16 v1, v44, v1
	v_pk_min_f16 v2, v3, v2
	s_nop 0
	v_pk_add_f16 v1, v1, v2
	s_nop 0
	v_add_f16_sdwa v1, v1, v1 dst_sel:DWORD dst_unused:UNUSED_PAD src0_sel:DWORD src1_sel:WORD_1
	v_add_f16_e32 v2, v1, v0
	v_lshl_add_u64 v[0:1], v[38:39], 1, v[4:5]
	flat_store_short v[0:1], v2
	s_endpgm
	.section	.rodata,"a",@progbits
	.p2align	6, 0x0
	.amdhsa_kernel _ZN12_GLOBAL__N_120geam_min_plus_kernelIDF16_Dv2_DF16_S1_Li8ELi32ELi64ELi128ELi4ELi4ELi64ELi4ELi64ELc84ELc78ELb1ELb1ELb0EDF16_KPKDF16_KPDF16_EEviiiT16_PT17_ilS9_ilS7_S9_ilPT18_ili26rocblas_geam_ex_operation_
		.amdhsa_group_segment_fixed_size 3072
		.amdhsa_private_segment_fixed_size 0
		.amdhsa_kernarg_size 128
		.amdhsa_user_sgpr_count 2
		.amdhsa_user_sgpr_dispatch_ptr 0
		.amdhsa_user_sgpr_queue_ptr 0
		.amdhsa_user_sgpr_kernarg_segment_ptr 1
		.amdhsa_user_sgpr_dispatch_id 0
		.amdhsa_user_sgpr_kernarg_preload_length 0
		.amdhsa_user_sgpr_kernarg_preload_offset 0
		.amdhsa_user_sgpr_private_segment_size 0
		.amdhsa_uses_dynamic_stack 0
		.amdhsa_enable_private_segment 0
		.amdhsa_system_sgpr_workgroup_id_x 1
		.amdhsa_system_sgpr_workgroup_id_y 0
		.amdhsa_system_sgpr_workgroup_id_z 1
		.amdhsa_system_sgpr_workgroup_info 0
		.amdhsa_system_vgpr_workitem_id 1
		.amdhsa_next_free_vgpr 121
		.amdhsa_next_free_sgpr 36
		.amdhsa_accum_offset 124
		.amdhsa_reserve_vcc 1
		.amdhsa_float_round_mode_32 0
		.amdhsa_float_round_mode_16_64 0
		.amdhsa_float_denorm_mode_32 3
		.amdhsa_float_denorm_mode_16_64 3
		.amdhsa_dx10_clamp 1
		.amdhsa_ieee_mode 1
		.amdhsa_fp16_overflow 0
		.amdhsa_tg_split 0
		.amdhsa_exception_fp_ieee_invalid_op 0
		.amdhsa_exception_fp_denorm_src 0
		.amdhsa_exception_fp_ieee_div_zero 0
		.amdhsa_exception_fp_ieee_overflow 0
		.amdhsa_exception_fp_ieee_underflow 0
		.amdhsa_exception_fp_ieee_inexact 0
		.amdhsa_exception_int_div_zero 0
	.end_amdhsa_kernel
	.section	.text._ZN12_GLOBAL__N_120geam_min_plus_kernelIDF16_Dv2_DF16_S1_Li8ELi32ELi64ELi128ELi4ELi4ELi64ELi4ELi64ELc84ELc78ELb1ELb1ELb0EDF16_KPKDF16_KPDF16_EEviiiT16_PT17_ilS9_ilS7_S9_ilPT18_ili26rocblas_geam_ex_operation_,"axG",@progbits,_ZN12_GLOBAL__N_120geam_min_plus_kernelIDF16_Dv2_DF16_S1_Li8ELi32ELi64ELi128ELi4ELi4ELi64ELi4ELi64ELc84ELc78ELb1ELb1ELb0EDF16_KPKDF16_KPDF16_EEviiiT16_PT17_ilS9_ilS7_S9_ilPT18_ili26rocblas_geam_ex_operation_,comdat
.Lfunc_end241:
	.size	_ZN12_GLOBAL__N_120geam_min_plus_kernelIDF16_Dv2_DF16_S1_Li8ELi32ELi64ELi128ELi4ELi4ELi64ELi4ELi64ELc84ELc78ELb1ELb1ELb0EDF16_KPKDF16_KPDF16_EEviiiT16_PT17_ilS9_ilS7_S9_ilPT18_ili26rocblas_geam_ex_operation_, .Lfunc_end241-_ZN12_GLOBAL__N_120geam_min_plus_kernelIDF16_Dv2_DF16_S1_Li8ELi32ELi64ELi128ELi4ELi4ELi64ELi4ELi64ELc84ELc78ELb1ELb1ELb0EDF16_KPKDF16_KPDF16_EEviiiT16_PT17_ilS9_ilS7_S9_ilPT18_ili26rocblas_geam_ex_operation_
                                        ; -- End function
	.set _ZN12_GLOBAL__N_120geam_min_plus_kernelIDF16_Dv2_DF16_S1_Li8ELi32ELi64ELi128ELi4ELi4ELi64ELi4ELi64ELc84ELc78ELb1ELb1ELb0EDF16_KPKDF16_KPDF16_EEviiiT16_PT17_ilS9_ilS7_S9_ilPT18_ili26rocblas_geam_ex_operation_.num_vgpr, 121
	.set _ZN12_GLOBAL__N_120geam_min_plus_kernelIDF16_Dv2_DF16_S1_Li8ELi32ELi64ELi128ELi4ELi4ELi64ELi4ELi64ELc84ELc78ELb1ELb1ELb0EDF16_KPKDF16_KPDF16_EEviiiT16_PT17_ilS9_ilS7_S9_ilPT18_ili26rocblas_geam_ex_operation_.num_agpr, 0
	.set _ZN12_GLOBAL__N_120geam_min_plus_kernelIDF16_Dv2_DF16_S1_Li8ELi32ELi64ELi128ELi4ELi4ELi64ELi4ELi64ELc84ELc78ELb1ELb1ELb0EDF16_KPKDF16_KPDF16_EEviiiT16_PT17_ilS9_ilS7_S9_ilPT18_ili26rocblas_geam_ex_operation_.numbered_sgpr, 36
	.set _ZN12_GLOBAL__N_120geam_min_plus_kernelIDF16_Dv2_DF16_S1_Li8ELi32ELi64ELi128ELi4ELi4ELi64ELi4ELi64ELc84ELc78ELb1ELb1ELb0EDF16_KPKDF16_KPDF16_EEviiiT16_PT17_ilS9_ilS7_S9_ilPT18_ili26rocblas_geam_ex_operation_.num_named_barrier, 0
	.set _ZN12_GLOBAL__N_120geam_min_plus_kernelIDF16_Dv2_DF16_S1_Li8ELi32ELi64ELi128ELi4ELi4ELi64ELi4ELi64ELc84ELc78ELb1ELb1ELb0EDF16_KPKDF16_KPDF16_EEviiiT16_PT17_ilS9_ilS7_S9_ilPT18_ili26rocblas_geam_ex_operation_.private_seg_size, 0
	.set _ZN12_GLOBAL__N_120geam_min_plus_kernelIDF16_Dv2_DF16_S1_Li8ELi32ELi64ELi128ELi4ELi4ELi64ELi4ELi64ELc84ELc78ELb1ELb1ELb0EDF16_KPKDF16_KPDF16_EEviiiT16_PT17_ilS9_ilS7_S9_ilPT18_ili26rocblas_geam_ex_operation_.uses_vcc, 1
	.set _ZN12_GLOBAL__N_120geam_min_plus_kernelIDF16_Dv2_DF16_S1_Li8ELi32ELi64ELi128ELi4ELi4ELi64ELi4ELi64ELc84ELc78ELb1ELb1ELb0EDF16_KPKDF16_KPDF16_EEviiiT16_PT17_ilS9_ilS7_S9_ilPT18_ili26rocblas_geam_ex_operation_.uses_flat_scratch, 0
	.set _ZN12_GLOBAL__N_120geam_min_plus_kernelIDF16_Dv2_DF16_S1_Li8ELi32ELi64ELi128ELi4ELi4ELi64ELi4ELi64ELc84ELc78ELb1ELb1ELb0EDF16_KPKDF16_KPDF16_EEviiiT16_PT17_ilS9_ilS7_S9_ilPT18_ili26rocblas_geam_ex_operation_.has_dyn_sized_stack, 0
	.set _ZN12_GLOBAL__N_120geam_min_plus_kernelIDF16_Dv2_DF16_S1_Li8ELi32ELi64ELi128ELi4ELi4ELi64ELi4ELi64ELc84ELc78ELb1ELb1ELb0EDF16_KPKDF16_KPDF16_EEviiiT16_PT17_ilS9_ilS7_S9_ilPT18_ili26rocblas_geam_ex_operation_.has_recursion, 0
	.set _ZN12_GLOBAL__N_120geam_min_plus_kernelIDF16_Dv2_DF16_S1_Li8ELi32ELi64ELi128ELi4ELi4ELi64ELi4ELi64ELc84ELc78ELb1ELb1ELb0EDF16_KPKDF16_KPDF16_EEviiiT16_PT17_ilS9_ilS7_S9_ilPT18_ili26rocblas_geam_ex_operation_.has_indirect_call, 0
	.section	.AMDGPU.csdata,"",@progbits
; Kernel info:
; codeLenInByte = 11152
; TotalNumSgprs: 42
; NumVgprs: 121
; NumAgprs: 0
; TotalNumVgprs: 121
; ScratchSize: 0
; MemoryBound: 0
; FloatMode: 240
; IeeeMode: 1
; LDSByteSize: 3072 bytes/workgroup (compile time only)
; SGPRBlocks: 5
; VGPRBlocks: 15
; NumSGPRsForWavesPerEU: 42
; NumVGPRsForWavesPerEU: 121
; AccumOffset: 124
; Occupancy: 4
; WaveLimiterHint : 1
; COMPUTE_PGM_RSRC2:SCRATCH_EN: 0
; COMPUTE_PGM_RSRC2:USER_SGPR: 2
; COMPUTE_PGM_RSRC2:TRAP_HANDLER: 0
; COMPUTE_PGM_RSRC2:TGID_X_EN: 1
; COMPUTE_PGM_RSRC2:TGID_Y_EN: 0
; COMPUTE_PGM_RSRC2:TGID_Z_EN: 1
; COMPUTE_PGM_RSRC2:TIDIG_COMP_CNT: 1
; COMPUTE_PGM_RSRC3_GFX90A:ACCUM_OFFSET: 30
; COMPUTE_PGM_RSRC3_GFX90A:TG_SPLIT: 0
	.section	.text._ZN12_GLOBAL__N_120geam_min_plus_kernelIDF16_Dv2_DF16_S1_Li8ELi32ELi64ELi128ELi4ELi4ELi64ELi4ELi64ELc84ELc78ELb0ELb1ELb0EDF16_KPKDF16_KPDF16_EEviiiT16_PT17_ilS9_ilS7_S9_ilPT18_ili26rocblas_geam_ex_operation_,"axG",@progbits,_ZN12_GLOBAL__N_120geam_min_plus_kernelIDF16_Dv2_DF16_S1_Li8ELi32ELi64ELi128ELi4ELi4ELi64ELi4ELi64ELc84ELc78ELb0ELb1ELb0EDF16_KPKDF16_KPDF16_EEviiiT16_PT17_ilS9_ilS7_S9_ilPT18_ili26rocblas_geam_ex_operation_,comdat
	.globl	_ZN12_GLOBAL__N_120geam_min_plus_kernelIDF16_Dv2_DF16_S1_Li8ELi32ELi64ELi128ELi4ELi4ELi64ELi4ELi64ELc84ELc78ELb0ELb1ELb0EDF16_KPKDF16_KPDF16_EEviiiT16_PT17_ilS9_ilS7_S9_ilPT18_ili26rocblas_geam_ex_operation_ ; -- Begin function _ZN12_GLOBAL__N_120geam_min_plus_kernelIDF16_Dv2_DF16_S1_Li8ELi32ELi64ELi128ELi4ELi4ELi64ELi4ELi64ELc84ELc78ELb0ELb1ELb0EDF16_KPKDF16_KPDF16_EEviiiT16_PT17_ilS9_ilS7_S9_ilPT18_ili26rocblas_geam_ex_operation_
	.p2align	8
	.type	_ZN12_GLOBAL__N_120geam_min_plus_kernelIDF16_Dv2_DF16_S1_Li8ELi32ELi64ELi128ELi4ELi4ELi64ELi4ELi64ELc84ELc78ELb0ELb1ELb0EDF16_KPKDF16_KPDF16_EEviiiT16_PT17_ilS9_ilS7_S9_ilPT18_ili26rocblas_geam_ex_operation_,@function
_ZN12_GLOBAL__N_120geam_min_plus_kernelIDF16_Dv2_DF16_S1_Li8ELi32ELi64ELi128ELi4ELi4ELi64ELi4ELi64ELc84ELc78ELb0ELb1ELb0EDF16_KPKDF16_KPDF16_EEviiiT16_PT17_ilS9_ilS7_S9_ilPT18_ili26rocblas_geam_ex_operation_: ; @_ZN12_GLOBAL__N_120geam_min_plus_kernelIDF16_Dv2_DF16_S1_Li8ELi32ELi64ELi128ELi4ELi4ELi64ELi4ELi64ELc84ELc78ELb0ELb1ELb0EDF16_KPKDF16_KPDF16_EEviiiT16_PT17_ilS9_ilS7_S9_ilPT18_ili26rocblas_geam_ex_operation_
; %bb.0:
	s_load_dwordx4 s[20:23], s[0:1], 0x0
	s_load_dwordx4 s[4:7], s[0:1], 0x20
	s_mov_b32 s8, s3
	s_mov_b32 s9, 0
	s_waitcnt lgkmcnt(0)
	v_cmp_eq_f16_e64 s[12:13], s23, 0
	v_cmp_neq_f16_e64 s[10:11], s23, 0
	s_and_b64 vcc, exec, s[12:13]
	s_cbranch_vccnz .LBB242_3
; %bb.1:
	s_load_dwordx2 s[14:15], s[0:1], 0x10
	s_lshl_b64 s[16:17], s[8:9], 3
	s_waitcnt lgkmcnt(0)
	s_add_u32 s14, s14, s16
	s_addc_u32 s15, s15, s17
	s_load_dwordx2 s[14:15], s[14:15], 0x0
	s_lshl_b64 s[4:5], s[4:5], 1
	s_waitcnt lgkmcnt(0)
	s_add_u32 s16, s14, s4
	s_addc_u32 s17, s15, s5
	s_andn2_b64 vcc, exec, s[12:13]
	s_cbranch_vccnz .LBB242_4
.LBB242_2:
	s_mov_b32 s15, 0
	s_mov_b32 s14, s8
	s_mov_b64 s[24:25], 0
	s_mov_b64 s[12:13], 0
	s_cbranch_execz .LBB242_5
	s_branch .LBB242_6
.LBB242_3:
	s_mov_b64 s[16:17], 0
	s_andn2_b64 vcc, exec, s[12:13]
	s_cbranch_vccz .LBB242_2
.LBB242_4:
	s_mov_b64 s[14:15], s[8:9]
	s_mov_b64 s[24:25], 0
	s_mov_b64 s[12:13], 0
.LBB242_5:
	s_lshl_b64 s[8:9], s[8:9], 3
	s_add_u32 s6, s6, s8
	s_load_dwordx2 s[4:5], s[0:1], 0x38
	s_addc_u32 s7, s7, s9
	s_load_dwordx2 s[6:7], s[6:7], 0x0
	s_waitcnt lgkmcnt(0)
	s_lshl_b64 s[4:5], s[4:5], 1
	s_add_u32 s12, s6, s4
	s_addc_u32 s13, s7, s5
.LBB242_6:
	s_load_dword s28, s[0:1], 0x40
	s_load_dwordx4 s[4:7], s[0:1], 0x58
	s_waitcnt lgkmcnt(0)
	v_cmp_eq_f16_e64 s[18:19], s28, 0
	v_cmp_neq_f16_e64 s[8:9], s28, 0
	s_and_b64 vcc, exec, s[18:19]
	s_cbranch_vccnz .LBB242_8
; %bb.7:
	s_load_dwordx2 s[18:19], s[0:1], 0x48
	s_lshl_b64 s[24:25], s[14:15], 3
	s_waitcnt lgkmcnt(0)
	s_add_u32 s18, s18, s24
	s_addc_u32 s19, s19, s25
	s_load_dwordx2 s[18:19], s[18:19], 0x0
	s_lshl_b64 s[4:5], s[4:5], 1
	s_waitcnt lgkmcnt(0)
	s_add_u32 s24, s18, s4
	s_addc_u32 s25, s19, s5
.LBB242_8:
	s_lshl_b64 s[4:5], s[14:15], 3
	s_add_u32 s18, s6, s4
	s_addc_u32 s19, s7, s5
	s_add_i32 s3, s20, -1
	s_ashr_i32 s4, s3, 31
	s_lshr_b32 s4, s4, 26
	s_add_i32 s3, s3, s4
	s_ashr_i32 s4, s3, 6
	s_add_i32 s5, s4, 1
	v_cvt_f32_u32_e32 v1, s5
	s_not_b32 s4, s4
	v_and_b32_e32 v32, 0x3ff, v0
	v_bfe_u32 v33, v0, 10, 10
	v_rcp_iflag_f32_e32 v1, v1
	v_and_b32_e32 v34, 3, v0
	v_lshl_add_u32 v0, v33, 3, v32
	s_load_dword s3, s[0:1], 0x18
	v_mul_f32_e32 v1, 0x4f7ffffe, v1
	v_cvt_u32_f32_e32 v1, v1
	v_lshrrev_b32_e32 v4, 2, v0
	v_mov_b32_e32 v8, 0
	v_lshlrev_b32_e32 v0, 1, v34
	v_readfirstlane_b32 s6, v1
	s_mul_i32 s4, s4, s6
	s_mul_hi_u32 s4, s6, s4
	s_add_i32 s6, s6, s4
	s_mul_hi_u32 s4, s2, s6
	s_mul_i32 s6, s4, s5
	s_sub_i32 s6, s2, s6
	s_add_i32 s7, s4, 1
	s_sub_i32 s14, s6, s5
	s_cmp_ge_u32 s6, s5
	s_cselect_b32 s4, s7, s4
	s_cselect_b32 s6, s14, s6
	s_add_i32 s7, s4, 1
	s_cmp_ge_u32 s6, s5
	s_cselect_b32 s6, s7, s4
	s_mul_i32 s33, s6, s5
	s_sub_i32 s4, s2, s33
	s_lshl_b32 s29, s4, 6
	v_add_u32_e32 v10, s29, v4
	v_cmp_gt_i32_e64 s[4:5], s22, v34
	v_cmp_gt_i32_e32 vcc, s20, v10
	s_and_b64 s[4:5], s[4:5], vcc
	s_and_b64 s[14:15], s[10:11], s[4:5]
	v_mov_b32_e32 v9, 0
	s_and_saveexec_b64 s[4:5], s[14:15]
	s_cbranch_execz .LBB242_10
; %bb.9:
	s_waitcnt lgkmcnt(0)
	v_mad_i64_i32 v[2:3], s[14:15], v10, s3, 0
	v_lshl_add_u64 v[2:3], v[2:3], 1, s[16:17]
	v_mov_b32_e32 v1, 0
	v_lshl_add_u64 v[2:3], v[2:3], 0, v[0:1]
	flat_load_ushort v1, v[2:3]
	s_waitcnt vmcnt(0) lgkmcnt(0)
	v_mul_f16_e32 v9, s23, v1
.LBB242_10:
	s_or_b64 exec, exec, s[4:5]
	s_load_dword s34, s[0:1], 0x30
	s_lshl_b32 s30, s6, 7
	v_add_u32_e32 v5, s30, v4
	s_add_i32 s31, s22, -1
	v_min_i32_e32 v2, s31, v34
	v_cmp_le_i32_e64 s[6:7], s21, v5
	s_xor_b64 s[26:27], s[10:11], -1
	v_cmp_le_i32_e64 s[4:5], s22, v34
	v_ashrrev_i32_e32 v3, 31, v2
	s_or_b64 s[14:15], s[6:7], s[26:27]
	v_lshl_add_u64 v[2:3], v[2:3], 1, s[12:13]
	s_nor_b64 s[36:37], s[4:5], s[14:15]
	s_and_saveexec_b64 s[6:7], s[36:37]
	s_cbranch_execz .LBB242_12
; %bb.11:
	s_waitcnt lgkmcnt(0)
	v_mad_i64_i32 v[6:7], s[36:37], v5, s34, 0
	v_lshl_add_u64 v[6:7], v[6:7], 1, v[2:3]
	flat_load_ushort v1, v[6:7]
	s_waitcnt vmcnt(0) lgkmcnt(0)
	v_mul_f16_e32 v8, s23, v1
.LBB242_12:
	s_or_b64 exec, exec, s[6:7]
	v_add_u32_e32 v6, 64, v5
	v_cmp_le_i32_e64 s[6:7], s21, v6
	s_or_b64 s[6:7], s[6:7], s[26:27]
	s_nor_b64 s[26:27], s[4:5], s[6:7]
	v_mov_b32_e32 v7, 0
	v_mov_b32_e32 v11, 0
	s_and_saveexec_b64 s[4:5], s[26:27]
	s_cbranch_execz .LBB242_14
; %bb.13:
	s_waitcnt lgkmcnt(0)
	v_mad_i64_i32 v[12:13], s[26:27], v6, s34, 0
	v_lshl_add_u64 v[2:3], v[12:13], 1, v[2:3]
	flat_load_ushort v1, v[2:3]
	s_waitcnt vmcnt(0) lgkmcnt(0)
	v_mul_f16_e32 v11, s23, v1
.LBB242_14:
	s_or_b64 exec, exec, s[4:5]
	v_or_b32_e32 v2, 4, v34
	v_cmp_gt_i32_e64 s[4:5], s22, v2
	s_and_b64 s[4:5], s[4:5], vcc
	s_and_b64 s[26:27], s[10:11], s[4:5]
	s_and_saveexec_b64 s[4:5], s[26:27]
	s_cbranch_execz .LBB242_16
; %bb.15:
	s_waitcnt lgkmcnt(0)
	v_mad_i64_i32 v[12:13], s[26:27], v10, s3, 0
	v_lshl_add_u64 v[12:13], v[12:13], 1, s[16:17]
	v_mov_b32_e32 v1, 0
	v_lshl_add_u64 v[0:1], v[12:13], 0, v[0:1]
	flat_load_ushort v0, v[0:1] offset:8
	s_waitcnt vmcnt(0) lgkmcnt(0)
	v_mul_f16_e32 v7, s23, v0
.LBB242_16:
	s_or_b64 exec, exec, s[4:5]
	v_min_i32_e32 v0, s31, v2
	v_cmp_le_i32_e64 s[4:5], s22, v2
	v_ashrrev_i32_e32 v1, 31, v0
	v_lshl_add_u64 v[0:1], v[0:1], 1, s[12:13]
	s_nor_b64 s[36:37], s[4:5], s[14:15]
	v_mov_b32_e32 v2, 0
	v_mov_b32_e32 v3, 0
	s_and_saveexec_b64 s[26:27], s[36:37]
	s_cbranch_execz .LBB242_18
; %bb.17:
	s_waitcnt lgkmcnt(0)
	v_mad_i64_i32 v[12:13], s[36:37], v5, s34, 0
	v_lshl_add_u64 v[12:13], v[12:13], 1, v[0:1]
	flat_load_ushort v3, v[12:13]
	s_waitcnt vmcnt(0) lgkmcnt(0)
	v_mul_f16_e32 v3, s23, v3
.LBB242_18:
	s_or_b64 exec, exec, s[26:27]
	s_nor_b64 s[26:27], s[4:5], s[6:7]
	s_and_saveexec_b64 s[4:5], s[26:27]
	s_cbranch_execz .LBB242_20
; %bb.19:
	s_waitcnt lgkmcnt(0)
	v_mad_i64_i32 v[12:13], s[26:27], v6, s34, 0
	v_lshl_add_u64 v[0:1], v[12:13], 1, v[0:1]
	flat_load_ushort v0, v[0:1]
	s_waitcnt vmcnt(0) lgkmcnt(0)
	v_mul_f16_e32 v2, s23, v0
.LBB242_20:
	s_or_b64 exec, exec, s[4:5]
	v_lshlrev_b32_e32 v0, 3, v4
	v_lshl_or_b32 v37, v34, 1, v0
	v_lshlrev_b32_e32 v36, 3, v32
	v_lshlrev_b32_e32 v35, 3, v33
	s_load_dwordx2 s[4:5], s[18:19], 0x0
	ds_write_b16 v37, v9 offset:2048
	ds_write_b16 v37, v8
	ds_write_b16 v37, v11 offset:512
	s_waitcnt lgkmcnt(0)
	s_barrier
	ds_read2_b64 v[8:11], v35 offset1:32
	v_add_u32_e32 v38, 0x800, v36
	ds_read2_b64 v[12:15], v38 offset0:48 offset1:56
	ds_read2_b64 v[16:19], v35 offset0:64 offset1:96
	ds_read2_b64 v[20:23], v38 offset1:8
	ds_read2_b64 v[24:27], v38 offset0:16 offset1:24
	ds_read2_b64 v[28:31], v38 offset0:32 offset1:40
	s_waitcnt lgkmcnt(5)
	v_pk_max_f16 v0, v8, v8
	s_waitcnt lgkmcnt(4)
	v_pk_max_f16 v1, v14, v14
	v_pk_max_f16 v10, v10, v10
	v_pk_min_f16 v8, v1, v0
	s_waitcnt lgkmcnt(3)
	v_pk_max_f16 v14, v16, v16
	s_waitcnt lgkmcnt(2)
	v_pk_max_f16 v16, v20, v20
	v_pk_max_f16 v18, v18, v18
	;; [unrolled: 1-line block ×3, first 2 shown]
	s_waitcnt lgkmcnt(1)
	v_pk_max_f16 v24, v24, v24
	v_pk_max_f16 v26, v26, v26
	s_waitcnt lgkmcnt(0)
	v_pk_max_f16 v28, v28, v28
	v_pk_max_f16 v9, v9, v9
	;; [unrolled: 1-line block ×5, first 2 shown]
	v_pk_min_f16 v20, v16, v0
	v_pk_min_f16 v39, v16, v10
	;; [unrolled: 1-line block ×17, first 2 shown]
	v_pk_max_f16 v11, v11, v11
	v_pk_min_f16 v55, v28, v10
	v_pk_min_f16 v56, v28, v14
	;; [unrolled: 1-line block ×14, first 2 shown]
	v_pk_add_f16 v8, v8, 0
	v_pk_min_f16 v18, v15, v9
	v_pk_max_f16 v17, v17, v17
	v_pk_add_f16 v68, v8, v18
	v_pk_add_f16 v8, v49, 0
	v_pk_min_f16 v18, v15, v11
	v_pk_max_f16 v21, v21, v21
	v_pk_add_f16 v60, v8, v18
	;; [unrolled: 4-line block ×5, first 2 shown]
	v_pk_add_f16 v8, v40, 0
	v_pk_min_f16 v18, v21, v17
	v_pk_min_f16 v39, v27, v9
	v_pk_add_f16 v59, v8, v18
	v_pk_add_f16 v8, v16, 0
	v_pk_min_f16 v16, v21, v19
	v_pk_add_f16 v20, v26, 0
	v_pk_add_f16 v51, v8, v16
	v_pk_add_f16 v8, v41, 0
	v_pk_min_f16 v16, v23, v9
	v_pk_add_f16 v21, v54, 0
	;; [unrolled: 4-line block ×5, first 2 shown]
	v_pk_add_f16 v50, v8, v16
	v_pk_max_f16 v16, v25, v25
	v_pk_add_f16 v8, v44, 0
	v_pk_min_f16 v18, v16, v9
	v_pk_add_f16 v22, v55, 0
	v_pk_add_f16 v73, v8, v18
	v_pk_add_f16 v8, v45, 0
	v_pk_min_f16 v18, v16, v11
	v_pk_add_f16 v25, v61, 0
	v_pk_add_f16 v65, v8, v18
	v_pk_add_f16 v8, v46, 0
	v_pk_min_f16 v18, v16, v17
	v_pk_min_f16 v16, v16, v19
	v_pk_add_f16 v57, v8, v18
	v_pk_add_f16 v8, v24, 0
	;; [unrolled: 1-line block ×7, first 2 shown]
	v_pk_min_f16 v8, v27, v11
	v_pk_add_f16 v24, v28, 0
	v_pk_add_f16 v64, v16, v8
	v_pk_min_f16 v8, v27, v17
	v_pk_add_f16 v28, v63, 0
	v_pk_add_f16 v56, v18, v8
	;; [unrolled: 3-line block ×3, first 2 shown]
	v_pk_max_f16 v8, v29, v29
	v_pk_add_f16 v10, v10, 0
	v_pk_min_f16 v16, v8, v9
	v_pk_add_f16 v14, v14, 0
	v_pk_add_f16 v71, v21, v16
	v_pk_min_f16 v16, v8, v11
	v_pk_add_f16 v12, v12, 0
	v_pk_add_f16 v63, v22, v16
	v_pk_min_f16 v16, v8, v17
	v_pk_min_f16 v8, v8, v19
	v_pk_add_f16 v55, v23, v16
	v_pk_add_f16 v47, v24, v8
	v_pk_max_f16 v8, v31, v31
	v_pk_add_f16 v1, v1, 0
	v_pk_min_f16 v16, v8, v9
	s_mov_b32 s18, 0
	v_pk_add_f16 v70, v25, v16
	v_pk_min_f16 v16, v8, v11
	s_cmp_lt_i32 s22, 9
	v_pk_add_f16 v62, v26, v16
	v_pk_min_f16 v16, v8, v17
	v_pk_min_f16 v8, v8, v19
	v_pk_add_f16 v54, v28, v16
	v_pk_add_f16 v46, v30, v8
	v_pk_max_f16 v8, v13, v13
	ds_write_b16 v37, v7 offset:2560
	ds_write_b16 v37, v3 offset:1024
	;; [unrolled: 1-line block ×3, first 2 shown]
	v_pk_min_f16 v9, v8, v9
	s_waitcnt lgkmcnt(0)
	v_pk_add_f16 v39, v0, v9
	v_pk_min_f16 v0, v8, v11
	s_barrier
	v_pk_add_f16 v61, v10, v0
	v_pk_min_f16 v0, v8, v17
	s_nop 0
	v_pk_add_f16 v53, v14, v0
	v_pk_min_f16 v0, v8, v19
	s_nop 0
	v_pk_add_f16 v45, v12, v0
	v_pk_min_f16 v0, v15, v19
	s_nop 0
	v_pk_add_f16 v44, v1, v0
	s_cbranch_scc1 .LBB242_35
; %bb.21:
	v_mov_b32_e32 v0, 0xa00
	v_lshl_add_u32 v43, v32, 3, v0
	v_mov_b32_e32 v0, 0x400
	v_lshl_add_u32 v69, v33, 3, v0
	v_lshl_add_u32 v0, s2, 6, v4
	s_lshl_b32 s2, s33, 6
	v_subrev_u32_e32 v0, s2, v0
	v_and_b32_e32 v2, 3, v32
	v_mad_i64_i32 v[0:1], s[2:3], s3, v0, 0
	v_lshlrev_b32_e32 v2, 1, v2
	v_mov_b32_e32 v3, 0
	v_lshl_add_u64 v[0:1], v[0:1], 1, v[2:3]
	v_lshl_add_u64 v[0:1], s[16:17], 0, v[0:1]
	v_add_u32_e32 v40, 0x800, v37
	v_add_u32_e32 v41, 0xa00, v37
	;; [unrolled: 1-line block ×3, first 2 shown]
	s_add_i32 s19, s22, -8
	v_mad_i64_i32 v[24:25], s[26:27], v5, s34, 0
	v_mad_i64_i32 v[26:27], s[26:27], v6, s34, 0
	v_lshl_add_u64 v[28:29], v[0:1], 0, 24
	s_branch .LBB242_23
.LBB242_22:                             ;   in Loop: Header=BB242_23 Depth=1
	s_or_b64 exec, exec, s[2:3]
	v_pk_max_f16 v2, v2, v2
	v_pk_max_f16 v20, v20, v20
	;; [unrolled: 1-line block ×24, first 2 shown]
	v_pk_min_f16 v89, v4, v20
	v_pk_min_f16 v90, v4, v22
	;; [unrolled: 1-line block ×64, first 2 shown]
	v_pk_add_f16 v1, v68, v95
	v_pk_add_f16 v3, v60, v96
	;; [unrolled: 1-line block ×12, first 2 shown]
	ds_read2_b64 v[0:3], v38 offset0:48 offset1:56
	ds_read2_b64 v[4:7], v35 offset1:32
	v_pk_add_f16 v12, v51, v12
	v_pk_add_f16 v65, v65, v84
	;; [unrolled: 1-line block ×4, first 2 shown]
	s_waitcnt lgkmcnt(1)
	v_pk_max_f16 v2, v2, v2
	s_waitcnt lgkmcnt(0)
	v_pk_max_f16 v4, v4, v4
	v_pk_add_f16 v30, v75, v30
	v_pk_add_f16 v59, v59, v79
	;; [unrolled: 1-line block ×10, first 2 shown]
	ds_read2_b64 v[8:11], v35 offset0:64 offset1:96
	v_pk_min_f16 v12, v2, v4
	v_pk_add_f16 v18, v30, v18
	v_pk_add_f16 v30, v31, v98
	;; [unrolled: 1-line block ×6, first 2 shown]
	ds_read2_b64 v[12:15], v38 offset1:8
	v_pk_max_f16 v6, v6, v6
	v_pk_add_f16 v52, v52, v97
	v_pk_add_f16 v49, v72, v86
	;; [unrolled: 1-line block ×3, first 2 shown]
	v_pk_min_f16 v16, v2, v6
	s_waitcnt lgkmcnt(1)
	v_pk_max_f16 v8, v8, v8
	v_pk_add_f16 v52, v52, v117
	v_pk_add_f16 v46, v46, v16
	v_pk_min_f16 v16, v2, v8
	s_waitcnt lgkmcnt(0)
	v_pk_max_f16 v12, v12, v12
	v_pk_add_f16 v52, v52, v16
	v_pk_min_f16 v16, v12, v4
	v_pk_add_f16 v50, v73, v83
	v_pk_add_f16 v73, v18, v16
	v_pk_min_f16 v16, v12, v6
	v_pk_add_f16 v51, v74, v80
	v_pk_add_f16 v30, v30, v16
	v_pk_min_f16 v16, v12, v8
	v_pk_max_f16 v10, v10, v10
	v_pk_max_f16 v14, v14, v14
	v_pk_add_f16 v51, v51, v100
	v_pk_add_f16 v31, v31, v16
	v_pk_min_f16 v12, v12, v10
	v_pk_min_f16 v16, v14, v4
	v_pk_add_f16 v12, v53, v12
	v_pk_add_f16 v53, v51, v16
	v_pk_min_f16 v16, v14, v6
	v_pk_add_f16 v44, v44, v19
	v_pk_add_f16 v79, v59, v16
	ds_read2_b64 v[16:19], v38 offset0:16 offset1:24
	v_pk_add_f16 v58, v58, v82
	v_pk_add_f16 v47, v70, v92
	;; [unrolled: 1-line block ×4, first 2 shown]
	v_pk_min_f16 v20, v14, v8
	s_waitcnt lgkmcnt(0)
	v_pk_max_f16 v16, v16, v16
	v_pk_add_f16 v50, v50, v103
	v_pk_add_f16 v58, v58, v20
	v_pk_min_f16 v20, v16, v4
	v_pk_add_f16 v57, v57, v85
	v_pk_add_f16 v80, v50, v20
	v_pk_min_f16 v20, v16, v6
	;; [unrolled: 3-line block ×3, first 2 shown]
	v_pk_max_f16 v18, v18, v18
	v_pk_add_f16 v64, v64, v87
	v_pk_add_f16 v49, v49, v106
	;; [unrolled: 1-line block ×3, first 2 shown]
	v_pk_min_f16 v20, v18, v4
	v_pk_add_f16 v64, v64, v107
	v_pk_add_f16 v81, v49, v20
	v_pk_min_f16 v20, v18, v6
	v_pk_add_f16 v48, v71, v89
	v_pk_add_f16 v71, v22, v23
	v_pk_add_f16 v64, v64, v20
	ds_read2_b64 v[20:23], v38 offset0:32 offset1:40
	v_pk_add_f16 v56, v56, v88
	v_pk_min_f16 v49, v18, v8
	v_pk_add_f16 v56, v56, v108
	v_pk_add_f16 v63, v63, v90
	s_waitcnt lgkmcnt(0)
	v_pk_max_f16 v20, v20, v20
	v_pk_add_f16 v48, v48, v109
	v_pk_add_f16 v56, v56, v49
	v_pk_min_f16 v49, v20, v4
	v_pk_add_f16 v55, v55, v91
	v_pk_add_f16 v63, v63, v110
	;; [unrolled: 1-line block ×3, first 2 shown]
	v_pk_min_f16 v48, v20, v6
	v_pk_add_f16 v55, v55, v111
	v_pk_add_f16 v63, v63, v48
	v_pk_min_f16 v48, v20, v8
	v_pk_max_f16 v22, v22, v22
	v_pk_add_f16 v62, v62, v93
	v_pk_add_f16 v47, v47, v112
	;; [unrolled: 1-line block ×3, first 2 shown]
	v_pk_min_f16 v48, v22, v4
	v_pk_add_f16 v62, v62, v113
	v_pk_add_f16 v83, v47, v48
	v_pk_min_f16 v47, v22, v6
	v_pk_max_f16 v0, v0, v0
	v_pk_max_f16 v3, v3, v3
	v_pk_max_f16 v5, v5, v5
	v_pk_min_f16 v14, v14, v10
	v_pk_min_f16 v16, v16, v10
	;; [unrolled: 1-line block ×4, first 2 shown]
	v_pk_add_f16 v62, v62, v47
	v_pk_min_f16 v47, v22, v8
	v_pk_min_f16 v22, v22, v10
	;; [unrolled: 1-line block ×8, first 2 shown]
	v_pk_max_f16 v7, v7, v7
	v_pk_add_f16 v22, v68, v22
	v_pk_add_f16 v68, v45, v10
	v_pk_min_f16 v10, v3, v7
	v_pk_max_f16 v9, v9, v9
	v_pk_add_f16 v14, v60, v14
	v_pk_add_f16 v60, v46, v10
	v_pk_min_f16 v10, v3, v9
	v_pk_max_f16 v11, v11, v11
	v_pk_add_f16 v52, v52, v10
	v_pk_max_f16 v10, v13, v13
	v_pk_add_f16 v20, v67, v20
	v_pk_min_f16 v13, v10, v5
	v_pk_add_f16 v18, v66, v18
	v_pk_add_f16 v75, v73, v13
	v_pk_min_f16 v13, v10, v7
	v_pk_add_f16 v16, v65, v16
	v_pk_add_f16 v67, v30, v13
	v_pk_min_f16 v13, v10, v9
	v_pk_min_f16 v10, v10, v11
	v_pk_add_f16 v8, v72, v8
	v_pk_add_f16 v51, v12, v10
	v_pk_max_f16 v10, v15, v15
	v_pk_add_f16 v54, v54, v94
	v_pk_min_f16 v12, v10, v5
	v_pk_add_f16 v6, v71, v6
	v_pk_add_f16 v74, v53, v12
	v_pk_min_f16 v12, v10, v7
	v_pk_add_f16 v54, v54, v114
	v_pk_add_f16 v66, v79, v12
	v_pk_min_f16 v12, v10, v9
	v_pk_min_f16 v10, v10, v11
	v_pk_add_f16 v58, v58, v12
	v_pk_add_f16 v50, v14, v10
	v_pk_max_f16 v10, v17, v17
	v_pk_add_f16 v54, v54, v47
	v_pk_min_f16 v12, v10, v5
	v_pk_max_f16 v1, v1, v1
	v_pk_add_f16 v73, v80, v12
	v_pk_min_f16 v12, v10, v7
	v_pk_add_f16 v39, v39, v118
	v_pk_add_f16 v65, v61, v12
	v_pk_min_f16 v12, v10, v9
	v_pk_min_f16 v10, v10, v11
	v_pk_add_f16 v57, v57, v12
	v_pk_add_f16 v49, v16, v10
	v_pk_max_f16 v10, v19, v19
	v_pk_add_f16 v4, v70, v4
	v_pk_min_f16 v12, v10, v5
	v_pk_add_f16 v0, v39, v0
	v_pk_add_f16 v72, v81, v12
	v_pk_min_f16 v12, v10, v7
	v_pk_add_f16 v2, v44, v2
	v_pk_add_f16 v64, v64, v12
	v_pk_min_f16 v12, v10, v9
	v_pk_min_f16 v10, v10, v11
	v_pk_add_f16 v56, v56, v12
	v_pk_add_f16 v48, v18, v10
	v_pk_max_f16 v10, v21, v21
	s_add_i32 s18, s18, 8
	v_pk_min_f16 v12, v10, v5
	v_pk_add_f16 v59, v31, v13
	v_pk_add_f16 v71, v82, v12
	v_pk_min_f16 v12, v10, v7
	s_cmp_ge_i32 s18, s19
	v_pk_add_f16 v63, v63, v12
	v_pk_min_f16 v12, v10, v9
	v_pk_min_f16 v10, v10, v11
	v_pk_add_f16 v55, v55, v12
	v_pk_add_f16 v47, v20, v10
	v_pk_max_f16 v10, v23, v23
	v_lshl_add_u64 v[28:29], v[28:29], 0, 16
	v_pk_min_f16 v12, v10, v5
	v_pk_min_f16 v5, v1, v5
	v_pk_add_f16 v70, v83, v12
	v_pk_add_f16 v39, v4, v5
	v_pk_min_f16 v4, v1, v7
	v_pk_min_f16 v12, v10, v7
	v_pk_add_f16 v61, v6, v4
	v_pk_min_f16 v4, v1, v9
	v_pk_min_f16 v1, v1, v11
	;; [unrolled: 3-line block ×3, first 2 shown]
	v_pk_add_f16 v45, v0, v1
	v_pk_min_f16 v0, v3, v11
	v_pk_add_f16 v54, v54, v12
	v_pk_add_f16 v46, v22, v10
	;; [unrolled: 1-line block ×4, first 2 shown]
	ds_write_b16 v41, v77
	ds_write_b16 v42, v76
	ds_write_b16 v42, v78 offset:512
	s_waitcnt lgkmcnt(0)
	s_barrier
	s_cbranch_scc1 .LBB242_35
.LBB242_23:                             ; =>This Inner Loop Header: Depth=1
	v_add_u32_e32 v30, s18, v34
	v_add_u32_e32 v0, 8, v30
	v_cmp_gt_i32_e64 s[2:3], s22, v0
	s_and_b64 s[2:3], s[2:3], vcc
	s_and_b64 s[2:3], s[10:11], s[2:3]
	v_mov_b32_e32 v31, 0
	s_and_saveexec_b64 s[16:17], s[2:3]
	s_cbranch_execz .LBB242_25
; %bb.24:                               ;   in Loop: Header=BB242_23 Depth=1
	v_add_co_u32_e64 v2, s[2:3], -8, v28
	s_nop 1
	v_addc_co_u32_e64 v3, s[2:3], -1, v29, s[2:3]
	flat_load_ushort v1, v[2:3]
	s_waitcnt vmcnt(0) lgkmcnt(0)
	v_mul_f16_e32 v31, s23, v1
.LBB242_25:                             ;   in Loop: Header=BB242_23 Depth=1
	s_or_b64 exec, exec, s[16:17]
	v_cmp_le_i32_e64 s[2:3], s22, v0
	v_min_i32_e32 v0, s31, v0
	v_ashrrev_i32_e32 v1, 31, v0
	v_lshl_add_u64 v[0:1], v[0:1], 1, s[12:13]
	s_nor_b64 s[26:27], s[14:15], s[2:3]
	v_mov_b32_e32 v76, 0
	v_mov_b32_e32 v77, 0
	s_and_saveexec_b64 s[16:17], s[26:27]
	s_cbranch_execz .LBB242_27
; %bb.26:                               ;   in Loop: Header=BB242_23 Depth=1
	v_lshl_add_u64 v[2:3], v[24:25], 1, v[0:1]
	flat_load_ushort v2, v[2:3]
	s_waitcnt vmcnt(0) lgkmcnt(0)
	v_mul_f16_e32 v77, s23, v2
.LBB242_27:                             ;   in Loop: Header=BB242_23 Depth=1
	s_or_b64 exec, exec, s[16:17]
	s_nor_b64 s[16:17], s[6:7], s[2:3]
	s_and_saveexec_b64 s[2:3], s[16:17]
	s_cbranch_execz .LBB242_29
; %bb.28:                               ;   in Loop: Header=BB242_23 Depth=1
	v_lshl_add_u64 v[0:1], v[26:27], 1, v[0:1]
	flat_load_ushort v0, v[0:1]
	s_waitcnt vmcnt(0) lgkmcnt(0)
	v_mul_f16_e32 v76, s23, v0
.LBB242_29:                             ;   in Loop: Header=BB242_23 Depth=1
	s_or_b64 exec, exec, s[2:3]
	ds_read2_b64 v[0:3], v43 offset0:48 offset1:56
	ds_read2_b64 v[16:19], v69 offset0:64 offset1:96
	ds_read2_b64 v[20:23], v69 offset1:32
	ds_read2_b64 v[12:15], v43 offset1:8
	ds_read2_b64 v[8:11], v43 offset0:16 offset1:24
	ds_read2_b64 v[4:7], v43 offset0:32 offset1:40
	v_add_u32_e32 v30, 12, v30
	v_cmp_gt_i32_e64 s[2:3], s22, v30
	s_and_b64 s[2:3], s[2:3], vcc
	ds_write_b16 v40, v31
	ds_write_b16 v37, v77
	ds_write_b16 v37, v76 offset:512
	s_and_b64 s[2:3], s[10:11], s[2:3]
	v_mov_b32_e32 v76, 0
	v_mov_b32_e32 v77, 0
	s_waitcnt lgkmcnt(0)
	s_barrier
	s_and_saveexec_b64 s[16:17], s[2:3]
	s_xor_b64 s[2:3], exec, s[16:17]
	s_cbranch_execz .LBB242_31
; %bb.30:                               ;   in Loop: Header=BB242_23 Depth=1
	flat_load_ushort v31, v[28:29]
	s_waitcnt vmcnt(0) lgkmcnt(0)
	v_mul_f16_e32 v77, s23, v31
.LBB242_31:                             ;   in Loop: Header=BB242_23 Depth=1
	s_or_b64 exec, exec, s[2:3]
	v_cmp_le_i32_e64 s[2:3], s22, v30
	v_min_i32_e32 v30, s31, v30
	v_ashrrev_i32_e32 v31, 31, v30
	v_lshl_add_u64 v[30:31], v[30:31], 1, s[12:13]
	s_nor_b64 s[26:27], s[14:15], s[2:3]
	s_and_saveexec_b64 s[16:17], s[26:27]
	s_cbranch_execz .LBB242_33
; %bb.32:                               ;   in Loop: Header=BB242_23 Depth=1
	v_lshl_add_u64 v[78:79], v[24:25], 1, v[30:31]
	flat_load_ushort v76, v[78:79]
	s_waitcnt vmcnt(0) lgkmcnt(0)
	v_mul_f16_e32 v76, s23, v76
.LBB242_33:                             ;   in Loop: Header=BB242_23 Depth=1
	s_or_b64 exec, exec, s[16:17]
	s_nor_b64 s[16:17], s[6:7], s[2:3]
	v_mov_b32_e32 v78, 0
	s_and_saveexec_b64 s[2:3], s[16:17]
	s_cbranch_execz .LBB242_22
; %bb.34:                               ;   in Loop: Header=BB242_23 Depth=1
	v_lshl_add_u64 v[30:31], v[26:27], 1, v[30:31]
	flat_load_ushort v30, v[30:31]
	s_waitcnt vmcnt(0) lgkmcnt(0)
	v_mul_f16_e32 v78, s23, v30
	s_branch .LBB242_22
.LBB242_35:
	s_load_dwordx2 s[2:3], s[0:1], 0x70
	s_load_dword s33, s[0:1], 0x50
	s_load_dword s31, s[0:1], 0x68
	v_add_u32_e32 v8, 0x800, v36
	ds_read2_b64 v[0:3], v8 offset0:112 offset1:120
	ds_read2_b64 v[4:7], v35 offset0:192 offset1:224
	;; [unrolled: 1-line block ×6, first 2 shown]
	s_waitcnt lgkmcnt(0)
	s_lshl_b64 s[0:1], s[2:3], 1
	s_add_u32 s22, s4, s0
	v_add_u32_e32 v69, s30, v33
	s_addc_u32 s23, s5, s1
	v_mad_i64_i32 v[26:27], s[0:1], v69, s33, 0
	v_add_u32_e32 v24, s29, v32
	v_lshl_add_u64 v[42:43], v[26:27], 1, s[24:25]
	v_mad_i64_i32 v[26:27], s[0:1], v69, s31, 0
	v_cmp_gt_i32_e64 s[18:19], s21, v69
	v_lshl_add_u64 v[40:41], v[26:27], 1, s[22:23]
	v_cmp_gt_i32_e64 s[2:3], s20, v24
	v_cndmask_b32_e64 v26, 0, 1, s[8:9]
	s_and_b64 s[4:5], s[2:3], s[18:19]
	v_ashrrev_i32_e32 v25, 31, v24
	v_cmp_ne_u32_e64 s[0:1], 1, v26
	s_and_saveexec_b64 s[6:7], s[4:5]
	s_xor_b64 s[4:5], exec, s[6:7]
	s_cbranch_execz .LBB242_40
; %bb.36:
	s_and_b64 vcc, exec, s[0:1]
	s_cbranch_vccnz .LBB242_38
; %bb.37:
	v_lshl_add_u64 v[26:27], v[24:25], 1, v[42:43]
	flat_load_ushort v26, v[26:27]
	s_waitcnt vmcnt(0) lgkmcnt(0)
	v_mul_f16_e32 v26, s28, v26
	s_branch .LBB242_39
.LBB242_38:
	v_mov_b32_e32 v26, 0
.LBB242_39:
	v_pk_max_f16 v27, v20, v20
	v_pk_max_f16 v28, v16, v16
	v_pk_max_f16 v29, v17, v17
	v_pk_min_f16 v27, v28, v27
	v_pk_max_f16 v28, v21, v21
	v_pk_add_f16 v27, v75, v27
	v_pk_min_f16 v28, v29, v28
	s_nop 0
	v_pk_add_f16 v27, v27, v28
	s_nop 0
	v_add_f16_sdwa v27, v27, v27 dst_sel:DWORD dst_unused:UNUSED_PAD src0_sel:DWORD src1_sel:WORD_1
	v_add_f16_e32 v28, v27, v26
	v_lshl_add_u64 v[26:27], v[24:25], 1, v[40:41]
	flat_store_short v[26:27], v28
.LBB242_40:
	s_or_b64 exec, exec, s[4:5]
	v_add_u32_e32 v26, 8, v24
	v_cmp_gt_i32_e64 s[4:5], s20, v26
	s_and_b64 s[8:9], s[4:5], s[18:19]
	v_ashrrev_i32_e32 v27, 31, v26
	s_and_saveexec_b64 s[6:7], s[8:9]
	s_cbranch_execz .LBB242_45
; %bb.41:
	s_and_b64 vcc, exec, s[0:1]
	s_cbranch_vccnz .LBB242_43
; %bb.42:
	v_lshl_add_u64 v[28:29], v[26:27], 1, v[42:43]
	flat_load_ushort v28, v[28:29]
	s_waitcnt vmcnt(0) lgkmcnt(0)
	v_mul_f16_e32 v28, s28, v28
	s_branch .LBB242_44
.LBB242_43:
	v_mov_b32_e32 v28, 0
.LBB242_44:
	v_pk_max_f16 v29, v20, v20
	v_pk_max_f16 v30, v18, v18
	v_pk_max_f16 v31, v19, v19
	v_pk_min_f16 v29, v30, v29
	v_pk_max_f16 v30, v21, v21
	v_pk_add_f16 v29, v74, v29
	v_pk_min_f16 v30, v31, v30
	s_nop 0
	v_pk_add_f16 v29, v29, v30
	s_nop 0
	v_add_f16_sdwa v29, v29, v29 dst_sel:DWORD dst_unused:UNUSED_PAD src0_sel:DWORD src1_sel:WORD_1
	v_add_f16_e32 v30, v29, v28
	v_lshl_add_u64 v[28:29], v[26:27], 1, v[40:41]
	flat_store_short v[28:29], v30
.LBB242_45:
	s_or_b64 exec, exec, s[6:7]
	v_add_u32_e32 v28, 16, v24
	v_cmp_gt_i32_e64 s[6:7], s20, v28
	s_and_b64 s[10:11], s[6:7], s[18:19]
	v_ashrrev_i32_e32 v29, 31, v28
	s_and_saveexec_b64 s[8:9], s[10:11]
	;; [unrolled: 34-line block ×5, first 2 shown]
	s_cbranch_execz .LBB242_65
; %bb.61:
	s_and_b64 vcc, exec, s[0:1]
	s_cbranch_vccnz .LBB242_63
; %bb.62:
	v_lshl_add_u64 v[36:37], v[34:35], 1, v[42:43]
	flat_load_ushort v36, v[36:37]
	s_waitcnt vmcnt(0) lgkmcnt(0)
	v_mul_f16_e32 v36, s28, v36
	s_branch .LBB242_64
.LBB242_63:
	v_mov_b32_e32 v36, 0
.LBB242_64:
	v_pk_max_f16 v37, v20, v20
	v_pk_max_f16 v38, v10, v10
	s_nop 0
	v_pk_min_f16 v37, v38, v37
	v_pk_max_f16 v38, v21, v21
	v_pk_add_f16 v37, v70, v37
	v_pk_max_f16 v70, v11, v11
	s_nop 0
	v_pk_min_f16 v38, v70, v38
	s_nop 0
	v_pk_add_f16 v37, v37, v38
	s_nop 0
	v_add_f16_sdwa v37, v37, v37 dst_sel:DWORD dst_unused:UNUSED_PAD src0_sel:DWORD src1_sel:WORD_1
	v_add_f16_e32 v38, v37, v36
	v_lshl_add_u64 v[36:37], v[34:35], 1, v[40:41]
	flat_store_short v[36:37], v38
.LBB242_65:
	s_or_b64 exec, exec, s[14:15]
	v_add_u32_e32 v36, 48, v24
	v_cmp_gt_i32_e64 s[14:15], s20, v36
	s_and_b64 s[26:27], s[14:15], s[18:19]
	v_ashrrev_i32_e32 v37, 31, v36
	s_and_saveexec_b64 s[16:17], s[26:27]
	s_cbranch_execz .LBB242_70
; %bb.66:
	s_and_b64 vcc, exec, s[0:1]
	s_cbranch_vccnz .LBB242_68
; %bb.67:
	v_lshl_add_u64 v[70:71], v[36:37], 1, v[42:43]
	flat_load_ushort v38, v[70:71]
	s_waitcnt vmcnt(0) lgkmcnt(0)
	v_mul_f16_e32 v38, s28, v38
	s_branch .LBB242_69
.LBB242_68:
	v_mov_b32_e32 v38, 0
.LBB242_69:
	v_pk_max_f16 v70, v20, v20
	v_pk_max_f16 v71, v0, v0
	s_nop 0
	v_pk_min_f16 v70, v71, v70
	v_pk_max_f16 v71, v1, v1
	v_pk_add_f16 v39, v39, v70
	v_pk_max_f16 v70, v21, v21
	s_nop 0
	v_pk_min_f16 v70, v71, v70
	s_nop 0
	v_pk_add_f16 v39, v39, v70
	s_nop 0
	v_add_f16_sdwa v39, v39, v39 dst_sel:DWORD dst_unused:UNUSED_PAD src0_sel:DWORD src1_sel:WORD_1
	v_add_f16_e32 v70, v39, v38
	v_lshl_add_u64 v[38:39], v[36:37], 1, v[40:41]
	flat_store_short v[38:39], v70
.LBB242_70:
	s_or_b64 exec, exec, s[16:17]
	v_add_u32_e32 v38, 56, v24
	v_cmp_gt_i32_e64 s[16:17], s20, v38
	s_and_b64 s[26:27], s[16:17], s[18:19]
	v_ashrrev_i32_e32 v39, 31, v38
	s_and_saveexec_b64 s[18:19], s[26:27]
	s_cbranch_execz .LBB242_75
; %bb.71:
	s_and_b64 vcc, exec, s[0:1]
	s_cbranch_vccnz .LBB242_73
; %bb.72:
	v_lshl_add_u64 v[42:43], v[38:39], 1, v[42:43]
	flat_load_ushort v42, v[42:43]
	s_waitcnt vmcnt(0) lgkmcnt(0)
	v_mul_f16_e32 v42, s28, v42
	s_branch .LBB242_74
.LBB242_73:
	v_mov_b32_e32 v42, 0
.LBB242_74:
	v_pk_max_f16 v20, v20, v20
	v_pk_max_f16 v43, v2, v2
	;; [unrolled: 1-line block ×3, first 2 shown]
	v_pk_min_f16 v20, v43, v20
	v_pk_max_f16 v43, v3, v3
	v_pk_add_f16 v20, v68, v20
	v_pk_min_f16 v21, v43, v21
	s_nop 0
	v_pk_add_f16 v20, v20, v21
	s_nop 0
	v_add_f16_sdwa v20, v20, v20 dst_sel:DWORD dst_unused:UNUSED_PAD src0_sel:DWORD src1_sel:WORD_1
	v_add_f16_e32 v42, v20, v42
	v_lshl_add_u64 v[20:21], v[38:39], 1, v[40:41]
	flat_store_short v[20:21], v42
.LBB242_75:
	s_or_b64 exec, exec, s[18:19]
	v_add_u32_e32 v42, 32, v69
	v_mad_i64_i32 v[20:21], s[26:27], v42, s33, 0
	v_cmp_gt_i32_e64 s[18:19], s21, v42
	v_lshl_add_u64 v[40:41], v[20:21], 1, s[24:25]
	v_mad_i64_i32 v[20:21], s[26:27], v42, s31, 0
	v_lshl_add_u64 v[20:21], v[20:21], 1, s[22:23]
	s_and_b64 s[34:35], s[2:3], s[18:19]
	s_and_saveexec_b64 s[26:27], s[34:35]
	s_cbranch_execnz .LBB242_83
; %bb.76:
	s_or_b64 exec, exec, s[26:27]
	s_and_b64 s[34:35], s[4:5], s[18:19]
	s_and_saveexec_b64 s[26:27], s[34:35]
	s_cbranch_execnz .LBB242_87
.LBB242_77:
	s_or_b64 exec, exec, s[26:27]
	s_and_b64 s[34:35], s[6:7], s[18:19]
	s_and_saveexec_b64 s[26:27], s[34:35]
	s_cbranch_execnz .LBB242_91
.LBB242_78:
	s_or_b64 exec, exec, s[26:27]
	s_and_b64 s[34:35], s[8:9], s[18:19]
	s_and_saveexec_b64 s[26:27], s[34:35]
	s_cbranch_execnz .LBB242_95
.LBB242_79:
	s_or_b64 exec, exec, s[26:27]
	s_and_b64 s[34:35], s[10:11], s[18:19]
	s_and_saveexec_b64 s[26:27], s[34:35]
	s_cbranch_execnz .LBB242_99
.LBB242_80:
	s_or_b64 exec, exec, s[26:27]
	s_and_b64 s[34:35], s[12:13], s[18:19]
	s_and_saveexec_b64 s[26:27], s[34:35]
	s_cbranch_execnz .LBB242_103
.LBB242_81:
	s_or_b64 exec, exec, s[26:27]
	s_and_b64 s[34:35], s[14:15], s[18:19]
	s_and_saveexec_b64 s[26:27], s[34:35]
	s_cbranch_execnz .LBB242_107
.LBB242_82:
	s_or_b64 exec, exec, s[26:27]
	s_and_b64 s[26:27], s[16:17], s[18:19]
	s_and_saveexec_b64 s[18:19], s[26:27]
	s_cbranch_execnz .LBB242_111
	s_branch .LBB242_115
.LBB242_83:
	s_and_b64 vcc, exec, s[0:1]
	s_cbranch_vccnz .LBB242_85
; %bb.84:
	v_lshl_add_u64 v[42:43], v[24:25], 1, v[40:41]
	flat_load_ushort v42, v[42:43]
	s_waitcnt vmcnt(0) lgkmcnt(0)
	v_mul_f16_e32 v42, s28, v42
	s_branch .LBB242_86
.LBB242_85:
	v_mov_b32_e32 v42, 0
.LBB242_86:
	v_pk_max_f16 v43, v22, v22
	v_pk_max_f16 v68, v16, v16
	s_nop 0
	v_pk_min_f16 v43, v68, v43
	v_pk_max_f16 v68, v17, v17
	v_pk_add_f16 v43, v67, v43
	v_pk_max_f16 v67, v23, v23
	s_nop 0
	v_pk_min_f16 v67, v68, v67
	s_nop 0
	v_pk_add_f16 v43, v43, v67
	s_nop 0
	v_add_f16_sdwa v43, v43, v43 dst_sel:DWORD dst_unused:UNUSED_PAD src0_sel:DWORD src1_sel:WORD_1
	v_add_f16_e32 v67, v43, v42
	v_lshl_add_u64 v[42:43], v[24:25], 1, v[20:21]
	flat_store_short v[42:43], v67
	s_or_b64 exec, exec, s[26:27]
	s_and_b64 s[34:35], s[4:5], s[18:19]
	s_and_saveexec_b64 s[26:27], s[34:35]
	s_cbranch_execz .LBB242_77
.LBB242_87:
	s_and_b64 vcc, exec, s[0:1]
	s_cbranch_vccnz .LBB242_89
; %bb.88:
	v_lshl_add_u64 v[42:43], v[26:27], 1, v[40:41]
	flat_load_ushort v42, v[42:43]
	s_waitcnt vmcnt(0) lgkmcnt(0)
	v_mul_f16_e32 v42, s28, v42
	s_branch .LBB242_90
.LBB242_89:
	v_mov_b32_e32 v42, 0
.LBB242_90:
	v_pk_max_f16 v43, v22, v22
	v_pk_max_f16 v67, v18, v18
	s_nop 0
	v_pk_min_f16 v43, v67, v43
	v_pk_max_f16 v67, v19, v19
	v_pk_add_f16 v43, v66, v43
	v_pk_max_f16 v66, v23, v23
	s_nop 0
	v_pk_min_f16 v66, v67, v66
	s_nop 0
	v_pk_add_f16 v43, v43, v66
	s_nop 0
	v_add_f16_sdwa v43, v43, v43 dst_sel:DWORD dst_unused:UNUSED_PAD src0_sel:DWORD src1_sel:WORD_1
	v_add_f16_e32 v66, v43, v42
	v_lshl_add_u64 v[42:43], v[26:27], 1, v[20:21]
	flat_store_short v[42:43], v66
	s_or_b64 exec, exec, s[26:27]
	s_and_b64 s[34:35], s[6:7], s[18:19]
	s_and_saveexec_b64 s[26:27], s[34:35]
	s_cbranch_execz .LBB242_78
.LBB242_91:
	s_and_b64 vcc, exec, s[0:1]
	s_cbranch_vccnz .LBB242_93
; %bb.92:
	v_lshl_add_u64 v[42:43], v[28:29], 1, v[40:41]
	flat_load_ushort v42, v[42:43]
	s_waitcnt vmcnt(0) lgkmcnt(0)
	v_mul_f16_e32 v42, s28, v42
	s_branch .LBB242_94
.LBB242_93:
	v_mov_b32_e32 v42, 0
.LBB242_94:
	v_pk_max_f16 v43, v22, v22
	v_pk_max_f16 v66, v12, v12
	s_nop 0
	v_pk_min_f16 v43, v66, v43
	v_pk_max_f16 v66, v13, v13
	v_pk_add_f16 v43, v65, v43
	v_pk_max_f16 v65, v23, v23
	s_nop 0
	v_pk_min_f16 v65, v66, v65
	s_nop 0
	v_pk_add_f16 v43, v43, v65
	s_nop 0
	v_add_f16_sdwa v43, v43, v43 dst_sel:DWORD dst_unused:UNUSED_PAD src0_sel:DWORD src1_sel:WORD_1
	v_add_f16_e32 v65, v43, v42
	v_lshl_add_u64 v[42:43], v[28:29], 1, v[20:21]
	flat_store_short v[42:43], v65
	s_or_b64 exec, exec, s[26:27]
	s_and_b64 s[34:35], s[8:9], s[18:19]
	s_and_saveexec_b64 s[26:27], s[34:35]
	s_cbranch_execz .LBB242_79
.LBB242_95:
	s_and_b64 vcc, exec, s[0:1]
	s_cbranch_vccnz .LBB242_97
; %bb.96:
	v_lshl_add_u64 v[42:43], v[30:31], 1, v[40:41]
	flat_load_ushort v42, v[42:43]
	s_waitcnt vmcnt(0) lgkmcnt(0)
	v_mul_f16_e32 v42, s28, v42
	s_branch .LBB242_98
.LBB242_97:
	v_mov_b32_e32 v42, 0
.LBB242_98:
	v_pk_max_f16 v43, v22, v22
	v_pk_max_f16 v65, v14, v14
	s_nop 0
	v_pk_min_f16 v43, v65, v43
	v_pk_max_f16 v65, v15, v15
	v_pk_add_f16 v43, v64, v43
	v_pk_max_f16 v64, v23, v23
	s_nop 0
	v_pk_min_f16 v64, v65, v64
	s_nop 0
	v_pk_add_f16 v43, v43, v64
	s_nop 0
	v_add_f16_sdwa v43, v43, v43 dst_sel:DWORD dst_unused:UNUSED_PAD src0_sel:DWORD src1_sel:WORD_1
	v_add_f16_e32 v64, v43, v42
	v_lshl_add_u64 v[42:43], v[30:31], 1, v[20:21]
	flat_store_short v[42:43], v64
	s_or_b64 exec, exec, s[26:27]
	s_and_b64 s[34:35], s[10:11], s[18:19]
	s_and_saveexec_b64 s[26:27], s[34:35]
	s_cbranch_execz .LBB242_80
.LBB242_99:
	s_and_b64 vcc, exec, s[0:1]
	s_cbranch_vccnz .LBB242_101
; %bb.100:
	v_lshl_add_u64 v[42:43], v[32:33], 1, v[40:41]
	flat_load_ushort v42, v[42:43]
	s_waitcnt vmcnt(0) lgkmcnt(0)
	v_mul_f16_e32 v42, s28, v42
	s_branch .LBB242_102
.LBB242_101:
	v_mov_b32_e32 v42, 0
.LBB242_102:
	v_pk_max_f16 v43, v22, v22
	v_pk_max_f16 v64, v8, v8
	s_nop 0
	v_pk_min_f16 v43, v64, v43
	v_pk_max_f16 v64, v9, v9
	v_pk_add_f16 v43, v63, v43
	v_pk_max_f16 v63, v23, v23
	s_nop 0
	v_pk_min_f16 v63, v64, v63
	s_nop 0
	v_pk_add_f16 v43, v43, v63
	s_nop 0
	v_add_f16_sdwa v43, v43, v43 dst_sel:DWORD dst_unused:UNUSED_PAD src0_sel:DWORD src1_sel:WORD_1
	v_add_f16_e32 v63, v43, v42
	v_lshl_add_u64 v[42:43], v[32:33], 1, v[20:21]
	flat_store_short v[42:43], v63
	s_or_b64 exec, exec, s[26:27]
	s_and_b64 s[34:35], s[12:13], s[18:19]
	s_and_saveexec_b64 s[26:27], s[34:35]
	s_cbranch_execz .LBB242_81
.LBB242_103:
	s_and_b64 vcc, exec, s[0:1]
	s_cbranch_vccnz .LBB242_105
; %bb.104:
	v_lshl_add_u64 v[42:43], v[34:35], 1, v[40:41]
	flat_load_ushort v42, v[42:43]
	s_waitcnt vmcnt(0) lgkmcnt(0)
	v_mul_f16_e32 v42, s28, v42
	s_branch .LBB242_106
.LBB242_105:
	v_mov_b32_e32 v42, 0
.LBB242_106:
	v_pk_max_f16 v43, v22, v22
	v_pk_max_f16 v63, v10, v10
	s_nop 0
	v_pk_min_f16 v43, v63, v43
	v_pk_max_f16 v63, v11, v11
	v_pk_add_f16 v43, v62, v43
	v_pk_max_f16 v62, v23, v23
	s_nop 0
	v_pk_min_f16 v62, v63, v62
	s_nop 0
	v_pk_add_f16 v43, v43, v62
	s_nop 0
	v_add_f16_sdwa v43, v43, v43 dst_sel:DWORD dst_unused:UNUSED_PAD src0_sel:DWORD src1_sel:WORD_1
	v_add_f16_e32 v62, v43, v42
	v_lshl_add_u64 v[42:43], v[34:35], 1, v[20:21]
	flat_store_short v[42:43], v62
	s_or_b64 exec, exec, s[26:27]
	s_and_b64 s[34:35], s[14:15], s[18:19]
	s_and_saveexec_b64 s[26:27], s[34:35]
	s_cbranch_execz .LBB242_82
.LBB242_107:
	s_and_b64 vcc, exec, s[0:1]
	s_cbranch_vccnz .LBB242_109
; %bb.108:
	v_lshl_add_u64 v[42:43], v[36:37], 1, v[40:41]
	flat_load_ushort v42, v[42:43]
	s_waitcnt vmcnt(0) lgkmcnt(0)
	v_mul_f16_e32 v42, s28, v42
	s_branch .LBB242_110
.LBB242_109:
	v_mov_b32_e32 v42, 0
.LBB242_110:
	v_pk_max_f16 v43, v22, v22
	v_pk_max_f16 v62, v0, v0
	s_nop 0
	v_pk_min_f16 v43, v62, v43
	v_pk_max_f16 v62, v1, v1
	v_pk_add_f16 v43, v61, v43
	v_pk_max_f16 v61, v23, v23
	s_nop 0
	v_pk_min_f16 v61, v62, v61
	s_nop 0
	v_pk_add_f16 v43, v43, v61
	s_nop 0
	v_add_f16_sdwa v43, v43, v43 dst_sel:DWORD dst_unused:UNUSED_PAD src0_sel:DWORD src1_sel:WORD_1
	v_add_f16_e32 v61, v43, v42
	v_lshl_add_u64 v[42:43], v[36:37], 1, v[20:21]
	flat_store_short v[42:43], v61
	s_or_b64 exec, exec, s[26:27]
	s_and_b64 s[26:27], s[16:17], s[18:19]
	s_and_saveexec_b64 s[18:19], s[26:27]
	s_cbranch_execz .LBB242_115
.LBB242_111:
	s_and_b64 vcc, exec, s[0:1]
	s_cbranch_vccnz .LBB242_113
; %bb.112:
	v_lshl_add_u64 v[40:41], v[38:39], 1, v[40:41]
	flat_load_ushort v40, v[40:41]
	s_waitcnt vmcnt(0) lgkmcnt(0)
	v_mul_f16_e32 v40, s28, v40
	s_branch .LBB242_114
.LBB242_113:
	v_mov_b32_e32 v40, 0
.LBB242_114:
	v_pk_max_f16 v22, v22, v22
	v_pk_max_f16 v41, v2, v2
	;; [unrolled: 1-line block ×3, first 2 shown]
	v_pk_min_f16 v22, v41, v22
	v_pk_max_f16 v41, v3, v3
	v_pk_add_f16 v22, v60, v22
	v_pk_min_f16 v23, v41, v23
	v_lshl_add_u64 v[20:21], v[38:39], 1, v[20:21]
	v_pk_add_f16 v22, v22, v23
	s_nop 0
	v_add_f16_sdwa v22, v22, v22 dst_sel:DWORD dst_unused:UNUSED_PAD src0_sel:DWORD src1_sel:WORD_1
	v_add_f16_e32 v22, v22, v40
	flat_store_short v[20:21], v22
.LBB242_115:
	s_or_b64 exec, exec, s[18:19]
	v_add_u32_e32 v40, 64, v69
	v_mad_i64_i32 v[20:21], s[26:27], v40, s33, 0
	v_cmp_gt_i32_e64 s[18:19], s21, v40
	v_lshl_add_u64 v[22:23], v[20:21], 1, s[24:25]
	v_mad_i64_i32 v[20:21], s[26:27], v40, s31, 0
	v_lshl_add_u64 v[20:21], v[20:21], 1, s[22:23]
	s_and_b64 s[34:35], s[2:3], s[18:19]
	s_and_saveexec_b64 s[26:27], s[34:35]
	s_cbranch_execnz .LBB242_123
; %bb.116:
	s_or_b64 exec, exec, s[26:27]
	s_and_b64 s[34:35], s[4:5], s[18:19]
	s_and_saveexec_b64 s[26:27], s[34:35]
	s_cbranch_execnz .LBB242_127
.LBB242_117:
	s_or_b64 exec, exec, s[26:27]
	s_and_b64 s[34:35], s[6:7], s[18:19]
	s_and_saveexec_b64 s[26:27], s[34:35]
	s_cbranch_execnz .LBB242_131
.LBB242_118:
	s_or_b64 exec, exec, s[26:27]
	s_and_b64 s[34:35], s[8:9], s[18:19]
	s_and_saveexec_b64 s[26:27], s[34:35]
	s_cbranch_execnz .LBB242_135
.LBB242_119:
	s_or_b64 exec, exec, s[26:27]
	s_and_b64 s[34:35], s[10:11], s[18:19]
	s_and_saveexec_b64 s[26:27], s[34:35]
	s_cbranch_execnz .LBB242_139
.LBB242_120:
	s_or_b64 exec, exec, s[26:27]
	s_and_b64 s[34:35], s[12:13], s[18:19]
	s_and_saveexec_b64 s[26:27], s[34:35]
	s_cbranch_execnz .LBB242_143
.LBB242_121:
	s_or_b64 exec, exec, s[26:27]
	s_and_b64 s[34:35], s[14:15], s[18:19]
	s_and_saveexec_b64 s[26:27], s[34:35]
	s_cbranch_execnz .LBB242_147
.LBB242_122:
	s_or_b64 exec, exec, s[26:27]
	s_and_b64 s[26:27], s[16:17], s[18:19]
	s_and_saveexec_b64 s[18:19], s[26:27]
	s_cbranch_execnz .LBB242_151
	s_branch .LBB242_155
.LBB242_123:
	s_and_b64 vcc, exec, s[0:1]
	s_cbranch_vccnz .LBB242_125
; %bb.124:
	v_lshl_add_u64 v[40:41], v[24:25], 1, v[22:23]
	flat_load_ushort v40, v[40:41]
	s_waitcnt vmcnt(0) lgkmcnt(0)
	v_mul_f16_e32 v40, s28, v40
	s_branch .LBB242_126
.LBB242_125:
	v_mov_b32_e32 v40, 0
.LBB242_126:
	v_pk_max_f16 v41, v4, v4
	v_pk_max_f16 v42, v16, v16
	;; [unrolled: 1-line block ×3, first 2 shown]
	v_pk_min_f16 v41, v42, v41
	v_pk_max_f16 v42, v5, v5
	v_pk_add_f16 v41, v59, v41
	v_pk_min_f16 v42, v43, v42
	s_nop 0
	v_pk_add_f16 v41, v41, v42
	s_nop 0
	v_add_f16_sdwa v41, v41, v41 dst_sel:DWORD dst_unused:UNUSED_PAD src0_sel:DWORD src1_sel:WORD_1
	v_add_f16_e32 v42, v41, v40
	v_lshl_add_u64 v[40:41], v[24:25], 1, v[20:21]
	flat_store_short v[40:41], v42
	s_or_b64 exec, exec, s[26:27]
	s_and_b64 s[34:35], s[4:5], s[18:19]
	s_and_saveexec_b64 s[26:27], s[34:35]
	s_cbranch_execz .LBB242_117
.LBB242_127:
	s_and_b64 vcc, exec, s[0:1]
	s_cbranch_vccnz .LBB242_129
; %bb.128:
	v_lshl_add_u64 v[40:41], v[26:27], 1, v[22:23]
	flat_load_ushort v40, v[40:41]
	s_waitcnt vmcnt(0) lgkmcnt(0)
	v_mul_f16_e32 v40, s28, v40
	s_branch .LBB242_130
.LBB242_129:
	v_mov_b32_e32 v40, 0
.LBB242_130:
	v_pk_max_f16 v41, v4, v4
	v_pk_max_f16 v42, v18, v18
	;; [unrolled: 1-line block ×3, first 2 shown]
	v_pk_min_f16 v41, v42, v41
	v_pk_max_f16 v42, v5, v5
	v_pk_add_f16 v41, v58, v41
	v_pk_min_f16 v42, v43, v42
	s_nop 0
	v_pk_add_f16 v41, v41, v42
	s_nop 0
	v_add_f16_sdwa v41, v41, v41 dst_sel:DWORD dst_unused:UNUSED_PAD src0_sel:DWORD src1_sel:WORD_1
	v_add_f16_e32 v42, v41, v40
	v_lshl_add_u64 v[40:41], v[26:27], 1, v[20:21]
	flat_store_short v[40:41], v42
	s_or_b64 exec, exec, s[26:27]
	s_and_b64 s[34:35], s[6:7], s[18:19]
	s_and_saveexec_b64 s[26:27], s[34:35]
	s_cbranch_execz .LBB242_118
.LBB242_131:
	s_and_b64 vcc, exec, s[0:1]
	s_cbranch_vccnz .LBB242_133
; %bb.132:
	v_lshl_add_u64 v[40:41], v[28:29], 1, v[22:23]
	flat_load_ushort v40, v[40:41]
	s_waitcnt vmcnt(0) lgkmcnt(0)
	v_mul_f16_e32 v40, s28, v40
	s_branch .LBB242_134
.LBB242_133:
	v_mov_b32_e32 v40, 0
.LBB242_134:
	v_pk_max_f16 v41, v4, v4
	v_pk_max_f16 v42, v12, v12
	;; [unrolled: 1-line block ×3, first 2 shown]
	v_pk_min_f16 v41, v42, v41
	v_pk_max_f16 v42, v5, v5
	v_pk_add_f16 v41, v57, v41
	v_pk_min_f16 v42, v43, v42
	s_nop 0
	v_pk_add_f16 v41, v41, v42
	s_nop 0
	v_add_f16_sdwa v41, v41, v41 dst_sel:DWORD dst_unused:UNUSED_PAD src0_sel:DWORD src1_sel:WORD_1
	v_add_f16_e32 v42, v41, v40
	v_lshl_add_u64 v[40:41], v[28:29], 1, v[20:21]
	flat_store_short v[40:41], v42
	s_or_b64 exec, exec, s[26:27]
	s_and_b64 s[34:35], s[8:9], s[18:19]
	s_and_saveexec_b64 s[26:27], s[34:35]
	s_cbranch_execz .LBB242_119
.LBB242_135:
	s_and_b64 vcc, exec, s[0:1]
	s_cbranch_vccnz .LBB242_137
; %bb.136:
	v_lshl_add_u64 v[40:41], v[30:31], 1, v[22:23]
	flat_load_ushort v40, v[40:41]
	s_waitcnt vmcnt(0) lgkmcnt(0)
	v_mul_f16_e32 v40, s28, v40
	s_branch .LBB242_138
.LBB242_137:
	v_mov_b32_e32 v40, 0
.LBB242_138:
	v_pk_max_f16 v41, v4, v4
	v_pk_max_f16 v42, v14, v14
	;; [unrolled: 1-line block ×3, first 2 shown]
	v_pk_min_f16 v41, v42, v41
	v_pk_max_f16 v42, v5, v5
	v_pk_add_f16 v41, v56, v41
	v_pk_min_f16 v42, v43, v42
	s_nop 0
	v_pk_add_f16 v41, v41, v42
	s_nop 0
	v_add_f16_sdwa v41, v41, v41 dst_sel:DWORD dst_unused:UNUSED_PAD src0_sel:DWORD src1_sel:WORD_1
	v_add_f16_e32 v42, v41, v40
	v_lshl_add_u64 v[40:41], v[30:31], 1, v[20:21]
	flat_store_short v[40:41], v42
	s_or_b64 exec, exec, s[26:27]
	s_and_b64 s[34:35], s[10:11], s[18:19]
	s_and_saveexec_b64 s[26:27], s[34:35]
	s_cbranch_execz .LBB242_120
.LBB242_139:
	s_and_b64 vcc, exec, s[0:1]
	s_cbranch_vccnz .LBB242_141
; %bb.140:
	v_lshl_add_u64 v[40:41], v[32:33], 1, v[22:23]
	flat_load_ushort v40, v[40:41]
	s_waitcnt vmcnt(0) lgkmcnt(0)
	v_mul_f16_e32 v40, s28, v40
	s_branch .LBB242_142
.LBB242_141:
	v_mov_b32_e32 v40, 0
.LBB242_142:
	v_pk_max_f16 v41, v4, v4
	v_pk_max_f16 v42, v8, v8
	;; [unrolled: 1-line block ×3, first 2 shown]
	v_pk_min_f16 v41, v42, v41
	v_pk_max_f16 v42, v5, v5
	v_pk_add_f16 v41, v55, v41
	v_pk_min_f16 v42, v43, v42
	s_nop 0
	v_pk_add_f16 v41, v41, v42
	s_nop 0
	v_add_f16_sdwa v41, v41, v41 dst_sel:DWORD dst_unused:UNUSED_PAD src0_sel:DWORD src1_sel:WORD_1
	v_add_f16_e32 v42, v41, v40
	v_lshl_add_u64 v[40:41], v[32:33], 1, v[20:21]
	flat_store_short v[40:41], v42
	s_or_b64 exec, exec, s[26:27]
	s_and_b64 s[34:35], s[12:13], s[18:19]
	s_and_saveexec_b64 s[26:27], s[34:35]
	s_cbranch_execz .LBB242_121
.LBB242_143:
	s_and_b64 vcc, exec, s[0:1]
	s_cbranch_vccnz .LBB242_145
; %bb.144:
	v_lshl_add_u64 v[40:41], v[34:35], 1, v[22:23]
	flat_load_ushort v40, v[40:41]
	s_waitcnt vmcnt(0) lgkmcnt(0)
	v_mul_f16_e32 v40, s28, v40
	s_branch .LBB242_146
.LBB242_145:
	v_mov_b32_e32 v40, 0
.LBB242_146:
	v_pk_max_f16 v41, v4, v4
	v_pk_max_f16 v42, v10, v10
	;; [unrolled: 1-line block ×3, first 2 shown]
	v_pk_min_f16 v41, v42, v41
	v_pk_max_f16 v42, v5, v5
	v_pk_add_f16 v41, v54, v41
	v_pk_min_f16 v42, v43, v42
	s_nop 0
	v_pk_add_f16 v41, v41, v42
	s_nop 0
	v_add_f16_sdwa v41, v41, v41 dst_sel:DWORD dst_unused:UNUSED_PAD src0_sel:DWORD src1_sel:WORD_1
	v_add_f16_e32 v42, v41, v40
	v_lshl_add_u64 v[40:41], v[34:35], 1, v[20:21]
	flat_store_short v[40:41], v42
	s_or_b64 exec, exec, s[26:27]
	s_and_b64 s[34:35], s[14:15], s[18:19]
	s_and_saveexec_b64 s[26:27], s[34:35]
	s_cbranch_execz .LBB242_122
.LBB242_147:
	s_and_b64 vcc, exec, s[0:1]
	s_cbranch_vccnz .LBB242_149
; %bb.148:
	v_lshl_add_u64 v[40:41], v[36:37], 1, v[22:23]
	flat_load_ushort v40, v[40:41]
	s_waitcnt vmcnt(0) lgkmcnt(0)
	v_mul_f16_e32 v40, s28, v40
	s_branch .LBB242_150
.LBB242_149:
	v_mov_b32_e32 v40, 0
.LBB242_150:
	v_pk_max_f16 v41, v4, v4
	v_pk_max_f16 v42, v0, v0
	;; [unrolled: 1-line block ×3, first 2 shown]
	v_pk_min_f16 v41, v42, v41
	v_pk_max_f16 v42, v5, v5
	v_pk_add_f16 v41, v53, v41
	v_pk_min_f16 v42, v43, v42
	s_nop 0
	v_pk_add_f16 v41, v41, v42
	s_nop 0
	v_add_f16_sdwa v41, v41, v41 dst_sel:DWORD dst_unused:UNUSED_PAD src0_sel:DWORD src1_sel:WORD_1
	v_add_f16_e32 v42, v41, v40
	v_lshl_add_u64 v[40:41], v[36:37], 1, v[20:21]
	flat_store_short v[40:41], v42
	s_or_b64 exec, exec, s[26:27]
	s_and_b64 s[26:27], s[16:17], s[18:19]
	s_and_saveexec_b64 s[18:19], s[26:27]
	s_cbranch_execz .LBB242_155
.LBB242_151:
	s_and_b64 vcc, exec, s[0:1]
	s_cbranch_vccnz .LBB242_153
; %bb.152:
	v_lshl_add_u64 v[22:23], v[38:39], 1, v[22:23]
	flat_load_ushort v22, v[22:23]
	s_waitcnt vmcnt(0) lgkmcnt(0)
	v_mul_f16_e32 v22, s28, v22
	s_branch .LBB242_154
.LBB242_153:
	v_mov_b32_e32 v22, 0
.LBB242_154:
	v_pk_max_f16 v4, v4, v4
	v_pk_max_f16 v23, v2, v2
	;; [unrolled: 1-line block ×3, first 2 shown]
	v_pk_min_f16 v4, v23, v4
	v_pk_max_f16 v23, v3, v3
	v_pk_add_f16 v4, v52, v4
	v_pk_min_f16 v5, v23, v5
	s_nop 0
	v_pk_add_f16 v4, v4, v5
	s_nop 0
	v_add_f16_sdwa v4, v4, v4 dst_sel:DWORD dst_unused:UNUSED_PAD src0_sel:DWORD src1_sel:WORD_1
	v_add_f16_e32 v22, v4, v22
	v_lshl_add_u64 v[4:5], v[38:39], 1, v[20:21]
	flat_store_short v[4:5], v22
.LBB242_155:
	s_or_b64 exec, exec, s[18:19]
	v_add_u32_e32 v22, 0x60, v69
	v_cmp_gt_i32_e64 s[18:19], s21, v22
	v_mad_i64_i32 v[4:5], s[20:21], v22, s33, 0
	v_lshl_add_u64 v[20:21], v[4:5], 1, s[24:25]
	v_mad_i64_i32 v[4:5], s[20:21], v22, s31, 0
	v_lshl_add_u64 v[4:5], v[4:5], 1, s[22:23]
	s_and_b64 s[20:21], s[2:3], s[18:19]
	s_and_saveexec_b64 s[2:3], s[20:21]
	s_cbranch_execnz .LBB242_164
; %bb.156:
	s_or_b64 exec, exec, s[2:3]
	s_and_b64 s[4:5], s[4:5], s[18:19]
	s_and_saveexec_b64 s[2:3], s[4:5]
	s_cbranch_execnz .LBB242_168
.LBB242_157:
	s_or_b64 exec, exec, s[2:3]
	s_and_b64 s[4:5], s[6:7], s[18:19]
	s_and_saveexec_b64 s[2:3], s[4:5]
	s_cbranch_execnz .LBB242_172
.LBB242_158:
	s_or_b64 exec, exec, s[2:3]
	s_and_b64 s[4:5], s[8:9], s[18:19]
	s_and_saveexec_b64 s[2:3], s[4:5]
	s_cbranch_execnz .LBB242_176
.LBB242_159:
	s_or_b64 exec, exec, s[2:3]
	s_and_b64 s[4:5], s[10:11], s[18:19]
	s_and_saveexec_b64 s[2:3], s[4:5]
	s_cbranch_execnz .LBB242_180
.LBB242_160:
	s_or_b64 exec, exec, s[2:3]
	s_and_b64 s[4:5], s[12:13], s[18:19]
	s_and_saveexec_b64 s[2:3], s[4:5]
	s_cbranch_execnz .LBB242_184
.LBB242_161:
	s_or_b64 exec, exec, s[2:3]
	s_and_b64 s[4:5], s[14:15], s[18:19]
	s_and_saveexec_b64 s[2:3], s[4:5]
	s_cbranch_execnz .LBB242_188
.LBB242_162:
	s_or_b64 exec, exec, s[2:3]
	s_and_b64 s[2:3], s[16:17], s[18:19]
	s_and_saveexec_b64 s[4:5], s[2:3]
	s_cbranch_execnz .LBB242_192
.LBB242_163:
	s_endpgm
.LBB242_164:
	s_and_b64 vcc, exec, s[0:1]
	s_cbranch_vccnz .LBB242_166
; %bb.165:
	v_lshl_add_u64 v[22:23], v[24:25], 1, v[20:21]
	flat_load_ushort v22, v[22:23]
	s_waitcnt vmcnt(0) lgkmcnt(0)
	v_mul_f16_e32 v22, s28, v22
	s_branch .LBB242_167
.LBB242_166:
	v_mov_b32_e32 v22, 0
.LBB242_167:
	v_pk_max_f16 v23, v6, v6
	v_pk_max_f16 v16, v16, v16
	;; [unrolled: 1-line block ×3, first 2 shown]
	v_pk_min_f16 v16, v16, v23
	v_pk_max_f16 v23, v7, v7
	v_pk_add_f16 v16, v51, v16
	v_pk_min_f16 v17, v17, v23
	s_nop 0
	v_pk_add_f16 v16, v16, v17
	s_nop 0
	v_add_f16_sdwa v16, v16, v16 dst_sel:DWORD dst_unused:UNUSED_PAD src0_sel:DWORD src1_sel:WORD_1
	v_add_f16_e32 v22, v16, v22
	v_lshl_add_u64 v[16:17], v[24:25], 1, v[4:5]
	flat_store_short v[16:17], v22
	s_or_b64 exec, exec, s[2:3]
	s_and_b64 s[4:5], s[4:5], s[18:19]
	s_and_saveexec_b64 s[2:3], s[4:5]
	s_cbranch_execz .LBB242_157
.LBB242_168:
	s_and_b64 vcc, exec, s[0:1]
	s_cbranch_vccnz .LBB242_170
; %bb.169:
	v_lshl_add_u64 v[16:17], v[26:27], 1, v[20:21]
	flat_load_ushort v16, v[16:17]
	s_waitcnt vmcnt(0) lgkmcnt(0)
	v_mul_f16_e32 v16, s28, v16
	s_branch .LBB242_171
.LBB242_170:
	v_mov_b32_e32 v16, 0
.LBB242_171:
	v_pk_max_f16 v17, v6, v6
	v_pk_max_f16 v18, v18, v18
	;; [unrolled: 1-line block ×3, first 2 shown]
	v_pk_min_f16 v17, v18, v17
	v_pk_max_f16 v18, v7, v7
	v_pk_add_f16 v17, v50, v17
	v_pk_min_f16 v18, v19, v18
	s_nop 0
	v_pk_add_f16 v17, v17, v18
	s_nop 0
	v_add_f16_sdwa v17, v17, v17 dst_sel:DWORD dst_unused:UNUSED_PAD src0_sel:DWORD src1_sel:WORD_1
	v_add_f16_e32 v18, v17, v16
	v_lshl_add_u64 v[16:17], v[26:27], 1, v[4:5]
	flat_store_short v[16:17], v18
	s_or_b64 exec, exec, s[2:3]
	s_and_b64 s[4:5], s[6:7], s[18:19]
	s_and_saveexec_b64 s[2:3], s[4:5]
	s_cbranch_execz .LBB242_158
.LBB242_172:
	s_and_b64 vcc, exec, s[0:1]
	s_cbranch_vccnz .LBB242_174
; %bb.173:
	v_lshl_add_u64 v[16:17], v[28:29], 1, v[20:21]
	flat_load_ushort v16, v[16:17]
	s_waitcnt vmcnt(0) lgkmcnt(0)
	v_mul_f16_e32 v16, s28, v16
	s_branch .LBB242_175
.LBB242_174:
	v_mov_b32_e32 v16, 0
.LBB242_175:
	v_pk_max_f16 v17, v6, v6
	v_pk_max_f16 v12, v12, v12
	;; [unrolled: 1-line block ×3, first 2 shown]
	v_pk_min_f16 v12, v12, v17
	v_pk_max_f16 v17, v7, v7
	v_pk_add_f16 v12, v49, v12
	v_pk_min_f16 v13, v13, v17
	s_nop 0
	v_pk_add_f16 v12, v12, v13
	s_nop 0
	v_add_f16_sdwa v12, v12, v12 dst_sel:DWORD dst_unused:UNUSED_PAD src0_sel:DWORD src1_sel:WORD_1
	v_add_f16_e32 v16, v12, v16
	v_lshl_add_u64 v[12:13], v[28:29], 1, v[4:5]
	flat_store_short v[12:13], v16
	s_or_b64 exec, exec, s[2:3]
	s_and_b64 s[4:5], s[8:9], s[18:19]
	s_and_saveexec_b64 s[2:3], s[4:5]
	s_cbranch_execz .LBB242_159
.LBB242_176:
	s_and_b64 vcc, exec, s[0:1]
	s_cbranch_vccnz .LBB242_178
; %bb.177:
	v_lshl_add_u64 v[12:13], v[30:31], 1, v[20:21]
	flat_load_ushort v12, v[12:13]
	s_waitcnt vmcnt(0) lgkmcnt(0)
	v_mul_f16_e32 v12, s28, v12
	s_branch .LBB242_179
.LBB242_178:
	v_mov_b32_e32 v12, 0
.LBB242_179:
	v_pk_max_f16 v13, v6, v6
	v_pk_max_f16 v14, v14, v14
	;; [unrolled: 1-line block ×3, first 2 shown]
	v_pk_min_f16 v13, v14, v13
	v_pk_max_f16 v14, v7, v7
	v_pk_add_f16 v13, v48, v13
	v_pk_min_f16 v14, v15, v14
	s_nop 0
	v_pk_add_f16 v13, v13, v14
	s_nop 0
	v_add_f16_sdwa v13, v13, v13 dst_sel:DWORD dst_unused:UNUSED_PAD src0_sel:DWORD src1_sel:WORD_1
	v_add_f16_e32 v14, v13, v12
	v_lshl_add_u64 v[12:13], v[30:31], 1, v[4:5]
	flat_store_short v[12:13], v14
	s_or_b64 exec, exec, s[2:3]
	s_and_b64 s[4:5], s[10:11], s[18:19]
	s_and_saveexec_b64 s[2:3], s[4:5]
	s_cbranch_execz .LBB242_160
.LBB242_180:
	s_and_b64 vcc, exec, s[0:1]
	s_cbranch_vccnz .LBB242_182
; %bb.181:
	v_lshl_add_u64 v[12:13], v[32:33], 1, v[20:21]
	flat_load_ushort v12, v[12:13]
	s_waitcnt vmcnt(0) lgkmcnt(0)
	v_mul_f16_e32 v12, s28, v12
	s_branch .LBB242_183
.LBB242_182:
	v_mov_b32_e32 v12, 0
.LBB242_183:
	v_pk_max_f16 v13, v6, v6
	v_pk_max_f16 v8, v8, v8
	;; [unrolled: 1-line block ×3, first 2 shown]
	v_pk_min_f16 v8, v8, v13
	v_pk_max_f16 v13, v7, v7
	v_pk_add_f16 v8, v47, v8
	v_pk_min_f16 v9, v9, v13
	s_nop 0
	v_pk_add_f16 v8, v8, v9
	s_nop 0
	v_add_f16_sdwa v8, v8, v8 dst_sel:DWORD dst_unused:UNUSED_PAD src0_sel:DWORD src1_sel:WORD_1
	v_add_f16_e32 v12, v8, v12
	v_lshl_add_u64 v[8:9], v[32:33], 1, v[4:5]
	flat_store_short v[8:9], v12
	s_or_b64 exec, exec, s[2:3]
	s_and_b64 s[4:5], s[12:13], s[18:19]
	s_and_saveexec_b64 s[2:3], s[4:5]
	s_cbranch_execz .LBB242_161
.LBB242_184:
	s_and_b64 vcc, exec, s[0:1]
	s_cbranch_vccnz .LBB242_186
; %bb.185:
	v_lshl_add_u64 v[8:9], v[34:35], 1, v[20:21]
	flat_load_ushort v8, v[8:9]
	s_waitcnt vmcnt(0) lgkmcnt(0)
	v_mul_f16_e32 v8, s28, v8
	s_branch .LBB242_187
.LBB242_186:
	v_mov_b32_e32 v8, 0
.LBB242_187:
	v_pk_max_f16 v9, v6, v6
	v_pk_max_f16 v10, v10, v10
	;; [unrolled: 1-line block ×3, first 2 shown]
	v_pk_min_f16 v9, v10, v9
	v_pk_max_f16 v10, v7, v7
	v_pk_add_f16 v9, v46, v9
	v_pk_min_f16 v10, v11, v10
	s_nop 0
	v_pk_add_f16 v9, v9, v10
	s_nop 0
	v_add_f16_sdwa v9, v9, v9 dst_sel:DWORD dst_unused:UNUSED_PAD src0_sel:DWORD src1_sel:WORD_1
	v_add_f16_e32 v10, v9, v8
	v_lshl_add_u64 v[8:9], v[34:35], 1, v[4:5]
	flat_store_short v[8:9], v10
	s_or_b64 exec, exec, s[2:3]
	s_and_b64 s[4:5], s[14:15], s[18:19]
	s_and_saveexec_b64 s[2:3], s[4:5]
	s_cbranch_execz .LBB242_162
.LBB242_188:
	s_and_b64 vcc, exec, s[0:1]
	s_cbranch_vccnz .LBB242_190
; %bb.189:
	v_lshl_add_u64 v[8:9], v[36:37], 1, v[20:21]
	flat_load_ushort v8, v[8:9]
	s_waitcnt vmcnt(0) lgkmcnt(0)
	v_mul_f16_e32 v8, s28, v8
	s_branch .LBB242_191
.LBB242_190:
	v_mov_b32_e32 v8, 0
.LBB242_191:
	v_pk_max_f16 v9, v6, v6
	v_pk_max_f16 v0, v0, v0
	;; [unrolled: 1-line block ×3, first 2 shown]
	v_pk_min_f16 v0, v0, v9
	v_pk_max_f16 v9, v7, v7
	v_pk_add_f16 v0, v45, v0
	v_pk_min_f16 v1, v1, v9
	s_nop 0
	v_pk_add_f16 v0, v0, v1
	s_nop 0
	v_add_f16_sdwa v0, v0, v0 dst_sel:DWORD dst_unused:UNUSED_PAD src0_sel:DWORD src1_sel:WORD_1
	v_add_f16_e32 v8, v0, v8
	v_lshl_add_u64 v[0:1], v[36:37], 1, v[4:5]
	flat_store_short v[0:1], v8
	s_or_b64 exec, exec, s[2:3]
	s_and_b64 s[2:3], s[16:17], s[18:19]
	s_and_saveexec_b64 s[4:5], s[2:3]
	s_cbranch_execz .LBB242_163
.LBB242_192:
	s_and_b64 vcc, exec, s[0:1]
	s_cbranch_vccnz .LBB242_194
; %bb.193:
	v_lshl_add_u64 v[0:1], v[38:39], 1, v[20:21]
	flat_load_ushort v0, v[0:1]
	s_waitcnt vmcnt(0) lgkmcnt(0)
	v_mul_f16_e32 v0, s28, v0
	s_branch .LBB242_195
.LBB242_194:
	v_mov_b32_e32 v0, 0
.LBB242_195:
	v_pk_max_f16 v1, v6, v6
	v_pk_max_f16 v2, v2, v2
	;; [unrolled: 1-line block ×3, first 2 shown]
	v_pk_min_f16 v1, v2, v1
	v_pk_max_f16 v2, v7, v7
	v_pk_add_f16 v1, v44, v1
	v_pk_min_f16 v2, v3, v2
	s_nop 0
	v_pk_add_f16 v1, v1, v2
	s_nop 0
	v_add_f16_sdwa v1, v1, v1 dst_sel:DWORD dst_unused:UNUSED_PAD src0_sel:DWORD src1_sel:WORD_1
	v_add_f16_e32 v2, v1, v0
	v_lshl_add_u64 v[0:1], v[38:39], 1, v[4:5]
	flat_store_short v[0:1], v2
	s_endpgm
	.section	.rodata,"a",@progbits
	.p2align	6, 0x0
	.amdhsa_kernel _ZN12_GLOBAL__N_120geam_min_plus_kernelIDF16_Dv2_DF16_S1_Li8ELi32ELi64ELi128ELi4ELi4ELi64ELi4ELi64ELc84ELc78ELb0ELb1ELb0EDF16_KPKDF16_KPDF16_EEviiiT16_PT17_ilS9_ilS7_S9_ilPT18_ili26rocblas_geam_ex_operation_
		.amdhsa_group_segment_fixed_size 3072
		.amdhsa_private_segment_fixed_size 0
		.amdhsa_kernarg_size 128
		.amdhsa_user_sgpr_count 2
		.amdhsa_user_sgpr_dispatch_ptr 0
		.amdhsa_user_sgpr_queue_ptr 0
		.amdhsa_user_sgpr_kernarg_segment_ptr 1
		.amdhsa_user_sgpr_dispatch_id 0
		.amdhsa_user_sgpr_kernarg_preload_length 0
		.amdhsa_user_sgpr_kernarg_preload_offset 0
		.amdhsa_user_sgpr_private_segment_size 0
		.amdhsa_uses_dynamic_stack 0
		.amdhsa_enable_private_segment 0
		.amdhsa_system_sgpr_workgroup_id_x 1
		.amdhsa_system_sgpr_workgroup_id_y 0
		.amdhsa_system_sgpr_workgroup_id_z 1
		.amdhsa_system_sgpr_workgroup_info 0
		.amdhsa_system_vgpr_workitem_id 1
		.amdhsa_next_free_vgpr 119
		.amdhsa_next_free_sgpr 38
		.amdhsa_accum_offset 120
		.amdhsa_reserve_vcc 1
		.amdhsa_float_round_mode_32 0
		.amdhsa_float_round_mode_16_64 0
		.amdhsa_float_denorm_mode_32 3
		.amdhsa_float_denorm_mode_16_64 3
		.amdhsa_dx10_clamp 1
		.amdhsa_ieee_mode 1
		.amdhsa_fp16_overflow 0
		.amdhsa_tg_split 0
		.amdhsa_exception_fp_ieee_invalid_op 0
		.amdhsa_exception_fp_denorm_src 0
		.amdhsa_exception_fp_ieee_div_zero 0
		.amdhsa_exception_fp_ieee_overflow 0
		.amdhsa_exception_fp_ieee_underflow 0
		.amdhsa_exception_fp_ieee_inexact 0
		.amdhsa_exception_int_div_zero 0
	.end_amdhsa_kernel
	.section	.text._ZN12_GLOBAL__N_120geam_min_plus_kernelIDF16_Dv2_DF16_S1_Li8ELi32ELi64ELi128ELi4ELi4ELi64ELi4ELi64ELc84ELc78ELb0ELb1ELb0EDF16_KPKDF16_KPDF16_EEviiiT16_PT17_ilS9_ilS7_S9_ilPT18_ili26rocblas_geam_ex_operation_,"axG",@progbits,_ZN12_GLOBAL__N_120geam_min_plus_kernelIDF16_Dv2_DF16_S1_Li8ELi32ELi64ELi128ELi4ELi4ELi64ELi4ELi64ELc84ELc78ELb0ELb1ELb0EDF16_KPKDF16_KPDF16_EEviiiT16_PT17_ilS9_ilS7_S9_ilPT18_ili26rocblas_geam_ex_operation_,comdat
.Lfunc_end242:
	.size	_ZN12_GLOBAL__N_120geam_min_plus_kernelIDF16_Dv2_DF16_S1_Li8ELi32ELi64ELi128ELi4ELi4ELi64ELi4ELi64ELc84ELc78ELb0ELb1ELb0EDF16_KPKDF16_KPDF16_EEviiiT16_PT17_ilS9_ilS7_S9_ilPT18_ili26rocblas_geam_ex_operation_, .Lfunc_end242-_ZN12_GLOBAL__N_120geam_min_plus_kernelIDF16_Dv2_DF16_S1_Li8ELi32ELi64ELi128ELi4ELi4ELi64ELi4ELi64ELc84ELc78ELb0ELb1ELb0EDF16_KPKDF16_KPDF16_EEviiiT16_PT17_ilS9_ilS7_S9_ilPT18_ili26rocblas_geam_ex_operation_
                                        ; -- End function
	.set _ZN12_GLOBAL__N_120geam_min_plus_kernelIDF16_Dv2_DF16_S1_Li8ELi32ELi64ELi128ELi4ELi4ELi64ELi4ELi64ELc84ELc78ELb0ELb1ELb0EDF16_KPKDF16_KPDF16_EEviiiT16_PT17_ilS9_ilS7_S9_ilPT18_ili26rocblas_geam_ex_operation_.num_vgpr, 119
	.set _ZN12_GLOBAL__N_120geam_min_plus_kernelIDF16_Dv2_DF16_S1_Li8ELi32ELi64ELi128ELi4ELi4ELi64ELi4ELi64ELc84ELc78ELb0ELb1ELb0EDF16_KPKDF16_KPDF16_EEviiiT16_PT17_ilS9_ilS7_S9_ilPT18_ili26rocblas_geam_ex_operation_.num_agpr, 0
	.set _ZN12_GLOBAL__N_120geam_min_plus_kernelIDF16_Dv2_DF16_S1_Li8ELi32ELi64ELi128ELi4ELi4ELi64ELi4ELi64ELc84ELc78ELb0ELb1ELb0EDF16_KPKDF16_KPDF16_EEviiiT16_PT17_ilS9_ilS7_S9_ilPT18_ili26rocblas_geam_ex_operation_.numbered_sgpr, 38
	.set _ZN12_GLOBAL__N_120geam_min_plus_kernelIDF16_Dv2_DF16_S1_Li8ELi32ELi64ELi128ELi4ELi4ELi64ELi4ELi64ELc84ELc78ELb0ELb1ELb0EDF16_KPKDF16_KPDF16_EEviiiT16_PT17_ilS9_ilS7_S9_ilPT18_ili26rocblas_geam_ex_operation_.num_named_barrier, 0
	.set _ZN12_GLOBAL__N_120geam_min_plus_kernelIDF16_Dv2_DF16_S1_Li8ELi32ELi64ELi128ELi4ELi4ELi64ELi4ELi64ELc84ELc78ELb0ELb1ELb0EDF16_KPKDF16_KPDF16_EEviiiT16_PT17_ilS9_ilS7_S9_ilPT18_ili26rocblas_geam_ex_operation_.private_seg_size, 0
	.set _ZN12_GLOBAL__N_120geam_min_plus_kernelIDF16_Dv2_DF16_S1_Li8ELi32ELi64ELi128ELi4ELi4ELi64ELi4ELi64ELc84ELc78ELb0ELb1ELb0EDF16_KPKDF16_KPDF16_EEviiiT16_PT17_ilS9_ilS7_S9_ilPT18_ili26rocblas_geam_ex_operation_.uses_vcc, 1
	.set _ZN12_GLOBAL__N_120geam_min_plus_kernelIDF16_Dv2_DF16_S1_Li8ELi32ELi64ELi128ELi4ELi4ELi64ELi4ELi64ELc84ELc78ELb0ELb1ELb0EDF16_KPKDF16_KPDF16_EEviiiT16_PT17_ilS9_ilS7_S9_ilPT18_ili26rocblas_geam_ex_operation_.uses_flat_scratch, 0
	.set _ZN12_GLOBAL__N_120geam_min_plus_kernelIDF16_Dv2_DF16_S1_Li8ELi32ELi64ELi128ELi4ELi4ELi64ELi4ELi64ELc84ELc78ELb0ELb1ELb0EDF16_KPKDF16_KPDF16_EEviiiT16_PT17_ilS9_ilS7_S9_ilPT18_ili26rocblas_geam_ex_operation_.has_dyn_sized_stack, 0
	.set _ZN12_GLOBAL__N_120geam_min_plus_kernelIDF16_Dv2_DF16_S1_Li8ELi32ELi64ELi128ELi4ELi4ELi64ELi4ELi64ELc84ELc78ELb0ELb1ELb0EDF16_KPKDF16_KPDF16_EEviiiT16_PT17_ilS9_ilS7_S9_ilPT18_ili26rocblas_geam_ex_operation_.has_recursion, 0
	.set _ZN12_GLOBAL__N_120geam_min_plus_kernelIDF16_Dv2_DF16_S1_Li8ELi32ELi64ELi128ELi4ELi4ELi64ELi4ELi64ELc84ELc78ELb0ELb1ELb0EDF16_KPKDF16_KPDF16_EEviiiT16_PT17_ilS9_ilS7_S9_ilPT18_ili26rocblas_geam_ex_operation_.has_indirect_call, 0
	.section	.AMDGPU.csdata,"",@progbits
; Kernel info:
; codeLenInByte = 11344
; TotalNumSgprs: 44
; NumVgprs: 119
; NumAgprs: 0
; TotalNumVgprs: 119
; ScratchSize: 0
; MemoryBound: 0
; FloatMode: 240
; IeeeMode: 1
; LDSByteSize: 3072 bytes/workgroup (compile time only)
; SGPRBlocks: 5
; VGPRBlocks: 14
; NumSGPRsForWavesPerEU: 44
; NumVGPRsForWavesPerEU: 119
; AccumOffset: 120
; Occupancy: 4
; WaveLimiterHint : 1
; COMPUTE_PGM_RSRC2:SCRATCH_EN: 0
; COMPUTE_PGM_RSRC2:USER_SGPR: 2
; COMPUTE_PGM_RSRC2:TRAP_HANDLER: 0
; COMPUTE_PGM_RSRC2:TGID_X_EN: 1
; COMPUTE_PGM_RSRC2:TGID_Y_EN: 0
; COMPUTE_PGM_RSRC2:TGID_Z_EN: 1
; COMPUTE_PGM_RSRC2:TIDIG_COMP_CNT: 1
; COMPUTE_PGM_RSRC3_GFX90A:ACCUM_OFFSET: 29
; COMPUTE_PGM_RSRC3_GFX90A:TG_SPLIT: 0
	.section	.text._ZN12_GLOBAL__N_120geam_min_plus_kernelIDF16_Dv2_DF16_S1_Li8ELi32ELi64ELi128ELi4ELi64ELi4ELi64ELi4ELc78ELc84ELb0ELb0ELb0EPKDF16_KS3_KPDF16_EEviiiT16_PT17_ilS9_ilS7_S9_ilPT18_ili26rocblas_geam_ex_operation_,"axG",@progbits,_ZN12_GLOBAL__N_120geam_min_plus_kernelIDF16_Dv2_DF16_S1_Li8ELi32ELi64ELi128ELi4ELi64ELi4ELi64ELi4ELc78ELc84ELb0ELb0ELb0EPKDF16_KS3_KPDF16_EEviiiT16_PT17_ilS9_ilS7_S9_ilPT18_ili26rocblas_geam_ex_operation_,comdat
	.globl	_ZN12_GLOBAL__N_120geam_min_plus_kernelIDF16_Dv2_DF16_S1_Li8ELi32ELi64ELi128ELi4ELi64ELi4ELi64ELi4ELc78ELc84ELb0ELb0ELb0EPKDF16_KS3_KPDF16_EEviiiT16_PT17_ilS9_ilS7_S9_ilPT18_ili26rocblas_geam_ex_operation_ ; -- Begin function _ZN12_GLOBAL__N_120geam_min_plus_kernelIDF16_Dv2_DF16_S1_Li8ELi32ELi64ELi128ELi4ELi64ELi4ELi64ELi4ELc78ELc84ELb0ELb0ELb0EPKDF16_KS3_KPDF16_EEviiiT16_PT17_ilS9_ilS7_S9_ilPT18_ili26rocblas_geam_ex_operation_
	.p2align	8
	.type	_ZN12_GLOBAL__N_120geam_min_plus_kernelIDF16_Dv2_DF16_S1_Li8ELi32ELi64ELi128ELi4ELi64ELi4ELi64ELi4ELc78ELc84ELb0ELb0ELb0EPKDF16_KS3_KPDF16_EEviiiT16_PT17_ilS9_ilS7_S9_ilPT18_ili26rocblas_geam_ex_operation_,@function
_ZN12_GLOBAL__N_120geam_min_plus_kernelIDF16_Dv2_DF16_S1_Li8ELi32ELi64ELi128ELi4ELi64ELi4ELi64ELi4ELc78ELc84ELb0ELb0ELb0EPKDF16_KS3_KPDF16_EEviiiT16_PT17_ilS9_ilS7_S9_ilPT18_ili26rocblas_geam_ex_operation_: ; @_ZN12_GLOBAL__N_120geam_min_plus_kernelIDF16_Dv2_DF16_S1_Li8ELi32ELi64ELi128ELi4ELi64ELi4ELi64ELi4ELc78ELc84ELb0ELb0ELb0EPKDF16_KS3_KPDF16_EEviiiT16_PT17_ilS9_ilS7_S9_ilPT18_ili26rocblas_geam_ex_operation_
; %bb.0:
	s_load_dwordx4 s[8:11], s[0:1], 0x10
	s_load_dwordx4 s[12:15], s[0:1], 0x28
	s_mov_b32 s22, s3
	s_mov_b32 s23, 0
	s_lshl_b64 s[4:5], s[22:23], 1
	s_waitcnt lgkmcnt(0)
	s_add_u32 s6, s8, s4
	s_addc_u32 s7, s9, s5
	v_mov_b32_e32 v1, 0
	global_load_ushort v37, v1, s[6:7]
	s_load_dwordx4 s[16:19], s[0:1], 0x40
	s_load_dwordx2 s[24:25], s[0:1], 0x50
	s_mov_b64 s[20:21], 0
	s_waitcnt lgkmcnt(0)
	s_add_u32 s4, s18, s4
	s_addc_u32 s5, s19, s5
	s_mov_b64 s[18:19], 0
	s_waitcnt vmcnt(0)
	v_cmp_eq_f16_e32 vcc, 0, v37
	s_and_b64 s[8:9], exec, vcc
	v_cmp_neq_f16_e64 s[6:7], 0, v37
	s_mov_b64 vcc, s[8:9]
	s_cbranch_vccnz .LBB243_2
; %bb.1:
	s_lshl_b64 s[18:19], s[22:23], 3
	s_add_u32 s10, s10, s18
	s_addc_u32 s11, s11, s19
	s_load_dwordx2 s[10:11], s[10:11], 0x0
	s_lshl_b64 s[12:13], s[12:13], 1
	s_waitcnt lgkmcnt(0)
	s_add_u32 s18, s10, s12
	s_addc_u32 s19, s11, s13
.LBB243_2:
	global_load_ushort v52, v1, s[4:5]
	v_cndmask_b32_e64 v1, 0, 1, s[6:7]
	v_cmp_ne_u32_e64 s[4:5], 1, v1
	s_andn2_b64 vcc, exec, s[6:7]
	s_cbranch_vccnz .LBB243_4
; %bb.3:
	s_lshl_b64 s[6:7], s[22:23], 3
	s_add_u32 s6, s14, s6
	s_addc_u32 s7, s15, s7
	s_load_dwordx2 s[6:7], s[6:7], 0x0
	s_lshl_b64 s[10:11], s[16:17], 1
	s_waitcnt lgkmcnt(0)
	s_add_u32 s20, s6, s10
	s_addc_u32 s21, s7, s11
.LBB243_4:
	s_load_dwordx4 s[12:15], s[0:1], 0x60
	s_waitcnt vmcnt(0)
	v_cmp_eq_f16_e32 vcc, 0, v52
	s_cbranch_vccnz .LBB243_6
; %bb.5:
	s_lshl_b64 s[6:7], s[22:23], 3
	s_add_u32 s6, s24, s6
	s_addc_u32 s7, s25, s7
	s_load_dwordx2 s[6:7], s[6:7], 0x0
	s_waitcnt lgkmcnt(0)
	s_lshl_b64 s[10:11], s[12:13], 1
	s_add_u32 s6, s6, s10
	s_addc_u32 s7, s7, s11
	s_branch .LBB243_7
.LBB243_6:
	s_mov_b64 s[6:7], 0
.LBB243_7:
	s_load_dword s16, s[0:1], 0x20
	s_waitcnt lgkmcnt(0)
	s_load_dword s12, s[0:1], 0x38
	s_load_dword s3, s[0:1], 0x0
	s_lshl_b64 s[10:11], s[22:23], 3
	v_and_b32_e32 v36, 0x3ff, v0
	s_ashr_i32 s17, s16, 31
	s_waitcnt lgkmcnt(0)
	s_ashr_i32 s13, s12, 31
	s_add_u32 s10, s14, s10
	s_addc_u32 s11, s15, s11
	s_add_i32 s3, s3, -1
	s_ashr_i32 s14, s3, 31
	s_lshr_b32 s14, s14, 26
	s_add_i32 s3, s3, s14
	s_ashr_i32 s3, s3, 6
	s_add_i32 s14, s3, 1
	v_cvt_f32_u32_e32 v1, s14
	s_not_b32 s3, s3
	v_bfe_u32 v48, v0, 10, 10
	v_lshl_add_u32 v0, v48, 3, v36
	v_rcp_iflag_f32_e32 v1, v1
	v_and_b32_e32 v4, 63, v0
	v_lshrrev_b32_e32 v5, 6, v0
	v_mov_b32_e32 v8, 0
	v_mul_f32_e32 v1, 0x4f7ffffe, v1
	v_cvt_u32_f32_e32 v1, v1
	s_nop 0
	v_readfirstlane_b32 s15, v1
	s_mul_i32 s3, s3, s15
	s_mul_hi_u32 s3, s15, s3
	s_add_i32 s15, s15, s3
	s_mul_hi_u32 s3, s2, s15
	s_mul_i32 s15, s3, s14
	s_sub_i32 s15, s2, s15
	s_add_i32 s22, s3, 1
	s_sub_i32 s23, s15, s14
	s_cmp_ge_u32 s15, s14
	s_cselect_b32 s3, s22, s3
	s_cselect_b32 s15, s23, s15
	s_add_i32 s22, s3, 1
	s_cmp_ge_u32 s15, s14
	s_cselect_b32 s22, s22, s3
	s_mul_i32 s3, s22, s14
	s_sub_i32 s14, s2, s3
	s_lshl_b32 s15, s14, 6
	s_lshl_b32 s14, s22, 7
	v_or_b32_e32 v2, s15, v4
	v_or_b32_e32 v0, s14, v4
	s_and_b64 vcc, exec, s[4:5]
	v_ashrrev_i32_e32 v3, 31, v2
	v_ashrrev_i32_e32 v1, 31, v0
	s_cbranch_vccnz .LBB243_10
; %bb.8:
	v_mad_i64_i32 v[6:7], s[22:23], s16, v5, 0
	v_lshl_add_u64 v[6:7], v[6:7], 1, s[18:19]
	v_lshl_add_u64 v[6:7], v[2:3], 1, v[6:7]
	flat_load_ushort v9, v[6:7]
	v_mad_i64_i32 v[6:7], s[22:23], s12, v5, 0
	v_lshl_add_u64 v[6:7], v[6:7], 1, s[20:21]
	v_lshl_add_u64 v[6:7], v[0:1], 1, v[6:7]
	flat_load_ushort v10, v[6:7]
	flat_load_ushort v11, v[6:7] offset:128
	s_waitcnt vmcnt(0) lgkmcnt(0)
	v_mul_f16_e32 v9, v37, v9
	v_mul_f16_e32 v6, v37, v10
	v_pack_b32_f16 v6, v6, 0
	v_mul_f16_e32 v7, v37, v11
	s_and_b64 vcc, exec, s[4:5]
	s_cbranch_vccnz .LBB243_11
.LBB243_9:
	v_add_u32_e32 v8, 4, v5
	v_mad_i64_i32 v[10:11], s[4:5], s16, v8, 0
	v_lshl_add_u64 v[10:11], v[10:11], 1, s[18:19]
	v_lshl_add_u64 v[2:3], v[2:3], 1, v[10:11]
	flat_load_ushort v10, v[2:3]
	v_mad_i64_i32 v[2:3], s[4:5], s12, v8, 0
	v_lshl_add_u64 v[2:3], v[2:3], 1, s[20:21]
	v_lshl_add_u64 v[0:1], v[0:1], 1, v[2:3]
	flat_load_ushort v2, v[0:1]
	flat_load_ushort v3, v[0:1] offset:128
	s_waitcnt vmcnt(0) lgkmcnt(0)
	v_mul_f16_e32 v8, v37, v10
	v_mul_f16_e32 v0, v37, v2
	v_pack_b32_f16 v1, v0, 0
	v_mul_f16_e32 v2, v37, v3
	s_branch .LBB243_12
.LBB243_10:
	v_mov_b32_e32 v6, 0
	v_mov_b32_e32 v9, 0
	;; [unrolled: 1-line block ×3, first 2 shown]
	s_and_b64 vcc, exec, s[4:5]
	s_cbranch_vccz .LBB243_9
.LBB243_11:
	v_mov_b32_e32 v1, 0
	v_mov_b32_e32 v2, 0
.LBB243_12:
	v_lshlrev_b32_e32 v0, 3, v4
	v_lshl_add_u32 v40, v5, 1, v0
	v_lshlrev_b32_e32 v39, 3, v36
	v_lshlrev_b32_e32 v38, 3, v48
	s_load_dwordx2 s[10:11], s[10:11], 0x0
	ds_write_b16 v40, v9 offset:2048
	ds_write_b16 v40, v6
	ds_write_b16 v40, v7 offset:512
	s_waitcnt lgkmcnt(0)
	s_barrier
	ds_read2_b64 v[10:13], v38 offset1:32
	v_add_u32_e32 v41, 0x800, v39
	ds_read2_b64 v[14:17], v41 offset0:48 offset1:56
	ds_read2_b64 v[18:21], v38 offset0:64 offset1:96
	ds_read2_b64 v[22:25], v41 offset1:8
	ds_read2_b64 v[26:29], v41 offset0:16 offset1:24
	ds_read2_b64 v[30:33], v41 offset0:32 offset1:40
	s_waitcnt lgkmcnt(5)
	v_pk_max_f16 v0, v10, v10
	s_waitcnt lgkmcnt(4)
	v_pk_max_f16 v3, v16, v16
	v_pk_max_f16 v10, v12, v12
	v_pk_min_f16 v9, v3, v0
	s_waitcnt lgkmcnt(3)
	v_pk_max_f16 v12, v18, v18
	s_waitcnt lgkmcnt(2)
	v_pk_max_f16 v16, v22, v22
	v_pk_max_f16 v20, v20, v20
	v_pk_max_f16 v24, v24, v24
	s_waitcnt lgkmcnt(1)
	v_pk_max_f16 v26, v26, v26
	v_pk_max_f16 v28, v28, v28
	;; [unrolled: 4-line block ×3, first 2 shown]
	v_pk_max_f16 v14, v14, v14
	v_pk_max_f16 v17, v17, v17
	v_pk_min_f16 v18, v16, v0
	v_pk_min_f16 v22, v16, v10
	;; [unrolled: 1-line block ×16, first 2 shown]
	v_pk_max_f16 v13, v13, v13
	v_pk_min_f16 v62, v30, v0
	v_pk_min_f16 v63, v30, v10
	;; [unrolled: 1-line block ×15, first 2 shown]
	v_pk_add_f16 v9, v9, 0
	v_pk_min_f16 v20, v17, v11
	v_pk_max_f16 v19, v19, v19
	v_pk_add_f16 v45, v9, v20
	v_pk_add_f16 v9, v42, 0
	v_pk_min_f16 v20, v17, v13
	v_pk_max_f16 v23, v23, v23
	v_pk_add_f16 v42, v9, v20
	;; [unrolled: 4-line block ×6, first 2 shown]
	v_pk_add_f16 v9, v16, 0
	v_pk_min_f16 v16, v23, v21
	v_pk_add_f16 v23, v62, 0
	v_pk_add_f16 v49, v9, v16
	v_pk_add_f16 v9, v35, 0
	v_pk_min_f16 v16, v25, v11
	v_pk_add_f16 v18, v60, 0
	v_pk_add_f16 v51, v9, v16
	;; [unrolled: 4-line block ×7, first 2 shown]
	v_pk_add_f16 v9, v58, 0
	v_pk_min_f16 v16, v27, v19
	v_pk_min_f16 v27, v27, v21
	v_pk_add_f16 v57, v9, v16
	v_pk_add_f16 v9, v26, 0
	;; [unrolled: 1-line block ×4, first 2 shown]
	v_pk_min_f16 v9, v29, v11
	v_pk_add_f16 v26, v30, 0
	v_pk_add_f16 v63, v16, v9
	v_pk_min_f16 v9, v29, v13
	v_pk_add_f16 v30, v66, 0
	v_pk_add_f16 v65, v18, v9
	;; [unrolled: 3-line block ×4, first 2 shown]
	v_pk_max_f16 v9, v31, v31
	s_load_dword s22, s[0:1], 0x8
	v_pk_min_f16 v16, v9, v11
	v_pk_add_f16 v0, v0, 0
	v_pk_add_f16 v59, v23, v16
	v_pk_min_f16 v16, v9, v13
	v_pk_add_f16 v10, v10, 0
	v_pk_add_f16 v61, v24, v16
	v_pk_min_f16 v16, v9, v19
	v_pk_min_f16 v9, v9, v21
	v_pk_add_f16 v64, v25, v16
	v_pk_add_f16 v66, v26, v9
	v_pk_max_f16 v9, v33, v33
	v_pk_add_f16 v12, v12, 0
	v_pk_min_f16 v16, v9, v11
	v_pk_add_f16 v14, v14, 0
	v_pk_add_f16 v67, v28, v16
	v_pk_min_f16 v16, v9, v13
	v_pk_add_f16 v3, v3, 0
	v_pk_add_f16 v68, v30, v16
	v_pk_min_f16 v16, v9, v19
	v_pk_min_f16 v9, v9, v21
	v_pk_add_f16 v69, v34, v16
	v_pk_add_f16 v70, v32, v9
	v_pk_max_f16 v9, v15, v15
	s_waitcnt lgkmcnt(0)
	s_cmp_lt_i32 s22, 9
	v_pk_min_f16 v11, v9, v11
	ds_write_b16 v40, v8 offset:2560
	ds_write_b16 v40, v1 offset:1024
	;; [unrolled: 1-line block ×3, first 2 shown]
	v_pk_add_f16 v71, v0, v11
	v_pk_min_f16 v0, v9, v13
	s_waitcnt lgkmcnt(0)
	v_pk_add_f16 v72, v10, v0
	v_pk_min_f16 v0, v9, v19
	s_barrier
	v_pk_add_f16 v73, v12, v0
	v_pk_min_f16 v0, v9, v21
	s_nop 0
	v_pk_add_f16 v74, v14, v0
	v_pk_min_f16 v0, v17, v21
	s_nop 0
	v_pk_add_f16 v75, v3, v0
	s_cbranch_scc1 .LBB243_23
; %bb.13:
	s_mov_b32 s23, 0x5040100
	v_perm_b32 v86, v2, v1, s23
	v_mov_b32_e32 v1, 0xa00
	v_lshl_add_u32 v79, v36, 3, v1
	v_mov_b32_e32 v1, 0x400
	v_lshl_add_u32 v80, v48, 3, v1
	v_add_u32_e32 v1, 8, v5
	v_mad_i64_i32 v[2:3], s[4:5], v1, s12, 0
	v_lshlrev_b64 v[24:25], 1, v[2:3]
	v_add_u32_e32 v2, s14, v4
	v_ashrrev_i32_e32 v3, 31, v2
	v_add_u32_e32 v5, 12, v5
	v_lshl_add_u64 v[26:27], v[2:3], 1, s[20:21]
	v_mad_i64_i32 v[2:3], s[20:21], v5, s16, 0
	v_lshlrev_b64 v[28:29], 1, v[2:3]
	v_lshl_or_b32 v2, s2, 6, v4
	s_lshl_b32 s2, s3, 6
	v_subrev_u32_e32 v2, s2, v2
	v_ashrrev_i32_e32 v3, 31, v2
	v_lshl_add_u64 v[30:31], v[2:3], 1, s[18:19]
	s_lshl_b64 s[2:3], s[16:17], 4
	v_mad_i64_i32 v[2:3], s[16:17], v1, s16, 0
	s_lshl_b64 s[4:5], s[12:13], 4
	v_lshlrev_b64 v[32:33], 1, v[2:3]
	v_mad_i64_i32 v[2:3], s[12:13], v5, s12, 0
	v_or_b32_e32 v76, 0x800, v40
	v_add_u32_e32 v77, 0xa00, v40
	v_or_b32_e32 v78, 0x400, v40
	s_add_i32 s22, s22, -8
	v_perm_b32 v0, v7, v6, s23
	v_lshlrev_b64 v[34:35], 1, v[2:3]
	s_mov_b32 s16, 0
	s_mov_b32 s17, 0xffff
	s_branch .LBB243_15
.LBB243_14:                             ;   in Loop: Header=BB243_15 Depth=1
	v_pk_max_f16 v2, v2, v2
	v_pk_max_f16 v20, v20, v20
	;; [unrolled: 1-line block ×10, first 2 shown]
	v_pk_min_f16 v92, v8, v20
	v_pk_max_f16 v21, v21, v21
	v_pk_max_f16 v23, v23, v23
	v_pk_min_f16 v93, v8, v22
	v_pk_min_f16 v94, v8, v16
	;; [unrolled: 1-line block ×3, first 2 shown]
	v_pk_max_f16 v17, v17, v17
	v_pk_max_f16 v19, v19, v19
	;; [unrolled: 1-line block ×9, first 2 shown]
	v_pk_min_f16 v98, v4, v20
	v_pk_max_f16 v0, v0, v0
	v_pk_max_f16 v3, v3, v3
	;; [unrolled: 1-line block ×3, first 2 shown]
	v_pk_min_f16 v99, v4, v22
	v_pk_min_f16 v100, v4, v16
	v_pk_min_f16 v4, v4, v18
	v_pk_min_f16 v101, v6, v20
	v_pk_min_f16 v102, v6, v22
	v_pk_min_f16 v103, v6, v16
	v_pk_min_f16 v6, v6, v18
	v_pk_min_f16 v104, v2, v20
	v_pk_min_f16 v86, v12, v20
	v_pk_min_f16 v87, v12, v22
	v_pk_min_f16 v88, v12, v16
	v_pk_min_f16 v12, v12, v18
	v_pk_min_f16 v89, v14, v20
	v_pk_min_f16 v90, v14, v22
	v_pk_min_f16 v91, v14, v16
	v_pk_min_f16 v14, v14, v18
	v_pk_min_f16 v95, v10, v20
	v_pk_min_f16 v96, v10, v22
	v_pk_min_f16 v97, v10, v16
	v_pk_min_f16 v10, v10, v18
	v_pk_min_f16 v20, v0, v20
	v_pk_min_f16 v105, v2, v22
	v_pk_min_f16 v22, v0, v22
	v_pk_min_f16 v106, v2, v16
	v_pk_min_f16 v16, v0, v16
	v_pk_min_f16 v0, v0, v18
	v_pk_min_f16 v2, v2, v18
	v_pk_min_f16 v18, v13, v21
	v_pk_min_f16 v107, v13, v23
	v_pk_min_f16 v108, v13, v17
	v_pk_min_f16 v13, v13, v19
	v_pk_min_f16 v109, v15, v21
	v_pk_min_f16 v110, v15, v23
	v_pk_min_f16 v111, v15, v17
	v_pk_min_f16 v15, v15, v19
	v_pk_min_f16 v112, v9, v21
	v_pk_min_f16 v113, v9, v23
	v_pk_min_f16 v114, v9, v17
	v_pk_min_f16 v9, v9, v19
	v_pk_min_f16 v115, v11, v21
	v_pk_min_f16 v116, v11, v23
	v_pk_min_f16 v117, v11, v17
	v_pk_min_f16 v11, v11, v19
	v_pk_min_f16 v118, v5, v21
	v_pk_min_f16 v119, v5, v23
	v_pk_min_f16 v120, v5, v17
	v_pk_min_f16 v5, v5, v19
	v_pk_min_f16 v121, v7, v21
	v_pk_min_f16 v122, v7, v23
	v_pk_min_f16 v123, v7, v17
	v_pk_min_f16 v7, v7, v19
	v_pk_min_f16 v124, v3, v21
	v_pk_min_f16 v21, v1, v21
	v_pk_min_f16 v125, v3, v23
	v_pk_min_f16 v23, v1, v23
	v_pk_min_f16 v126, v3, v17
	v_pk_min_f16 v17, v1, v17
	v_pk_min_f16 v1, v1, v19
	v_pk_min_f16 v19, v3, v19
	v_pk_add_f16 v3, v45, v104
	v_pk_add_f16 v8, v62, v8
	;; [unrolled: 1-line block ×25, first 2 shown]
	ds_read2_b64 v[2:5], v41 offset0:48 offset1:56
	ds_read2_b64 v[6:9], v38 offset1:32
	v_pk_add_f16 v43, v43, v86
	v_pk_add_f16 v12, v49, v12
	;; [unrolled: 1-line block ×3, first 2 shown]
	s_waitcnt lgkmcnt(1)
	v_pk_max_f16 v4, v4, v4
	s_waitcnt lgkmcnt(0)
	v_pk_max_f16 v6, v6, v6
	v_pk_add_f16 v18, v43, v18
	v_pk_add_f16 v43, v45, v107
	;; [unrolled: 1-line block ×6, first 2 shown]
	ds_read2_b64 v[10:13], v38 offset0:64 offset1:96
	v_pk_min_f16 v14, v4, v6
	v_pk_add_f16 v22, v22, v23
	v_pk_add_f16 v23, v16, v17
	;; [unrolled: 1-line block ×3, first 2 shown]
	ds_read2_b64 v[14:17], v41 offset1:8
	v_pk_add_f16 v42, v42, v105
	v_pk_max_f16 v8, v8, v8
	v_pk_add_f16 v44, v44, v106
	v_pk_add_f16 v42, v42, v125
	;; [unrolled: 1-line block ×3, first 2 shown]
	v_pk_min_f16 v19, v4, v8
	s_waitcnt lgkmcnt(1)
	v_pk_max_f16 v10, v10, v10
	v_pk_add_f16 v44, v44, v126
	v_pk_add_f16 v42, v42, v19
	v_pk_min_f16 v19, v4, v10
	s_waitcnt lgkmcnt(0)
	v_pk_max_f16 v14, v14, v14
	v_pk_add_f16 v44, v44, v19
	v_pk_min_f16 v19, v14, v6
	v_pk_add_f16 v0, v74, v0
	v_pk_add_f16 v74, v18, v19
	v_pk_min_f16 v18, v14, v8
	v_pk_max_f16 v16, v16, v16
	v_pk_add_f16 v75, v43, v18
	v_pk_min_f16 v18, v14, v10
	v_pk_add_f16 v49, v55, v90
	v_pk_add_f16 v47, v47, v109
	;; [unrolled: 1-line block ×3, first 2 shown]
	v_perm_b32 v0, v85, v84, s23
	v_pk_add_f16 v84, v45, v18
	v_pk_min_f16 v18, v16, v6
	v_pk_add_f16 v49, v49, v110
	v_pk_add_f16 v85, v47, v18
	v_pk_min_f16 v18, v16, v8
	v_pk_add_f16 v73, v20, v21
	v_pk_add_f16 v86, v49, v18
	ds_read2_b64 v[18:21], v41 offset0:16 offset1:24
	v_pk_add_f16 v50, v50, v91
	v_pk_min_f16 v43, v16, v10
	v_pk_add_f16 v50, v50, v111
	v_pk_add_f16 v51, v51, v112
	s_waitcnt lgkmcnt(0)
	v_pk_max_f16 v18, v18, v18
	v_pk_add_f16 v50, v50, v43
	v_pk_min_f16 v43, v18, v6
	v_pk_add_f16 v53, v53, v113
	v_pk_max_f16 v12, v12, v12
	v_pk_add_f16 v87, v51, v43
	v_pk_min_f16 v43, v18, v8
	v_pk_min_f16 v16, v16, v12
	v_pk_add_f16 v88, v53, v43
	v_pk_min_f16 v43, v18, v10
	v_pk_min_f16 v18, v18, v12
	v_pk_add_f16 v55, v63, v95
	v_pk_add_f16 v62, v68, v102
	;; [unrolled: 1-line block ×5, first 2 shown]
	ds_read2_b64 v[66:69], v41 offset0:32 offset1:40
	v_pk_add_f16 v54, v54, v114
	v_pk_max_f16 v20, v20, v20
	v_pk_add_f16 v55, v55, v115
	v_pk_add_f16 v89, v54, v43
	v_pk_min_f16 v43, v20, v6
	v_pk_add_f16 v56, v56, v116
	v_pk_add_f16 v90, v55, v43
	v_pk_min_f16 v43, v20, v8
	;; [unrolled: 3-line block ×3, first 2 shown]
	v_pk_add_f16 v58, v58, v118
	v_pk_add_f16 v92, v57, v43
	s_waitcnt lgkmcnt(0)
	v_pk_max_f16 v43, v66, v66
	v_pk_add_f16 v59, v59, v119
	v_pk_min_f16 v45, v43, v6
	v_pk_min_f16 v20, v20, v12
	v_pk_add_f16 v66, v58, v45
	v_pk_min_f16 v45, v43, v8
	v_pk_add_f16 v20, v70, v20
	v_pk_add_f16 v70, v59, v45
	v_pk_min_f16 v45, v43, v10
	v_pk_min_f16 v43, v43, v12
	v_pk_add_f16 v60, v60, v120
	v_pk_add_f16 v71, v71, v43
	v_pk_max_f16 v43, v68, v68
	v_pk_add_f16 v61, v61, v121
	v_pk_add_f16 v93, v60, v45
	v_pk_min_f16 v45, v43, v6
	v_pk_add_f16 v62, v62, v122
	v_pk_add_f16 v68, v61, v45
	v_pk_min_f16 v45, v43, v8
	v_pk_max_f16 v2, v2, v2
	v_pk_add_f16 v94, v62, v45
	v_pk_min_f16 v45, v43, v10
	v_pk_min_f16 v6, v2, v6
	;; [unrolled: 1-line block ×5, first 2 shown]
	v_pk_add_f16 v63, v63, v123
	v_pk_add_f16 v1, v1, v2
	v_pk_min_f16 v2, v4, v12
	v_pk_max_f16 v4, v5, v5
	v_pk_max_f16 v5, v7, v7
	v_pk_add_f16 v95, v63, v45
	v_pk_min_f16 v7, v4, v5
	v_pk_min_f16 v14, v14, v12
	v_pk_add_f16 v45, v65, v7
	v_pk_max_f16 v7, v9, v9
	v_pk_min_f16 v43, v43, v12
	v_pk_min_f16 v9, v4, v7
	v_pk_add_f16 v72, v72, v43
	v_pk_add_f16 v42, v42, v9
	v_pk_max_f16 v9, v11, v11
	v_pk_add_f16 v14, v46, v14
	v_pk_min_f16 v11, v4, v9
	v_pk_add_f16 v2, v64, v2
	v_pk_add_f16 v44, v44, v11
	v_pk_max_f16 v11, v15, v15
	v_pk_max_f16 v3, v3, v3
	v_pk_min_f16 v12, v11, v5
	v_pk_add_f16 v6, v73, v6
	v_pk_add_f16 v43, v74, v12
	v_pk_min_f16 v12, v11, v7
	v_pk_add_f16 v8, v22, v8
	v_pk_add_f16 v46, v75, v12
	;; [unrolled: 3-line block ×3, first 2 shown]
	v_pk_max_f16 v12, v13, v13
	s_add_i32 s16, s16, 8
	v_pk_min_f16 v11, v11, v12
	v_lshl_add_u64 v[26:27], v[26:27], 0, s[4:5]
	v_pk_add_f16 v49, v14, v11
	v_pk_max_f16 v11, v17, v17
	s_cmp_ge_i32 s16, s22
	v_pk_min_f16 v13, v11, v5
	v_lshl_add_u64 v[30:31], v[30:31], 0, s[2:3]
	v_pk_add_f16 v51, v85, v13
	v_pk_min_f16 v13, v11, v7
	ds_write_b16 v77, v82
	ds_write_b16 v78, v81
	ds_write_b16 v78, v83 offset:512
	v_pk_add_f16 v55, v86, v13
	v_pk_min_f16 v13, v11, v9
	v_pk_min_f16 v11, v11, v12
	v_pk_add_f16 v50, v50, v13
	v_pk_add_f16 v54, v16, v11
	v_pk_max_f16 v11, v19, v19
	v_perm_b32 v86, v83, v81, s23
	v_pk_min_f16 v13, v11, v5
	s_waitcnt lgkmcnt(0)
	v_pk_add_f16 v53, v87, v13
	v_pk_min_f16 v13, v11, v7
	s_barrier
	v_pk_add_f16 v56, v88, v13
	v_pk_min_f16 v13, v11, v9
	v_pk_min_f16 v11, v11, v12
	v_pk_add_f16 v57, v89, v13
	v_pk_add_f16 v62, v18, v11
	v_pk_max_f16 v11, v21, v21
	s_nop 0
	v_pk_min_f16 v13, v11, v5
	s_nop 0
	v_pk_add_f16 v63, v90, v13
	v_pk_min_f16 v13, v11, v7
	s_nop 0
	v_pk_add_f16 v65, v91, v13
	v_pk_min_f16 v13, v11, v9
	v_pk_min_f16 v11, v11, v12
	v_pk_add_f16 v58, v92, v13
	v_pk_add_f16 v60, v20, v11
	v_pk_max_f16 v11, v67, v67
	s_nop 0
	v_pk_min_f16 v13, v11, v5
	s_nop 0
	v_pk_add_f16 v59, v66, v13
	v_pk_min_f16 v13, v11, v7
	s_nop 0
	v_pk_add_f16 v61, v70, v13
	v_pk_min_f16 v13, v11, v9
	v_pk_min_f16 v11, v11, v12
	v_pk_add_f16 v64, v93, v13
	v_pk_add_f16 v66, v71, v11
	v_pk_max_f16 v11, v69, v69
	s_nop 0
	v_pk_min_f16 v13, v11, v5
	v_pk_min_f16 v5, v3, v5
	v_pk_add_f16 v67, v68, v13
	v_pk_min_f16 v13, v11, v7
	v_pk_add_f16 v71, v6, v5
	v_pk_add_f16 v68, v94, v13
	v_pk_min_f16 v13, v11, v9
	v_pk_min_f16 v11, v11, v12
	;; [unrolled: 1-line block ×3, first 2 shown]
	v_pk_add_f16 v70, v72, v11
	v_pk_add_f16 v72, v8, v5
	v_pk_min_f16 v5, v3, v9
	v_pk_min_f16 v3, v3, v12
	v_pk_add_f16 v69, v95, v13
	v_pk_add_f16 v74, v1, v3
	v_pk_min_f16 v1, v4, v12
	v_pk_add_f16 v73, v10, v5
	v_pk_add_f16 v75, v2, v1
	s_cbranch_scc1 .LBB243_23
.LBB243_15:                             ; =>This Inner Loop Header: Depth=1
	s_mov_b64 s[12:13], -1
	s_mov_b64 vcc, s[8:9]
                                        ; implicit-def: $vgpr84
	s_cbranch_vccz .LBB243_17
; %bb.16:                               ;   in Loop: Header=BB243_15 Depth=1
	v_and_b32_e32 v84, 0xffff0000, v0
	s_mov_b64 s[12:13], 0
.LBB243_17:                             ;   in Loop: Header=BB243_15 Depth=1
	v_mov_b32_e32 v81, 0
	s_andn2_b64 vcc, exec, s[12:13]
	v_mov_b32_e32 v85, 0
	s_cbranch_vccnz .LBB243_19
; %bb.18:                               ;   in Loop: Header=BB243_15 Depth=1
	v_lshl_add_u64 v[2:3], v[30:31], 0, v[32:33]
	flat_load_ushort v1, v[2:3]
	v_lshl_add_u64 v[2:3], v[26:27], 0, v[24:25]
	flat_load_ushort v4, v[2:3]
	flat_load_ushort v5, v[2:3] offset:128
	s_waitcnt vmcnt(0) lgkmcnt(0)
	v_mul_f16_e32 v81, v37, v1
	v_mul_f16_e32 v1, v37, v4
	v_bfi_b32 v84, s17, v1, v0
	v_mul_f16_e32 v85, v37, v5
.LBB243_19:                             ;   in Loop: Header=BB243_15 Depth=1
	ds_read2_b64 v[0:3], v79 offset0:48 offset1:56
	ds_read2_b64 v[16:19], v80 offset0:64 offset1:96
	ds_read2_b64 v[20:23], v80 offset1:32
	ds_read2_b64 v[12:15], v79 offset1:8
	ds_read2_b64 v[8:11], v79 offset0:16 offset1:24
	ds_read2_b64 v[4:7], v79 offset0:32 offset1:40
	s_mov_b64 s[12:13], -1
	s_mov_b64 vcc, s[8:9]
	ds_write_b16 v76, v81
	ds_write_b16 v40, v84
	ds_write_b16 v40, v85 offset:512
	s_waitcnt lgkmcnt(0)
	s_barrier
                                        ; implicit-def: $vgpr81
	s_cbranch_vccz .LBB243_21
; %bb.20:                               ;   in Loop: Header=BB243_15 Depth=1
	v_and_b32_e32 v81, 0xffff0000, v86
	s_mov_b64 s[12:13], 0
.LBB243_21:                             ;   in Loop: Header=BB243_15 Depth=1
	v_mov_b32_e32 v82, 0
	s_andn2_b64 vcc, exec, s[12:13]
	v_mov_b32_e32 v83, 0
	s_cbranch_vccnz .LBB243_14
; %bb.22:                               ;   in Loop: Header=BB243_15 Depth=1
	v_lshl_add_u64 v[82:83], v[30:31], 0, v[28:29]
	flat_load_ushort v81, v[82:83]
	v_lshl_add_u64 v[82:83], v[26:27], 0, v[34:35]
	flat_load_ushort v87, v[82:83]
	flat_load_ushort v88, v[82:83] offset:128
	s_waitcnt vmcnt(0) lgkmcnt(0)
	v_mul_f16_e32 v82, v37, v81
	v_mul_f16_e32 v81, v37, v87
	v_bfi_b32 v81, s17, v81, v86
	v_mul_f16_e32 v83, v37, v88
	s_branch .LBB243_14
.LBB243_23:
	v_add_u32_e32 v12, 0x800, v39
	s_load_dwordx2 s[2:3], s[0:1], 0x78
	s_load_dword s12, s[0:1], 0x58
	s_load_dword s13, s[0:1], 0x70
	ds_read2_b64 v[4:7], v12 offset0:112 offset1:120
	ds_read2_b64 v[8:11], v38 offset0:192 offset1:224
	;; [unrolled: 1-line block ×4, first 2 shown]
	s_waitcnt lgkmcnt(0)
	s_lshl_b64 s[0:1], s[2:3], 1
	v_pk_max_f16 v6, v6, v6
	v_pk_max_f16 v8, v8, v8
	;; [unrolled: 1-line block ×3, first 2 shown]
	v_pk_min_f16 v15, v6, v8
	v_pk_max_f16 v0, v0, v0
	v_pk_add_f16 v28, v44, v15
	v_pk_max_f16 v15, v16, v16
	v_pk_max_f16 v10, v10, v10
	v_pk_min_f16 v20, v15, v2
	v_pk_min_f16 v16, v15, v0
	v_pk_add_f16 v29, v46, v20
	v_pk_min_f16 v20, v15, v8
	v_pk_min_f16 v15, v15, v10
	v_pk_add_f16 v30, v47, v20
	v_pk_add_f16 v31, v49, v15
	v_pk_max_f16 v15, v18, v18
	v_pk_max_f16 v4, v4, v4
	v_pk_min_f16 v20, v15, v2
	v_pk_min_f16 v18, v15, v0
	v_pk_add_f16 v49, v55, v20
	ds_read2_b64 v[20:23], v12 offset0:80 offset1:88
	v_pk_min_f16 v24, v15, v8
	v_pk_min_f16 v15, v15, v10
	v_pk_add_f16 v18, v51, v18
	v_pk_add_f16 v51, v54, v15
	s_waitcnt lgkmcnt(0)
	v_pk_max_f16 v15, v20, v20
	v_pk_add_f16 v50, v50, v24
	v_pk_min_f16 v24, v15, v2
	v_pk_min_f16 v20, v15, v0
	v_pk_add_f16 v54, v56, v24
	v_pk_min_f16 v24, v15, v8
	v_pk_min_f16 v15, v15, v10
	v_pk_add_f16 v55, v57, v24
	v_pk_add_f16 v56, v62, v15
	v_pk_max_f16 v15, v22, v22
	v_pk_min_f16 v13, v6, v0
	v_pk_min_f16 v24, v15, v2
	;; [unrolled: 1-line block ×3, first 2 shown]
	v_pk_add_f16 v57, v65, v24
	ds_read2_b64 v[24:27], v12 offset0:96 offset1:104
	v_pk_min_f16 v12, v15, v8
	v_pk_add_f16 v22, v63, v22
	v_pk_add_f16 v58, v58, v12
	v_pk_min_f16 v12, v15, v10
	v_pk_add_f16 v13, v45, v13
	v_pk_add_f16 v60, v60, v12
	s_waitcnt lgkmcnt(0)
	v_pk_max_f16 v12, v24, v24
	v_pk_min_f16 v14, v6, v2
	v_pk_min_f16 v15, v12, v0
	v_pk_add_f16 v14, v42, v14
	v_pk_add_f16 v24, v59, v15
	v_pk_min_f16 v15, v12, v2
	v_pk_max_f16 v11, v11, v11
	v_pk_add_f16 v59, v61, v15
	v_pk_min_f16 v15, v12, v8
	v_pk_min_f16 v12, v12, v10
	v_pk_add_f16 v61, v64, v15
	v_pk_add_f16 v62, v66, v12
	v_pk_max_f16 v12, v26, v26
	v_pk_max_f16 v23, v23, v23
	v_pk_min_f16 v15, v12, v0
	v_pk_min_f16 v0, v4, v0
	v_pk_add_f16 v26, v67, v15
	v_pk_add_f16 v66, v71, v0
	v_pk_min_f16 v0, v4, v2
	v_pk_min_f16 v15, v12, v2
	v_pk_add_f16 v67, v72, v0
	v_pk_min_f16 v0, v4, v8
	v_pk_add_f16 v63, v68, v15
	;; [unrolled: 2-line block ×6, first 2 shown]
	v_pk_add_f16 v70, v75, v0
	v_pk_max_f16 v0, v1, v1
	v_pk_max_f16 v1, v7, v7
	;; [unrolled: 1-line block ×3, first 2 shown]
	v_pk_min_f16 v2, v1, v0
	v_pk_max_f16 v19, v21, v21
	v_pk_add_f16 v7, v13, v2
	v_pk_max_f16 v2, v3, v3
	v_pk_max_f16 v25, v25, v25
	v_pk_min_f16 v3, v1, v2
	v_pk_max_f16 v27, v27, v27
	v_pk_add_f16 v15, v14, v3
	v_pk_max_f16 v3, v9, v9
	v_pk_max_f16 v5, v5, v5
	v_pk_min_f16 v4, v1, v3
	v_add_u32_e32 v32, s15, v36
	v_pk_add_f16 v9, v28, v4
	v_pk_max_f16 v4, v17, v17
	s_add_u32 s8, s10, s0
	v_pk_add_f16 v16, v43, v16
	v_pk_add_f16 v20, v53, v20
	v_pk_min_f16 v6, v4, v0
	v_pk_min_f16 v8, v4, v2
	;; [unrolled: 1-line block ×29, first 2 shown]
	v_add_u32_e32 v34, 8, v32
	v_add_u32_e32 v36, 16, v32
	;; [unrolled: 1-line block ×7, first 2 shown]
	v_cmp_neq_f16_e64 s[4:5], 0, v52
	s_addc_u32 s9, s11, s1
	v_ashrrev_i32_e32 v33, 31, v32
	v_ashrrev_i32_e32 v35, 31, v34
	;; [unrolled: 1-line block ×8, first 2 shown]
	v_add_u32_e32 v53, s14, v48
	s_mov_b64 s[10:11], 15
	v_pk_add_f16 v0, v16, v6
	v_pk_add_f16 v8, v29, v8
	;; [unrolled: 1-line block ×29, first 2 shown]
	s_branch .LBB243_25
.LBB243_24:                             ;   in Loop: Header=BB243_25 Depth=1
	s_add_i32 s0, s10, -1
	s_cmp_eq_u32 s0, 1
	s_cselect_b64 vcc, -1, 0
	s_cmp_eq_u32 s0, 2
	v_cndmask_b32_e32 v48, v0, v54, vcc
	s_cselect_b64 vcc, -1, 0
	s_cmp_eq_u32 s0, 3
	v_cndmask_b32_e32 v48, v48, v1, vcc
	;; [unrolled: 3-line block ×62, first 2 shown]
	s_cselect_b64 vcc, -1, 0
	s_cmp_eq_u32 s10, 1
	s_cselect_b64 s[0:1], -1, 0
	s_cmp_eq_u32 s10, 2
	v_cndmask_b32_e64 v49, v0, v54, s[0:1]
	s_cselect_b64 s[0:1], -1, 0
	s_cmp_eq_u32 s10, 3
	v_cndmask_b32_e64 v49, v49, v1, s[0:1]
	s_cselect_b64 s[0:1], -1, 0
	s_cmp_eq_u32 s10, 4
	v_cndmask_b32_e64 v49, v49, v55, s[0:1]
	s_cselect_b64 s[0:1], -1, 0
	s_cmp_eq_u32 s10, 5
	v_cndmask_b32_e64 v49, v49, v4, s[0:1]
	s_cselect_b64 s[0:1], -1, 0
	s_cmp_eq_u32 s10, 6
	v_cndmask_b32_e64 v49, v49, v56, s[0:1]
	s_cselect_b64 s[0:1], -1, 0
	s_cmp_eq_u32 s10, 7
	v_cndmask_b32_e64 v49, v49, v5, s[0:1]
	s_cselect_b64 s[0:1], -1, 0
	s_cmp_eq_u32 s10, 8
	v_cndmask_b32_e64 v49, v49, v57, s[0:1]
	s_cselect_b64 s[0:1], -1, 0
	s_cmp_eq_u32 s10, 9
	v_cndmask_b32_e64 v49, v49, v16, s[0:1]
	s_cselect_b64 s[0:1], -1, 0
	s_cmp_eq_u32 s10, 10
	v_cndmask_b32_e64 v49, v49, v58, s[0:1]
	s_cselect_b64 s[0:1], -1, 0
	s_cmp_eq_u32 s10, 11
	v_cndmask_b32_e64 v49, v49, v23, s[0:1]
	s_cselect_b64 s[0:1], -1, 0
	s_cmp_eq_u32 s10, 12
	v_cndmask_b32_e64 v49, v49, v59, s[0:1]
	s_cselect_b64 s[0:1], -1, 0
	s_cmp_eq_u32 s10, 13
	v_cndmask_b32_e64 v49, v49, v24, s[0:1]
	s_cselect_b64 s[0:1], -1, 0
	s_cmp_eq_u32 s10, 14
	v_cndmask_b32_e64 v49, v49, v60, s[0:1]
	s_cselect_b64 s[0:1], -1, 0
	s_cmp_eq_u32 s10, 15
	v_cndmask_b32_e64 v49, v49, v7, s[0:1]
	s_cselect_b64 s[0:1], -1, 0
	s_cmp_eq_u32 s10, 16
	v_cndmask_b32_e64 v49, v49, v61, s[0:1]
	s_cselect_b64 s[0:1], -1, 0
	s_cmp_eq_u32 s10, 17
	v_cndmask_b32_e64 v49, v49, v8, s[0:1]
	s_cselect_b64 s[0:1], -1, 0
	s_cmp_eq_u32 s10, 18
	v_cndmask_b32_e64 v49, v49, v62, s[0:1]
	s_cselect_b64 s[0:1], -1, 0
	s_cmp_eq_u32 s10, 19
	v_cndmask_b32_e64 v49, v49, v11, s[0:1]
	s_cselect_b64 s[0:1], -1, 0
	s_cmp_eq_u32 s10, 20
	v_cndmask_b32_e64 v49, v49, v63, s[0:1]
	s_cselect_b64 s[0:1], -1, 0
	s_cmp_eq_u32 s10, 21
	v_cndmask_b32_e64 v49, v49, v12, s[0:1]
	s_cselect_b64 s[0:1], -1, 0
	s_cmp_eq_u32 s10, 22
	v_cndmask_b32_e64 v49, v49, v64, s[0:1]
	s_cselect_b64 s[0:1], -1, 0
	s_cmp_eq_u32 s10, 23
	v_cndmask_b32_e64 v49, v49, v17, s[0:1]
	s_cselect_b64 s[0:1], -1, 0
	s_cmp_eq_u32 s10, 24
	v_cndmask_b32_e64 v49, v49, v65, s[0:1]
	s_cselect_b64 s[0:1], -1, 0
	s_cmp_eq_u32 s10, 25
	v_cndmask_b32_e64 v49, v49, v18, s[0:1]
	s_cselect_b64 s[0:1], -1, 0
	s_cmp_eq_u32 s10, 26
	v_cndmask_b32_e64 v49, v49, v66, s[0:1]
	s_cselect_b64 s[0:1], -1, 0
	s_cmp_eq_u32 s10, 27
	v_cndmask_b32_e64 v49, v49, v25, s[0:1]
	s_cselect_b64 s[0:1], -1, 0
	s_cmp_eq_u32 s10, 28
	v_cndmask_b32_e64 v49, v49, v67, s[0:1]
	s_cselect_b64 s[0:1], -1, 0
	s_cmp_eq_u32 s10, 29
	v_cndmask_b32_e64 v49, v49, v26, s[0:1]
	s_cselect_b64 s[0:1], -1, 0
	s_cmp_eq_u32 s10, 30
	v_cndmask_b32_e64 v49, v49, v68, s[0:1]
	s_cselect_b64 s[0:1], -1, 0
	s_cmp_eq_u32 s10, 31
	v_cndmask_b32_e64 v49, v49, v15, s[0:1]
	s_cselect_b64 s[0:1], -1, 0
	s_cmp_eq_u32 s10, 32
	v_cndmask_b32_e64 v49, v49, v69, s[0:1]
	s_cselect_b64 s[0:1], -1, 0
	s_cmp_eq_u32 s10, 33
	v_cndmask_b32_e64 v49, v49, v2, s[0:1]
	s_cselect_b64 s[0:1], -1, 0
	s_cmp_eq_u32 s10, 34
	v_cndmask_b32_e64 v49, v49, v70, s[0:1]
	s_cselect_b64 s[0:1], -1, 0
	s_cmp_eq_u32 s10, 35
	v_cndmask_b32_e64 v49, v49, v3, s[0:1]
	s_cselect_b64 s[0:1], -1, 0
	s_cmp_eq_u32 s10, 36
	v_cndmask_b32_e64 v49, v49, v71, s[0:1]
	s_cselect_b64 s[0:1], -1, 0
	s_cmp_eq_u32 s10, 37
	v_cndmask_b32_e64 v49, v49, v6, s[0:1]
	s_cselect_b64 s[0:1], -1, 0
	s_cmp_eq_u32 s10, 38
	v_cndmask_b32_e64 v49, v49, v72, s[0:1]
	s_cselect_b64 s[0:1], -1, 0
	s_cmp_eq_u32 s10, 39
	v_cndmask_b32_e64 v49, v49, v19, s[0:1]
	s_cselect_b64 s[0:1], -1, 0
	s_cmp_eq_u32 s10, 40
	v_cndmask_b32_e64 v49, v49, v73, s[0:1]
	s_cselect_b64 s[0:1], -1, 0
	s_cmp_eq_u32 s10, 41
	v_cndmask_b32_e64 v49, v49, v20, s[0:1]
	s_cselect_b64 s[0:1], -1, 0
	s_cmp_eq_u32 s10, 42
	v_cndmask_b32_e64 v49, v49, v74, s[0:1]
	s_cselect_b64 s[0:1], -1, 0
	s_cmp_eq_u32 s10, 43
	v_cndmask_b32_e64 v49, v49, v27, s[0:1]
	s_cselect_b64 s[0:1], -1, 0
	s_cmp_eq_u32 s10, 44
	v_cndmask_b32_e64 v49, v49, v75, s[0:1]
	s_cselect_b64 s[0:1], -1, 0
	s_cmp_eq_u32 s10, 45
	v_cndmask_b32_e64 v49, v49, v28, s[0:1]
	s_cselect_b64 s[0:1], -1, 0
	s_cmp_eq_u32 s10, 46
	v_cndmask_b32_e64 v49, v49, v76, s[0:1]
	s_cselect_b64 s[0:1], -1, 0
	s_cmp_eq_u32 s10, 47
	v_cndmask_b32_e64 v49, v49, v9, s[0:1]
	s_cselect_b64 s[0:1], -1, 0
	s_cmp_eq_u32 s10, 48
	v_cndmask_b32_e64 v49, v49, v77, s[0:1]
	s_cselect_b64 s[0:1], -1, 0
	s_cmp_eq_u32 s10, 49
	v_cndmask_b32_e64 v49, v49, v10, s[0:1]
	s_cselect_b64 s[0:1], -1, 0
	s_cmp_eq_u32 s10, 50
	v_cndmask_b32_e64 v49, v49, v78, s[0:1]
	s_cselect_b64 s[0:1], -1, 0
	s_cmp_eq_u32 s10, 51
	v_cndmask_b32_e64 v49, v49, v13, s[0:1]
	s_cselect_b64 s[0:1], -1, 0
	s_cmp_eq_u32 s10, 52
	v_cndmask_b32_e64 v49, v49, v79, s[0:1]
	s_cselect_b64 s[0:1], -1, 0
	s_cmp_eq_u32 s10, 53
	v_cndmask_b32_e64 v49, v49, v14, s[0:1]
	s_cselect_b64 s[0:1], -1, 0
	s_cmp_eq_u32 s10, 54
	v_cndmask_b32_e64 v49, v49, v80, s[0:1]
	s_cselect_b64 s[0:1], -1, 0
	s_cmp_eq_u32 s10, 55
	v_cndmask_b32_e64 v49, v49, v21, s[0:1]
	s_cselect_b64 s[0:1], -1, 0
	s_cmp_eq_u32 s10, 56
	v_cndmask_b32_e64 v49, v49, v81, s[0:1]
	s_cselect_b64 s[0:1], -1, 0
	s_cmp_eq_u32 s10, 57
	v_cndmask_b32_e64 v49, v49, v22, s[0:1]
	s_cselect_b64 s[0:1], -1, 0
	s_cmp_eq_u32 s10, 58
	v_cndmask_b32_e64 v49, v49, v82, s[0:1]
	s_cselect_b64 s[0:1], -1, 0
	s_cmp_eq_u32 s10, 59
	v_cndmask_b32_e64 v49, v49, v29, s[0:1]
	s_cselect_b64 s[0:1], -1, 0
	s_cmp_eq_u32 s10, 60
	v_cndmask_b32_e64 v49, v49, v83, s[0:1]
	s_cselect_b64 s[0:1], -1, 0
	s_cmp_eq_u32 s10, 61
	v_cndmask_b32_e64 v49, v49, v30, s[0:1]
	s_cselect_b64 s[0:1], -1, 0
	s_cmp_eq_u32 s10, 62
	v_cndmask_b32_e64 v49, v49, v84, s[0:1]
	v_cndmask_b32_e32 v48, v48, v85, vcc
	s_cselect_b64 vcc, -1, 0
	s_cmp_eq_u32 s10, 63
	v_cndmask_b32_e32 v49, v49, v31, vcc
	s_cselect_b64 vcc, -1, 0
	v_cndmask_b32_e32 v49, v49, v85, vcc
	s_add_u32 s10, s10, 16
	v_add_f16_e32 v48, v48, v49
	s_addc_u32 s11, s11, 0
	v_add_f16_e32 v54, v48, v86
	v_lshl_add_u64 v[48:49], v[46:47], 1, v[50:51]
	s_cmpk_lg_i32 s10, 0x4f
	v_add_u32_e32 v53, 32, v53
	flat_store_short v[48:49], v54
	s_cbranch_scc0 .LBB243_41
.LBB243_25:                             ; =>This Inner Loop Header: Depth=1
	v_mad_i64_i32 v[48:49], s[0:1], v53, s12, 0
	v_cndmask_b32_e64 v50, 0, 1, s[4:5]
	v_lshl_add_u64 v[48:49], v[48:49], 1, s[6:7]
	v_mov_b32_e32 v86, 0
	v_cmp_ne_u32_e64 s[2:3], 1, v50
	s_andn2_b64 vcc, exec, s[4:5]
	v_mov_b32_e32 v50, 0
	s_cbranch_vccnz .LBB243_27
; %bb.26:                               ;   in Loop: Header=BB243_25 Depth=1
	v_lshl_add_u64 v[50:51], v[32:33], 1, v[48:49]
	flat_load_ushort v50, v[50:51]
	s_waitcnt vmcnt(0) lgkmcnt(0)
	v_mul_f16_e32 v50, v52, v50
.LBB243_27:                             ;   in Loop: Header=BB243_25 Depth=1
	s_add_i32 s0, s10, -15
	s_cmp_eq_u32 s0, 1
	v_lshrrev_b32_e32 v54, 16, v0
	s_cselect_b64 vcc, -1, 0
	s_cmp_eq_u32 s0, 2
	v_cndmask_b32_e32 v51, v0, v54, vcc
	s_cselect_b64 vcc, -1, 0
	s_cmp_eq_u32 s0, 3
	v_cndmask_b32_e32 v51, v51, v1, vcc
	v_lshrrev_b32_e32 v55, 16, v1
	s_cselect_b64 vcc, -1, 0
	s_cmp_eq_u32 s0, 4
	v_cndmask_b32_e32 v51, v51, v55, vcc
	s_cselect_b64 vcc, -1, 0
	s_cmp_eq_u32 s0, 5
	v_cndmask_b32_e32 v51, v51, v4, vcc
	;; [unrolled: 7-line block ×31, first 2 shown]
	s_cselect_b64 vcc, -1, 0
	s_add_i32 s0, s10, -14
	v_lshrrev_b32_e32 v85, 16, v31
	s_cmp_eq_u32 s0, 1
	v_cndmask_b32_e32 v51, v51, v85, vcc
	s_cselect_b64 vcc, -1, 0
	s_cmp_eq_u32 s0, 2
	v_cndmask_b32_e32 v87, v0, v54, vcc
	s_cselect_b64 vcc, -1, 0
	;; [unrolled: 3-line block ×63, first 2 shown]
	v_cndmask_b32_e32 v87, v87, v85, vcc
	v_add_f16_e32 v51, v51, v87
	v_add_f16_e32 v87, v51, v50
	v_mad_i64_i32 v[50:51], s[0:1], v53, s13, 0
	v_lshl_add_u64 v[50:51], v[50:51], 1, s[8:9]
	v_lshl_add_u64 v[88:89], v[32:33], 1, v[50:51]
	s_and_b64 vcc, exec, s[2:3]
	flat_store_short v[88:89], v87
	s_cbranch_vccnz .LBB243_29
; %bb.28:                               ;   in Loop: Header=BB243_25 Depth=1
	v_lshl_add_u64 v[86:87], v[34:35], 1, v[48:49]
	flat_load_ushort v86, v[86:87]
	s_waitcnt vmcnt(0) lgkmcnt(0)
	v_mul_f16_e32 v86, v52, v86
.LBB243_29:                             ;   in Loop: Header=BB243_25 Depth=1
	s_add_i32 s0, s10, -13
	s_cmp_eq_u32 s0, 1
	s_cselect_b64 vcc, -1, 0
	s_cmp_eq_u32 s0, 2
	v_cndmask_b32_e32 v87, v0, v54, vcc
	s_cselect_b64 vcc, -1, 0
	s_cmp_eq_u32 s0, 3
	v_cndmask_b32_e32 v87, v87, v1, vcc
	;; [unrolled: 3-line block ×62, first 2 shown]
	s_cselect_b64 vcc, -1, 0
	s_add_i32 s0, s10, -12
	s_cmp_eq_u32 s0, 1
	v_cndmask_b32_e32 v87, v87, v85, vcc
	s_cselect_b64 vcc, -1, 0
	s_cmp_eq_u32 s0, 2
	v_cndmask_b32_e32 v88, v0, v54, vcc
	s_cselect_b64 vcc, -1, 0
	;; [unrolled: 3-line block ×63, first 2 shown]
	v_cndmask_b32_e32 v88, v88, v85, vcc
	v_add_f16_e32 v87, v87, v88
	v_add_f16_e32 v88, v87, v86
	v_lshl_add_u64 v[86:87], v[34:35], 1, v[50:51]
	flat_store_short v[86:87], v88
	s_and_b64 vcc, exec, s[2:3]
	v_mov_b32_e32 v86, 0
	v_mov_b32_e32 v87, 0
	s_cbranch_vccnz .LBB243_31
; %bb.30:                               ;   in Loop: Header=BB243_25 Depth=1
	v_lshl_add_u64 v[88:89], v[36:37], 1, v[48:49]
	flat_load_ushort v87, v[88:89]
	s_waitcnt vmcnt(0) lgkmcnt(0)
	v_mul_f16_e32 v87, v52, v87
.LBB243_31:                             ;   in Loop: Header=BB243_25 Depth=1
	s_add_i32 s0, s10, -11
	s_cmp_eq_u32 s0, 1
	s_cselect_b64 vcc, -1, 0
	s_cmp_eq_u32 s0, 2
	v_cndmask_b32_e32 v88, v0, v54, vcc
	s_cselect_b64 vcc, -1, 0
	s_cmp_eq_u32 s0, 3
	v_cndmask_b32_e32 v88, v88, v1, vcc
	;; [unrolled: 3-line block ×62, first 2 shown]
	s_cselect_b64 vcc, -1, 0
	s_add_i32 s0, s10, -10
	s_cmp_eq_u32 s0, 1
	v_cndmask_b32_e32 v88, v88, v85, vcc
	s_cselect_b64 vcc, -1, 0
	s_cmp_eq_u32 s0, 2
	v_cndmask_b32_e32 v89, v0, v54, vcc
	s_cselect_b64 vcc, -1, 0
	s_cmp_eq_u32 s0, 3
	v_cndmask_b32_e32 v89, v89, v1, vcc
	s_cselect_b64 vcc, -1, 0
	s_cmp_eq_u32 s0, 4
	v_cndmask_b32_e32 v89, v89, v55, vcc
	s_cselect_b64 vcc, -1, 0
	s_cmp_eq_u32 s0, 5
	v_cndmask_b32_e32 v89, v89, v4, vcc
	s_cselect_b64 vcc, -1, 0
	s_cmp_eq_u32 s0, 6
	v_cndmask_b32_e32 v89, v89, v56, vcc
	s_cselect_b64 vcc, -1, 0
	s_cmp_eq_u32 s0, 7
	v_cndmask_b32_e32 v89, v89, v5, vcc
	s_cselect_b64 vcc, -1, 0
	s_cmp_eq_u32 s0, 8
	v_cndmask_b32_e32 v89, v89, v57, vcc
	s_cselect_b64 vcc, -1, 0
	s_cmp_eq_u32 s0, 9
	v_cndmask_b32_e32 v89, v89, v16, vcc
	s_cselect_b64 vcc, -1, 0
	s_cmp_eq_u32 s0, 10
	v_cndmask_b32_e32 v89, v89, v58, vcc
	s_cselect_b64 vcc, -1, 0
	s_cmp_eq_u32 s0, 11
	v_cndmask_b32_e32 v89, v89, v23, vcc
	s_cselect_b64 vcc, -1, 0
	s_cmp_eq_u32 s0, 12
	v_cndmask_b32_e32 v89, v89, v59, vcc
	s_cselect_b64 vcc, -1, 0
	s_cmp_eq_u32 s0, 13
	v_cndmask_b32_e32 v89, v89, v24, vcc
	s_cselect_b64 vcc, -1, 0
	s_cmp_eq_u32 s0, 14
	v_cndmask_b32_e32 v89, v89, v60, vcc
	s_cselect_b64 vcc, -1, 0
	s_cmp_eq_u32 s0, 15
	v_cndmask_b32_e32 v89, v89, v7, vcc
	s_cselect_b64 vcc, -1, 0
	s_cmp_eq_u32 s0, 16
	v_cndmask_b32_e32 v89, v89, v61, vcc
	s_cselect_b64 vcc, -1, 0
	s_cmp_eq_u32 s0, 17
	v_cndmask_b32_e32 v89, v89, v8, vcc
	s_cselect_b64 vcc, -1, 0
	s_cmp_eq_u32 s0, 18
	v_cndmask_b32_e32 v89, v89, v62, vcc
	s_cselect_b64 vcc, -1, 0
	s_cmp_eq_u32 s0, 19
	v_cndmask_b32_e32 v89, v89, v11, vcc
	s_cselect_b64 vcc, -1, 0
	s_cmp_eq_u32 s0, 20
	v_cndmask_b32_e32 v89, v89, v63, vcc
	s_cselect_b64 vcc, -1, 0
	s_cmp_eq_u32 s0, 21
	v_cndmask_b32_e32 v89, v89, v12, vcc
	s_cselect_b64 vcc, -1, 0
	s_cmp_eq_u32 s0, 22
	v_cndmask_b32_e32 v89, v89, v64, vcc
	s_cselect_b64 vcc, -1, 0
	s_cmp_eq_u32 s0, 23
	v_cndmask_b32_e32 v89, v89, v17, vcc
	s_cselect_b64 vcc, -1, 0
	s_cmp_eq_u32 s0, 24
	v_cndmask_b32_e32 v89, v89, v65, vcc
	s_cselect_b64 vcc, -1, 0
	s_cmp_eq_u32 s0, 25
	v_cndmask_b32_e32 v89, v89, v18, vcc
	s_cselect_b64 vcc, -1, 0
	s_cmp_eq_u32 s0, 26
	v_cndmask_b32_e32 v89, v89, v66, vcc
	s_cselect_b64 vcc, -1, 0
	s_cmp_eq_u32 s0, 27
	v_cndmask_b32_e32 v89, v89, v25, vcc
	s_cselect_b64 vcc, -1, 0
	s_cmp_eq_u32 s0, 28
	v_cndmask_b32_e32 v89, v89, v67, vcc
	s_cselect_b64 vcc, -1, 0
	s_cmp_eq_u32 s0, 29
	v_cndmask_b32_e32 v89, v89, v26, vcc
	s_cselect_b64 vcc, -1, 0
	s_cmp_eq_u32 s0, 30
	v_cndmask_b32_e32 v89, v89, v68, vcc
	s_cselect_b64 vcc, -1, 0
	s_cmp_eq_u32 s0, 31
	v_cndmask_b32_e32 v89, v89, v15, vcc
	s_cselect_b64 vcc, -1, 0
	s_cmp_eq_u32 s0, 32
	v_cndmask_b32_e32 v89, v89, v69, vcc
	s_cselect_b64 vcc, -1, 0
	s_cmp_eq_u32 s0, 33
	v_cndmask_b32_e32 v89, v89, v2, vcc
	s_cselect_b64 vcc, -1, 0
	s_cmp_eq_u32 s0, 34
	v_cndmask_b32_e32 v89, v89, v70, vcc
	s_cselect_b64 vcc, -1, 0
	s_cmp_eq_u32 s0, 35
	v_cndmask_b32_e32 v89, v89, v3, vcc
	s_cselect_b64 vcc, -1, 0
	s_cmp_eq_u32 s0, 36
	v_cndmask_b32_e32 v89, v89, v71, vcc
	s_cselect_b64 vcc, -1, 0
	s_cmp_eq_u32 s0, 37
	v_cndmask_b32_e32 v89, v89, v6, vcc
	s_cselect_b64 vcc, -1, 0
	s_cmp_eq_u32 s0, 38
	v_cndmask_b32_e32 v89, v89, v72, vcc
	s_cselect_b64 vcc, -1, 0
	s_cmp_eq_u32 s0, 39
	v_cndmask_b32_e32 v89, v89, v19, vcc
	s_cselect_b64 vcc, -1, 0
	s_cmp_eq_u32 s0, 40
	v_cndmask_b32_e32 v89, v89, v73, vcc
	s_cselect_b64 vcc, -1, 0
	s_cmp_eq_u32 s0, 41
	v_cndmask_b32_e32 v89, v89, v20, vcc
	s_cselect_b64 vcc, -1, 0
	s_cmp_eq_u32 s0, 42
	v_cndmask_b32_e32 v89, v89, v74, vcc
	s_cselect_b64 vcc, -1, 0
	s_cmp_eq_u32 s0, 43
	v_cndmask_b32_e32 v89, v89, v27, vcc
	s_cselect_b64 vcc, -1, 0
	s_cmp_eq_u32 s0, 44
	v_cndmask_b32_e32 v89, v89, v75, vcc
	s_cselect_b64 vcc, -1, 0
	s_cmp_eq_u32 s0, 45
	v_cndmask_b32_e32 v89, v89, v28, vcc
	s_cselect_b64 vcc, -1, 0
	s_cmp_eq_u32 s0, 46
	v_cndmask_b32_e32 v89, v89, v76, vcc
	s_cselect_b64 vcc, -1, 0
	s_cmp_eq_u32 s0, 47
	v_cndmask_b32_e32 v89, v89, v9, vcc
	s_cselect_b64 vcc, -1, 0
	s_cmp_eq_u32 s0, 48
	v_cndmask_b32_e32 v89, v89, v77, vcc
	s_cselect_b64 vcc, -1, 0
	s_cmp_eq_u32 s0, 49
	v_cndmask_b32_e32 v89, v89, v10, vcc
	s_cselect_b64 vcc, -1, 0
	s_cmp_eq_u32 s0, 50
	v_cndmask_b32_e32 v89, v89, v78, vcc
	s_cselect_b64 vcc, -1, 0
	s_cmp_eq_u32 s0, 51
	v_cndmask_b32_e32 v89, v89, v13, vcc
	s_cselect_b64 vcc, -1, 0
	s_cmp_eq_u32 s0, 52
	v_cndmask_b32_e32 v89, v89, v79, vcc
	s_cselect_b64 vcc, -1, 0
	s_cmp_eq_u32 s0, 53
	v_cndmask_b32_e32 v89, v89, v14, vcc
	s_cselect_b64 vcc, -1, 0
	s_cmp_eq_u32 s0, 54
	v_cndmask_b32_e32 v89, v89, v80, vcc
	s_cselect_b64 vcc, -1, 0
	s_cmp_eq_u32 s0, 55
	v_cndmask_b32_e32 v89, v89, v21, vcc
	s_cselect_b64 vcc, -1, 0
	s_cmp_eq_u32 s0, 56
	v_cndmask_b32_e32 v89, v89, v81, vcc
	s_cselect_b64 vcc, -1, 0
	s_cmp_eq_u32 s0, 57
	v_cndmask_b32_e32 v89, v89, v22, vcc
	s_cselect_b64 vcc, -1, 0
	s_cmp_eq_u32 s0, 58
	v_cndmask_b32_e32 v89, v89, v82, vcc
	s_cselect_b64 vcc, -1, 0
	s_cmp_eq_u32 s0, 59
	v_cndmask_b32_e32 v89, v89, v29, vcc
	s_cselect_b64 vcc, -1, 0
	s_cmp_eq_u32 s0, 60
	v_cndmask_b32_e32 v89, v89, v83, vcc
	s_cselect_b64 vcc, -1, 0
	s_cmp_eq_u32 s0, 61
	v_cndmask_b32_e32 v89, v89, v30, vcc
	s_cselect_b64 vcc, -1, 0
	s_cmp_eq_u32 s0, 62
	v_cndmask_b32_e32 v89, v89, v84, vcc
	s_cselect_b64 vcc, -1, 0
	s_cmp_eq_u32 s0, 63
	v_cndmask_b32_e32 v89, v89, v31, vcc
	s_cselect_b64 vcc, -1, 0
	v_cndmask_b32_e32 v89, v89, v85, vcc
	v_add_f16_e32 v88, v88, v89
	v_add_f16_e32 v87, v88, v87
	v_lshl_add_u64 v[88:89], v[36:37], 1, v[50:51]
	s_and_b64 vcc, exec, s[2:3]
	flat_store_short v[88:89], v87
	s_cbranch_vccnz .LBB243_33
; %bb.32:                               ;   in Loop: Header=BB243_25 Depth=1
	v_lshl_add_u64 v[86:87], v[38:39], 1, v[48:49]
	flat_load_ushort v86, v[86:87]
	s_waitcnt vmcnt(0) lgkmcnt(0)
	v_mul_f16_e32 v86, v52, v86
.LBB243_33:                             ;   in Loop: Header=BB243_25 Depth=1
	s_add_i32 s0, s10, -9
	s_cmp_eq_u32 s0, 1
	s_cselect_b64 vcc, -1, 0
	s_cmp_eq_u32 s0, 2
	v_cndmask_b32_e32 v87, v0, v54, vcc
	s_cselect_b64 vcc, -1, 0
	s_cmp_eq_u32 s0, 3
	v_cndmask_b32_e32 v87, v87, v1, vcc
	;; [unrolled: 3-line block ×62, first 2 shown]
	s_cselect_b64 vcc, -1, 0
	s_add_i32 s0, s10, -8
	s_cmp_eq_u32 s0, 1
	v_cndmask_b32_e32 v87, v87, v85, vcc
	s_cselect_b64 vcc, -1, 0
	s_cmp_eq_u32 s0, 2
	v_cndmask_b32_e32 v88, v0, v54, vcc
	s_cselect_b64 vcc, -1, 0
	;; [unrolled: 3-line block ×63, first 2 shown]
	v_cndmask_b32_e32 v88, v88, v85, vcc
	v_add_f16_e32 v87, v87, v88
	v_add_f16_e32 v88, v87, v86
	v_lshl_add_u64 v[86:87], v[38:39], 1, v[50:51]
	flat_store_short v[86:87], v88
	s_and_b64 vcc, exec, s[2:3]
	v_mov_b32_e32 v86, 0
	v_mov_b32_e32 v87, 0
	s_cbranch_vccnz .LBB243_35
; %bb.34:                               ;   in Loop: Header=BB243_25 Depth=1
	v_lshl_add_u64 v[88:89], v[40:41], 1, v[48:49]
	flat_load_ushort v87, v[88:89]
	s_waitcnt vmcnt(0) lgkmcnt(0)
	v_mul_f16_e32 v87, v52, v87
.LBB243_35:                             ;   in Loop: Header=BB243_25 Depth=1
	s_add_i32 s0, s10, -7
	s_cmp_eq_u32 s0, 1
	s_cselect_b64 vcc, -1, 0
	s_cmp_eq_u32 s0, 2
	v_cndmask_b32_e32 v88, v0, v54, vcc
	s_cselect_b64 vcc, -1, 0
	s_cmp_eq_u32 s0, 3
	v_cndmask_b32_e32 v88, v88, v1, vcc
	;; [unrolled: 3-line block ×62, first 2 shown]
	s_cselect_b64 vcc, -1, 0
	s_add_i32 s0, s10, -6
	s_cmp_eq_u32 s0, 1
	v_cndmask_b32_e32 v88, v88, v85, vcc
	s_cselect_b64 vcc, -1, 0
	s_cmp_eq_u32 s0, 2
	v_cndmask_b32_e32 v89, v0, v54, vcc
	s_cselect_b64 vcc, -1, 0
	;; [unrolled: 3-line block ×63, first 2 shown]
	v_cndmask_b32_e32 v89, v89, v85, vcc
	v_add_f16_e32 v88, v88, v89
	v_add_f16_e32 v87, v88, v87
	v_lshl_add_u64 v[88:89], v[40:41], 1, v[50:51]
	s_and_b64 vcc, exec, s[2:3]
	flat_store_short v[88:89], v87
	s_cbranch_vccnz .LBB243_37
; %bb.36:                               ;   in Loop: Header=BB243_25 Depth=1
	v_lshl_add_u64 v[86:87], v[42:43], 1, v[48:49]
	flat_load_ushort v86, v[86:87]
	s_waitcnt vmcnt(0) lgkmcnt(0)
	v_mul_f16_e32 v86, v52, v86
.LBB243_37:                             ;   in Loop: Header=BB243_25 Depth=1
	s_add_i32 s0, s10, -5
	s_cmp_eq_u32 s0, 1
	s_cselect_b64 vcc, -1, 0
	s_cmp_eq_u32 s0, 2
	v_cndmask_b32_e32 v87, v0, v54, vcc
	s_cselect_b64 vcc, -1, 0
	s_cmp_eq_u32 s0, 3
	v_cndmask_b32_e32 v87, v87, v1, vcc
	;; [unrolled: 3-line block ×62, first 2 shown]
	s_cselect_b64 vcc, -1, 0
	s_add_i32 s0, s10, -4
	s_cmp_eq_u32 s0, 1
	v_cndmask_b32_e32 v87, v87, v85, vcc
	s_cselect_b64 vcc, -1, 0
	s_cmp_eq_u32 s0, 2
	v_cndmask_b32_e32 v88, v0, v54, vcc
	s_cselect_b64 vcc, -1, 0
	;; [unrolled: 3-line block ×63, first 2 shown]
	v_cndmask_b32_e32 v88, v88, v85, vcc
	v_add_f16_e32 v87, v87, v88
	v_add_f16_e32 v88, v87, v86
	v_lshl_add_u64 v[86:87], v[42:43], 1, v[50:51]
	flat_store_short v[86:87], v88
	s_and_b64 vcc, exec, s[2:3]
	v_mov_b32_e32 v86, 0
	v_mov_b32_e32 v87, 0
	s_cbranch_vccnz .LBB243_39
; %bb.38:                               ;   in Loop: Header=BB243_25 Depth=1
	v_lshl_add_u64 v[88:89], v[44:45], 1, v[48:49]
	flat_load_ushort v87, v[88:89]
	s_waitcnt vmcnt(0) lgkmcnt(0)
	v_mul_f16_e32 v87, v52, v87
.LBB243_39:                             ;   in Loop: Header=BB243_25 Depth=1
	s_add_i32 s0, s10, -3
	s_cmp_eq_u32 s0, 1
	s_cselect_b64 vcc, -1, 0
	s_cmp_eq_u32 s0, 2
	v_cndmask_b32_e32 v88, v0, v54, vcc
	s_cselect_b64 vcc, -1, 0
	s_cmp_eq_u32 s0, 3
	v_cndmask_b32_e32 v88, v88, v1, vcc
	;; [unrolled: 3-line block ×62, first 2 shown]
	s_cselect_b64 vcc, -1, 0
	s_add_i32 s0, s10, -2
	s_cmp_eq_u32 s0, 1
	v_cndmask_b32_e32 v88, v88, v85, vcc
	s_cselect_b64 vcc, -1, 0
	s_cmp_eq_u32 s0, 2
	v_cndmask_b32_e32 v89, v0, v54, vcc
	s_cselect_b64 vcc, -1, 0
	;; [unrolled: 3-line block ×63, first 2 shown]
	v_cndmask_b32_e32 v89, v89, v85, vcc
	v_add_f16_e32 v88, v88, v89
	v_add_f16_e32 v87, v88, v87
	v_lshl_add_u64 v[88:89], v[44:45], 1, v[50:51]
	s_and_b64 vcc, exec, s[2:3]
	flat_store_short v[88:89], v87
	s_cbranch_vccnz .LBB243_24
; %bb.40:                               ;   in Loop: Header=BB243_25 Depth=1
	v_lshl_add_u64 v[48:49], v[46:47], 1, v[48:49]
	flat_load_ushort v48, v[48:49]
	s_waitcnt vmcnt(0) lgkmcnt(0)
	v_mul_f16_e32 v86, v52, v48
	s_branch .LBB243_24
.LBB243_41:
	s_endpgm
	.section	.rodata,"a",@progbits
	.p2align	6, 0x0
	.amdhsa_kernel _ZN12_GLOBAL__N_120geam_min_plus_kernelIDF16_Dv2_DF16_S1_Li8ELi32ELi64ELi128ELi4ELi64ELi4ELi64ELi4ELc78ELc84ELb0ELb0ELb0EPKDF16_KS3_KPDF16_EEviiiT16_PT17_ilS9_ilS7_S9_ilPT18_ili26rocblas_geam_ex_operation_
		.amdhsa_group_segment_fixed_size 3072
		.amdhsa_private_segment_fixed_size 0
		.amdhsa_kernarg_size 136
		.amdhsa_user_sgpr_count 2
		.amdhsa_user_sgpr_dispatch_ptr 0
		.amdhsa_user_sgpr_queue_ptr 0
		.amdhsa_user_sgpr_kernarg_segment_ptr 1
		.amdhsa_user_sgpr_dispatch_id 0
		.amdhsa_user_sgpr_kernarg_preload_length 0
		.amdhsa_user_sgpr_kernarg_preload_offset 0
		.amdhsa_user_sgpr_private_segment_size 0
		.amdhsa_uses_dynamic_stack 0
		.amdhsa_enable_private_segment 0
		.amdhsa_system_sgpr_workgroup_id_x 1
		.amdhsa_system_sgpr_workgroup_id_y 0
		.amdhsa_system_sgpr_workgroup_id_z 1
		.amdhsa_system_sgpr_workgroup_info 0
		.amdhsa_system_vgpr_workitem_id 1
		.amdhsa_next_free_vgpr 127
		.amdhsa_next_free_sgpr 26
		.amdhsa_accum_offset 128
		.amdhsa_reserve_vcc 1
		.amdhsa_float_round_mode_32 0
		.amdhsa_float_round_mode_16_64 0
		.amdhsa_float_denorm_mode_32 3
		.amdhsa_float_denorm_mode_16_64 3
		.amdhsa_dx10_clamp 1
		.amdhsa_ieee_mode 1
		.amdhsa_fp16_overflow 0
		.amdhsa_tg_split 0
		.amdhsa_exception_fp_ieee_invalid_op 0
		.amdhsa_exception_fp_denorm_src 0
		.amdhsa_exception_fp_ieee_div_zero 0
		.amdhsa_exception_fp_ieee_overflow 0
		.amdhsa_exception_fp_ieee_underflow 0
		.amdhsa_exception_fp_ieee_inexact 0
		.amdhsa_exception_int_div_zero 0
	.end_amdhsa_kernel
	.section	.text._ZN12_GLOBAL__N_120geam_min_plus_kernelIDF16_Dv2_DF16_S1_Li8ELi32ELi64ELi128ELi4ELi64ELi4ELi64ELi4ELc78ELc84ELb0ELb0ELb0EPKDF16_KS3_KPDF16_EEviiiT16_PT17_ilS9_ilS7_S9_ilPT18_ili26rocblas_geam_ex_operation_,"axG",@progbits,_ZN12_GLOBAL__N_120geam_min_plus_kernelIDF16_Dv2_DF16_S1_Li8ELi32ELi64ELi128ELi4ELi64ELi4ELi64ELi4ELc78ELc84ELb0ELb0ELb0EPKDF16_KS3_KPDF16_EEviiiT16_PT17_ilS9_ilS7_S9_ilPT18_ili26rocblas_geam_ex_operation_,comdat
.Lfunc_end243:
	.size	_ZN12_GLOBAL__N_120geam_min_plus_kernelIDF16_Dv2_DF16_S1_Li8ELi32ELi64ELi128ELi4ELi64ELi4ELi64ELi4ELc78ELc84ELb0ELb0ELb0EPKDF16_KS3_KPDF16_EEviiiT16_PT17_ilS9_ilS7_S9_ilPT18_ili26rocblas_geam_ex_operation_, .Lfunc_end243-_ZN12_GLOBAL__N_120geam_min_plus_kernelIDF16_Dv2_DF16_S1_Li8ELi32ELi64ELi128ELi4ELi64ELi4ELi64ELi4ELc78ELc84ELb0ELb0ELb0EPKDF16_KS3_KPDF16_EEviiiT16_PT17_ilS9_ilS7_S9_ilPT18_ili26rocblas_geam_ex_operation_
                                        ; -- End function
	.set _ZN12_GLOBAL__N_120geam_min_plus_kernelIDF16_Dv2_DF16_S1_Li8ELi32ELi64ELi128ELi4ELi64ELi4ELi64ELi4ELc78ELc84ELb0ELb0ELb0EPKDF16_KS3_KPDF16_EEviiiT16_PT17_ilS9_ilS7_S9_ilPT18_ili26rocblas_geam_ex_operation_.num_vgpr, 127
	.set _ZN12_GLOBAL__N_120geam_min_plus_kernelIDF16_Dv2_DF16_S1_Li8ELi32ELi64ELi128ELi4ELi64ELi4ELi64ELi4ELc78ELc84ELb0ELb0ELb0EPKDF16_KS3_KPDF16_EEviiiT16_PT17_ilS9_ilS7_S9_ilPT18_ili26rocblas_geam_ex_operation_.num_agpr, 0
	.set _ZN12_GLOBAL__N_120geam_min_plus_kernelIDF16_Dv2_DF16_S1_Li8ELi32ELi64ELi128ELi4ELi64ELi4ELi64ELi4ELc78ELc84ELb0ELb0ELb0EPKDF16_KS3_KPDF16_EEviiiT16_PT17_ilS9_ilS7_S9_ilPT18_ili26rocblas_geam_ex_operation_.numbered_sgpr, 26
	.set _ZN12_GLOBAL__N_120geam_min_plus_kernelIDF16_Dv2_DF16_S1_Li8ELi32ELi64ELi128ELi4ELi64ELi4ELi64ELi4ELc78ELc84ELb0ELb0ELb0EPKDF16_KS3_KPDF16_EEviiiT16_PT17_ilS9_ilS7_S9_ilPT18_ili26rocblas_geam_ex_operation_.num_named_barrier, 0
	.set _ZN12_GLOBAL__N_120geam_min_plus_kernelIDF16_Dv2_DF16_S1_Li8ELi32ELi64ELi128ELi4ELi64ELi4ELi64ELi4ELc78ELc84ELb0ELb0ELb0EPKDF16_KS3_KPDF16_EEviiiT16_PT17_ilS9_ilS7_S9_ilPT18_ili26rocblas_geam_ex_operation_.private_seg_size, 0
	.set _ZN12_GLOBAL__N_120geam_min_plus_kernelIDF16_Dv2_DF16_S1_Li8ELi32ELi64ELi128ELi4ELi64ELi4ELi64ELi4ELc78ELc84ELb0ELb0ELb0EPKDF16_KS3_KPDF16_EEviiiT16_PT17_ilS9_ilS7_S9_ilPT18_ili26rocblas_geam_ex_operation_.uses_vcc, 1
	.set _ZN12_GLOBAL__N_120geam_min_plus_kernelIDF16_Dv2_DF16_S1_Li8ELi32ELi64ELi128ELi4ELi64ELi4ELi64ELi4ELc78ELc84ELb0ELb0ELb0EPKDF16_KS3_KPDF16_EEviiiT16_PT17_ilS9_ilS7_S9_ilPT18_ili26rocblas_geam_ex_operation_.uses_flat_scratch, 0
	.set _ZN12_GLOBAL__N_120geam_min_plus_kernelIDF16_Dv2_DF16_S1_Li8ELi32ELi64ELi128ELi4ELi64ELi4ELi64ELi4ELc78ELc84ELb0ELb0ELb0EPKDF16_KS3_KPDF16_EEviiiT16_PT17_ilS9_ilS7_S9_ilPT18_ili26rocblas_geam_ex_operation_.has_dyn_sized_stack, 0
	.set _ZN12_GLOBAL__N_120geam_min_plus_kernelIDF16_Dv2_DF16_S1_Li8ELi32ELi64ELi128ELi4ELi64ELi4ELi64ELi4ELc78ELc84ELb0ELb0ELb0EPKDF16_KS3_KPDF16_EEviiiT16_PT17_ilS9_ilS7_S9_ilPT18_ili26rocblas_geam_ex_operation_.has_recursion, 0
	.set _ZN12_GLOBAL__N_120geam_min_plus_kernelIDF16_Dv2_DF16_S1_Li8ELi32ELi64ELi128ELi4ELi64ELi4ELi64ELi4ELc78ELc84ELb0ELb0ELb0EPKDF16_KS3_KPDF16_EEviiiT16_PT17_ilS9_ilS7_S9_ilPT18_ili26rocblas_geam_ex_operation_.has_indirect_call, 0
	.section	.AMDGPU.csdata,"",@progbits
; Kernel info:
; codeLenInByte = 19788
; TotalNumSgprs: 32
; NumVgprs: 127
; NumAgprs: 0
; TotalNumVgprs: 127
; ScratchSize: 0
; MemoryBound: 0
; FloatMode: 240
; IeeeMode: 1
; LDSByteSize: 3072 bytes/workgroup (compile time only)
; SGPRBlocks: 3
; VGPRBlocks: 15
; NumSGPRsForWavesPerEU: 32
; NumVGPRsForWavesPerEU: 127
; AccumOffset: 128
; Occupancy: 4
; WaveLimiterHint : 1
; COMPUTE_PGM_RSRC2:SCRATCH_EN: 0
; COMPUTE_PGM_RSRC2:USER_SGPR: 2
; COMPUTE_PGM_RSRC2:TRAP_HANDLER: 0
; COMPUTE_PGM_RSRC2:TGID_X_EN: 1
; COMPUTE_PGM_RSRC2:TGID_Y_EN: 0
; COMPUTE_PGM_RSRC2:TGID_Z_EN: 1
; COMPUTE_PGM_RSRC2:TIDIG_COMP_CNT: 1
; COMPUTE_PGM_RSRC3_GFX90A:ACCUM_OFFSET: 31
; COMPUTE_PGM_RSRC3_GFX90A:TG_SPLIT: 0
	.section	.text._ZN12_GLOBAL__N_120geam_min_plus_kernelIDF16_Dv2_DF16_S1_Li8ELi32ELi64ELi128ELi4ELi64ELi4ELi64ELi4ELc78ELc84ELb1ELb0ELb0EDF16_KPKDF16_KPDF16_EEviiiT16_PT17_ilS9_ilS7_S9_ilPT18_ili26rocblas_geam_ex_operation_,"axG",@progbits,_ZN12_GLOBAL__N_120geam_min_plus_kernelIDF16_Dv2_DF16_S1_Li8ELi32ELi64ELi128ELi4ELi64ELi4ELi64ELi4ELc78ELc84ELb1ELb0ELb0EDF16_KPKDF16_KPDF16_EEviiiT16_PT17_ilS9_ilS7_S9_ilPT18_ili26rocblas_geam_ex_operation_,comdat
	.globl	_ZN12_GLOBAL__N_120geam_min_plus_kernelIDF16_Dv2_DF16_S1_Li8ELi32ELi64ELi128ELi4ELi64ELi4ELi64ELi4ELc78ELc84ELb1ELb0ELb0EDF16_KPKDF16_KPDF16_EEviiiT16_PT17_ilS9_ilS7_S9_ilPT18_ili26rocblas_geam_ex_operation_ ; -- Begin function _ZN12_GLOBAL__N_120geam_min_plus_kernelIDF16_Dv2_DF16_S1_Li8ELi32ELi64ELi128ELi4ELi64ELi4ELi64ELi4ELc78ELc84ELb1ELb0ELb0EDF16_KPKDF16_KPDF16_EEviiiT16_PT17_ilS9_ilS7_S9_ilPT18_ili26rocblas_geam_ex_operation_
	.p2align	8
	.type	_ZN12_GLOBAL__N_120geam_min_plus_kernelIDF16_Dv2_DF16_S1_Li8ELi32ELi64ELi128ELi4ELi64ELi4ELi64ELi4ELc78ELc84ELb1ELb0ELb0EDF16_KPKDF16_KPDF16_EEviiiT16_PT17_ilS9_ilS7_S9_ilPT18_ili26rocblas_geam_ex_operation_,@function
_ZN12_GLOBAL__N_120geam_min_plus_kernelIDF16_Dv2_DF16_S1_Li8ELi32ELi64ELi128ELi4ELi64ELi4ELi64ELi4ELc78ELc84ELb1ELb0ELb0EDF16_KPKDF16_KPDF16_EEviiiT16_PT17_ilS9_ilS7_S9_ilPT18_ili26rocblas_geam_ex_operation_: ; @_ZN12_GLOBAL__N_120geam_min_plus_kernelIDF16_Dv2_DF16_S1_Li8ELi32ELi64ELi128ELi4ELi64ELi4ELi64ELi4ELc78ELc84ELb1ELb0ELb0EDF16_KPKDF16_KPDF16_EEviiiT16_PT17_ilS9_ilS7_S9_ilPT18_ili26rocblas_geam_ex_operation_
; %bb.0:
	s_load_dwordx2 s[10:11], s[0:1], 0x8
	s_load_dwordx4 s[4:7], s[0:1], 0x20
	s_mov_b32 s16, s3
	s_mov_b32 s17, 0
	s_waitcnt lgkmcnt(0)
	v_cmp_eq_f16_e64 s[8:9], s11, 0
	s_and_b64 vcc, exec, s[8:9]
	s_cbranch_vccnz .LBB244_3
; %bb.1:
	s_load_dwordx2 s[12:13], s[0:1], 0x10
	s_lshl_b64 s[14:15], s[16:17], 3
	s_waitcnt lgkmcnt(0)
	s_add_u32 s12, s12, s14
	s_addc_u32 s13, s13, s15
	s_load_dwordx2 s[12:13], s[12:13], 0x0
	s_lshl_b64 s[4:5], s[4:5], 1
	s_waitcnt lgkmcnt(0)
	s_add_u32 s12, s12, s4
	s_addc_u32 s13, s13, s5
	s_andn2_b64 vcc, exec, s[8:9]
	s_cbranch_vccnz .LBB244_4
.LBB244_2:
	s_mov_b32 s21, 0
	s_mov_b32 s20, s16
	s_mov_b64 s[8:9], 0
	s_mov_b64 s[14:15], 0
	s_cbranch_execz .LBB244_5
	s_branch .LBB244_6
.LBB244_3:
	s_mov_b64 s[12:13], 0
	s_andn2_b64 vcc, exec, s[8:9]
	s_cbranch_vccz .LBB244_2
.LBB244_4:
	s_mov_b64 s[20:21], s[16:17]
	s_mov_b64 s[8:9], 0
	;; [unrolled: 1-line block ×3, first 2 shown]
.LBB244_5:
	s_lshl_b64 s[14:15], s[16:17], 3
	s_add_u32 s6, s6, s14
	s_load_dwordx2 s[4:5], s[0:1], 0x38
	s_addc_u32 s7, s7, s15
	s_load_dwordx2 s[6:7], s[6:7], 0x0
	s_waitcnt lgkmcnt(0)
	s_lshl_b64 s[4:5], s[4:5], 1
	s_add_u32 s14, s6, s4
	s_addc_u32 s15, s7, s5
.LBB244_6:
	s_load_dword s11, s[0:1], 0x40
	s_load_dwordx4 s[4:7], s[0:1], 0x58
	s_waitcnt lgkmcnt(0)
	v_cmp_eq_f16_e64 s[16:17], s11, 0
	s_and_b64 vcc, exec, s[16:17]
	s_cbranch_vccnz .LBB244_8
; %bb.7:
	s_load_dwordx2 s[8:9], s[0:1], 0x48
	s_lshl_b64 s[16:17], s[20:21], 3
	s_waitcnt lgkmcnt(0)
	s_add_u32 s8, s8, s16
	s_addc_u32 s9, s9, s17
	s_load_dwordx2 s[8:9], s[8:9], 0x0
	s_lshl_b64 s[4:5], s[4:5], 1
	s_waitcnt lgkmcnt(0)
	s_add_u32 s8, s8, s4
	s_addc_u32 s9, s9, s5
.LBB244_8:
	s_load_dword s3, s[0:1], 0x0
	s_load_dword s18, s[0:1], 0x18
	;; [unrolled: 1-line block ×3, first 2 shown]
	s_lshl_b64 s[4:5], s[20:21], 3
	s_add_u32 s4, s6, s4
	s_addc_u32 s5, s7, s5
	s_waitcnt lgkmcnt(0)
	s_add_i32 s3, s3, -1
	s_ashr_i32 s6, s3, 31
	s_lshr_b32 s6, s6, 26
	s_add_i32 s3, s3, s6
	s_ashr_i32 s3, s3, 6
	s_add_i32 s6, s3, 1
	v_cvt_f32_u32_e32 v1, s6
	v_and_b32_e32 v36, 0x3ff, v0
	v_bfe_u32 v48, v0, 10, 10
	s_not_b32 s3, s3
	v_rcp_iflag_f32_e32 v1, v1
	v_lshlrev_b32_e32 v37, 3, v48
	v_lshlrev_b32_e32 v38, 3, v36
	v_add_u32_e32 v39, 0x800, v38
	v_mul_f32_e32 v0, 0x4f7ffffe, v1
	v_cvt_u32_f32_e32 v0, v0
	v_add_u32_e32 v1, v37, v36
	v_and_b32_e32 v12, 63, v1
	v_lshrrev_b32_e32 v30, 6, v1
	v_readfirstlane_b32 s7, v0
	s_mul_i32 s3, s3, s7
	s_mul_hi_u32 s3, s7, s3
	s_add_i32 s7, s7, s3
	s_mul_hi_u32 s3, s2, s7
	s_mul_i32 s7, s3, s6
	s_sub_i32 s7, s2, s7
	s_add_i32 s17, s3, 1
	s_sub_i32 s19, s7, s6
	s_cmp_ge_u32 s7, s6
	s_cselect_b32 s3, s17, s3
	s_cselect_b32 s7, s19, s7
	s_add_i32 s17, s3, 1
	s_cmp_ge_u32 s7, s6
	s_cselect_b32 s3, s17, s3
	s_mul_i32 s6, s3, s6
	s_sub_i32 s2, s2, s6
	s_lshl_b32 s20, s3, 7
	s_lshl_b32 s21, s2, 6
	v_or_b32_e32 v6, s20, v12
	v_or_b32_e32 v4, s21, v12
	v_mad_i64_i32 v[8:9], s[2:3], s16, v30, 0
	v_ashrrev_i32_e32 v7, 31, v6
	v_mad_i64_i32 v[0:1], s[2:3], s18, v30, 0
	v_ashrrev_i32_e32 v5, 31, v4
	v_lshl_add_u64 v[8:9], v[8:9], 1, s[14:15]
	v_lshlrev_b64 v[10:11], 1, v[6:7]
	v_lshl_add_u64 v[0:1], v[0:1], 1, s[12:13]
	v_lshlrev_b64 v[2:3], 1, v[4:5]
	v_lshl_add_u64 v[8:9], v[8:9], 0, v[10:11]
	v_lshl_add_u64 v[0:1], v[0:1], 0, v[2:3]
	flat_load_ushort v13, v[8:9]
	flat_load_ushort v14, v[8:9] offset:128
	flat_load_ushort v15, v[0:1]
	v_add_u32_e32 v8, 4, v30
	v_mad_i64_i32 v[0:1], s[2:3], s18, v8, 0
	v_mad_i64_i32 v[8:9], s[2:3], s16, v8, 0
	v_lshl_add_u64 v[0:1], v[0:1], 1, s[12:13]
	v_lshl_add_u64 v[8:9], v[8:9], 1, s[14:15]
	;; [unrolled: 1-line block ×4, first 2 shown]
	s_load_dwordx2 s[4:5], s[4:5], 0x0
	flat_load_ushort v28, v[8:9]
	flat_load_ushort v29, v[8:9] offset:128
	flat_load_ushort v31, v[0:1]
	v_lshlrev_b32_e32 v12, 3, v12
	v_lshl_add_u32 v40, v30, 1, v12
	s_cmp_lt_i32 s10, 9
	s_waitcnt vmcnt(0) lgkmcnt(0)
	ds_write_b16 v40, v13
	ds_write_b16 v40, v14 offset:512
	ds_write_b16 v40, v15 offset:2048
	s_waitcnt lgkmcnt(0)
	s_barrier
	ds_read2_b64 v[0:3], v39 offset0:48 offset1:56
	ds_read2_b64 v[8:11], v37 offset1:32
	ds_read2_b64 v[12:15], v37 offset0:64 offset1:96
	ds_read2_b64 v[16:19], v39 offset1:8
	ds_read2_b64 v[20:23], v39 offset0:16 offset1:24
	ds_read2_b64 v[24:27], v39 offset0:32 offset1:40
	s_waitcnt lgkmcnt(4)
	v_pk_max_f16 v8, v8, v8
	v_pk_max_f16 v2, v2, v2
	;; [unrolled: 1-line block ×3, first 2 shown]
	s_waitcnt lgkmcnt(3)
	v_pk_max_f16 v12, v12, v12
	s_waitcnt lgkmcnt(2)
	v_pk_max_f16 v16, v16, v16
	v_pk_max_f16 v18, v18, v18
	s_waitcnt lgkmcnt(1)
	v_pk_max_f16 v20, v20, v20
	;; [unrolled: 3-line block ×3, first 2 shown]
	v_pk_max_f16 v26, v26, v26
	v_pk_max_f16 v32, v9, v9
	;; [unrolled: 1-line block ×3, first 2 shown]
	v_pk_min_f16 v11, v2, v8
	v_pk_max_f16 v0, v0, v0
	v_pk_max_f16 v3, v3, v3
	;; [unrolled: 1-line block ×3, first 2 shown]
	v_pk_min_f16 v13, v16, v8
	v_pk_min_f16 v41, v16, v10
	;; [unrolled: 1-line block ×23, first 2 shown]
	v_pk_add_f16 v11, v11, 0
	v_pk_min_f16 v12, v3, v32
	v_pk_max_f16 v35, v15, v15
	v_pk_max_f16 v15, v19, v19
	v_pk_add_f16 v19, v11, v12
	v_pk_add_f16 v8, v8, 0
	v_pk_min_f16 v11, v3, v33
	v_pk_max_f16 v9, v17, v17
	v_pk_add_f16 v11, v8, v11
	v_pk_add_f16 v8, v10, 0
	v_pk_min_f16 v10, v3, v34
	v_pk_min_f16 v12, v9, v32
	v_pk_add_f16 v8, v8, v10
	v_pk_add_f16 v10, v13, 0
	v_pk_max_f16 v14, v14, v14
	v_pk_max_f16 v17, v21, v21
	;; [unrolled: 1-line block ×3, first 2 shown]
	v_pk_add_f16 v23, v10, v12
	v_pk_add_f16 v10, v41, 0
	v_pk_min_f16 v12, v9, v33
	v_pk_min_f16 v16, v16, v14
	;; [unrolled: 1-line block ×3, first 2 shown]
	v_pk_add_f16 v18, v10, v12
	v_pk_add_f16 v10, v42, 0
	v_pk_min_f16 v12, v9, v34
	v_pk_min_f16 v9, v9, v35
	v_pk_add_f16 v13, v10, v12
	v_pk_add_f16 v10, v16, 0
	v_pk_min_f16 v12, v15, v32
	v_pk_add_f16 v9, v10, v9
	v_pk_add_f16 v10, v43, 0
	;; [unrolled: 3-line block ×3, first 2 shown]
	v_pk_min_f16 v12, v15, v33
	v_pk_min_f16 v51, v20, v14
	v_pk_add_f16 v22, v10, v12
	v_pk_add_f16 v10, v45, 0
	v_pk_min_f16 v12, v15, v34
	v_pk_min_f16 v24, v24, v14
	;; [unrolled: 1-line block ×5, first 2 shown]
	v_pk_add_f16 v14, v10, v12
	v_pk_add_f16 v10, v46, 0
	v_pk_min_f16 v12, v15, v35
	v_pk_min_f16 v15, v17, v32
	v_pk_add_f16 v10, v10, v12
	v_pk_add_f16 v12, v47, 0
	v_pk_max_f16 v25, v25, v25
	v_pk_add_f16 v52, v12, v15
	v_pk_add_f16 v12, v49, 0
	v_pk_min_f16 v15, v17, v33
	v_pk_add_f16 v41, v59, 0
	v_pk_add_f16 v20, v12, v15
	;; [unrolled: 1-line block ×3, first 2 shown]
	v_pk_min_f16 v15, v17, v34
	v_pk_add_f16 v24, v24, 0
	v_pk_add_f16 v16, v12, v15
	;; [unrolled: 1-line block ×3, first 2 shown]
	v_pk_min_f16 v15, v17, v35
	v_pk_min_f16 v17, v21, v32
	v_pk_add_f16 v12, v12, v15
	v_pk_add_f16 v15, v53, 0
	;; [unrolled: 1-line block ×5, first 2 shown]
	v_pk_min_f16 v17, v21, v33
	v_pk_add_f16 v43, v64, 0
	v_pk_add_f16 v53, v15, v17
	;; [unrolled: 1-line block ×3, first 2 shown]
	v_pk_min_f16 v17, v21, v34
	v_pk_min_f16 v21, v21, v35
	v_pk_add_f16 v17, v15, v17
	v_pk_add_f16 v15, v57, 0
	;; [unrolled: 1-line block ×4, first 2 shown]
	v_pk_min_f16 v21, v25, v32
	v_pk_max_f16 v1, v1, v1
	v_pk_add_f16 v59, v41, v21
	v_pk_add_f16 v21, v60, 0
	v_pk_min_f16 v41, v25, v33
	v_pk_add_f16 v44, v65, 0
	v_pk_add_f16 v54, v21, v41
	v_pk_min_f16 v41, v25, v34
	v_pk_min_f16 v25, v25, v35
	v_pk_add_f16 v21, v61, 0
	v_pk_add_f16 v50, v24, v25
	v_pk_max_f16 v24, v27, v27
	v_pk_add_f16 v21, v21, v41
	v_pk_add_f16 v41, v62, 0
	v_pk_min_f16 v25, v24, v32
	v_pk_add_f16 v45, v66, 0
	v_pk_add_f16 v64, v41, v25
	v_pk_min_f16 v25, v24, v33
	;; [unrolled: 3-line block ×3, first 2 shown]
	v_pk_min_f16 v24, v24, v35
	v_pk_add_f16 v46, v67, 0
	v_pk_add_f16 v51, v26, v24
	v_pk_min_f16 v24, v1, v32
	v_pk_add_f16 v2, v2, 0
	v_pk_add_f16 v65, v44, v24
	;; [unrolled: 3-line block ×3, first 2 shown]
	v_pk_min_f16 v24, v1, v34
	v_pk_min_f16 v1, v1, v35
	v_pk_add_f16 v61, v46, v24
	v_pk_add_f16 v57, v0, v1
	v_pk_min_f16 v0, v3, v35
	ds_write_b16 v40, v31 offset:2560
	ds_write_b16 v40, v28 offset:1024
	;; [unrolled: 1-line block ×3, first 2 shown]
	v_pk_add_f16 v55, v2, v0
	s_waitcnt lgkmcnt(0)
	s_barrier
	s_cbranch_scc1 .LBB244_11
; %bb.9:
	v_mov_b32_e32 v0, 0xa00
	v_add_u32_e32 v2, 12, v30
	v_lshl_add_u32 v44, v36, 3, v0
	v_mad_i64_i32 v[0:1], s[2:3], v2, s18, 0
	v_add_u32_e32 v3, 8, v30
	v_lshlrev_b64 v[28:29], 1, v[0:1]
	v_mad_i64_i32 v[0:1], s[6:7], v3, s16, 0
	v_lshl_add_u64 v[24:25], v[4:5], 1, s[12:13]
	v_lshlrev_b64 v[30:31], 1, v[0:1]
	v_mad_i64_i32 v[0:1], s[12:13], v3, s18, 0
	s_ashr_i32 s19, s18, 31
	s_ashr_i32 s17, s16, 31
	v_lshlrev_b64 v[32:33], 1, v[0:1]
	v_mad_i64_i32 v[0:1], s[12:13], v2, s16, 0
	v_or_b32_e32 v41, 0x800, v40
	v_add_u32_e32 v42, 0xa00, v40
	v_or_b32_e32 v43, 0x400, v40
	s_add_i32 s10, s10, -8
	v_add_u32_e32 v45, 0x400, v37
	v_lshl_add_u64 v[26:27], v[6:7], 1, s[14:15]
	s_lshl_b64 s[2:3], s[18:19], 4
	s_lshl_b64 s[6:7], s[16:17], 4
	v_lshlrev_b64 v[34:35], 1, v[0:1]
	s_mov_b32 s12, 0
.LBB244_10:                             ; =>This Inner Loop Header: Depth=1
	v_lshl_add_u64 v[46:47], v[26:27], 0, v[30:31]
	v_lshl_add_u64 v[86:87], v[24:25], 0, v[32:33]
	ds_read2_b64 v[66:69], v44 offset0:48 offset1:56
	ds_read2_b64 v[0:3], v45 offset0:64 offset1:96
	ds_read2_b64 v[70:73], v45 offset1:32
	ds_read2_b64 v[74:77], v44 offset1:8
	ds_read2_b64 v[78:81], v44 offset0:16 offset1:24
	ds_read2_b64 v[82:85], v44 offset0:32 offset1:40
	flat_load_ushort v4, v[46:47] offset:128
	flat_load_ushort v5, v[46:47]
	flat_load_ushort v6, v[86:87]
	s_waitcnt lgkmcnt(0)
	v_pk_max_f16 v7, v70, v70
	v_pk_max_f16 v46, v74, v74
	;; [unrolled: 1-line block ×24, first 2 shown]
	v_pk_min_f16 v82, v46, v7
	v_pk_min_f16 v83, v70, v7
	;; [unrolled: 1-line block ×47, first 2 shown]
	v_pk_add_f16 v7, v19, v7
	v_pk_add_f16 v63, v63, v95
	;; [unrolled: 1-line block ×7, first 2 shown]
	v_lshl_add_u64 v[0:1], v[26:27], 0, v[34:35]
	v_pk_min_f16 v70, v70, v2
	v_pk_min_f16 v74, v74, v2
	;; [unrolled: 1-line block ×17, first 2 shown]
	v_pk_add_f16 v23, v23, v82
	v_pk_add_f16 v82, v51, v80
	v_lshl_add_u64 v[2:3], v[24:25], 0, v[28:29]
	v_pk_add_f16 v73, v7, v47
	v_pk_add_f16 v51, v63, v116
	;; [unrolled: 1-line block ×5, first 2 shown]
	s_waitcnt vmcnt(0)
	ds_write_b16 v41, v6
	ds_write_b16 v40, v5
	ds_write_b16 v40, v4 offset:512
	s_waitcnt lgkmcnt(0)
	s_barrier
	flat_load_ushort v46, v[0:1] offset:128
	flat_load_ushort v47, v[0:1]
	flat_load_ushort v49, v[2:3]
	v_pk_add_f16 v56, v56, v83
	v_pk_add_f16 v52, v52, v84
	;; [unrolled: 1-line block ×42, first 2 shown]
	ds_read2_b64 v[0:3], v39 offset0:48 offset1:56
	ds_read2_b64 v[20:23], v37 offset1:32
	ds_read2_b64 v[12:15], v37 offset0:64 offset1:96
	ds_read2_b64 v[16:19], v39 offset1:8
	ds_read2_b64 v[8:11], v39 offset0:16 offset1:24
	ds_read2_b64 v[4:7], v39 offset0:32 offset1:40
	v_pk_add_f16 v58, v58, v85
	v_pk_add_f16 v55, v69, v108
	;; [unrolled: 1-line block ×8, first 2 shown]
	s_waitcnt lgkmcnt(0)
	v_pk_max_f16 v20, v20, v20
	v_pk_max_f16 v82, v2, v2
	;; [unrolled: 1-line block ×24, first 2 shown]
	v_pk_min_f16 v96, v16, v20
	v_pk_min_f16 v97, v16, v22
	;; [unrolled: 1-line block ×64, first 2 shown]
	v_pk_add_f16 v6, v73, v120
	v_pk_add_f16 v73, v78, v121
	;; [unrolled: 1-line block ×27, first 2 shown]
	s_add_i32 s12, s12, 8
	v_pk_add_f16 v96, v50, v8
	v_pk_add_f16 v97, v51, v11
	;; [unrolled: 1-line block ×5, first 2 shown]
	v_lshl_add_u64 v[24:25], v[24:25], 0, s[2:3]
	v_lshl_add_u64 v[26:27], v[26:27], 0, s[6:7]
	s_cmp_ge_i32 s12, s10
	v_pk_add_f16 v19, v6, v20
	v_pk_add_f16 v11, v73, v23
	;; [unrolled: 1-line block ×32, first 2 shown]
	s_waitcnt vmcnt(0)
	ds_write_b16 v42, v49
	ds_write_b16 v43, v47
	ds_write_b16 v43, v46 offset:512
	s_waitcnt lgkmcnt(0)
	s_barrier
	s_cbranch_scc0 .LBB244_10
.LBB244_11:
	v_add_u32_e32 v38, 0x800, v38
	s_load_dwordx2 s[6:7], s[0:1], 0x70
	s_load_dword s10, s[0:1], 0x50
	s_load_dword s12, s[0:1], 0x68
	ds_read2_b64 v[0:3], v37 offset0:128 offset1:160
	ds_read2_b64 v[4:7], v38 offset0:112 offset1:120
	;; [unrolled: 1-line block ×3, first 2 shown]
	s_waitcnt lgkmcnt(0)
	s_lshl_b64 s[0:1], s[6:7], 1
	s_add_u32 s4, s4, s0
	v_pk_max_f16 v0, v0, v0
	v_pk_max_f16 v6, v6, v6
	;; [unrolled: 1-line block ×3, first 2 shown]
	v_pk_min_f16 v28, v6, v0
	v_pk_min_f16 v32, v6, v2
	v_pk_add_f16 v19, v19, v28
	ds_read2_b64 v[28:31], v38 offset0:64 offset1:72
	v_pk_max_f16 v24, v24, v24
	v_pk_add_f16 v49, v11, v32
	v_pk_min_f16 v11, v6, v24
	v_pk_max_f16 v26, v26, v26
	v_pk_add_f16 v66, v8, v11
	s_waitcnt lgkmcnt(0)
	v_pk_max_f16 v8, v28, v28
	ds_read2_b64 v[32:35], v38 offset0:80 offset1:88
	v_pk_min_f16 v11, v8, v0
	v_pk_max_f16 v4, v4, v4
	v_pk_add_f16 v23, v23, v11
	v_pk_min_f16 v11, v8, v2
	v_pk_max_f16 v3, v3, v3
	v_pk_add_f16 v18, v18, v11
	v_pk_min_f16 v11, v8, v24
	v_pk_min_f16 v8, v8, v26
	v_pk_add_f16 v13, v13, v11
	v_pk_add_f16 v28, v9, v8
	v_pk_max_f16 v8, v30, v30
	v_pk_max_f16 v5, v5, v5
	v_pk_min_f16 v9, v8, v0
	v_pk_min_f16 v87, v5, v3
	v_pk_add_f16 v30, v56, v9
	v_pk_min_f16 v9, v8, v2
	v_cmp_neq_f16_e64 s[2:3], s11, 0
	v_pk_add_f16 v22, v22, v9
	v_pk_min_f16 v9, v8, v24
	v_pk_min_f16 v8, v8, v26
	v_pk_add_f16 v14, v14, v9
	v_pk_add_f16 v56, v10, v8
	s_waitcnt lgkmcnt(0)
	v_pk_max_f16 v8, v32, v32
	s_addc_u32 s5, s5, s1
	v_pk_min_f16 v9, v8, v0
	s_mov_b64 s[6:7], 15
	v_pk_add_f16 v67, v52, v9
	v_pk_min_f16 v9, v8, v2
	v_add_u32_e32 v52, s20, v48
	v_pk_add_f16 v20, v20, v9
	v_pk_min_f16 v9, v8, v24
	v_pk_min_f16 v8, v8, v26
	v_pk_add_f16 v16, v16, v9
	v_pk_add_f16 v68, v12, v8
	v_pk_max_f16 v12, v34, v34
	s_nop 0
	v_pk_min_f16 v8, v12, v0
	v_pk_min_f16 v32, v12, v24
	v_pk_add_f16 v58, v58, v8
	v_pk_min_f16 v8, v12, v2
	v_pk_min_f16 v12, v12, v26
	v_pk_add_f16 v53, v53, v8
	ds_read2_b64 v[8:11], v38 offset0:96 offset1:104
	v_pk_add_f16 v70, v15, v12
	v_pk_max_f16 v15, v27, v27
	v_pk_add_f16 v69, v17, v32
	v_add_u32_e32 v32, s21, v36
	s_waitcnt lgkmcnt(0)
	v_pk_max_f16 v8, v8, v8
	v_pk_min_f16 v89, v5, v15
	v_pk_min_f16 v12, v8, v0
	v_add_u32_e32 v34, 8, v32
	v_pk_add_f16 v59, v59, v12
	v_pk_min_f16 v12, v8, v2
	v_add_u32_e32 v36, 16, v32
	v_pk_add_f16 v54, v54, v12
	v_pk_min_f16 v12, v8, v24
	v_pk_min_f16 v8, v8, v26
	v_pk_add_f16 v71, v21, v12
	v_pk_add_f16 v50, v50, v8
	v_pk_max_f16 v8, v10, v10
	v_add_u32_e32 v38, 24, v32
	v_pk_min_f16 v10, v8, v0
	v_pk_min_f16 v0, v4, v0
	v_pk_add_f16 v64, v64, v10
	v_pk_add_f16 v65, v65, v0
	v_pk_min_f16 v0, v4, v2
	v_pk_min_f16 v10, v8, v2
	v_pk_add_f16 v63, v63, v0
	v_pk_min_f16 v0, v4, v24
	v_pk_add_f16 v62, v62, v10
	v_pk_add_f16 v61, v61, v0
	v_pk_min_f16 v0, v4, v26
	v_pk_min_f16 v10, v8, v24
	v_pk_add_f16 v57, v57, v0
	v_pk_min_f16 v0, v6, v26
	v_pk_max_f16 v6, v25, v25
	v_pk_add_f16 v55, v55, v0
	v_pk_max_f16 v0, v1, v1
	v_pk_max_f16 v1, v7, v7
	;; [unrolled: 1-line block ×3, first 2 shown]
	v_pk_add_f16 v60, v60, v10
	v_pk_min_f16 v10, v7, v0
	v_pk_min_f16 v12, v7, v3
	;; [unrolled: 1-line block ×4, first 2 shown]
	v_pk_max_f16 v7, v31, v31
	v_pk_min_f16 v8, v8, v26
	v_pk_min_f16 v24, v7, v0
	;; [unrolled: 1-line block ×5, first 2 shown]
	v_pk_max_f16 v7, v33, v33
	v_pk_add_f16 v51, v51, v8
	v_pk_min_f16 v29, v7, v0
	v_pk_min_f16 v31, v7, v3
	v_pk_min_f16 v72, v7, v6
	v_pk_min_f16 v73, v7, v15
	v_pk_max_f16 v7, v35, v35
	v_pk_min_f16 v2, v1, v0
	v_pk_min_f16 v74, v7, v0
	v_pk_min_f16 v75, v7, v3
	v_pk_min_f16 v76, v7, v6
	v_pk_min_f16 v77, v7, v15
	v_pk_max_f16 v7, v9, v9
	v_pk_min_f16 v4, v1, v3
	;; [unrolled: 6-line block ×3, first 2 shown]
	v_pk_min_f16 v82, v7, v0
	v_pk_min_f16 v83, v7, v3
	;; [unrolled: 1-line block ×7, first 2 shown]
	v_add_u32_e32 v40, 32, v32
	v_add_u32_e32 v42, 40, v32
	;; [unrolled: 1-line block ×4, first 2 shown]
	v_ashrrev_i32_e32 v33, 31, v32
	v_ashrrev_i32_e32 v35, 31, v34
	v_ashrrev_i32_e32 v37, 31, v36
	v_ashrrev_i32_e32 v39, 31, v38
	v_ashrrev_i32_e32 v41, 31, v40
	v_ashrrev_i32_e32 v43, 31, v42
	v_ashrrev_i32_e32 v45, 31, v44
	v_ashrrev_i32_e32 v47, 31, v46
	v_pk_add_f16 v7, v19, v2
	v_pk_add_f16 v15, v49, v4
	;; [unrolled: 1-line block ×32, first 2 shown]
	s_branch .LBB244_13
.LBB244_12:                             ;   in Loop: Header=BB244_13 Depth=1
	s_add_i32 s0, s6, -1
	s_cmp_eq_u32 s0, 1
	s_cselect_b64 vcc, -1, 0
	s_cmp_eq_u32 s0, 2
	v_cndmask_b32_e32 v48, v0, v53, vcc
	s_cselect_b64 vcc, -1, 0
	s_cmp_eq_u32 s0, 3
	v_cndmask_b32_e32 v48, v48, v1, vcc
	;; [unrolled: 3-line block ×62, first 2 shown]
	s_cselect_b64 vcc, -1, 0
	s_cmp_eq_u32 s6, 1
	s_cselect_b64 s[0:1], -1, 0
	s_cmp_eq_u32 s6, 2
	v_cndmask_b32_e64 v49, v0, v53, s[0:1]
	s_cselect_b64 s[0:1], -1, 0
	s_cmp_eq_u32 s6, 3
	v_cndmask_b32_e64 v49, v49, v1, s[0:1]
	;; [unrolled: 3-line block ×61, first 2 shown]
	v_cndmask_b32_e32 v48, v48, v84, vcc
	s_cselect_b64 vcc, -1, 0
	s_cmp_eq_u32 s6, 63
	v_cndmask_b32_e32 v49, v49, v31, vcc
	s_cselect_b64 vcc, -1, 0
	v_cndmask_b32_e32 v49, v49, v84, vcc
	s_add_u32 s6, s6, 16
	v_add_f16_e32 v48, v48, v49
	s_addc_u32 s7, s7, 0
	v_add_f16_e32 v53, v48, v85
	v_lshl_add_u64 v[48:49], v[46:47], 1, v[50:51]
	s_cmpk_lg_i32 s6, 0x4f
	v_add_u32_e32 v52, 32, v52
	flat_store_short v[48:49], v53
	s_cbranch_scc0 .LBB244_29
.LBB244_13:                             ; =>This Inner Loop Header: Depth=1
	v_mad_i64_i32 v[48:49], s[0:1], v52, s10, 0
	v_cndmask_b32_e64 v50, 0, 1, s[2:3]
	v_lshl_add_u64 v[48:49], v[48:49], 1, s[8:9]
	v_mov_b32_e32 v85, 0
	v_cmp_ne_u32_e64 s[0:1], 1, v50
	s_andn2_b64 vcc, exec, s[2:3]
	v_mov_b32_e32 v50, 0
	s_cbranch_vccnz .LBB244_15
; %bb.14:                               ;   in Loop: Header=BB244_13 Depth=1
	v_lshl_add_u64 v[50:51], v[32:33], 1, v[48:49]
	flat_load_ushort v50, v[50:51]
	s_waitcnt vmcnt(0) lgkmcnt(0)
	v_mul_f16_e32 v50, s11, v50
.LBB244_15:                             ;   in Loop: Header=BB244_13 Depth=1
	s_add_i32 s13, s6, -15
	s_cmp_eq_u32 s13, 1
	v_lshrrev_b32_e32 v53, 16, v0
	s_cselect_b64 vcc, -1, 0
	s_cmp_eq_u32 s13, 2
	v_cndmask_b32_e32 v51, v0, v53, vcc
	s_cselect_b64 vcc, -1, 0
	s_cmp_eq_u32 s13, 3
	v_cndmask_b32_e32 v51, v51, v1, vcc
	v_lshrrev_b32_e32 v54, 16, v1
	s_cselect_b64 vcc, -1, 0
	s_cmp_eq_u32 s13, 4
	v_cndmask_b32_e32 v51, v51, v54, vcc
	s_cselect_b64 vcc, -1, 0
	s_cmp_eq_u32 s13, 5
	v_cndmask_b32_e32 v51, v51, v4, vcc
	;; [unrolled: 7-line block ×31, first 2 shown]
	s_cselect_b64 vcc, -1, 0
	s_add_i32 s13, s6, -14
	v_lshrrev_b32_e32 v84, 16, v31
	s_cmp_eq_u32 s13, 1
	v_cndmask_b32_e32 v51, v51, v84, vcc
	s_cselect_b64 vcc, -1, 0
	s_cmp_eq_u32 s13, 2
	v_cndmask_b32_e32 v86, v0, v53, vcc
	s_cselect_b64 vcc, -1, 0
	s_cmp_eq_u32 s13, 3
	v_cndmask_b32_e32 v86, v86, v1, vcc
	s_cselect_b64 vcc, -1, 0
	s_cmp_eq_u32 s13, 4
	v_cndmask_b32_e32 v86, v86, v54, vcc
	s_cselect_b64 vcc, -1, 0
	s_cmp_eq_u32 s13, 5
	v_cndmask_b32_e32 v86, v86, v4, vcc
	s_cselect_b64 vcc, -1, 0
	s_cmp_eq_u32 s13, 6
	v_cndmask_b32_e32 v86, v86, v55, vcc
	s_cselect_b64 vcc, -1, 0
	s_cmp_eq_u32 s13, 7
	v_cndmask_b32_e32 v86, v86, v5, vcc
	s_cselect_b64 vcc, -1, 0
	s_cmp_eq_u32 s13, 8
	v_cndmask_b32_e32 v86, v86, v56, vcc
	s_cselect_b64 vcc, -1, 0
	s_cmp_eq_u32 s13, 9
	v_cndmask_b32_e32 v86, v86, v16, vcc
	s_cselect_b64 vcc, -1, 0
	s_cmp_eq_u32 s13, 10
	v_cndmask_b32_e32 v86, v86, v57, vcc
	s_cselect_b64 vcc, -1, 0
	s_cmp_eq_u32 s13, 11
	v_cndmask_b32_e32 v86, v86, v23, vcc
	s_cselect_b64 vcc, -1, 0
	s_cmp_eq_u32 s13, 12
	v_cndmask_b32_e32 v86, v86, v58, vcc
	s_cselect_b64 vcc, -1, 0
	s_cmp_eq_u32 s13, 13
	v_cndmask_b32_e32 v86, v86, v24, vcc
	s_cselect_b64 vcc, -1, 0
	s_cmp_eq_u32 s13, 14
	v_cndmask_b32_e32 v86, v86, v59, vcc
	s_cselect_b64 vcc, -1, 0
	s_cmp_eq_u32 s13, 15
	v_cndmask_b32_e32 v86, v86, v7, vcc
	s_cselect_b64 vcc, -1, 0
	s_cmp_eq_u32 s13, 16
	v_cndmask_b32_e32 v86, v86, v60, vcc
	s_cselect_b64 vcc, -1, 0
	s_cmp_eq_u32 s13, 17
	v_cndmask_b32_e32 v86, v86, v8, vcc
	s_cselect_b64 vcc, -1, 0
	s_cmp_eq_u32 s13, 18
	v_cndmask_b32_e32 v86, v86, v61, vcc
	s_cselect_b64 vcc, -1, 0
	s_cmp_eq_u32 s13, 19
	v_cndmask_b32_e32 v86, v86, v11, vcc
	s_cselect_b64 vcc, -1, 0
	s_cmp_eq_u32 s13, 20
	v_cndmask_b32_e32 v86, v86, v62, vcc
	s_cselect_b64 vcc, -1, 0
	s_cmp_eq_u32 s13, 21
	v_cndmask_b32_e32 v86, v86, v12, vcc
	s_cselect_b64 vcc, -1, 0
	s_cmp_eq_u32 s13, 22
	v_cndmask_b32_e32 v86, v86, v63, vcc
	s_cselect_b64 vcc, -1, 0
	s_cmp_eq_u32 s13, 23
	v_cndmask_b32_e32 v86, v86, v17, vcc
	s_cselect_b64 vcc, -1, 0
	s_cmp_eq_u32 s13, 24
	v_cndmask_b32_e32 v86, v86, v64, vcc
	s_cselect_b64 vcc, -1, 0
	s_cmp_eq_u32 s13, 25
	v_cndmask_b32_e32 v86, v86, v18, vcc
	s_cselect_b64 vcc, -1, 0
	s_cmp_eq_u32 s13, 26
	v_cndmask_b32_e32 v86, v86, v65, vcc
	s_cselect_b64 vcc, -1, 0
	s_cmp_eq_u32 s13, 27
	v_cndmask_b32_e32 v86, v86, v25, vcc
	s_cselect_b64 vcc, -1, 0
	s_cmp_eq_u32 s13, 28
	v_cndmask_b32_e32 v86, v86, v66, vcc
	s_cselect_b64 vcc, -1, 0
	s_cmp_eq_u32 s13, 29
	v_cndmask_b32_e32 v86, v86, v26, vcc
	s_cselect_b64 vcc, -1, 0
	s_cmp_eq_u32 s13, 30
	v_cndmask_b32_e32 v86, v86, v67, vcc
	s_cselect_b64 vcc, -1, 0
	s_cmp_eq_u32 s13, 31
	v_cndmask_b32_e32 v86, v86, v15, vcc
	s_cselect_b64 vcc, -1, 0
	s_cmp_eq_u32 s13, 32
	v_cndmask_b32_e32 v86, v86, v68, vcc
	s_cselect_b64 vcc, -1, 0
	s_cmp_eq_u32 s13, 33
	v_cndmask_b32_e32 v86, v86, v2, vcc
	s_cselect_b64 vcc, -1, 0
	s_cmp_eq_u32 s13, 34
	v_cndmask_b32_e32 v86, v86, v69, vcc
	s_cselect_b64 vcc, -1, 0
	s_cmp_eq_u32 s13, 35
	v_cndmask_b32_e32 v86, v86, v3, vcc
	s_cselect_b64 vcc, -1, 0
	s_cmp_eq_u32 s13, 36
	v_cndmask_b32_e32 v86, v86, v70, vcc
	s_cselect_b64 vcc, -1, 0
	s_cmp_eq_u32 s13, 37
	v_cndmask_b32_e32 v86, v86, v6, vcc
	s_cselect_b64 vcc, -1, 0
	s_cmp_eq_u32 s13, 38
	v_cndmask_b32_e32 v86, v86, v71, vcc
	s_cselect_b64 vcc, -1, 0
	s_cmp_eq_u32 s13, 39
	v_cndmask_b32_e32 v86, v86, v19, vcc
	s_cselect_b64 vcc, -1, 0
	s_cmp_eq_u32 s13, 40
	v_cndmask_b32_e32 v86, v86, v72, vcc
	s_cselect_b64 vcc, -1, 0
	s_cmp_eq_u32 s13, 41
	v_cndmask_b32_e32 v86, v86, v20, vcc
	s_cselect_b64 vcc, -1, 0
	s_cmp_eq_u32 s13, 42
	v_cndmask_b32_e32 v86, v86, v73, vcc
	s_cselect_b64 vcc, -1, 0
	s_cmp_eq_u32 s13, 43
	v_cndmask_b32_e32 v86, v86, v27, vcc
	s_cselect_b64 vcc, -1, 0
	s_cmp_eq_u32 s13, 44
	v_cndmask_b32_e32 v86, v86, v74, vcc
	s_cselect_b64 vcc, -1, 0
	s_cmp_eq_u32 s13, 45
	v_cndmask_b32_e32 v86, v86, v28, vcc
	s_cselect_b64 vcc, -1, 0
	s_cmp_eq_u32 s13, 46
	v_cndmask_b32_e32 v86, v86, v75, vcc
	s_cselect_b64 vcc, -1, 0
	s_cmp_eq_u32 s13, 47
	v_cndmask_b32_e32 v86, v86, v9, vcc
	s_cselect_b64 vcc, -1, 0
	s_cmp_eq_u32 s13, 48
	v_cndmask_b32_e32 v86, v86, v76, vcc
	s_cselect_b64 vcc, -1, 0
	s_cmp_eq_u32 s13, 49
	v_cndmask_b32_e32 v86, v86, v10, vcc
	s_cselect_b64 vcc, -1, 0
	s_cmp_eq_u32 s13, 50
	v_cndmask_b32_e32 v86, v86, v77, vcc
	s_cselect_b64 vcc, -1, 0
	s_cmp_eq_u32 s13, 51
	v_cndmask_b32_e32 v86, v86, v13, vcc
	s_cselect_b64 vcc, -1, 0
	s_cmp_eq_u32 s13, 52
	v_cndmask_b32_e32 v86, v86, v78, vcc
	s_cselect_b64 vcc, -1, 0
	s_cmp_eq_u32 s13, 53
	v_cndmask_b32_e32 v86, v86, v14, vcc
	s_cselect_b64 vcc, -1, 0
	s_cmp_eq_u32 s13, 54
	v_cndmask_b32_e32 v86, v86, v79, vcc
	s_cselect_b64 vcc, -1, 0
	s_cmp_eq_u32 s13, 55
	v_cndmask_b32_e32 v86, v86, v21, vcc
	s_cselect_b64 vcc, -1, 0
	s_cmp_eq_u32 s13, 56
	v_cndmask_b32_e32 v86, v86, v80, vcc
	s_cselect_b64 vcc, -1, 0
	s_cmp_eq_u32 s13, 57
	v_cndmask_b32_e32 v86, v86, v22, vcc
	s_cselect_b64 vcc, -1, 0
	s_cmp_eq_u32 s13, 58
	v_cndmask_b32_e32 v86, v86, v81, vcc
	s_cselect_b64 vcc, -1, 0
	s_cmp_eq_u32 s13, 59
	v_cndmask_b32_e32 v86, v86, v29, vcc
	s_cselect_b64 vcc, -1, 0
	s_cmp_eq_u32 s13, 60
	v_cndmask_b32_e32 v86, v86, v82, vcc
	s_cselect_b64 vcc, -1, 0
	s_cmp_eq_u32 s13, 61
	v_cndmask_b32_e32 v86, v86, v30, vcc
	s_cselect_b64 vcc, -1, 0
	s_cmp_eq_u32 s13, 62
	v_cndmask_b32_e32 v86, v86, v83, vcc
	s_cselect_b64 vcc, -1, 0
	s_cmp_eq_u32 s13, 63
	v_cndmask_b32_e32 v86, v86, v31, vcc
	s_cselect_b64 vcc, -1, 0
	v_cndmask_b32_e32 v86, v86, v84, vcc
	v_add_f16_e32 v51, v51, v86
	v_add_f16_e32 v88, v51, v50
	v_mad_i64_i32 v[50:51], s[14:15], v52, s12, 0
	v_lshl_add_u64 v[50:51], v[50:51], 1, s[4:5]
	v_lshl_add_u64 v[86:87], v[32:33], 1, v[50:51]
	s_and_b64 vcc, exec, s[0:1]
	flat_store_short v[86:87], v88
	s_cbranch_vccnz .LBB244_17
; %bb.16:                               ;   in Loop: Header=BB244_13 Depth=1
	v_lshl_add_u64 v[86:87], v[34:35], 1, v[48:49]
	flat_load_ushort v85, v[86:87]
	s_waitcnt vmcnt(0) lgkmcnt(0)
	v_mul_f16_e32 v85, s11, v85
.LBB244_17:                             ;   in Loop: Header=BB244_13 Depth=1
	s_add_i32 s13, s6, -13
	s_cmp_eq_u32 s13, 1
	s_cselect_b64 vcc, -1, 0
	s_cmp_eq_u32 s13, 2
	v_cndmask_b32_e32 v86, v0, v53, vcc
	s_cselect_b64 vcc, -1, 0
	s_cmp_eq_u32 s13, 3
	v_cndmask_b32_e32 v86, v86, v1, vcc
	;; [unrolled: 3-line block ×62, first 2 shown]
	s_cselect_b64 vcc, -1, 0
	s_add_i32 s13, s6, -12
	s_cmp_eq_u32 s13, 1
	v_cndmask_b32_e32 v86, v86, v84, vcc
	s_cselect_b64 vcc, -1, 0
	s_cmp_eq_u32 s13, 2
	v_cndmask_b32_e32 v87, v0, v53, vcc
	s_cselect_b64 vcc, -1, 0
	;; [unrolled: 3-line block ×63, first 2 shown]
	v_cndmask_b32_e32 v87, v87, v84, vcc
	v_add_f16_e32 v86, v86, v87
	v_add_f16_e32 v85, v86, v85
	v_lshl_add_u64 v[86:87], v[34:35], 1, v[50:51]
	flat_store_short v[86:87], v85
	s_and_b64 vcc, exec, s[0:1]
	v_mov_b32_e32 v85, 0
	v_mov_b32_e32 v86, 0
	s_cbranch_vccnz .LBB244_19
; %bb.18:                               ;   in Loop: Header=BB244_13 Depth=1
	v_lshl_add_u64 v[86:87], v[36:37], 1, v[48:49]
	flat_load_ushort v86, v[86:87]
	s_waitcnt vmcnt(0) lgkmcnt(0)
	v_mul_f16_e32 v86, s11, v86
.LBB244_19:                             ;   in Loop: Header=BB244_13 Depth=1
	s_add_i32 s13, s6, -11
	s_cmp_eq_u32 s13, 1
	s_cselect_b64 vcc, -1, 0
	s_cmp_eq_u32 s13, 2
	v_cndmask_b32_e32 v87, v0, v53, vcc
	s_cselect_b64 vcc, -1, 0
	s_cmp_eq_u32 s13, 3
	v_cndmask_b32_e32 v87, v87, v1, vcc
	;; [unrolled: 3-line block ×62, first 2 shown]
	s_cselect_b64 vcc, -1, 0
	s_add_i32 s13, s6, -10
	s_cmp_eq_u32 s13, 1
	v_cndmask_b32_e32 v87, v87, v84, vcc
	s_cselect_b64 vcc, -1, 0
	s_cmp_eq_u32 s13, 2
	v_cndmask_b32_e32 v88, v0, v53, vcc
	s_cselect_b64 vcc, -1, 0
	;; [unrolled: 3-line block ×63, first 2 shown]
	v_cndmask_b32_e32 v88, v88, v84, vcc
	v_add_f16_e32 v87, v87, v88
	v_add_f16_e32 v88, v87, v86
	v_lshl_add_u64 v[86:87], v[36:37], 1, v[50:51]
	s_and_b64 vcc, exec, s[0:1]
	flat_store_short v[86:87], v88
	s_cbranch_vccnz .LBB244_21
; %bb.20:                               ;   in Loop: Header=BB244_13 Depth=1
	v_lshl_add_u64 v[86:87], v[38:39], 1, v[48:49]
	flat_load_ushort v85, v[86:87]
	s_waitcnt vmcnt(0) lgkmcnt(0)
	v_mul_f16_e32 v85, s11, v85
.LBB244_21:                             ;   in Loop: Header=BB244_13 Depth=1
	s_add_i32 s13, s6, -9
	s_cmp_eq_u32 s13, 1
	s_cselect_b64 vcc, -1, 0
	s_cmp_eq_u32 s13, 2
	v_cndmask_b32_e32 v86, v0, v53, vcc
	s_cselect_b64 vcc, -1, 0
	s_cmp_eq_u32 s13, 3
	v_cndmask_b32_e32 v86, v86, v1, vcc
	;; [unrolled: 3-line block ×62, first 2 shown]
	s_cselect_b64 vcc, -1, 0
	s_add_i32 s13, s6, -8
	s_cmp_eq_u32 s13, 1
	v_cndmask_b32_e32 v86, v86, v84, vcc
	s_cselect_b64 vcc, -1, 0
	s_cmp_eq_u32 s13, 2
	v_cndmask_b32_e32 v87, v0, v53, vcc
	s_cselect_b64 vcc, -1, 0
	;; [unrolled: 3-line block ×63, first 2 shown]
	v_cndmask_b32_e32 v87, v87, v84, vcc
	v_add_f16_e32 v86, v86, v87
	v_add_f16_e32 v85, v86, v85
	v_lshl_add_u64 v[86:87], v[38:39], 1, v[50:51]
	flat_store_short v[86:87], v85
	s_and_b64 vcc, exec, s[0:1]
	v_mov_b32_e32 v85, 0
	v_mov_b32_e32 v86, 0
	s_cbranch_vccnz .LBB244_23
; %bb.22:                               ;   in Loop: Header=BB244_13 Depth=1
	v_lshl_add_u64 v[86:87], v[40:41], 1, v[48:49]
	flat_load_ushort v86, v[86:87]
	s_waitcnt vmcnt(0) lgkmcnt(0)
	v_mul_f16_e32 v86, s11, v86
.LBB244_23:                             ;   in Loop: Header=BB244_13 Depth=1
	s_add_i32 s13, s6, -7
	s_cmp_eq_u32 s13, 1
	s_cselect_b64 vcc, -1, 0
	s_cmp_eq_u32 s13, 2
	v_cndmask_b32_e32 v87, v0, v53, vcc
	s_cselect_b64 vcc, -1, 0
	s_cmp_eq_u32 s13, 3
	v_cndmask_b32_e32 v87, v87, v1, vcc
	;; [unrolled: 3-line block ×62, first 2 shown]
	s_cselect_b64 vcc, -1, 0
	s_add_i32 s13, s6, -6
	s_cmp_eq_u32 s13, 1
	v_cndmask_b32_e32 v87, v87, v84, vcc
	s_cselect_b64 vcc, -1, 0
	s_cmp_eq_u32 s13, 2
	v_cndmask_b32_e32 v88, v0, v53, vcc
	s_cselect_b64 vcc, -1, 0
	;; [unrolled: 3-line block ×63, first 2 shown]
	v_cndmask_b32_e32 v88, v88, v84, vcc
	v_add_f16_e32 v87, v87, v88
	v_add_f16_e32 v88, v87, v86
	v_lshl_add_u64 v[86:87], v[40:41], 1, v[50:51]
	s_and_b64 vcc, exec, s[0:1]
	flat_store_short v[86:87], v88
	s_cbranch_vccnz .LBB244_25
; %bb.24:                               ;   in Loop: Header=BB244_13 Depth=1
	v_lshl_add_u64 v[86:87], v[42:43], 1, v[48:49]
	flat_load_ushort v85, v[86:87]
	s_waitcnt vmcnt(0) lgkmcnt(0)
	v_mul_f16_e32 v85, s11, v85
.LBB244_25:                             ;   in Loop: Header=BB244_13 Depth=1
	s_add_i32 s13, s6, -5
	s_cmp_eq_u32 s13, 1
	s_cselect_b64 vcc, -1, 0
	s_cmp_eq_u32 s13, 2
	v_cndmask_b32_e32 v86, v0, v53, vcc
	s_cselect_b64 vcc, -1, 0
	s_cmp_eq_u32 s13, 3
	v_cndmask_b32_e32 v86, v86, v1, vcc
	;; [unrolled: 3-line block ×62, first 2 shown]
	s_cselect_b64 vcc, -1, 0
	s_add_i32 s13, s6, -4
	s_cmp_eq_u32 s13, 1
	v_cndmask_b32_e32 v86, v86, v84, vcc
	s_cselect_b64 vcc, -1, 0
	s_cmp_eq_u32 s13, 2
	v_cndmask_b32_e32 v87, v0, v53, vcc
	s_cselect_b64 vcc, -1, 0
	;; [unrolled: 3-line block ×63, first 2 shown]
	v_cndmask_b32_e32 v87, v87, v84, vcc
	v_add_f16_e32 v86, v86, v87
	v_add_f16_e32 v85, v86, v85
	v_lshl_add_u64 v[86:87], v[42:43], 1, v[50:51]
	flat_store_short v[86:87], v85
	s_and_b64 vcc, exec, s[0:1]
	v_mov_b32_e32 v85, 0
	v_mov_b32_e32 v86, 0
	s_cbranch_vccnz .LBB244_27
; %bb.26:                               ;   in Loop: Header=BB244_13 Depth=1
	v_lshl_add_u64 v[86:87], v[44:45], 1, v[48:49]
	flat_load_ushort v86, v[86:87]
	s_waitcnt vmcnt(0) lgkmcnt(0)
	v_mul_f16_e32 v86, s11, v86
.LBB244_27:                             ;   in Loop: Header=BB244_13 Depth=1
	s_add_i32 s13, s6, -3
	s_cmp_eq_u32 s13, 1
	s_cselect_b64 vcc, -1, 0
	s_cmp_eq_u32 s13, 2
	v_cndmask_b32_e32 v87, v0, v53, vcc
	s_cselect_b64 vcc, -1, 0
	s_cmp_eq_u32 s13, 3
	v_cndmask_b32_e32 v87, v87, v1, vcc
	;; [unrolled: 3-line block ×62, first 2 shown]
	s_cselect_b64 vcc, -1, 0
	s_add_i32 s13, s6, -2
	s_cmp_eq_u32 s13, 1
	v_cndmask_b32_e32 v87, v87, v84, vcc
	s_cselect_b64 vcc, -1, 0
	s_cmp_eq_u32 s13, 2
	v_cndmask_b32_e32 v88, v0, v53, vcc
	s_cselect_b64 vcc, -1, 0
	;; [unrolled: 3-line block ×63, first 2 shown]
	v_cndmask_b32_e32 v88, v88, v84, vcc
	v_add_f16_e32 v87, v87, v88
	v_add_f16_e32 v88, v87, v86
	v_lshl_add_u64 v[86:87], v[44:45], 1, v[50:51]
	s_and_b64 vcc, exec, s[0:1]
	flat_store_short v[86:87], v88
	s_cbranch_vccnz .LBB244_12
; %bb.28:                               ;   in Loop: Header=BB244_13 Depth=1
	v_lshl_add_u64 v[48:49], v[46:47], 1, v[48:49]
	flat_load_ushort v48, v[48:49]
	s_waitcnt vmcnt(0) lgkmcnt(0)
	v_mul_f16_e32 v85, s11, v48
	s_branch .LBB244_12
.LBB244_29:
	s_endpgm
	.section	.rodata,"a",@progbits
	.p2align	6, 0x0
	.amdhsa_kernel _ZN12_GLOBAL__N_120geam_min_plus_kernelIDF16_Dv2_DF16_S1_Li8ELi32ELi64ELi128ELi4ELi64ELi4ELi64ELi4ELc78ELc84ELb1ELb0ELb0EDF16_KPKDF16_KPDF16_EEviiiT16_PT17_ilS9_ilS7_S9_ilPT18_ili26rocblas_geam_ex_operation_
		.amdhsa_group_segment_fixed_size 3072
		.amdhsa_private_segment_fixed_size 0
		.amdhsa_kernarg_size 128
		.amdhsa_user_sgpr_count 2
		.amdhsa_user_sgpr_dispatch_ptr 0
		.amdhsa_user_sgpr_queue_ptr 0
		.amdhsa_user_sgpr_kernarg_segment_ptr 1
		.amdhsa_user_sgpr_dispatch_id 0
		.amdhsa_user_sgpr_kernarg_preload_length 0
		.amdhsa_user_sgpr_kernarg_preload_offset 0
		.amdhsa_user_sgpr_private_segment_size 0
		.amdhsa_uses_dynamic_stack 0
		.amdhsa_enable_private_segment 0
		.amdhsa_system_sgpr_workgroup_id_x 1
		.amdhsa_system_sgpr_workgroup_id_y 0
		.amdhsa_system_sgpr_workgroup_id_z 1
		.amdhsa_system_sgpr_workgroup_info 0
		.amdhsa_system_vgpr_workitem_id 1
		.amdhsa_next_free_vgpr 132
		.amdhsa_next_free_sgpr 22
		.amdhsa_accum_offset 132
		.amdhsa_reserve_vcc 1
		.amdhsa_float_round_mode_32 0
		.amdhsa_float_round_mode_16_64 0
		.amdhsa_float_denorm_mode_32 3
		.amdhsa_float_denorm_mode_16_64 3
		.amdhsa_dx10_clamp 1
		.amdhsa_ieee_mode 1
		.amdhsa_fp16_overflow 0
		.amdhsa_tg_split 0
		.amdhsa_exception_fp_ieee_invalid_op 0
		.amdhsa_exception_fp_denorm_src 0
		.amdhsa_exception_fp_ieee_div_zero 0
		.amdhsa_exception_fp_ieee_overflow 0
		.amdhsa_exception_fp_ieee_underflow 0
		.amdhsa_exception_fp_ieee_inexact 0
		.amdhsa_exception_int_div_zero 0
	.end_amdhsa_kernel
	.section	.text._ZN12_GLOBAL__N_120geam_min_plus_kernelIDF16_Dv2_DF16_S1_Li8ELi32ELi64ELi128ELi4ELi64ELi4ELi64ELi4ELc78ELc84ELb1ELb0ELb0EDF16_KPKDF16_KPDF16_EEviiiT16_PT17_ilS9_ilS7_S9_ilPT18_ili26rocblas_geam_ex_operation_,"axG",@progbits,_ZN12_GLOBAL__N_120geam_min_plus_kernelIDF16_Dv2_DF16_S1_Li8ELi32ELi64ELi128ELi4ELi64ELi4ELi64ELi4ELc78ELc84ELb1ELb0ELb0EDF16_KPKDF16_KPDF16_EEviiiT16_PT17_ilS9_ilS7_S9_ilPT18_ili26rocblas_geam_ex_operation_,comdat
.Lfunc_end244:
	.size	_ZN12_GLOBAL__N_120geam_min_plus_kernelIDF16_Dv2_DF16_S1_Li8ELi32ELi64ELi128ELi4ELi64ELi4ELi64ELi4ELc78ELc84ELb1ELb0ELb0EDF16_KPKDF16_KPDF16_EEviiiT16_PT17_ilS9_ilS7_S9_ilPT18_ili26rocblas_geam_ex_operation_, .Lfunc_end244-_ZN12_GLOBAL__N_120geam_min_plus_kernelIDF16_Dv2_DF16_S1_Li8ELi32ELi64ELi128ELi4ELi64ELi4ELi64ELi4ELc78ELc84ELb1ELb0ELb0EDF16_KPKDF16_KPDF16_EEviiiT16_PT17_ilS9_ilS7_S9_ilPT18_ili26rocblas_geam_ex_operation_
                                        ; -- End function
	.set _ZN12_GLOBAL__N_120geam_min_plus_kernelIDF16_Dv2_DF16_S1_Li8ELi32ELi64ELi128ELi4ELi64ELi4ELi64ELi4ELc78ELc84ELb1ELb0ELb0EDF16_KPKDF16_KPDF16_EEviiiT16_PT17_ilS9_ilS7_S9_ilPT18_ili26rocblas_geam_ex_operation_.num_vgpr, 132
	.set _ZN12_GLOBAL__N_120geam_min_plus_kernelIDF16_Dv2_DF16_S1_Li8ELi32ELi64ELi128ELi4ELi64ELi4ELi64ELi4ELc78ELc84ELb1ELb0ELb0EDF16_KPKDF16_KPDF16_EEviiiT16_PT17_ilS9_ilS7_S9_ilPT18_ili26rocblas_geam_ex_operation_.num_agpr, 0
	.set _ZN12_GLOBAL__N_120geam_min_plus_kernelIDF16_Dv2_DF16_S1_Li8ELi32ELi64ELi128ELi4ELi64ELi4ELi64ELi4ELc78ELc84ELb1ELb0ELb0EDF16_KPKDF16_KPDF16_EEviiiT16_PT17_ilS9_ilS7_S9_ilPT18_ili26rocblas_geam_ex_operation_.numbered_sgpr, 22
	.set _ZN12_GLOBAL__N_120geam_min_plus_kernelIDF16_Dv2_DF16_S1_Li8ELi32ELi64ELi128ELi4ELi64ELi4ELi64ELi4ELc78ELc84ELb1ELb0ELb0EDF16_KPKDF16_KPDF16_EEviiiT16_PT17_ilS9_ilS7_S9_ilPT18_ili26rocblas_geam_ex_operation_.num_named_barrier, 0
	.set _ZN12_GLOBAL__N_120geam_min_plus_kernelIDF16_Dv2_DF16_S1_Li8ELi32ELi64ELi128ELi4ELi64ELi4ELi64ELi4ELc78ELc84ELb1ELb0ELb0EDF16_KPKDF16_KPDF16_EEviiiT16_PT17_ilS9_ilS7_S9_ilPT18_ili26rocblas_geam_ex_operation_.private_seg_size, 0
	.set _ZN12_GLOBAL__N_120geam_min_plus_kernelIDF16_Dv2_DF16_S1_Li8ELi32ELi64ELi128ELi4ELi64ELi4ELi64ELi4ELc78ELc84ELb1ELb0ELb0EDF16_KPKDF16_KPDF16_EEviiiT16_PT17_ilS9_ilS7_S9_ilPT18_ili26rocblas_geam_ex_operation_.uses_vcc, 1
	.set _ZN12_GLOBAL__N_120geam_min_plus_kernelIDF16_Dv2_DF16_S1_Li8ELi32ELi64ELi128ELi4ELi64ELi4ELi64ELi4ELc78ELc84ELb1ELb0ELb0EDF16_KPKDF16_KPDF16_EEviiiT16_PT17_ilS9_ilS7_S9_ilPT18_ili26rocblas_geam_ex_operation_.uses_flat_scratch, 0
	.set _ZN12_GLOBAL__N_120geam_min_plus_kernelIDF16_Dv2_DF16_S1_Li8ELi32ELi64ELi128ELi4ELi64ELi4ELi64ELi4ELc78ELc84ELb1ELb0ELb0EDF16_KPKDF16_KPDF16_EEviiiT16_PT17_ilS9_ilS7_S9_ilPT18_ili26rocblas_geam_ex_operation_.has_dyn_sized_stack, 0
	.set _ZN12_GLOBAL__N_120geam_min_plus_kernelIDF16_Dv2_DF16_S1_Li8ELi32ELi64ELi128ELi4ELi64ELi4ELi64ELi4ELc78ELc84ELb1ELb0ELb0EDF16_KPKDF16_KPDF16_EEviiiT16_PT17_ilS9_ilS7_S9_ilPT18_ili26rocblas_geam_ex_operation_.has_recursion, 0
	.set _ZN12_GLOBAL__N_120geam_min_plus_kernelIDF16_Dv2_DF16_S1_Li8ELi32ELi64ELi128ELi4ELi64ELi4ELi64ELi4ELc78ELc84ELb1ELb0ELb0EDF16_KPKDF16_KPDF16_EEviiiT16_PT17_ilS9_ilS7_S9_ilPT18_ili26rocblas_geam_ex_operation_.has_indirect_call, 0
	.section	.AMDGPU.csdata,"",@progbits
; Kernel info:
; codeLenInByte = 19416
; TotalNumSgprs: 28
; NumVgprs: 132
; NumAgprs: 0
; TotalNumVgprs: 132
; ScratchSize: 0
; MemoryBound: 0
; FloatMode: 240
; IeeeMode: 1
; LDSByteSize: 3072 bytes/workgroup (compile time only)
; SGPRBlocks: 3
; VGPRBlocks: 16
; NumSGPRsForWavesPerEU: 28
; NumVGPRsForWavesPerEU: 132
; AccumOffset: 132
; Occupancy: 3
; WaveLimiterHint : 1
; COMPUTE_PGM_RSRC2:SCRATCH_EN: 0
; COMPUTE_PGM_RSRC2:USER_SGPR: 2
; COMPUTE_PGM_RSRC2:TRAP_HANDLER: 0
; COMPUTE_PGM_RSRC2:TGID_X_EN: 1
; COMPUTE_PGM_RSRC2:TGID_Y_EN: 0
; COMPUTE_PGM_RSRC2:TGID_Z_EN: 1
; COMPUTE_PGM_RSRC2:TIDIG_COMP_CNT: 1
; COMPUTE_PGM_RSRC3_GFX90A:ACCUM_OFFSET: 32
; COMPUTE_PGM_RSRC3_GFX90A:TG_SPLIT: 0
	.section	.text._ZN12_GLOBAL__N_120geam_min_plus_kernelIDF16_Dv2_DF16_S1_Li8ELi32ELi64ELi128ELi4ELi64ELi4ELi64ELi4ELc78ELc84ELb0ELb0ELb0EDF16_KPKDF16_KPDF16_EEviiiT16_PT17_ilS9_ilS7_S9_ilPT18_ili26rocblas_geam_ex_operation_,"axG",@progbits,_ZN12_GLOBAL__N_120geam_min_plus_kernelIDF16_Dv2_DF16_S1_Li8ELi32ELi64ELi128ELi4ELi64ELi4ELi64ELi4ELc78ELc84ELb0ELb0ELb0EDF16_KPKDF16_KPDF16_EEviiiT16_PT17_ilS9_ilS7_S9_ilPT18_ili26rocblas_geam_ex_operation_,comdat
	.globl	_ZN12_GLOBAL__N_120geam_min_plus_kernelIDF16_Dv2_DF16_S1_Li8ELi32ELi64ELi128ELi4ELi64ELi4ELi64ELi4ELc78ELc84ELb0ELb0ELb0EDF16_KPKDF16_KPDF16_EEviiiT16_PT17_ilS9_ilS7_S9_ilPT18_ili26rocblas_geam_ex_operation_ ; -- Begin function _ZN12_GLOBAL__N_120geam_min_plus_kernelIDF16_Dv2_DF16_S1_Li8ELi32ELi64ELi128ELi4ELi64ELi4ELi64ELi4ELc78ELc84ELb0ELb0ELb0EDF16_KPKDF16_KPDF16_EEviiiT16_PT17_ilS9_ilS7_S9_ilPT18_ili26rocblas_geam_ex_operation_
	.p2align	8
	.type	_ZN12_GLOBAL__N_120geam_min_plus_kernelIDF16_Dv2_DF16_S1_Li8ELi32ELi64ELi128ELi4ELi64ELi4ELi64ELi4ELc78ELc84ELb0ELb0ELb0EDF16_KPKDF16_KPDF16_EEviiiT16_PT17_ilS9_ilS7_S9_ilPT18_ili26rocblas_geam_ex_operation_,@function
_ZN12_GLOBAL__N_120geam_min_plus_kernelIDF16_Dv2_DF16_S1_Li8ELi32ELi64ELi128ELi4ELi64ELi4ELi64ELi4ELc78ELc84ELb0ELb0ELb0EDF16_KPKDF16_KPDF16_EEviiiT16_PT17_ilS9_ilS7_S9_ilPT18_ili26rocblas_geam_ex_operation_: ; @_ZN12_GLOBAL__N_120geam_min_plus_kernelIDF16_Dv2_DF16_S1_Li8ELi32ELi64ELi128ELi4ELi64ELi4ELi64ELi4ELc78ELc84ELb0ELb0ELb0EDF16_KPKDF16_KPDF16_EEviiiT16_PT17_ilS9_ilS7_S9_ilPT18_ili26rocblas_geam_ex_operation_
; %bb.0:
	s_load_dwordx2 s[14:15], s[0:1], 0x8
	s_load_dwordx4 s[8:11], s[0:1], 0x20
	s_mov_b32 s20, s3
	s_mov_b32 s21, 0
	s_waitcnt lgkmcnt(0)
	v_cmp_eq_f16_e64 s[4:5], s15, 0
	s_and_b64 s[6:7], exec, s[4:5]
	s_mov_b64 vcc, s[6:7]
	s_cbranch_vccnz .LBB245_3
; %bb.1:
	s_load_dwordx2 s[12:13], s[0:1], 0x10
	s_lshl_b64 s[16:17], s[20:21], 3
	s_waitcnt lgkmcnt(0)
	s_add_u32 s12, s12, s16
	s_addc_u32 s13, s13, s17
	s_load_dwordx2 s[12:13], s[12:13], 0x0
	s_lshl_b64 s[8:9], s[8:9], 1
	s_waitcnt lgkmcnt(0)
	s_add_u32 s16, s12, s8
	s_addc_u32 s17, s13, s9
	s_andn2_b64 vcc, exec, s[4:5]
	s_cbranch_vccnz .LBB245_4
.LBB245_2:
	s_mov_b32 s5, 0
	s_mov_b32 s4, s20
	s_mov_b64 s[12:13], 0
	s_mov_b64 s[18:19], 0
	s_cbranch_execz .LBB245_5
	s_branch .LBB245_6
.LBB245_3:
	s_mov_b64 s[16:17], 0
	s_andn2_b64 vcc, exec, s[4:5]
	s_cbranch_vccz .LBB245_2
.LBB245_4:
	s_mov_b64 s[4:5], s[20:21]
	s_mov_b64 s[12:13], 0
	;; [unrolled: 1-line block ×3, first 2 shown]
.LBB245_5:
	s_lshl_b64 s[18:19], s[20:21], 3
	s_add_u32 s10, s10, s18
	s_load_dwordx2 s[8:9], s[0:1], 0x38
	s_addc_u32 s11, s11, s19
	s_load_dwordx2 s[10:11], s[10:11], 0x0
	s_waitcnt lgkmcnt(0)
	s_lshl_b64 s[8:9], s[8:9], 1
	s_add_u32 s18, s10, s8
	s_addc_u32 s19, s11, s9
.LBB245_6:
	s_load_dword s26, s[0:1], 0x40
	s_load_dwordx4 s[8:11], s[0:1], 0x58
	v_cmp_neq_f16_e64 s[24:25], s15, 0
	s_waitcnt lgkmcnt(0)
	v_cmp_eq_f16_e64 s[20:21], s26, 0
	s_and_b64 vcc, exec, s[20:21]
	s_cbranch_vccnz .LBB245_8
; %bb.7:
	s_load_dwordx2 s[12:13], s[0:1], 0x48
	s_lshl_b64 s[20:21], s[4:5], 3
	s_waitcnt lgkmcnt(0)
	s_add_u32 s12, s12, s20
	s_addc_u32 s13, s13, s21
	s_load_dwordx2 s[12:13], s[12:13], 0x0
	s_lshl_b64 s[8:9], s[8:9], 1
	s_waitcnt lgkmcnt(0)
	s_add_u32 s12, s12, s8
	s_addc_u32 s13, s13, s9
.LBB245_8:
	s_load_dword s22, s[0:1], 0x18
	s_load_dword s20, s[0:1], 0x30
	s_load_dword s3, s[0:1], 0x0
	s_lshl_b64 s[4:5], s[4:5], 3
	v_and_b32_e32 v36, 0x3ff, v0
	s_waitcnt lgkmcnt(0)
	s_ashr_i32 s23, s22, 31
	s_ashr_i32 s21, s20, 31
	s_add_u32 s8, s10, s4
	s_addc_u32 s9, s11, s5
	s_add_i32 s3, s3, -1
	s_ashr_i32 s4, s3, 31
	s_lshr_b32 s4, s4, 26
	s_add_i32 s3, s3, s4
	s_ashr_i32 s3, s3, 6
	s_add_i32 s4, s3, 1
	v_cvt_f32_u32_e32 v1, s4
	s_not_b32 s3, s3
	v_bfe_u32 v48, v0, 10, 10
	v_lshl_add_u32 v0, v48, 3, v36
	v_rcp_iflag_f32_e32 v1, v1
	v_and_b32_e32 v4, 63, v0
	v_lshrrev_b32_e32 v5, 6, v0
	v_cndmask_b32_e64 v0, 0, 1, s[24:25]
	v_mul_f32_e32 v1, 0x4f7ffffe, v1
	v_cvt_u32_f32_e32 v1, v1
	v_mov_b32_e32 v8, 0
	v_readfirstlane_b32 s5, v1
	s_mul_i32 s3, s3, s5
	s_mul_hi_u32 s3, s5, s3
	s_add_i32 s5, s5, s3
	s_mul_hi_u32 s3, s2, s5
	s_mul_i32 s5, s3, s4
	s_sub_i32 s5, s2, s5
	s_add_i32 s10, s3, 1
	s_sub_i32 s11, s5, s4
	s_cmp_ge_u32 s5, s4
	s_cselect_b32 s3, s10, s3
	s_cselect_b32 s5, s11, s5
	s_add_i32 s10, s3, 1
	s_cmp_ge_u32 s5, s4
	s_cselect_b32 s5, s10, s3
	s_mul_i32 s3, s5, s4
	s_sub_i32 s4, s2, s3
	s_lshl_b32 s28, s4, 6
	s_lshl_b32 s27, s5, 7
	v_cmp_ne_u32_e64 s[4:5], 1, v0
	v_or_b32_e32 v2, s28, v4
	v_or_b32_e32 v0, s27, v4
	s_andn2_b64 vcc, exec, s[24:25]
	v_ashrrev_i32_e32 v3, 31, v2
	v_ashrrev_i32_e32 v1, 31, v0
	s_cbranch_vccnz .LBB245_11
; %bb.9:
	v_mad_i64_i32 v[6:7], s[10:11], s22, v5, 0
	v_lshl_add_u64 v[6:7], v[6:7], 1, s[16:17]
	v_lshl_add_u64 v[6:7], v[2:3], 1, v[6:7]
	flat_load_ushort v9, v[6:7]
	v_mad_i64_i32 v[6:7], s[10:11], s20, v5, 0
	v_lshl_add_u64 v[6:7], v[6:7], 1, s[18:19]
	v_lshl_add_u64 v[6:7], v[0:1], 1, v[6:7]
	flat_load_ushort v10, v[6:7]
	flat_load_ushort v11, v[6:7] offset:128
	s_waitcnt vmcnt(0) lgkmcnt(0)
	v_mul_f16_e32 v9, s15, v9
	v_mul_f16_e32 v6, s15, v10
	v_pack_b32_f16 v6, v6, 0
	v_mul_f16_e32 v7, s15, v11
	s_and_b64 vcc, exec, s[4:5]
	s_cbranch_vccnz .LBB245_12
.LBB245_10:
	v_add_u32_e32 v8, 4, v5
	v_mad_i64_i32 v[10:11], s[4:5], s22, v8, 0
	v_lshl_add_u64 v[10:11], v[10:11], 1, s[16:17]
	v_lshl_add_u64 v[2:3], v[2:3], 1, v[10:11]
	flat_load_ushort v10, v[2:3]
	v_mad_i64_i32 v[2:3], s[4:5], s20, v8, 0
	v_lshl_add_u64 v[2:3], v[2:3], 1, s[18:19]
	v_lshl_add_u64 v[0:1], v[0:1], 1, v[2:3]
	flat_load_ushort v2, v[0:1]
	flat_load_ushort v3, v[0:1] offset:128
	s_waitcnt vmcnt(0) lgkmcnt(0)
	v_mul_f16_e32 v8, s15, v10
	v_mul_f16_e32 v0, s15, v2
	v_pack_b32_f16 v1, v0, 0
	v_mul_f16_e32 v2, s15, v3
	s_branch .LBB245_13
.LBB245_11:
	v_mov_b32_e32 v6, 0
	v_mov_b32_e32 v9, 0
	;; [unrolled: 1-line block ×3, first 2 shown]
	s_and_b64 vcc, exec, s[4:5]
	s_cbranch_vccz .LBB245_10
.LBB245_12:
	v_mov_b32_e32 v1, 0
	v_mov_b32_e32 v2, 0
.LBB245_13:
	v_lshlrev_b32_e32 v0, 3, v4
	v_lshl_add_u32 v39, v5, 1, v0
	v_lshlrev_b32_e32 v38, 3, v36
	v_lshlrev_b32_e32 v37, 3, v48
	s_load_dwordx2 s[4:5], s[8:9], 0x0
	ds_write_b16 v39, v9 offset:2048
	ds_write_b16 v39, v6
	ds_write_b16 v39, v7 offset:512
	s_waitcnt lgkmcnt(0)
	s_barrier
	ds_read2_b64 v[10:13], v37 offset1:32
	v_add_u32_e32 v40, 0x800, v38
	ds_read2_b64 v[14:17], v40 offset0:48 offset1:56
	ds_read2_b64 v[18:21], v37 offset0:64 offset1:96
	ds_read2_b64 v[22:25], v40 offset1:8
	ds_read2_b64 v[26:29], v40 offset0:16 offset1:24
	ds_read2_b64 v[30:33], v40 offset0:32 offset1:40
	s_waitcnt lgkmcnt(5)
	v_pk_max_f16 v0, v10, v10
	s_waitcnt lgkmcnt(4)
	v_pk_max_f16 v3, v16, v16
	v_pk_max_f16 v10, v12, v12
	v_pk_min_f16 v9, v3, v0
	s_waitcnt lgkmcnt(3)
	v_pk_max_f16 v12, v18, v18
	s_waitcnt lgkmcnt(2)
	v_pk_max_f16 v16, v22, v22
	v_pk_max_f16 v20, v20, v20
	v_pk_max_f16 v24, v24, v24
	s_waitcnt lgkmcnt(1)
	v_pk_max_f16 v26, v26, v26
	v_pk_max_f16 v28, v28, v28
	;; [unrolled: 4-line block ×3, first 2 shown]
	v_pk_max_f16 v14, v14, v14
	v_pk_max_f16 v17, v17, v17
	v_pk_min_f16 v18, v16, v0
	v_pk_min_f16 v22, v16, v10
	;; [unrolled: 1-line block ×16, first 2 shown]
	v_pk_max_f16 v13, v13, v13
	v_pk_min_f16 v60, v30, v0
	v_pk_min_f16 v61, v30, v10
	;; [unrolled: 1-line block ×15, first 2 shown]
	v_pk_add_f16 v9, v9, 0
	v_pk_min_f16 v20, v17, v11
	v_pk_max_f16 v19, v19, v19
	v_pk_add_f16 v44, v9, v20
	v_pk_add_f16 v9, v41, 0
	v_pk_min_f16 v20, v17, v13
	v_pk_max_f16 v23, v23, v23
	v_pk_add_f16 v41, v9, v20
	;; [unrolled: 4-line block ×6, first 2 shown]
	v_pk_add_f16 v9, v16, 0
	v_pk_min_f16 v16, v23, v21
	v_pk_add_f16 v23, v60, 0
	v_pk_add_f16 v47, v9, v16
	v_pk_add_f16 v9, v35, 0
	v_pk_min_f16 v16, v25, v11
	v_pk_add_f16 v18, v58, 0
	v_pk_add_f16 v50, v9, v16
	;; [unrolled: 4-line block ×7, first 2 shown]
	v_pk_add_f16 v9, v56, 0
	v_pk_min_f16 v16, v27, v19
	v_pk_min_f16 v27, v27, v21
	v_pk_add_f16 v55, v9, v16
	v_pk_add_f16 v9, v26, 0
	;; [unrolled: 1-line block ×4, first 2 shown]
	v_pk_min_f16 v9, v29, v11
	v_pk_add_f16 v26, v30, 0
	v_pk_add_f16 v61, v16, v9
	v_pk_min_f16 v9, v29, v13
	v_pk_add_f16 v30, v64, 0
	v_pk_add_f16 v63, v18, v9
	;; [unrolled: 3-line block ×4, first 2 shown]
	v_pk_max_f16 v9, v31, v31
	v_pk_add_f16 v0, v0, 0
	v_pk_min_f16 v16, v9, v11
	v_pk_add_f16 v10, v10, 0
	v_pk_add_f16 v57, v23, v16
	v_pk_min_f16 v16, v9, v13
	v_pk_add_f16 v12, v12, 0
	v_pk_add_f16 v59, v24, v16
	v_pk_min_f16 v16, v9, v19
	v_pk_min_f16 v9, v9, v21
	v_pk_add_f16 v62, v25, v16
	v_pk_add_f16 v64, v26, v9
	v_pk_max_f16 v9, v33, v33
	v_pk_add_f16 v14, v14, 0
	v_pk_min_f16 v16, v9, v11
	v_pk_add_f16 v3, v3, 0
	v_pk_add_f16 v65, v28, v16
	v_pk_min_f16 v16, v9, v13
	s_cmp_lt_i32 s14, 9
	v_pk_add_f16 v66, v30, v16
	v_pk_min_f16 v16, v9, v19
	v_pk_min_f16 v9, v9, v21
	v_pk_add_f16 v67, v34, v16
	v_pk_add_f16 v68, v32, v9
	v_pk_max_f16 v9, v15, v15
	ds_write_b16 v39, v8 offset:2560
	ds_write_b16 v39, v1 offset:1024
	;; [unrolled: 1-line block ×3, first 2 shown]
	v_pk_min_f16 v11, v9, v11
	s_waitcnt lgkmcnt(0)
	v_pk_add_f16 v69, v0, v11
	v_pk_min_f16 v0, v9, v13
	s_barrier
	v_pk_add_f16 v70, v10, v0
	v_pk_min_f16 v0, v9, v19
	s_nop 0
	v_pk_add_f16 v71, v12, v0
	v_pk_min_f16 v0, v9, v21
	s_nop 0
	;; [unrolled: 3-line block ×3, first 2 shown]
	v_pk_add_f16 v73, v3, v0
	s_cbranch_scc1 .LBB245_24
; %bb.14:
	s_mov_b32 s24, 0x5040100
	v_perm_b32 v84, v2, v1, s24
	v_mov_b32_e32 v1, 0xa00
	v_lshl_add_u32 v77, v36, 3, v1
	v_mov_b32_e32 v1, 0x400
	v_lshl_add_u32 v78, v48, 3, v1
	v_add_u32_e32 v1, 8, v5
	v_mad_i64_i32 v[2:3], s[8:9], v1, s20, 0
	v_lshlrev_b64 v[24:25], 1, v[2:3]
	v_add_u32_e32 v2, s27, v4
	v_ashrrev_i32_e32 v3, 31, v2
	v_add_u32_e32 v5, 12, v5
	v_lshl_add_u64 v[26:27], v[2:3], 1, s[18:19]
	v_mad_i64_i32 v[2:3], s[10:11], v5, s22, 0
	v_lshlrev_b64 v[28:29], 1, v[2:3]
	v_lshl_or_b32 v2, s2, 6, v4
	s_lshl_b32 s2, s3, 6
	v_subrev_u32_e32 v2, s2, v2
	v_ashrrev_i32_e32 v3, 31, v2
	v_lshl_add_u64 v[30:31], v[2:3], 1, s[16:17]
	v_mad_i64_i32 v[2:3], s[10:11], v1, s22, 0
	v_lshlrev_b64 v[32:33], 1, v[2:3]
	v_mad_i64_i32 v[2:3], s[10:11], v5, s20, 0
	v_or_b32_e32 v74, 0x800, v39
	v_add_u32_e32 v75, 0xa00, v39
	v_or_b32_e32 v76, 0x400, v39
	s_add_i32 s14, s14, -8
	v_perm_b32 v0, v7, v6, s24
	s_lshl_b64 s[8:9], s[20:21], 4
	s_lshl_b64 s[2:3], s[22:23], 4
	v_lshlrev_b64 v[34:35], 1, v[2:3]
	s_mov_b32 s16, 0
	s_mov_b32 s17, 0xffff
	s_branch .LBB245_16
.LBB245_15:                             ;   in Loop: Header=BB245_16 Depth=1
	v_pk_max_f16 v2, v2, v2
	v_pk_max_f16 v20, v20, v20
	;; [unrolled: 1-line block ×10, first 2 shown]
	v_pk_min_f16 v90, v8, v20
	v_pk_max_f16 v21, v21, v21
	v_pk_max_f16 v23, v23, v23
	v_pk_min_f16 v91, v8, v22
	v_pk_min_f16 v92, v8, v16
	;; [unrolled: 1-line block ×3, first 2 shown]
	v_pk_max_f16 v17, v17, v17
	v_pk_max_f16 v19, v19, v19
	;; [unrolled: 1-line block ×9, first 2 shown]
	v_pk_min_f16 v96, v4, v20
	v_pk_max_f16 v0, v0, v0
	v_pk_max_f16 v3, v3, v3
	;; [unrolled: 1-line block ×3, first 2 shown]
	v_pk_min_f16 v97, v4, v22
	v_pk_min_f16 v98, v4, v16
	;; [unrolled: 1-line block ×59, first 2 shown]
	v_pk_add_f16 v3, v44, v102
	v_pk_add_f16 v8, v60, v8
	;; [unrolled: 1-line block ×25, first 2 shown]
	ds_read2_b64 v[2:5], v40 offset0:48 offset1:56
	ds_read2_b64 v[6:9], v37 offset1:32
	v_pk_add_f16 v42, v42, v84
	v_pk_add_f16 v12, v47, v12
	;; [unrolled: 1-line block ×3, first 2 shown]
	s_waitcnt lgkmcnt(1)
	v_pk_max_f16 v4, v4, v4
	s_waitcnt lgkmcnt(0)
	v_pk_max_f16 v6, v6, v6
	v_pk_add_f16 v18, v42, v18
	v_pk_add_f16 v42, v44, v105
	;; [unrolled: 1-line block ×6, first 2 shown]
	ds_read2_b64 v[10:13], v37 offset0:64 offset1:96
	v_pk_min_f16 v14, v4, v6
	v_pk_add_f16 v22, v22, v23
	v_pk_add_f16 v23, v16, v17
	;; [unrolled: 1-line block ×3, first 2 shown]
	ds_read2_b64 v[14:17], v40 offset1:8
	v_pk_add_f16 v41, v41, v103
	v_pk_max_f16 v8, v8, v8
	v_pk_add_f16 v43, v43, v104
	v_pk_add_f16 v41, v41, v123
	;; [unrolled: 1-line block ×3, first 2 shown]
	v_pk_min_f16 v19, v4, v8
	s_waitcnt lgkmcnt(1)
	v_pk_max_f16 v10, v10, v10
	v_pk_add_f16 v43, v43, v124
	v_pk_add_f16 v41, v41, v19
	v_pk_min_f16 v19, v4, v10
	s_waitcnt lgkmcnt(0)
	v_pk_max_f16 v14, v14, v14
	v_pk_add_f16 v43, v43, v19
	v_pk_min_f16 v19, v14, v6
	v_pk_add_f16 v0, v72, v0
	v_pk_add_f16 v72, v18, v19
	v_pk_min_f16 v18, v14, v8
	v_pk_max_f16 v16, v16, v16
	v_pk_add_f16 v73, v42, v18
	v_pk_min_f16 v18, v14, v10
	v_pk_add_f16 v47, v53, v88
	v_pk_add_f16 v46, v46, v107
	;; [unrolled: 1-line block ×3, first 2 shown]
	v_perm_b32 v0, v83, v82, s24
	v_pk_add_f16 v82, v44, v18
	v_pk_min_f16 v18, v16, v6
	v_pk_add_f16 v47, v47, v108
	v_pk_add_f16 v83, v46, v18
	v_pk_min_f16 v18, v16, v8
	v_pk_add_f16 v71, v20, v21
	v_pk_add_f16 v84, v47, v18
	ds_read2_b64 v[18:21], v40 offset0:16 offset1:24
	v_pk_add_f16 v49, v49, v89
	v_pk_min_f16 v42, v16, v10
	v_pk_add_f16 v49, v49, v109
	v_pk_add_f16 v50, v50, v110
	s_waitcnt lgkmcnt(0)
	v_pk_max_f16 v18, v18, v18
	v_pk_add_f16 v49, v49, v42
	v_pk_min_f16 v42, v18, v6
	v_pk_add_f16 v51, v51, v111
	v_pk_max_f16 v12, v12, v12
	v_pk_add_f16 v85, v50, v42
	v_pk_min_f16 v42, v18, v8
	v_pk_min_f16 v16, v16, v12
	v_pk_add_f16 v86, v51, v42
	v_pk_min_f16 v42, v18, v10
	v_pk_min_f16 v18, v18, v12
	v_pk_add_f16 v53, v61, v93
	v_pk_add_f16 v60, v66, v100
	;; [unrolled: 1-line block ×5, first 2 shown]
	ds_read2_b64 v[64:67], v40 offset0:32 offset1:40
	v_pk_add_f16 v52, v52, v112
	v_pk_max_f16 v20, v20, v20
	v_pk_add_f16 v53, v53, v113
	v_pk_add_f16 v87, v52, v42
	v_pk_min_f16 v42, v20, v6
	v_pk_add_f16 v54, v54, v114
	v_pk_add_f16 v88, v53, v42
	v_pk_min_f16 v42, v20, v8
	;; [unrolled: 3-line block ×3, first 2 shown]
	v_pk_add_f16 v56, v56, v116
	v_pk_add_f16 v90, v55, v42
	s_waitcnt lgkmcnt(0)
	v_pk_max_f16 v42, v64, v64
	v_pk_add_f16 v57, v57, v117
	v_pk_min_f16 v44, v42, v6
	v_pk_min_f16 v20, v20, v12
	v_pk_add_f16 v64, v56, v44
	v_pk_min_f16 v44, v42, v8
	v_pk_add_f16 v20, v68, v20
	v_pk_add_f16 v68, v57, v44
	v_pk_min_f16 v44, v42, v10
	v_pk_min_f16 v42, v42, v12
	v_pk_add_f16 v58, v58, v118
	v_pk_add_f16 v69, v69, v42
	v_pk_max_f16 v42, v66, v66
	v_pk_add_f16 v59, v59, v119
	v_pk_add_f16 v91, v58, v44
	v_pk_min_f16 v44, v42, v6
	v_pk_add_f16 v60, v60, v120
	v_pk_add_f16 v66, v59, v44
	v_pk_min_f16 v44, v42, v8
	v_pk_max_f16 v2, v2, v2
	v_pk_add_f16 v92, v60, v44
	v_pk_min_f16 v44, v42, v10
	v_pk_min_f16 v6, v2, v6
	;; [unrolled: 1-line block ×5, first 2 shown]
	v_pk_add_f16 v61, v61, v121
	v_pk_add_f16 v1, v1, v2
	v_pk_min_f16 v2, v4, v12
	v_pk_max_f16 v4, v5, v5
	v_pk_max_f16 v5, v7, v7
	v_pk_add_f16 v93, v61, v44
	v_pk_min_f16 v7, v4, v5
	v_pk_min_f16 v14, v14, v12
	v_pk_add_f16 v44, v63, v7
	v_pk_max_f16 v7, v9, v9
	v_pk_min_f16 v42, v42, v12
	v_pk_min_f16 v9, v4, v7
	v_pk_add_f16 v70, v70, v42
	v_pk_add_f16 v41, v41, v9
	v_pk_max_f16 v9, v11, v11
	v_pk_add_f16 v14, v45, v14
	v_pk_min_f16 v11, v4, v9
	v_pk_add_f16 v2, v62, v2
	v_pk_add_f16 v43, v43, v11
	v_pk_max_f16 v11, v15, v15
	v_pk_max_f16 v3, v3, v3
	v_pk_min_f16 v12, v11, v5
	v_pk_add_f16 v6, v71, v6
	v_pk_add_f16 v42, v72, v12
	v_pk_min_f16 v12, v11, v7
	v_pk_add_f16 v8, v22, v8
	v_pk_add_f16 v45, v73, v12
	;; [unrolled: 3-line block ×3, first 2 shown]
	v_pk_max_f16 v12, v13, v13
	s_add_i32 s16, s16, 8
	v_pk_min_f16 v11, v11, v12
	v_lshl_add_u64 v[26:27], v[26:27], 0, s[8:9]
	v_pk_add_f16 v47, v14, v11
	v_pk_max_f16 v11, v17, v17
	s_cmp_ge_i32 s16, s14
	v_pk_min_f16 v13, v11, v5
	v_lshl_add_u64 v[30:31], v[30:31], 0, s[2:3]
	v_pk_add_f16 v50, v83, v13
	v_pk_min_f16 v13, v11, v7
	ds_write_b16 v75, v80
	ds_write_b16 v76, v79
	ds_write_b16 v76, v81 offset:512
	v_pk_add_f16 v53, v84, v13
	v_pk_min_f16 v13, v11, v9
	v_pk_min_f16 v11, v11, v12
	v_pk_add_f16 v49, v49, v13
	v_pk_add_f16 v52, v16, v11
	v_pk_max_f16 v11, v19, v19
	v_perm_b32 v84, v81, v79, s24
	v_pk_min_f16 v13, v11, v5
	s_waitcnt lgkmcnt(0)
	v_pk_add_f16 v51, v85, v13
	v_pk_min_f16 v13, v11, v7
	s_barrier
	v_pk_add_f16 v54, v86, v13
	v_pk_min_f16 v13, v11, v9
	v_pk_min_f16 v11, v11, v12
	v_pk_add_f16 v55, v87, v13
	v_pk_add_f16 v60, v18, v11
	v_pk_max_f16 v11, v21, v21
	s_nop 0
	v_pk_min_f16 v13, v11, v5
	s_nop 0
	v_pk_add_f16 v61, v88, v13
	v_pk_min_f16 v13, v11, v7
	s_nop 0
	v_pk_add_f16 v63, v89, v13
	v_pk_min_f16 v13, v11, v9
	v_pk_min_f16 v11, v11, v12
	v_pk_add_f16 v56, v90, v13
	v_pk_add_f16 v58, v20, v11
	v_pk_max_f16 v11, v65, v65
	s_nop 0
	v_pk_min_f16 v13, v11, v5
	s_nop 0
	v_pk_add_f16 v57, v64, v13
	v_pk_min_f16 v13, v11, v7
	s_nop 0
	v_pk_add_f16 v59, v68, v13
	v_pk_min_f16 v13, v11, v9
	v_pk_min_f16 v11, v11, v12
	v_pk_add_f16 v62, v91, v13
	v_pk_add_f16 v64, v69, v11
	v_pk_max_f16 v11, v67, v67
	s_nop 0
	v_pk_min_f16 v13, v11, v5
	v_pk_min_f16 v5, v3, v5
	v_pk_add_f16 v65, v66, v13
	v_pk_min_f16 v13, v11, v7
	v_pk_add_f16 v69, v6, v5
	v_pk_add_f16 v66, v92, v13
	v_pk_min_f16 v13, v11, v9
	v_pk_min_f16 v11, v11, v12
	v_pk_min_f16 v5, v3, v7
	v_pk_add_f16 v68, v70, v11
	v_pk_add_f16 v70, v8, v5
	v_pk_min_f16 v5, v3, v9
	v_pk_min_f16 v3, v3, v12
	v_pk_add_f16 v67, v93, v13
	v_pk_add_f16 v72, v1, v3
	v_pk_min_f16 v1, v4, v12
	v_pk_add_f16 v71, v10, v5
	v_pk_add_f16 v73, v2, v1
	s_cbranch_scc1 .LBB245_24
.LBB245_16:                             ; =>This Inner Loop Header: Depth=1
	s_mov_b64 s[10:11], -1
	s_mov_b64 vcc, s[6:7]
                                        ; implicit-def: $vgpr82
	s_cbranch_vccz .LBB245_18
; %bb.17:                               ;   in Loop: Header=BB245_16 Depth=1
	v_and_b32_e32 v82, 0xffff0000, v0
	s_mov_b64 s[10:11], 0
.LBB245_18:                             ;   in Loop: Header=BB245_16 Depth=1
	v_mov_b32_e32 v79, 0
	s_andn2_b64 vcc, exec, s[10:11]
	v_mov_b32_e32 v83, 0
	s_cbranch_vccnz .LBB245_20
; %bb.19:                               ;   in Loop: Header=BB245_16 Depth=1
	v_lshl_add_u64 v[2:3], v[30:31], 0, v[32:33]
	flat_load_ushort v1, v[2:3]
	v_lshl_add_u64 v[2:3], v[26:27], 0, v[24:25]
	flat_load_ushort v4, v[2:3]
	flat_load_ushort v5, v[2:3] offset:128
	s_waitcnt vmcnt(0) lgkmcnt(0)
	v_mul_f16_e32 v79, s15, v1
	v_mul_f16_e32 v1, s15, v4
	v_bfi_b32 v82, s17, v1, v0
	v_mul_f16_e32 v83, s15, v5
.LBB245_20:                             ;   in Loop: Header=BB245_16 Depth=1
	ds_read2_b64 v[0:3], v77 offset0:48 offset1:56
	ds_read2_b64 v[16:19], v78 offset0:64 offset1:96
	ds_read2_b64 v[20:23], v78 offset1:32
	ds_read2_b64 v[12:15], v77 offset1:8
	ds_read2_b64 v[8:11], v77 offset0:16 offset1:24
	ds_read2_b64 v[4:7], v77 offset0:32 offset1:40
	s_mov_b64 s[10:11], -1
	s_mov_b64 vcc, s[6:7]
	ds_write_b16 v74, v79
	ds_write_b16 v39, v82
	ds_write_b16 v39, v83 offset:512
	s_waitcnt lgkmcnt(0)
	s_barrier
                                        ; implicit-def: $vgpr79
	s_cbranch_vccz .LBB245_22
; %bb.21:                               ;   in Loop: Header=BB245_16 Depth=1
	v_and_b32_e32 v79, 0xffff0000, v84
	s_mov_b64 s[10:11], 0
.LBB245_22:                             ;   in Loop: Header=BB245_16 Depth=1
	v_mov_b32_e32 v80, 0
	s_andn2_b64 vcc, exec, s[10:11]
	v_mov_b32_e32 v81, 0
	s_cbranch_vccnz .LBB245_15
; %bb.23:                               ;   in Loop: Header=BB245_16 Depth=1
	v_lshl_add_u64 v[80:81], v[30:31], 0, v[28:29]
	flat_load_ushort v79, v[80:81]
	v_lshl_add_u64 v[80:81], v[26:27], 0, v[34:35]
	flat_load_ushort v85, v[80:81]
	flat_load_ushort v86, v[80:81] offset:128
	s_waitcnt vmcnt(0) lgkmcnt(0)
	v_mul_f16_e32 v80, s15, v79
	v_mul_f16_e32 v79, s15, v85
	v_bfi_b32 v79, s17, v79, v84
	v_mul_f16_e32 v81, s15, v86
	s_branch .LBB245_15
.LBB245_24:
	v_add_u32_e32 v12, 0x800, v38
	s_load_dwordx2 s[6:7], s[0:1], 0x70
	s_load_dword s8, s[0:1], 0x50
	s_load_dword s9, s[0:1], 0x68
	ds_read2_b64 v[4:7], v12 offset0:112 offset1:120
	ds_read2_b64 v[8:11], v37 offset0:192 offset1:224
	;; [unrolled: 1-line block ×4, first 2 shown]
	s_waitcnt lgkmcnt(0)
	s_lshl_b64 s[0:1], s[6:7], 1
	v_pk_max_f16 v6, v6, v6
	v_pk_max_f16 v8, v8, v8
	;; [unrolled: 1-line block ×3, first 2 shown]
	v_pk_min_f16 v15, v6, v8
	v_pk_max_f16 v0, v0, v0
	v_pk_add_f16 v28, v43, v15
	v_pk_max_f16 v15, v16, v16
	v_pk_max_f16 v10, v10, v10
	v_pk_min_f16 v20, v15, v2
	v_pk_min_f16 v16, v15, v0
	v_pk_add_f16 v29, v45, v20
	v_pk_min_f16 v20, v15, v8
	v_pk_min_f16 v15, v15, v10
	v_pk_add_f16 v30, v46, v20
	v_pk_add_f16 v31, v47, v15
	v_pk_max_f16 v15, v18, v18
	v_pk_max_f16 v4, v4, v4
	v_pk_min_f16 v18, v15, v0
	v_pk_min_f16 v20, v15, v2
	v_pk_add_f16 v18, v50, v18
	v_pk_add_f16 v50, v53, v20
	ds_read2_b64 v[20:23], v12 offset0:80 offset1:88
	v_pk_min_f16 v24, v15, v8
	v_pk_min_f16 v15, v15, v10
	v_pk_add_f16 v49, v49, v24
	v_pk_add_f16 v53, v52, v15
	s_waitcnt lgkmcnt(0)
	v_pk_max_f16 v15, v20, v20
	v_pk_min_f16 v13, v6, v0
	v_pk_min_f16 v20, v15, v0
	;; [unrolled: 1-line block ×3, first 2 shown]
	v_pk_add_f16 v20, v51, v20
	v_pk_add_f16 v51, v54, v24
	v_pk_min_f16 v24, v15, v8
	v_pk_min_f16 v15, v15, v10
	v_pk_add_f16 v54, v55, v24
	v_pk_add_f16 v55, v60, v15
	v_pk_max_f16 v15, v22, v22
	v_pk_add_f16 v13, v44, v13
	v_pk_min_f16 v24, v15, v2
	v_pk_min_f16 v22, v15, v0
	v_pk_add_f16 v60, v63, v24
	ds_read2_b64 v[24:27], v12 offset0:96 offset1:104
	v_pk_min_f16 v12, v15, v8
	v_pk_add_f16 v22, v61, v22
	v_pk_add_f16 v56, v56, v12
	v_pk_min_f16 v12, v15, v10
	v_pk_min_f16 v14, v6, v2
	v_pk_add_f16 v58, v58, v12
	s_waitcnt lgkmcnt(0)
	v_pk_max_f16 v12, v24, v24
	v_pk_add_f16 v14, v41, v14
	v_pk_min_f16 v15, v12, v0
	v_pk_max_f16 v11, v11, v11
	v_pk_add_f16 v24, v57, v15
	v_pk_min_f16 v15, v12, v2
	v_pk_max_f16 v23, v23, v23
	v_pk_add_f16 v57, v59, v15
	v_pk_min_f16 v15, v12, v8
	v_pk_min_f16 v12, v12, v10
	v_pk_add_f16 v59, v62, v15
	v_pk_add_f16 v61, v64, v12
	v_pk_max_f16 v12, v26, v26
	v_pk_max_f16 v25, v25, v25
	v_pk_min_f16 v15, v12, v0
	v_pk_min_f16 v0, v4, v0
	v_pk_add_f16 v26, v65, v15
	v_pk_min_f16 v15, v12, v2
	v_pk_add_f16 v65, v69, v0
	;; [unrolled: 2-line block ×7, first 2 shown]
	v_pk_add_f16 v68, v72, v0
	v_pk_min_f16 v0, v6, v10
	v_pk_max_f16 v12, v19, v19
	v_pk_add_f16 v69, v73, v0
	v_pk_max_f16 v0, v1, v1
	v_pk_max_f16 v1, v7, v7
	;; [unrolled: 1-line block ×3, first 2 shown]
	v_pk_min_f16 v2, v1, v0
	v_pk_max_f16 v27, v27, v27
	v_pk_add_f16 v7, v13, v2
	v_pk_max_f16 v2, v3, v3
	v_pk_max_f16 v5, v5, v5
	v_pk_min_f16 v3, v1, v2
	v_add_u32_e32 v32, s28, v36
	v_pk_add_f16 v15, v14, v3
	v_pk_max_f16 v3, v9, v9
	s_add_u32 s4, s4, s0
	v_pk_min_f16 v4, v1, v3
	v_pk_add_f16 v16, v42, v16
	v_pk_add_f16 v9, v28, v4
	v_pk_max_f16 v4, v17, v17
	v_pk_min_f16 v13, v12, v0
	v_pk_min_f16 v6, v4, v0
	;; [unrolled: 1-line block ×29, first 2 shown]
	v_add_u32_e32 v34, 8, v32
	v_add_u32_e32 v36, 16, v32
	;; [unrolled: 1-line block ×7, first 2 shown]
	v_cmp_neq_f16_e64 s[2:3], s26, 0
	s_addc_u32 s5, s5, s1
	v_ashrrev_i32_e32 v33, 31, v32
	v_ashrrev_i32_e32 v35, 31, v34
	;; [unrolled: 1-line block ×8, first 2 shown]
	v_add_u32_e32 v52, s27, v48
	s_mov_b64 s[6:7], 15
	v_pk_add_f16 v0, v16, v6
	v_pk_add_f16 v8, v29, v8
	;; [unrolled: 1-line block ×29, first 2 shown]
	s_branch .LBB245_26
.LBB245_25:                             ;   in Loop: Header=BB245_26 Depth=1
	s_add_i32 s0, s6, -1
	s_cmp_eq_u32 s0, 1
	s_cselect_b64 vcc, -1, 0
	s_cmp_eq_u32 s0, 2
	v_cndmask_b32_e32 v48, v0, v53, vcc
	s_cselect_b64 vcc, -1, 0
	s_cmp_eq_u32 s0, 3
	v_cndmask_b32_e32 v48, v48, v1, vcc
	;; [unrolled: 3-line block ×62, first 2 shown]
	s_cselect_b64 vcc, -1, 0
	s_cmp_eq_u32 s6, 1
	s_cselect_b64 s[0:1], -1, 0
	s_cmp_eq_u32 s6, 2
	v_cndmask_b32_e64 v49, v0, v53, s[0:1]
	s_cselect_b64 s[0:1], -1, 0
	s_cmp_eq_u32 s6, 3
	v_cndmask_b32_e64 v49, v49, v1, s[0:1]
	;; [unrolled: 3-line block ×61, first 2 shown]
	v_cndmask_b32_e32 v48, v48, v84, vcc
	s_cselect_b64 vcc, -1, 0
	s_cmp_eq_u32 s6, 63
	v_cndmask_b32_e32 v49, v49, v31, vcc
	s_cselect_b64 vcc, -1, 0
	v_cndmask_b32_e32 v49, v49, v84, vcc
	s_add_u32 s6, s6, 16
	v_add_f16_e32 v48, v48, v49
	s_addc_u32 s7, s7, 0
	v_add_f16_e32 v53, v48, v85
	v_lshl_add_u64 v[48:49], v[46:47], 1, v[50:51]
	s_cmpk_lg_i32 s6, 0x4f
	v_add_u32_e32 v52, 32, v52
	flat_store_short v[48:49], v53
	s_cbranch_scc0 .LBB245_42
.LBB245_26:                             ; =>This Inner Loop Header: Depth=1
	v_mad_i64_i32 v[48:49], s[0:1], v52, s8, 0
	v_cndmask_b32_e64 v50, 0, 1, s[2:3]
	v_lshl_add_u64 v[48:49], v[48:49], 1, s[12:13]
	v_mov_b32_e32 v85, 0
	v_cmp_ne_u32_e64 s[0:1], 1, v50
	s_andn2_b64 vcc, exec, s[2:3]
	v_mov_b32_e32 v50, 0
	s_cbranch_vccnz .LBB245_28
; %bb.27:                               ;   in Loop: Header=BB245_26 Depth=1
	v_lshl_add_u64 v[50:51], v[32:33], 1, v[48:49]
	flat_load_ushort v50, v[50:51]
	s_waitcnt vmcnt(0) lgkmcnt(0)
	v_mul_f16_e32 v50, s26, v50
.LBB245_28:                             ;   in Loop: Header=BB245_26 Depth=1
	s_add_i32 s10, s6, -15
	s_cmp_eq_u32 s10, 1
	v_lshrrev_b32_e32 v53, 16, v0
	s_cselect_b64 vcc, -1, 0
	s_cmp_eq_u32 s10, 2
	v_cndmask_b32_e32 v51, v0, v53, vcc
	s_cselect_b64 vcc, -1, 0
	s_cmp_eq_u32 s10, 3
	v_cndmask_b32_e32 v51, v51, v1, vcc
	v_lshrrev_b32_e32 v54, 16, v1
	s_cselect_b64 vcc, -1, 0
	s_cmp_eq_u32 s10, 4
	v_cndmask_b32_e32 v51, v51, v54, vcc
	s_cselect_b64 vcc, -1, 0
	s_cmp_eq_u32 s10, 5
	v_cndmask_b32_e32 v51, v51, v4, vcc
	;; [unrolled: 7-line block ×31, first 2 shown]
	s_cselect_b64 vcc, -1, 0
	s_add_i32 s10, s6, -14
	v_lshrrev_b32_e32 v84, 16, v31
	s_cmp_eq_u32 s10, 1
	v_cndmask_b32_e32 v51, v51, v84, vcc
	s_cselect_b64 vcc, -1, 0
	s_cmp_eq_u32 s10, 2
	v_cndmask_b32_e32 v86, v0, v53, vcc
	s_cselect_b64 vcc, -1, 0
	;; [unrolled: 3-line block ×63, first 2 shown]
	v_cndmask_b32_e32 v86, v86, v84, vcc
	v_add_f16_e32 v51, v51, v86
	v_add_f16_e32 v88, v51, v50
	v_mad_i64_i32 v[50:51], s[10:11], v52, s9, 0
	v_lshl_add_u64 v[50:51], v[50:51], 1, s[4:5]
	v_lshl_add_u64 v[86:87], v[32:33], 1, v[50:51]
	s_and_b64 vcc, exec, s[0:1]
	flat_store_short v[86:87], v88
	s_cbranch_vccnz .LBB245_30
; %bb.29:                               ;   in Loop: Header=BB245_26 Depth=1
	v_lshl_add_u64 v[86:87], v[34:35], 1, v[48:49]
	flat_load_ushort v85, v[86:87]
	s_waitcnt vmcnt(0) lgkmcnt(0)
	v_mul_f16_e32 v85, s26, v85
.LBB245_30:                             ;   in Loop: Header=BB245_26 Depth=1
	s_add_i32 s10, s6, -13
	s_cmp_eq_u32 s10, 1
	s_cselect_b64 vcc, -1, 0
	s_cmp_eq_u32 s10, 2
	v_cndmask_b32_e32 v86, v0, v53, vcc
	s_cselect_b64 vcc, -1, 0
	s_cmp_eq_u32 s10, 3
	v_cndmask_b32_e32 v86, v86, v1, vcc
	;; [unrolled: 3-line block ×62, first 2 shown]
	s_cselect_b64 vcc, -1, 0
	s_add_i32 s10, s6, -12
	s_cmp_eq_u32 s10, 1
	v_cndmask_b32_e32 v86, v86, v84, vcc
	s_cselect_b64 vcc, -1, 0
	s_cmp_eq_u32 s10, 2
	v_cndmask_b32_e32 v87, v0, v53, vcc
	s_cselect_b64 vcc, -1, 0
	;; [unrolled: 3-line block ×63, first 2 shown]
	v_cndmask_b32_e32 v87, v87, v84, vcc
	v_add_f16_e32 v86, v86, v87
	v_add_f16_e32 v85, v86, v85
	v_lshl_add_u64 v[86:87], v[34:35], 1, v[50:51]
	flat_store_short v[86:87], v85
	s_and_b64 vcc, exec, s[0:1]
	v_mov_b32_e32 v85, 0
	v_mov_b32_e32 v86, 0
	s_cbranch_vccnz .LBB245_32
; %bb.31:                               ;   in Loop: Header=BB245_26 Depth=1
	v_lshl_add_u64 v[86:87], v[36:37], 1, v[48:49]
	flat_load_ushort v86, v[86:87]
	s_waitcnt vmcnt(0) lgkmcnt(0)
	v_mul_f16_e32 v86, s26, v86
.LBB245_32:                             ;   in Loop: Header=BB245_26 Depth=1
	s_add_i32 s10, s6, -11
	s_cmp_eq_u32 s10, 1
	s_cselect_b64 vcc, -1, 0
	s_cmp_eq_u32 s10, 2
	v_cndmask_b32_e32 v87, v0, v53, vcc
	s_cselect_b64 vcc, -1, 0
	s_cmp_eq_u32 s10, 3
	v_cndmask_b32_e32 v87, v87, v1, vcc
	;; [unrolled: 3-line block ×62, first 2 shown]
	s_cselect_b64 vcc, -1, 0
	s_add_i32 s10, s6, -10
	s_cmp_eq_u32 s10, 1
	v_cndmask_b32_e32 v87, v87, v84, vcc
	s_cselect_b64 vcc, -1, 0
	s_cmp_eq_u32 s10, 2
	v_cndmask_b32_e32 v88, v0, v53, vcc
	s_cselect_b64 vcc, -1, 0
	;; [unrolled: 3-line block ×63, first 2 shown]
	v_cndmask_b32_e32 v88, v88, v84, vcc
	v_add_f16_e32 v87, v87, v88
	v_add_f16_e32 v88, v87, v86
	v_lshl_add_u64 v[86:87], v[36:37], 1, v[50:51]
	s_and_b64 vcc, exec, s[0:1]
	flat_store_short v[86:87], v88
	s_cbranch_vccnz .LBB245_34
; %bb.33:                               ;   in Loop: Header=BB245_26 Depth=1
	v_lshl_add_u64 v[86:87], v[38:39], 1, v[48:49]
	flat_load_ushort v85, v[86:87]
	s_waitcnt vmcnt(0) lgkmcnt(0)
	v_mul_f16_e32 v85, s26, v85
.LBB245_34:                             ;   in Loop: Header=BB245_26 Depth=1
	s_add_i32 s10, s6, -9
	s_cmp_eq_u32 s10, 1
	s_cselect_b64 vcc, -1, 0
	s_cmp_eq_u32 s10, 2
	v_cndmask_b32_e32 v86, v0, v53, vcc
	s_cselect_b64 vcc, -1, 0
	s_cmp_eq_u32 s10, 3
	v_cndmask_b32_e32 v86, v86, v1, vcc
	s_cselect_b64 vcc, -1, 0
	s_cmp_eq_u32 s10, 4
	v_cndmask_b32_e32 v86, v86, v54, vcc
	s_cselect_b64 vcc, -1, 0
	s_cmp_eq_u32 s10, 5
	v_cndmask_b32_e32 v86, v86, v4, vcc
	s_cselect_b64 vcc, -1, 0
	s_cmp_eq_u32 s10, 6
	v_cndmask_b32_e32 v86, v86, v55, vcc
	s_cselect_b64 vcc, -1, 0
	s_cmp_eq_u32 s10, 7
	v_cndmask_b32_e32 v86, v86, v5, vcc
	s_cselect_b64 vcc, -1, 0
	s_cmp_eq_u32 s10, 8
	v_cndmask_b32_e32 v86, v86, v56, vcc
	s_cselect_b64 vcc, -1, 0
	s_cmp_eq_u32 s10, 9
	v_cndmask_b32_e32 v86, v86, v16, vcc
	s_cselect_b64 vcc, -1, 0
	s_cmp_eq_u32 s10, 10
	v_cndmask_b32_e32 v86, v86, v57, vcc
	s_cselect_b64 vcc, -1, 0
	s_cmp_eq_u32 s10, 11
	v_cndmask_b32_e32 v86, v86, v23, vcc
	s_cselect_b64 vcc, -1, 0
	s_cmp_eq_u32 s10, 12
	v_cndmask_b32_e32 v86, v86, v58, vcc
	s_cselect_b64 vcc, -1, 0
	s_cmp_eq_u32 s10, 13
	v_cndmask_b32_e32 v86, v86, v24, vcc
	s_cselect_b64 vcc, -1, 0
	s_cmp_eq_u32 s10, 14
	v_cndmask_b32_e32 v86, v86, v59, vcc
	s_cselect_b64 vcc, -1, 0
	s_cmp_eq_u32 s10, 15
	v_cndmask_b32_e32 v86, v86, v7, vcc
	s_cselect_b64 vcc, -1, 0
	s_cmp_eq_u32 s10, 16
	v_cndmask_b32_e32 v86, v86, v60, vcc
	s_cselect_b64 vcc, -1, 0
	s_cmp_eq_u32 s10, 17
	v_cndmask_b32_e32 v86, v86, v8, vcc
	s_cselect_b64 vcc, -1, 0
	s_cmp_eq_u32 s10, 18
	v_cndmask_b32_e32 v86, v86, v61, vcc
	s_cselect_b64 vcc, -1, 0
	s_cmp_eq_u32 s10, 19
	v_cndmask_b32_e32 v86, v86, v11, vcc
	s_cselect_b64 vcc, -1, 0
	s_cmp_eq_u32 s10, 20
	v_cndmask_b32_e32 v86, v86, v62, vcc
	s_cselect_b64 vcc, -1, 0
	s_cmp_eq_u32 s10, 21
	v_cndmask_b32_e32 v86, v86, v12, vcc
	s_cselect_b64 vcc, -1, 0
	s_cmp_eq_u32 s10, 22
	v_cndmask_b32_e32 v86, v86, v63, vcc
	s_cselect_b64 vcc, -1, 0
	s_cmp_eq_u32 s10, 23
	v_cndmask_b32_e32 v86, v86, v17, vcc
	s_cselect_b64 vcc, -1, 0
	s_cmp_eq_u32 s10, 24
	v_cndmask_b32_e32 v86, v86, v64, vcc
	s_cselect_b64 vcc, -1, 0
	s_cmp_eq_u32 s10, 25
	v_cndmask_b32_e32 v86, v86, v18, vcc
	s_cselect_b64 vcc, -1, 0
	s_cmp_eq_u32 s10, 26
	v_cndmask_b32_e32 v86, v86, v65, vcc
	s_cselect_b64 vcc, -1, 0
	s_cmp_eq_u32 s10, 27
	v_cndmask_b32_e32 v86, v86, v25, vcc
	s_cselect_b64 vcc, -1, 0
	s_cmp_eq_u32 s10, 28
	v_cndmask_b32_e32 v86, v86, v66, vcc
	s_cselect_b64 vcc, -1, 0
	s_cmp_eq_u32 s10, 29
	v_cndmask_b32_e32 v86, v86, v26, vcc
	s_cselect_b64 vcc, -1, 0
	s_cmp_eq_u32 s10, 30
	v_cndmask_b32_e32 v86, v86, v67, vcc
	s_cselect_b64 vcc, -1, 0
	s_cmp_eq_u32 s10, 31
	v_cndmask_b32_e32 v86, v86, v15, vcc
	s_cselect_b64 vcc, -1, 0
	s_cmp_eq_u32 s10, 32
	v_cndmask_b32_e32 v86, v86, v68, vcc
	s_cselect_b64 vcc, -1, 0
	s_cmp_eq_u32 s10, 33
	v_cndmask_b32_e32 v86, v86, v2, vcc
	s_cselect_b64 vcc, -1, 0
	s_cmp_eq_u32 s10, 34
	v_cndmask_b32_e32 v86, v86, v69, vcc
	s_cselect_b64 vcc, -1, 0
	s_cmp_eq_u32 s10, 35
	v_cndmask_b32_e32 v86, v86, v3, vcc
	s_cselect_b64 vcc, -1, 0
	s_cmp_eq_u32 s10, 36
	v_cndmask_b32_e32 v86, v86, v70, vcc
	s_cselect_b64 vcc, -1, 0
	s_cmp_eq_u32 s10, 37
	v_cndmask_b32_e32 v86, v86, v6, vcc
	s_cselect_b64 vcc, -1, 0
	s_cmp_eq_u32 s10, 38
	v_cndmask_b32_e32 v86, v86, v71, vcc
	s_cselect_b64 vcc, -1, 0
	s_cmp_eq_u32 s10, 39
	v_cndmask_b32_e32 v86, v86, v19, vcc
	s_cselect_b64 vcc, -1, 0
	s_cmp_eq_u32 s10, 40
	v_cndmask_b32_e32 v86, v86, v72, vcc
	s_cselect_b64 vcc, -1, 0
	s_cmp_eq_u32 s10, 41
	v_cndmask_b32_e32 v86, v86, v20, vcc
	s_cselect_b64 vcc, -1, 0
	s_cmp_eq_u32 s10, 42
	v_cndmask_b32_e32 v86, v86, v73, vcc
	s_cselect_b64 vcc, -1, 0
	s_cmp_eq_u32 s10, 43
	v_cndmask_b32_e32 v86, v86, v27, vcc
	s_cselect_b64 vcc, -1, 0
	s_cmp_eq_u32 s10, 44
	v_cndmask_b32_e32 v86, v86, v74, vcc
	s_cselect_b64 vcc, -1, 0
	s_cmp_eq_u32 s10, 45
	v_cndmask_b32_e32 v86, v86, v28, vcc
	s_cselect_b64 vcc, -1, 0
	s_cmp_eq_u32 s10, 46
	v_cndmask_b32_e32 v86, v86, v75, vcc
	s_cselect_b64 vcc, -1, 0
	s_cmp_eq_u32 s10, 47
	v_cndmask_b32_e32 v86, v86, v9, vcc
	s_cselect_b64 vcc, -1, 0
	s_cmp_eq_u32 s10, 48
	v_cndmask_b32_e32 v86, v86, v76, vcc
	s_cselect_b64 vcc, -1, 0
	s_cmp_eq_u32 s10, 49
	v_cndmask_b32_e32 v86, v86, v10, vcc
	s_cselect_b64 vcc, -1, 0
	s_cmp_eq_u32 s10, 50
	v_cndmask_b32_e32 v86, v86, v77, vcc
	s_cselect_b64 vcc, -1, 0
	s_cmp_eq_u32 s10, 51
	v_cndmask_b32_e32 v86, v86, v13, vcc
	s_cselect_b64 vcc, -1, 0
	s_cmp_eq_u32 s10, 52
	v_cndmask_b32_e32 v86, v86, v78, vcc
	s_cselect_b64 vcc, -1, 0
	s_cmp_eq_u32 s10, 53
	v_cndmask_b32_e32 v86, v86, v14, vcc
	s_cselect_b64 vcc, -1, 0
	s_cmp_eq_u32 s10, 54
	v_cndmask_b32_e32 v86, v86, v79, vcc
	s_cselect_b64 vcc, -1, 0
	s_cmp_eq_u32 s10, 55
	v_cndmask_b32_e32 v86, v86, v21, vcc
	s_cselect_b64 vcc, -1, 0
	s_cmp_eq_u32 s10, 56
	v_cndmask_b32_e32 v86, v86, v80, vcc
	s_cselect_b64 vcc, -1, 0
	s_cmp_eq_u32 s10, 57
	v_cndmask_b32_e32 v86, v86, v22, vcc
	s_cselect_b64 vcc, -1, 0
	s_cmp_eq_u32 s10, 58
	v_cndmask_b32_e32 v86, v86, v81, vcc
	s_cselect_b64 vcc, -1, 0
	s_cmp_eq_u32 s10, 59
	v_cndmask_b32_e32 v86, v86, v29, vcc
	s_cselect_b64 vcc, -1, 0
	s_cmp_eq_u32 s10, 60
	v_cndmask_b32_e32 v86, v86, v82, vcc
	s_cselect_b64 vcc, -1, 0
	s_cmp_eq_u32 s10, 61
	v_cndmask_b32_e32 v86, v86, v30, vcc
	s_cselect_b64 vcc, -1, 0
	s_cmp_eq_u32 s10, 62
	v_cndmask_b32_e32 v86, v86, v83, vcc
	s_cselect_b64 vcc, -1, 0
	s_cmp_eq_u32 s10, 63
	v_cndmask_b32_e32 v86, v86, v31, vcc
	s_cselect_b64 vcc, -1, 0
	s_add_i32 s10, s6, -8
	s_cmp_eq_u32 s10, 1
	v_cndmask_b32_e32 v86, v86, v84, vcc
	s_cselect_b64 vcc, -1, 0
	s_cmp_eq_u32 s10, 2
	v_cndmask_b32_e32 v87, v0, v53, vcc
	s_cselect_b64 vcc, -1, 0
	;; [unrolled: 3-line block ×63, first 2 shown]
	v_cndmask_b32_e32 v87, v87, v84, vcc
	v_add_f16_e32 v86, v86, v87
	v_add_f16_e32 v85, v86, v85
	v_lshl_add_u64 v[86:87], v[38:39], 1, v[50:51]
	flat_store_short v[86:87], v85
	s_and_b64 vcc, exec, s[0:1]
	v_mov_b32_e32 v85, 0
	v_mov_b32_e32 v86, 0
	s_cbranch_vccnz .LBB245_36
; %bb.35:                               ;   in Loop: Header=BB245_26 Depth=1
	v_lshl_add_u64 v[86:87], v[40:41], 1, v[48:49]
	flat_load_ushort v86, v[86:87]
	s_waitcnt vmcnt(0) lgkmcnt(0)
	v_mul_f16_e32 v86, s26, v86
.LBB245_36:                             ;   in Loop: Header=BB245_26 Depth=1
	s_add_i32 s10, s6, -7
	s_cmp_eq_u32 s10, 1
	s_cselect_b64 vcc, -1, 0
	s_cmp_eq_u32 s10, 2
	v_cndmask_b32_e32 v87, v0, v53, vcc
	s_cselect_b64 vcc, -1, 0
	s_cmp_eq_u32 s10, 3
	v_cndmask_b32_e32 v87, v87, v1, vcc
	;; [unrolled: 3-line block ×62, first 2 shown]
	s_cselect_b64 vcc, -1, 0
	s_add_i32 s10, s6, -6
	s_cmp_eq_u32 s10, 1
	v_cndmask_b32_e32 v87, v87, v84, vcc
	s_cselect_b64 vcc, -1, 0
	s_cmp_eq_u32 s10, 2
	v_cndmask_b32_e32 v88, v0, v53, vcc
	s_cselect_b64 vcc, -1, 0
	;; [unrolled: 3-line block ×63, first 2 shown]
	v_cndmask_b32_e32 v88, v88, v84, vcc
	v_add_f16_e32 v87, v87, v88
	v_add_f16_e32 v88, v87, v86
	v_lshl_add_u64 v[86:87], v[40:41], 1, v[50:51]
	s_and_b64 vcc, exec, s[0:1]
	flat_store_short v[86:87], v88
	s_cbranch_vccnz .LBB245_38
; %bb.37:                               ;   in Loop: Header=BB245_26 Depth=1
	v_lshl_add_u64 v[86:87], v[42:43], 1, v[48:49]
	flat_load_ushort v85, v[86:87]
	s_waitcnt vmcnt(0) lgkmcnt(0)
	v_mul_f16_e32 v85, s26, v85
.LBB245_38:                             ;   in Loop: Header=BB245_26 Depth=1
	s_add_i32 s10, s6, -5
	s_cmp_eq_u32 s10, 1
	s_cselect_b64 vcc, -1, 0
	s_cmp_eq_u32 s10, 2
	v_cndmask_b32_e32 v86, v0, v53, vcc
	s_cselect_b64 vcc, -1, 0
	s_cmp_eq_u32 s10, 3
	v_cndmask_b32_e32 v86, v86, v1, vcc
	;; [unrolled: 3-line block ×62, first 2 shown]
	s_cselect_b64 vcc, -1, 0
	s_add_i32 s10, s6, -4
	s_cmp_eq_u32 s10, 1
	v_cndmask_b32_e32 v86, v86, v84, vcc
	s_cselect_b64 vcc, -1, 0
	s_cmp_eq_u32 s10, 2
	v_cndmask_b32_e32 v87, v0, v53, vcc
	s_cselect_b64 vcc, -1, 0
	;; [unrolled: 3-line block ×63, first 2 shown]
	v_cndmask_b32_e32 v87, v87, v84, vcc
	v_add_f16_e32 v86, v86, v87
	v_add_f16_e32 v85, v86, v85
	v_lshl_add_u64 v[86:87], v[42:43], 1, v[50:51]
	flat_store_short v[86:87], v85
	s_and_b64 vcc, exec, s[0:1]
	v_mov_b32_e32 v85, 0
	v_mov_b32_e32 v86, 0
	s_cbranch_vccnz .LBB245_40
; %bb.39:                               ;   in Loop: Header=BB245_26 Depth=1
	v_lshl_add_u64 v[86:87], v[44:45], 1, v[48:49]
	flat_load_ushort v86, v[86:87]
	s_waitcnt vmcnt(0) lgkmcnt(0)
	v_mul_f16_e32 v86, s26, v86
.LBB245_40:                             ;   in Loop: Header=BB245_26 Depth=1
	s_add_i32 s10, s6, -3
	s_cmp_eq_u32 s10, 1
	s_cselect_b64 vcc, -1, 0
	s_cmp_eq_u32 s10, 2
	v_cndmask_b32_e32 v87, v0, v53, vcc
	s_cselect_b64 vcc, -1, 0
	s_cmp_eq_u32 s10, 3
	v_cndmask_b32_e32 v87, v87, v1, vcc
	;; [unrolled: 3-line block ×62, first 2 shown]
	s_cselect_b64 vcc, -1, 0
	s_add_i32 s10, s6, -2
	s_cmp_eq_u32 s10, 1
	v_cndmask_b32_e32 v87, v87, v84, vcc
	s_cselect_b64 vcc, -1, 0
	s_cmp_eq_u32 s10, 2
	v_cndmask_b32_e32 v88, v0, v53, vcc
	s_cselect_b64 vcc, -1, 0
	;; [unrolled: 3-line block ×63, first 2 shown]
	v_cndmask_b32_e32 v88, v88, v84, vcc
	v_add_f16_e32 v87, v87, v88
	v_add_f16_e32 v88, v87, v86
	v_lshl_add_u64 v[86:87], v[44:45], 1, v[50:51]
	s_and_b64 vcc, exec, s[0:1]
	flat_store_short v[86:87], v88
	s_cbranch_vccnz .LBB245_25
; %bb.41:                               ;   in Loop: Header=BB245_26 Depth=1
	v_lshl_add_u64 v[48:49], v[46:47], 1, v[48:49]
	flat_load_ushort v48, v[48:49]
	s_waitcnt vmcnt(0) lgkmcnt(0)
	v_mul_f16_e32 v85, s26, v48
	s_branch .LBB245_25
.LBB245_42:
	s_endpgm
	.section	.rodata,"a",@progbits
	.p2align	6, 0x0
	.amdhsa_kernel _ZN12_GLOBAL__N_120geam_min_plus_kernelIDF16_Dv2_DF16_S1_Li8ELi32ELi64ELi128ELi4ELi64ELi4ELi64ELi4ELc78ELc84ELb0ELb0ELb0EDF16_KPKDF16_KPDF16_EEviiiT16_PT17_ilS9_ilS7_S9_ilPT18_ili26rocblas_geam_ex_operation_
		.amdhsa_group_segment_fixed_size 3072
		.amdhsa_private_segment_fixed_size 0
		.amdhsa_kernarg_size 128
		.amdhsa_user_sgpr_count 2
		.amdhsa_user_sgpr_dispatch_ptr 0
		.amdhsa_user_sgpr_queue_ptr 0
		.amdhsa_user_sgpr_kernarg_segment_ptr 1
		.amdhsa_user_sgpr_dispatch_id 0
		.amdhsa_user_sgpr_kernarg_preload_length 0
		.amdhsa_user_sgpr_kernarg_preload_offset 0
		.amdhsa_user_sgpr_private_segment_size 0
		.amdhsa_uses_dynamic_stack 0
		.amdhsa_enable_private_segment 0
		.amdhsa_system_sgpr_workgroup_id_x 1
		.amdhsa_system_sgpr_workgroup_id_y 0
		.amdhsa_system_sgpr_workgroup_id_z 1
		.amdhsa_system_sgpr_workgroup_info 0
		.amdhsa_system_vgpr_workitem_id 1
		.amdhsa_next_free_vgpr 125
		.amdhsa_next_free_sgpr 29
		.amdhsa_accum_offset 128
		.amdhsa_reserve_vcc 1
		.amdhsa_float_round_mode_32 0
		.amdhsa_float_round_mode_16_64 0
		.amdhsa_float_denorm_mode_32 3
		.amdhsa_float_denorm_mode_16_64 3
		.amdhsa_dx10_clamp 1
		.amdhsa_ieee_mode 1
		.amdhsa_fp16_overflow 0
		.amdhsa_tg_split 0
		.amdhsa_exception_fp_ieee_invalid_op 0
		.amdhsa_exception_fp_denorm_src 0
		.amdhsa_exception_fp_ieee_div_zero 0
		.amdhsa_exception_fp_ieee_overflow 0
		.amdhsa_exception_fp_ieee_underflow 0
		.amdhsa_exception_fp_ieee_inexact 0
		.amdhsa_exception_int_div_zero 0
	.end_amdhsa_kernel
	.section	.text._ZN12_GLOBAL__N_120geam_min_plus_kernelIDF16_Dv2_DF16_S1_Li8ELi32ELi64ELi128ELi4ELi64ELi4ELi64ELi4ELc78ELc84ELb0ELb0ELb0EDF16_KPKDF16_KPDF16_EEviiiT16_PT17_ilS9_ilS7_S9_ilPT18_ili26rocblas_geam_ex_operation_,"axG",@progbits,_ZN12_GLOBAL__N_120geam_min_plus_kernelIDF16_Dv2_DF16_S1_Li8ELi32ELi64ELi128ELi4ELi64ELi4ELi64ELi4ELc78ELc84ELb0ELb0ELb0EDF16_KPKDF16_KPDF16_EEviiiT16_PT17_ilS9_ilS7_S9_ilPT18_ili26rocblas_geam_ex_operation_,comdat
.Lfunc_end245:
	.size	_ZN12_GLOBAL__N_120geam_min_plus_kernelIDF16_Dv2_DF16_S1_Li8ELi32ELi64ELi128ELi4ELi64ELi4ELi64ELi4ELc78ELc84ELb0ELb0ELb0EDF16_KPKDF16_KPDF16_EEviiiT16_PT17_ilS9_ilS7_S9_ilPT18_ili26rocblas_geam_ex_operation_, .Lfunc_end245-_ZN12_GLOBAL__N_120geam_min_plus_kernelIDF16_Dv2_DF16_S1_Li8ELi32ELi64ELi128ELi4ELi64ELi4ELi64ELi4ELc78ELc84ELb0ELb0ELb0EDF16_KPKDF16_KPDF16_EEviiiT16_PT17_ilS9_ilS7_S9_ilPT18_ili26rocblas_geam_ex_operation_
                                        ; -- End function
	.set _ZN12_GLOBAL__N_120geam_min_plus_kernelIDF16_Dv2_DF16_S1_Li8ELi32ELi64ELi128ELi4ELi64ELi4ELi64ELi4ELc78ELc84ELb0ELb0ELb0EDF16_KPKDF16_KPDF16_EEviiiT16_PT17_ilS9_ilS7_S9_ilPT18_ili26rocblas_geam_ex_operation_.num_vgpr, 125
	.set _ZN12_GLOBAL__N_120geam_min_plus_kernelIDF16_Dv2_DF16_S1_Li8ELi32ELi64ELi128ELi4ELi64ELi4ELi64ELi4ELc78ELc84ELb0ELb0ELb0EDF16_KPKDF16_KPDF16_EEviiiT16_PT17_ilS9_ilS7_S9_ilPT18_ili26rocblas_geam_ex_operation_.num_agpr, 0
	.set _ZN12_GLOBAL__N_120geam_min_plus_kernelIDF16_Dv2_DF16_S1_Li8ELi32ELi64ELi128ELi4ELi64ELi4ELi64ELi4ELc78ELc84ELb0ELb0ELb0EDF16_KPKDF16_KPDF16_EEviiiT16_PT17_ilS9_ilS7_S9_ilPT18_ili26rocblas_geam_ex_operation_.numbered_sgpr, 29
	.set _ZN12_GLOBAL__N_120geam_min_plus_kernelIDF16_Dv2_DF16_S1_Li8ELi32ELi64ELi128ELi4ELi64ELi4ELi64ELi4ELc78ELc84ELb0ELb0ELb0EDF16_KPKDF16_KPDF16_EEviiiT16_PT17_ilS9_ilS7_S9_ilPT18_ili26rocblas_geam_ex_operation_.num_named_barrier, 0
	.set _ZN12_GLOBAL__N_120geam_min_plus_kernelIDF16_Dv2_DF16_S1_Li8ELi32ELi64ELi128ELi4ELi64ELi4ELi64ELi4ELc78ELc84ELb0ELb0ELb0EDF16_KPKDF16_KPDF16_EEviiiT16_PT17_ilS9_ilS7_S9_ilPT18_ili26rocblas_geam_ex_operation_.private_seg_size, 0
	.set _ZN12_GLOBAL__N_120geam_min_plus_kernelIDF16_Dv2_DF16_S1_Li8ELi32ELi64ELi128ELi4ELi64ELi4ELi64ELi4ELc78ELc84ELb0ELb0ELb0EDF16_KPKDF16_KPDF16_EEviiiT16_PT17_ilS9_ilS7_S9_ilPT18_ili26rocblas_geam_ex_operation_.uses_vcc, 1
	.set _ZN12_GLOBAL__N_120geam_min_plus_kernelIDF16_Dv2_DF16_S1_Li8ELi32ELi64ELi128ELi4ELi64ELi4ELi64ELi4ELc78ELc84ELb0ELb0ELb0EDF16_KPKDF16_KPDF16_EEviiiT16_PT17_ilS9_ilS7_S9_ilPT18_ili26rocblas_geam_ex_operation_.uses_flat_scratch, 0
	.set _ZN12_GLOBAL__N_120geam_min_plus_kernelIDF16_Dv2_DF16_S1_Li8ELi32ELi64ELi128ELi4ELi64ELi4ELi64ELi4ELc78ELc84ELb0ELb0ELb0EDF16_KPKDF16_KPDF16_EEviiiT16_PT17_ilS9_ilS7_S9_ilPT18_ili26rocblas_geam_ex_operation_.has_dyn_sized_stack, 0
	.set _ZN12_GLOBAL__N_120geam_min_plus_kernelIDF16_Dv2_DF16_S1_Li8ELi32ELi64ELi128ELi4ELi64ELi4ELi64ELi4ELc78ELc84ELb0ELb0ELb0EDF16_KPKDF16_KPDF16_EEviiiT16_PT17_ilS9_ilS7_S9_ilPT18_ili26rocblas_geam_ex_operation_.has_recursion, 0
	.set _ZN12_GLOBAL__N_120geam_min_plus_kernelIDF16_Dv2_DF16_S1_Li8ELi32ELi64ELi128ELi4ELi64ELi4ELi64ELi4ELc78ELc84ELb0ELb0ELb0EDF16_KPKDF16_KPDF16_EEviiiT16_PT17_ilS9_ilS7_S9_ilPT18_ili26rocblas_geam_ex_operation_.has_indirect_call, 0
	.section	.AMDGPU.csdata,"",@progbits
; Kernel info:
; codeLenInByte = 19792
; TotalNumSgprs: 35
; NumVgprs: 125
; NumAgprs: 0
; TotalNumVgprs: 125
; ScratchSize: 0
; MemoryBound: 0
; FloatMode: 240
; IeeeMode: 1
; LDSByteSize: 3072 bytes/workgroup (compile time only)
; SGPRBlocks: 4
; VGPRBlocks: 15
; NumSGPRsForWavesPerEU: 35
; NumVGPRsForWavesPerEU: 125
; AccumOffset: 128
; Occupancy: 4
; WaveLimiterHint : 1
; COMPUTE_PGM_RSRC2:SCRATCH_EN: 0
; COMPUTE_PGM_RSRC2:USER_SGPR: 2
; COMPUTE_PGM_RSRC2:TRAP_HANDLER: 0
; COMPUTE_PGM_RSRC2:TGID_X_EN: 1
; COMPUTE_PGM_RSRC2:TGID_Y_EN: 0
; COMPUTE_PGM_RSRC2:TGID_Z_EN: 1
; COMPUTE_PGM_RSRC2:TIDIG_COMP_CNT: 1
; COMPUTE_PGM_RSRC3_GFX90A:ACCUM_OFFSET: 31
; COMPUTE_PGM_RSRC3_GFX90A:TG_SPLIT: 0
	.section	.text._ZN12_GLOBAL__N_120geam_min_plus_kernelIDF16_Dv2_DF16_S1_Li8ELi32ELi64ELi128ELi4ELi64ELi4ELi64ELi4ELc78ELc84ELb0ELb1ELb0EPKDF16_KS3_KPDF16_EEviiiT16_PT17_ilS9_ilS7_S9_ilPT18_ili26rocblas_geam_ex_operation_,"axG",@progbits,_ZN12_GLOBAL__N_120geam_min_plus_kernelIDF16_Dv2_DF16_S1_Li8ELi32ELi64ELi128ELi4ELi64ELi4ELi64ELi4ELc78ELc84ELb0ELb1ELb0EPKDF16_KS3_KPDF16_EEviiiT16_PT17_ilS9_ilS7_S9_ilPT18_ili26rocblas_geam_ex_operation_,comdat
	.globl	_ZN12_GLOBAL__N_120geam_min_plus_kernelIDF16_Dv2_DF16_S1_Li8ELi32ELi64ELi128ELi4ELi64ELi4ELi64ELi4ELc78ELc84ELb0ELb1ELb0EPKDF16_KS3_KPDF16_EEviiiT16_PT17_ilS9_ilS7_S9_ilPT18_ili26rocblas_geam_ex_operation_ ; -- Begin function _ZN12_GLOBAL__N_120geam_min_plus_kernelIDF16_Dv2_DF16_S1_Li8ELi32ELi64ELi128ELi4ELi64ELi4ELi64ELi4ELc78ELc84ELb0ELb1ELb0EPKDF16_KS3_KPDF16_EEviiiT16_PT17_ilS9_ilS7_S9_ilPT18_ili26rocblas_geam_ex_operation_
	.p2align	8
	.type	_ZN12_GLOBAL__N_120geam_min_plus_kernelIDF16_Dv2_DF16_S1_Li8ELi32ELi64ELi128ELi4ELi64ELi4ELi64ELi4ELc78ELc84ELb0ELb1ELb0EPKDF16_KS3_KPDF16_EEviiiT16_PT17_ilS9_ilS7_S9_ilPT18_ili26rocblas_geam_ex_operation_,@function
_ZN12_GLOBAL__N_120geam_min_plus_kernelIDF16_Dv2_DF16_S1_Li8ELi32ELi64ELi128ELi4ELi64ELi4ELi64ELi4ELc78ELc84ELb0ELb1ELb0EPKDF16_KS3_KPDF16_EEviiiT16_PT17_ilS9_ilS7_S9_ilPT18_ili26rocblas_geam_ex_operation_: ; @_ZN12_GLOBAL__N_120geam_min_plus_kernelIDF16_Dv2_DF16_S1_Li8ELi32ELi64ELi128ELi4ELi64ELi4ELi64ELi4ELc78ELc84ELb0ELb1ELb0EPKDF16_KS3_KPDF16_EEviiiT16_PT17_ilS9_ilS7_S9_ilPT18_ili26rocblas_geam_ex_operation_
; %bb.0:
	s_load_dwordx4 s[4:7], s[0:1], 0x10
	s_load_dwordx4 s[12:15], s[0:1], 0x28
	;; [unrolled: 1-line block ×3, first 2 shown]
	s_mov_b32 s18, s3
	s_mov_b32 s19, 0
	s_lshl_b64 s[16:17], s[18:19], 1
	s_waitcnt lgkmcnt(0)
	s_add_u32 s4, s4, s16
	s_addc_u32 s5, s5, s17
	v_mov_b32_e32 v1, 0
	global_load_ushort v36, v1, s[4:5]
	s_add_u32 s4, s10, s16
	s_addc_u32 s5, s11, s17
	global_load_ushort v44, v1, s[4:5]
	s_load_dwordx2 s[20:21], s[0:1], 0x50
	s_mov_b64 s[16:17], 0
	s_mov_b64 s[26:27], 0
	s_waitcnt vmcnt(1)
	v_cmp_eq_f16_e32 vcc, 0, v36
	v_cmp_neq_f16_e64 s[4:5], 0, v36
	s_cbranch_vccnz .LBB246_2
; %bb.1:
	s_lshl_b64 s[10:11], s[18:19], 3
	s_add_u32 s6, s6, s10
	s_addc_u32 s7, s7, s11
	s_load_dwordx2 s[6:7], s[6:7], 0x0
	s_lshl_b64 s[10:11], s[12:13], 1
	s_waitcnt lgkmcnt(0)
	s_add_u32 s26, s6, s10
	s_addc_u32 s27, s7, s11
.LBB246_2:
	s_andn2_b64 vcc, exec, s[4:5]
	s_cbranch_vccnz .LBB246_4
; %bb.3:
	s_lshl_b64 s[6:7], s[18:19], 3
	s_add_u32 s6, s14, s6
	s_addc_u32 s7, s15, s7
	s_load_dwordx2 s[6:7], s[6:7], 0x0
	s_lshl_b64 s[8:9], s[8:9], 1
	s_waitcnt lgkmcnt(0)
	s_add_u32 s16, s6, s8
	s_addc_u32 s17, s7, s9
.LBB246_4:
	s_load_dwordx4 s[8:11], s[0:1], 0x60
	s_waitcnt vmcnt(0)
	v_cmp_eq_f16_e32 vcc, 0, v44
	v_cmp_neq_f16_e64 s[12:13], 0, v44
	s_cbranch_vccnz .LBB246_6
; %bb.5:
	s_lshl_b64 s[6:7], s[18:19], 3
	s_waitcnt lgkmcnt(0)
	s_add_u32 s6, s20, s6
	s_addc_u32 s7, s21, s7
	s_load_dwordx2 s[6:7], s[6:7], 0x0
	s_lshl_b64 s[8:9], s[8:9], 1
	s_waitcnt lgkmcnt(0)
	s_add_u32 s24, s6, s8
	s_addc_u32 s25, s7, s9
	s_branch .LBB246_7
.LBB246_6:
	s_mov_b64 s[24:25], 0
.LBB246_7:
	s_load_dword s28, s[0:1], 0x20
	s_waitcnt lgkmcnt(0)
	s_load_dwordx4 s[20:23], s[0:1], 0x0
	s_lshl_b64 s[6:7], s[18:19], 3
	v_and_b32_e32 v34, 0x3ff, v0
	v_bfe_u32 v35, v0, 10, 10
	s_ashr_i32 s29, s28, 31
	s_add_u32 s14, s10, s6
	s_addc_u32 s15, s11, s7
	s_waitcnt lgkmcnt(0)
	s_add_i32 s3, s20, -1
	s_ashr_i32 s6, s3, 31
	s_lshr_b32 s6, s6, 26
	s_add_i32 s3, s3, s6
	s_ashr_i32 s3, s3, 6
	s_add_i32 s9, s3, 1
	v_cvt_f32_u32_e32 v1, s9
	s_not_b32 s3, s3
	v_mov_b32_e32 v8, 0
	v_mov_b32_e32 v9, 0
	v_rcp_iflag_f32_e32 v0, v1
	v_lshl_add_u32 v1, v35, 3, v34
	v_and_b32_e32 v7, 63, v1
	v_lshrrev_b32_e32 v37, 6, v1
	v_mul_f32_e32 v0, 0x4f7ffffe, v0
	v_cvt_u32_f32_e32 v0, v0
	v_cmp_gt_i32_e64 s[6:7], s22, v37
	v_readfirstlane_b32 s8, v0
	s_mul_i32 s3, s3, s8
	s_mul_hi_u32 s3, s8, s3
	s_add_i32 s8, s8, s3
	s_mul_hi_u32 s3, s2, s8
	s_mul_i32 s8, s3, s9
	s_sub_i32 s8, s2, s8
	s_add_i32 s10, s3, 1
	s_sub_i32 s11, s8, s9
	s_cmp_ge_u32 s8, s9
	s_cselect_b32 s3, s10, s3
	s_cselect_b32 s8, s11, s8
	s_add_i32 s10, s3, 1
	s_cmp_ge_u32 s8, s9
	s_cselect_b32 s8, s10, s3
	s_mul_i32 s3, s8, s9
	s_sub_i32 s2, s2, s3
	s_lshl_b32 s30, s2, 6
	v_or_b32_e32 v0, s30, v7
	v_cmp_gt_i32_e32 vcc, s20, v0
	s_and_b64 s[2:3], s[6:7], vcc
	s_and_b64 s[6:7], s[4:5], s[2:3]
	v_ashrrev_i32_e32 v1, 31, v0
	s_and_saveexec_b64 s[2:3], s[6:7]
	s_cbranch_execz .LBB246_9
; %bb.8:
	v_mad_i64_i32 v[2:3], s[6:7], s28, v37, 0
	v_lshl_add_u64 v[2:3], v[2:3], 1, s[26:27]
	v_lshl_add_u64 v[2:3], v[0:1], 1, v[2:3]
	flat_load_ushort v2, v[2:3]
	s_waitcnt vmcnt(0) lgkmcnt(0)
	v_mul_f16_e32 v9, v36, v2
.LBB246_9:
	s_or_b64 exec, exec, s[2:3]
	s_load_dword s23, s[0:1], 0x38
	s_lshl_b32 s31, s8, 7
	s_add_i32 s33, s22, -1
	v_or_b32_e32 v24, s31, v7
	v_min_i32_e32 v2, s33, v37
	v_cmp_le_i32_e64 s[10:11], s22, v37
	s_waitcnt lgkmcnt(0)
	v_mad_i64_i32 v[2:3], s[2:3], s23, v2, 0
	v_cmp_le_i32_e64 s[6:7], s21, v24
	s_or_b64 s[2:3], s[10:11], s[6:7]
	s_xor_b64 s[18:19], s[4:5], -1
	v_lshl_add_u64 v[2:3], v[2:3], 1, s[16:17]
	s_nor_b64 s[8:9], s[2:3], s[18:19]
	v_ashrrev_i32_e32 v25, 31, v24
	s_and_saveexec_b64 s[2:3], s[8:9]
	s_cbranch_execz .LBB246_11
; %bb.10:
	v_lshl_add_u64 v[4:5], v[24:25], 1, v[2:3]
	flat_load_ushort v4, v[4:5]
	s_waitcnt vmcnt(0) lgkmcnt(0)
	v_mul_f16_e32 v8, v36, v4
.LBB246_11:
	s_or_b64 exec, exec, s[2:3]
	v_or_b32_e32 v4, 64, v24
	v_cmp_le_i32_e64 s[8:9], s21, v4
	s_or_b64 s[2:3], s[10:11], s[8:9]
	s_nor_b64 s[10:11], s[2:3], s[18:19]
	v_mov_b32_e32 v4, 0
	v_mov_b32_e32 v10, 0
	s_and_saveexec_b64 s[2:3], s[10:11]
	s_cbranch_execz .LBB246_13
; %bb.12:
	v_lshl_add_u64 v[2:3], v[24:25], 1, v[2:3]
	flat_load_ushort v2, v[2:3] offset:128
	s_waitcnt vmcnt(0) lgkmcnt(0)
	v_mul_f16_e32 v10, v36, v2
.LBB246_13:
	s_or_b64 exec, exec, s[2:3]
	v_add_u32_e32 v2, 4, v37
	v_cmp_gt_i32_e64 s[2:3], s22, v2
	s_and_b64 s[2:3], vcc, s[2:3]
	s_and_b64 s[10:11], s[4:5], s[2:3]
	s_and_saveexec_b64 s[2:3], s[10:11]
	s_cbranch_execz .LBB246_15
; %bb.14:
	v_mad_u64_u32 v[4:5], s[10:11], s28, v2, 0
	v_mov_b32_e32 v6, v5
	v_mad_u64_u32 v[12:13], s[10:11], s29, v2, v[6:7]
	v_mov_b32_e32 v5, v12
	v_lshl_add_u64 v[4:5], v[4:5], 1, s[26:27]
	v_lshl_add_u64 v[4:5], v[0:1], 1, v[4:5]
	flat_load_ushort v3, v[4:5]
	s_waitcnt vmcnt(0) lgkmcnt(0)
	v_mul_f16_e32 v4, v36, v3
.LBB246_15:
	s_or_b64 exec, exec, s[2:3]
	v_cmp_le_i32_e64 s[10:11], s22, v2
	v_min_i32_e32 v2, s33, v2
	v_mad_i64_i32 v[2:3], s[2:3], s23, v2, 0
	s_or_b64 s[2:3], s[6:7], s[10:11]
	v_lshl_add_u64 v[2:3], v[2:3], 1, s[16:17]
	s_nor_b64 s[34:35], s[2:3], s[18:19]
	v_mov_b32_e32 v5, 0
	v_mov_b32_e32 v6, 0
	s_and_saveexec_b64 s[2:3], s[34:35]
	s_cbranch_execz .LBB246_17
; %bb.16:
	v_lshl_add_u64 v[12:13], v[24:25], 1, v[2:3]
	flat_load_ushort v6, v[12:13]
	s_waitcnt vmcnt(0) lgkmcnt(0)
	v_mul_f16_e32 v6, v36, v6
.LBB246_17:
	s_or_b64 exec, exec, s[2:3]
	s_or_b64 s[2:3], s[8:9], s[10:11]
	s_nor_b64 s[10:11], s[2:3], s[18:19]
	s_and_saveexec_b64 s[2:3], s[10:11]
	s_cbranch_execz .LBB246_19
; %bb.18:
	v_lshl_add_u64 v[2:3], v[24:25], 1, v[2:3]
	flat_load_ushort v2, v[2:3] offset:128
	s_waitcnt vmcnt(0) lgkmcnt(0)
	v_mul_f16_e32 v5, v36, v2
.LBB246_19:
	s_or_b64 exec, exec, s[2:3]
	v_lshlrev_b32_e32 v2, 3, v7
	v_lshlrev_b32_e32 v39, 3, v34
	v_lshl_add_u32 v40, v37, 1, v2
	v_lshlrev_b32_e32 v38, 3, v35
	v_add_u32_e32 v41, 0x800, v39
	s_load_dwordx2 s[14:15], s[14:15], 0x0
	ds_write_b16 v40, v9 offset:2048
	ds_write_b16 v40, v8
	ds_write_b16 v40, v10 offset:512
	s_waitcnt lgkmcnt(0)
	s_barrier
	ds_read2_b64 v[8:11], v38 offset1:32
	ds_read2_b64 v[12:15], v41 offset0:48 offset1:56
	ds_read2_b64 v[16:19], v38 offset0:64 offset1:96
	ds_read2_b64 v[20:23], v41 offset1:8
	ds_read2_b64 v[26:29], v41 offset0:16 offset1:24
	ds_read2_b64 v[30:33], v41 offset0:32 offset1:40
	s_waitcnt lgkmcnt(5)
	v_pk_max_f16 v2, v8, v8
	s_waitcnt lgkmcnt(4)
	v_pk_max_f16 v3, v14, v14
	v_pk_max_f16 v8, v10, v10
	v_pk_min_f16 v7, v3, v2
	s_waitcnt lgkmcnt(3)
	v_pk_max_f16 v14, v16, v16
	s_waitcnt lgkmcnt(2)
	v_pk_max_f16 v16, v20, v20
	v_pk_max_f16 v18, v18, v18
	;; [unrolled: 1-line block ×3, first 2 shown]
	s_waitcnt lgkmcnt(1)
	v_pk_max_f16 v26, v26, v26
	v_pk_max_f16 v28, v28, v28
	s_waitcnt lgkmcnt(0)
	v_pk_max_f16 v30, v30, v30
	v_pk_max_f16 v9, v9, v9
	;; [unrolled: 1-line block ×5, first 2 shown]
	v_pk_min_f16 v10, v3, v8
	v_pk_min_f16 v20, v16, v2
	;; [unrolled: 1-line block ×18, first 2 shown]
	v_pk_max_f16 v11, v11, v11
	v_pk_min_f16 v62, v30, v8
	v_pk_min_f16 v63, v30, v14
	;; [unrolled: 1-line block ×13, first 2 shown]
	v_pk_add_f16 v7, v7, 0
	v_pk_min_f16 v18, v15, v9
	v_pk_max_f16 v17, v17, v17
	v_pk_add_f16 v69, v7, v18
	v_pk_add_f16 v7, v10, 0
	v_pk_min_f16 v10, v15, v11
	v_pk_max_f16 v21, v21, v21
	v_pk_add_f16 v61, v7, v10
	;; [unrolled: 4-line block ×4, first 2 shown]
	v_pk_add_f16 v7, v42, 0
	v_pk_min_f16 v10, v21, v11
	v_pk_add_f16 v18, v55, 0
	v_pk_add_f16 v68, v7, v10
	;; [unrolled: 1-line block ×3, first 2 shown]
	v_pk_min_f16 v10, v21, v17
	v_pk_add_f16 v20, v56, 0
	v_pk_add_f16 v60, v7, v10
	;; [unrolled: 1-line block ×3, first 2 shown]
	v_pk_min_f16 v10, v21, v19
	v_pk_min_f16 v16, v23, v19
	v_pk_add_f16 v52, v7, v10
	v_pk_add_f16 v7, v45, 0
	v_pk_min_f16 v10, v23, v9
	v_pk_add_f16 v21, v28, 0
	v_pk_add_f16 v76, v7, v10
	v_pk_add_f16 v7, v46, 0
	v_pk_min_f16 v10, v23, v11
	v_pk_add_f16 v28, v64, 0
	;; [unrolled: 4-line block ×3, first 2 shown]
	v_pk_add_f16 v59, v7, v10
	v_pk_add_f16 v7, v22, 0
	;; [unrolled: 1-line block ×4, first 2 shown]
	v_pk_max_f16 v7, v27, v27
	v_pk_add_f16 v27, v30, 0
	v_pk_min_f16 v16, v7, v9
	v_pk_add_f16 v30, v65, 0
	v_pk_add_f16 v75, v10, v16
	;; [unrolled: 1-line block ×3, first 2 shown]
	v_pk_min_f16 v16, v7, v11
	v_pk_add_f16 v22, v57, 0
	v_pk_add_f16 v66, v10, v16
	;; [unrolled: 1-line block ×3, first 2 shown]
	v_pk_min_f16 v16, v7, v17
	v_pk_min_f16 v7, v7, v19
	v_pk_add_f16 v58, v10, v16
	v_pk_add_f16 v10, v26, 0
	;; [unrolled: 1-line block ×4, first 2 shown]
	v_pk_max_f16 v7, v29, v29
	v_pk_add_f16 v26, v63, 0
	v_pk_min_f16 v10, v7, v9
	v_pk_add_f16 v32, v32, 0
	v_pk_add_f16 v74, v16, v10
	v_pk_min_f16 v10, v7, v11
	v_pk_add_f16 v2, v2, 0
	v_pk_add_f16 v65, v18, v10
	v_pk_min_f16 v10, v7, v17
	v_pk_min_f16 v7, v7, v19
	v_pk_add_f16 v57, v20, v10
	v_pk_add_f16 v49, v21, v7
	v_pk_max_f16 v7, v31, v31
	v_pk_add_f16 v8, v8, 0
	v_pk_min_f16 v10, v7, v9
	v_pk_add_f16 v14, v14, 0
	v_pk_add_f16 v73, v22, v10
	v_pk_min_f16 v10, v7, v11
	v_pk_add_f16 v12, v12, 0
	v_pk_add_f16 v64, v23, v10
	v_pk_min_f16 v10, v7, v17
	v_pk_min_f16 v7, v7, v19
	v_pk_add_f16 v56, v26, v10
	v_pk_add_f16 v48, v27, v7
	v_pk_max_f16 v7, v33, v33
	v_pk_add_f16 v42, v70, 0
	v_pk_min_f16 v10, v7, v9
	v_pk_add_f16 v3, v3, 0
	v_pk_add_f16 v72, v28, v10
	v_pk_min_f16 v10, v7, v11
	s_mov_b32 s34, 0
	v_pk_add_f16 v63, v30, v10
	v_pk_min_f16 v10, v7, v17
	v_pk_min_f16 v7, v7, v19
	v_pk_add_f16 v55, v42, v10
	v_pk_add_f16 v47, v32, v7
	v_pk_max_f16 v7, v13, v13
	s_cmp_lt_i32 s22, 9
	v_pk_min_f16 v9, v7, v9
	ds_write_b16 v40, v4 offset:2560
	ds_write_b16 v40, v6 offset:1024
	;; [unrolled: 1-line block ×3, first 2 shown]
	v_pk_add_f16 v71, v2, v9
	v_pk_min_f16 v2, v7, v11
	s_waitcnt lgkmcnt(0)
	v_pk_add_f16 v62, v8, v2
	v_pk_min_f16 v2, v7, v17
	s_barrier
	v_pk_add_f16 v54, v14, v2
	v_pk_min_f16 v2, v7, v19
	s_nop 0
	v_pk_add_f16 v46, v12, v2
	v_pk_min_f16 v2, v15, v19
	s_nop 0
	v_pk_add_f16 v45, v3, v2
	s_cbranch_scc1 .LBB246_34
; %bb.20:
	v_lshl_add_u64 v[26:27], v[0:1], 1, s[26:27]
	v_mov_b32_e32 v0, 0xa00
	v_lshl_add_u32 v78, v34, 3, v0
	v_add_u32_e32 v0, v38, v34
	v_lshrrev_b32_e32 v2, 6, v0
	v_add_u32_e32 v0, 12, v2
	v_mad_i64_i32 v[0:1], s[2:3], v0, s28, 0
	v_lshlrev_b64 v[28:29], 1, v[0:1]
	v_add_u32_e32 v0, 8, v2
	v_mad_i64_i32 v[0:1], s[2:3], v0, s28, 0
	v_or_b32_e32 v42, 0x800, v40
	v_add_u32_e32 v43, 0xa00, v40
	v_or_b32_e32 v70, 0x400, v40
	s_add_i32 s35, s22, -8
	v_add_u32_e32 v79, 0x400, v38
	s_lshl_b64 s[26:27], s[28:29], 4
	v_lshlrev_b64 v[30:31], 1, v[0:1]
	s_branch .LBB246_22
.LBB246_21:                             ;   in Loop: Header=BB246_22 Depth=1
	s_or_b64 exec, exec, s[2:3]
	v_pk_max_f16 v2, v2, v2
	v_pk_max_f16 v20, v20, v20
	;; [unrolled: 1-line block ×7, first 2 shown]
	v_pk_min_f16 v32, v2, v20
	v_pk_min_f16 v33, v2, v22
	v_pk_max_f16 v12, v12, v12
	v_pk_max_f16 v14, v14, v14
	;; [unrolled: 1-line block ×10, first 2 shown]
	v_pk_min_f16 v95, v4, v20
	v_pk_max_f16 v9, v9, v9
	v_pk_max_f16 v11, v11, v11
	v_pk_min_f16 v96, v4, v22
	v_pk_max_f16 v5, v5, v5
	v_pk_max_f16 v7, v7, v7
	v_pk_min_f16 v97, v4, v16
	v_pk_min_f16 v4, v4, v18
	v_pk_max_f16 v0, v0, v0
	v_pk_max_f16 v3, v3, v3
	;; [unrolled: 1-line block ×3, first 2 shown]
	v_pk_min_f16 v98, v6, v20
	v_pk_min_f16 v99, v6, v22
	;; [unrolled: 1-line block ×58, first 2 shown]
	v_pk_add_f16 v1, v69, v32
	v_pk_add_f16 v3, v61, v33
	;; [unrolled: 1-line block ×12, first 2 shown]
	ds_read2_b64 v[0:3], v41 offset0:48 offset1:56
	ds_read2_b64 v[4:7], v38 offset1:32
	v_pk_add_f16 v32, v53, v101
	v_pk_add_f16 v33, v77, v83
	;; [unrolled: 1-line block ×7, first 2 shown]
	s_waitcnt lgkmcnt(1)
	v_pk_max_f16 v2, v2, v2
	s_waitcnt lgkmcnt(0)
	v_pk_max_f16 v4, v4, v4
	v_pk_add_f16 v61, v67, v87
	v_pk_add_f16 v14, v51, v14
	;; [unrolled: 1-line block ×8, first 2 shown]
	ds_read2_b64 v[8:11], v38 offset0:64 offset1:96
	v_pk_min_f16 v12, v2, v4
	v_pk_add_f16 v22, v62, v22
	v_pk_add_f16 v62, v14, v15
	;; [unrolled: 1-line block ×3, first 2 shown]
	ds_read2_b64 v[12:15], v41 offset1:8
	v_pk_max_f16 v6, v6, v6
	v_pk_add_f16 v50, v74, v92
	v_pk_add_f16 v74, v16, v17
	v_pk_min_f16 v16, v2, v6
	s_waitcnt lgkmcnt(1)
	v_pk_max_f16 v8, v8, v8
	v_pk_add_f16 v32, v32, v121
	v_pk_add_f16 v54, v54, v16
	v_pk_min_f16 v16, v2, v8
	s_waitcnt lgkmcnt(0)
	v_pk_max_f16 v12, v12, v12
	v_pk_add_f16 v32, v32, v16
	v_pk_min_f16 v16, v12, v4
	v_pk_add_f16 v51, v75, v89
	v_pk_add_f16 v75, v18, v16
	v_pk_min_f16 v16, v12, v6
	v_pk_add_f16 v52, v76, v86
	v_pk_add_f16 v33, v33, v16
	v_pk_min_f16 v16, v12, v8
	v_pk_max_f16 v14, v14, v14
	v_pk_add_f16 v52, v52, v104
	v_pk_add_f16 v76, v53, v16
	v_pk_min_f16 v16, v14, v4
	v_pk_add_f16 v61, v61, v105
	v_pk_add_f16 v83, v52, v16
	v_pk_min_f16 v16, v14, v6
	v_pk_add_f16 v45, v45, v19
	v_pk_add_f16 v84, v61, v16
	ds_read2_b64 v[16:19], v41 offset0:16 offset1:24
	v_pk_add_f16 v59, v59, v88
	v_pk_add_f16 v48, v72, v98
	;; [unrolled: 1-line block ×4, first 2 shown]
	v_pk_max_f16 v10, v10, v10
	v_pk_min_f16 v20, v14, v8
	s_waitcnt lgkmcnt(0)
	v_pk_max_f16 v16, v16, v16
	v_pk_add_f16 v66, v66, v90
	v_pk_add_f16 v51, v51, v107
	;; [unrolled: 1-line block ×3, first 2 shown]
	v_pk_min_f16 v14, v14, v10
	v_pk_min_f16 v20, v16, v4
	v_pk_add_f16 v58, v58, v91
	v_pk_add_f16 v66, v66, v108
	;; [unrolled: 1-line block ×4, first 2 shown]
	v_pk_min_f16 v20, v16, v6
	v_pk_add_f16 v58, v58, v109
	v_pk_add_f16 v66, v66, v20
	v_pk_min_f16 v20, v16, v8
	v_pk_max_f16 v18, v18, v18
	v_pk_add_f16 v65, v65, v93
	v_pk_add_f16 v50, v50, v110
	;; [unrolled: 1-line block ×3, first 2 shown]
	v_pk_min_f16 v20, v18, v4
	v_pk_add_f16 v65, v65, v111
	v_pk_add_f16 v85, v50, v20
	v_pk_min_f16 v20, v18, v6
	v_pk_add_f16 v49, v73, v95
	v_pk_add_f16 v73, v22, v23
	v_pk_add_f16 v65, v65, v20
	ds_read2_b64 v[20:23], v41 offset0:32 offset1:40
	v_pk_add_f16 v57, v57, v94
	v_pk_min_f16 v50, v18, v8
	v_pk_add_f16 v57, v57, v112
	v_pk_add_f16 v64, v64, v96
	s_waitcnt lgkmcnt(0)
	v_pk_max_f16 v20, v20, v20
	v_pk_add_f16 v49, v49, v113
	v_pk_add_f16 v57, v57, v50
	v_pk_min_f16 v50, v20, v4
	v_pk_add_f16 v56, v56, v97
	v_pk_add_f16 v64, v64, v114
	;; [unrolled: 1-line block ×3, first 2 shown]
	v_pk_min_f16 v49, v20, v6
	v_pk_add_f16 v56, v56, v115
	v_pk_add_f16 v64, v64, v49
	v_pk_min_f16 v49, v20, v8
	v_pk_max_f16 v22, v22, v22
	v_pk_add_f16 v63, v63, v99
	v_pk_add_f16 v48, v48, v116
	;; [unrolled: 1-line block ×3, first 2 shown]
	v_pk_min_f16 v49, v22, v4
	v_pk_add_f16 v63, v63, v117
	v_pk_add_f16 v87, v48, v49
	v_pk_min_f16 v48, v22, v6
	v_pk_max_f16 v0, v0, v0
	v_pk_max_f16 v3, v3, v3
	;; [unrolled: 1-line block ×3, first 2 shown]
	v_pk_min_f16 v12, v12, v10
	v_pk_min_f16 v16, v16, v10
	v_pk_min_f16 v18, v18, v10
	v_pk_min_f16 v20, v20, v10
	v_pk_add_f16 v63, v63, v48
	v_pk_min_f16 v48, v22, v8
	v_pk_min_f16 v22, v22, v10
	;; [unrolled: 1-line block ×8, first 2 shown]
	v_pk_max_f16 v7, v7, v7
	v_pk_add_f16 v20, v69, v20
	v_pk_add_f16 v69, v47, v10
	v_pk_min_f16 v10, v3, v7
	v_pk_max_f16 v9, v9, v9
	v_pk_add_f16 v61, v54, v10
	v_pk_min_f16 v10, v3, v9
	v_pk_max_f16 v11, v11, v11
	v_pk_add_f16 v53, v32, v10
	v_pk_max_f16 v10, v13, v13
	v_pk_add_f16 v12, v60, v12
	v_pk_min_f16 v13, v10, v5
	v_pk_add_f16 v18, v68, v18
	v_pk_add_f16 v77, v75, v13
	v_pk_min_f16 v13, v10, v7
	v_pk_add_f16 v16, v67, v16
	v_pk_add_f16 v68, v33, v13
	v_pk_min_f16 v13, v10, v9
	v_pk_min_f16 v10, v10, v11
	v_pk_add_f16 v60, v76, v13
	v_pk_add_f16 v52, v12, v10
	v_pk_max_f16 v10, v15, v15
	v_pk_add_f16 v8, v74, v8
	v_pk_min_f16 v12, v10, v5
	v_pk_add_f16 v55, v55, v100
	v_pk_add_f16 v76, v83, v12
	v_pk_min_f16 v12, v10, v7
	v_pk_add_f16 v6, v73, v6
	v_pk_add_f16 v67, v84, v12
	v_pk_min_f16 v12, v10, v9
	v_pk_min_f16 v10, v10, v11
	v_pk_add_f16 v59, v59, v12
	v_pk_add_f16 v51, v14, v10
	v_pk_max_f16 v10, v17, v17
	v_pk_add_f16 v55, v55, v118
	v_pk_min_f16 v12, v10, v5
	v_pk_add_f16 v55, v55, v48
	v_pk_add_f16 v75, v62, v12
	v_pk_min_f16 v12, v10, v7
	v_pk_max_f16 v1, v1, v1
	v_pk_add_f16 v66, v66, v12
	v_pk_min_f16 v12, v10, v9
	v_pk_min_f16 v10, v10, v11
	v_pk_add_f16 v58, v58, v12
	v_pk_add_f16 v50, v16, v10
	v_pk_max_f16 v10, v19, v19
	v_pk_add_f16 v4, v72, v4
	v_pk_min_f16 v12, v10, v5
	v_pk_add_f16 v46, v46, v122
	v_pk_add_f16 v74, v85, v12
	v_pk_min_f16 v12, v10, v7
	v_pk_add_f16 v22, v71, v22
	v_pk_add_f16 v65, v65, v12
	v_pk_min_f16 v12, v10, v9
	v_pk_min_f16 v10, v10, v11
	v_pk_add_f16 v57, v57, v12
	v_pk_add_f16 v49, v18, v10
	v_pk_max_f16 v10, v21, v21
	v_pk_add_f16 v0, v46, v0
	v_pk_min_f16 v12, v10, v5
	v_pk_add_f16 v2, v45, v2
	v_pk_add_f16 v73, v86, v12
	v_pk_min_f16 v12, v10, v7
	s_add_i32 s34, s34, 8
	v_pk_add_f16 v64, v64, v12
	v_pk_min_f16 v12, v10, v9
	v_pk_min_f16 v10, v10, v11
	v_pk_add_f16 v56, v56, v12
	v_pk_add_f16 v48, v20, v10
	v_pk_max_f16 v10, v23, v23
	s_cmp_ge_i32 s34, s35
	v_pk_min_f16 v12, v10, v5
	v_pk_min_f16 v5, v1, v5
	v_pk_add_f16 v72, v87, v12
	v_pk_add_f16 v71, v4, v5
	v_pk_min_f16 v4, v1, v7
	v_pk_min_f16 v12, v10, v7
	v_pk_add_f16 v62, v6, v4
	v_pk_min_f16 v4, v1, v9
	v_pk_min_f16 v1, v1, v11
	v_pk_add_f16 v63, v63, v12
	v_pk_min_f16 v12, v10, v9
	v_pk_min_f16 v10, v10, v11
	v_pk_add_f16 v46, v0, v1
	v_pk_min_f16 v0, v3, v11
	v_pk_add_f16 v55, v55, v12
	v_pk_add_f16 v47, v22, v10
	v_pk_add_f16 v54, v8, v4
	v_pk_add_f16 v45, v2, v0
	v_lshl_add_u64 v[26:27], v[26:27], 0, s[26:27]
	ds_write_b16 v43, v80
	ds_write_b16 v70, v82
	ds_write_b16 v70, v81 offset:512
	s_waitcnt lgkmcnt(0)
	s_barrier
	s_cbranch_scc1 .LBB246_34
.LBB246_22:                             ; =>This Inner Loop Header: Depth=1
	v_add_u32_e32 v32, s34, v37
	v_add_u32_e32 v0, 8, v32
	v_cmp_gt_i32_e64 s[2:3], s22, v0
	s_and_b64 s[2:3], vcc, s[2:3]
	s_and_b64 s[10:11], s[4:5], s[2:3]
	v_mov_b32_e32 v33, 0
	v_mov_b32_e32 v81, 0
	s_and_saveexec_b64 s[2:3], s[10:11]
	s_cbranch_execz .LBB246_24
; %bb.23:                               ;   in Loop: Header=BB246_22 Depth=1
	v_lshl_add_u64 v[2:3], v[26:27], 0, v[30:31]
	flat_load_ushort v1, v[2:3]
	s_waitcnt vmcnt(0) lgkmcnt(0)
	v_mul_f16_e32 v81, v36, v1
.LBB246_24:                             ;   in Loop: Header=BB246_22 Depth=1
	s_or_b64 exec, exec, s[2:3]
	v_cmp_le_i32_e64 s[10:11], s22, v0
	v_min_i32_e32 v0, s33, v0
	v_mad_i64_i32 v[0:1], s[2:3], v0, s23, 0
	v_lshl_add_u64 v[0:1], v[0:1], 1, s[16:17]
	s_or_b64 s[2:3], s[6:7], s[10:11]
	s_nor_b64 s[28:29], s[2:3], s[18:19]
	v_lshl_add_u64 v[0:1], v[24:25], 1, v[0:1]
	s_and_saveexec_b64 s[2:3], s[28:29]
	s_cbranch_execz .LBB246_26
; %bb.25:                               ;   in Loop: Header=BB246_22 Depth=1
	flat_load_ushort v2, v[0:1]
	s_waitcnt vmcnt(0) lgkmcnt(0)
	v_mul_f16_e32 v33, v36, v2
.LBB246_26:                             ;   in Loop: Header=BB246_22 Depth=1
	s_or_b64 exec, exec, s[2:3]
	s_or_b64 s[2:3], s[8:9], s[10:11]
	s_nor_b64 s[10:11], s[2:3], s[18:19]
	v_mov_b32_e32 v80, 0
	v_mov_b32_e32 v82, 0
	s_and_saveexec_b64 s[2:3], s[10:11]
	s_cbranch_execz .LBB246_28
; %bb.27:                               ;   in Loop: Header=BB246_22 Depth=1
	flat_load_ushort v0, v[0:1] offset:128
	s_waitcnt vmcnt(0) lgkmcnt(0)
	v_mul_f16_e32 v82, v36, v0
.LBB246_28:                             ;   in Loop: Header=BB246_22 Depth=1
	s_or_b64 exec, exec, s[2:3]
	ds_read2_b64 v[0:3], v78 offset0:48 offset1:56
	ds_read2_b64 v[16:19], v79 offset0:64 offset1:96
	ds_read2_b64 v[20:23], v79 offset1:32
	ds_read2_b64 v[12:15], v78 offset1:8
	ds_read2_b64 v[8:11], v78 offset0:16 offset1:24
	ds_read2_b64 v[4:7], v78 offset0:32 offset1:40
	v_add_u32_e32 v32, 12, v32
	v_cmp_gt_i32_e64 s[2:3], s22, v32
	s_and_b64 s[2:3], vcc, s[2:3]
	s_and_b64 s[2:3], s[4:5], s[2:3]
	ds_write_b16 v42, v81
	ds_write_b16 v40, v33
	ds_write_b16 v40, v82 offset:512
	s_waitcnt lgkmcnt(0)
	s_barrier
	s_and_saveexec_b64 s[10:11], s[2:3]
	s_xor_b64 s[2:3], exec, s[10:11]
	s_cbranch_execz .LBB246_30
; %bb.29:                               ;   in Loop: Header=BB246_22 Depth=1
	v_lshl_add_u64 v[80:81], v[26:27], 0, v[28:29]
	flat_load_ushort v33, v[80:81]
	s_waitcnt vmcnt(0) lgkmcnt(0)
	v_mul_f16_e32 v80, v36, v33
.LBB246_30:                             ;   in Loop: Header=BB246_22 Depth=1
	s_or_b64 exec, exec, s[2:3]
	v_cmp_le_i32_e64 s[10:11], s22, v32
	v_min_i32_e32 v32, s33, v32
	v_mad_i64_i32 v[32:33], s[2:3], v32, s23, 0
	v_lshl_add_u64 v[32:33], v[32:33], 1, s[16:17]
	s_or_b64 s[2:3], s[6:7], s[10:11]
	s_nor_b64 s[28:29], s[2:3], s[18:19]
	v_mov_b32_e32 v81, 0
	v_lshl_add_u64 v[32:33], v[24:25], 1, v[32:33]
	v_mov_b32_e32 v82, 0
	s_and_saveexec_b64 s[2:3], s[28:29]
	s_cbranch_execz .LBB246_32
; %bb.31:                               ;   in Loop: Header=BB246_22 Depth=1
	flat_load_ushort v82, v[32:33]
	s_waitcnt vmcnt(0) lgkmcnt(0)
	v_mul_f16_e32 v82, v36, v82
.LBB246_32:                             ;   in Loop: Header=BB246_22 Depth=1
	s_or_b64 exec, exec, s[2:3]
	s_or_b64 s[2:3], s[8:9], s[10:11]
	s_nor_b64 s[10:11], s[2:3], s[18:19]
	s_and_saveexec_b64 s[2:3], s[10:11]
	s_cbranch_execz .LBB246_21
; %bb.33:                               ;   in Loop: Header=BB246_22 Depth=1
	flat_load_ushort v32, v[32:33] offset:128
	s_waitcnt vmcnt(0) lgkmcnt(0)
	v_mul_f16_e32 v81, v36, v32
	s_branch .LBB246_21
.LBB246_34:
	s_load_dwordx2 s[2:3], s[0:1], 0x78
	s_load_dword s29, s[0:1], 0x58
	s_load_dword s28, s[0:1], 0x70
	v_add_u32_e32 v8, 0x800, v39
	ds_read2_b64 v[0:3], v8 offset0:112 offset1:120
	ds_read2_b64 v[4:7], v38 offset0:192 offset1:224
	;; [unrolled: 1-line block ×6, first 2 shown]
	s_waitcnt lgkmcnt(0)
	s_lshl_b64 s[0:1], s[2:3], 1
	s_add_u32 s22, s14, s0
	v_add_u32_e32 v70, s31, v35
	s_addc_u32 s23, s15, s1
	v_mad_i64_i32 v[26:27], s[0:1], v70, s29, 0
	v_add_u32_e32 v24, s30, v34
	v_lshl_add_u64 v[42:43], v[26:27], 1, s[24:25]
	v_mad_i64_i32 v[26:27], s[0:1], v70, s28, 0
	v_cmp_gt_i32_e64 s[18:19], s21, v70
	v_lshl_add_u64 v[40:41], v[26:27], 1, s[22:23]
	v_cmp_gt_i32_e64 s[4:5], s20, v24
	v_cndmask_b32_e64 v26, 0, 1, s[12:13]
	s_and_b64 s[2:3], s[4:5], s[18:19]
	v_ashrrev_i32_e32 v25, 31, v24
	v_cmp_ne_u32_e64 s[0:1], 1, v26
	s_and_saveexec_b64 s[6:7], s[2:3]
	s_xor_b64 s[2:3], exec, s[6:7]
	s_cbranch_execz .LBB246_39
; %bb.35:
	s_and_b64 vcc, exec, s[0:1]
	s_cbranch_vccnz .LBB246_37
; %bb.36:
	v_lshl_add_u64 v[26:27], v[24:25], 1, v[42:43]
	flat_load_ushort v26, v[26:27]
	s_waitcnt vmcnt(0) lgkmcnt(0)
	v_mul_f16_e32 v26, v44, v26
	s_branch .LBB246_38
.LBB246_37:
	v_mov_b32_e32 v26, 0
.LBB246_38:
	v_pk_max_f16 v27, v20, v20
	v_pk_max_f16 v28, v16, v16
	v_pk_max_f16 v29, v17, v17
	v_pk_min_f16 v27, v28, v27
	v_pk_max_f16 v28, v21, v21
	v_pk_add_f16 v27, v77, v27
	v_pk_min_f16 v28, v29, v28
	s_nop 0
	v_pk_add_f16 v27, v27, v28
	s_nop 0
	v_add_f16_sdwa v27, v27, v27 dst_sel:DWORD dst_unused:UNUSED_PAD src0_sel:DWORD src1_sel:WORD_1
	v_add_f16_e32 v28, v27, v26
	v_lshl_add_u64 v[26:27], v[24:25], 1, v[40:41]
	flat_store_short v[26:27], v28
.LBB246_39:
	s_or_b64 exec, exec, s[2:3]
	v_add_u32_e32 v26, 8, v24
	v_cmp_gt_i32_e64 s[2:3], s20, v26
	s_and_b64 s[8:9], s[2:3], s[18:19]
	v_ashrrev_i32_e32 v27, 31, v26
	s_and_saveexec_b64 s[6:7], s[8:9]
	s_cbranch_execz .LBB246_44
; %bb.40:
	s_and_b64 vcc, exec, s[0:1]
	s_cbranch_vccnz .LBB246_42
; %bb.41:
	v_lshl_add_u64 v[28:29], v[26:27], 1, v[42:43]
	flat_load_ushort v28, v[28:29]
	s_waitcnt vmcnt(0) lgkmcnt(0)
	v_mul_f16_e32 v28, v44, v28
	s_branch .LBB246_43
.LBB246_42:
	v_mov_b32_e32 v28, 0
.LBB246_43:
	v_pk_max_f16 v29, v20, v20
	v_pk_max_f16 v30, v18, v18
	v_pk_max_f16 v31, v19, v19
	v_pk_min_f16 v29, v30, v29
	v_pk_max_f16 v30, v21, v21
	v_pk_add_f16 v29, v76, v29
	v_pk_min_f16 v30, v31, v30
	s_nop 0
	v_pk_add_f16 v29, v29, v30
	s_nop 0
	v_add_f16_sdwa v29, v29, v29 dst_sel:DWORD dst_unused:UNUSED_PAD src0_sel:DWORD src1_sel:WORD_1
	v_add_f16_e32 v30, v29, v28
	v_lshl_add_u64 v[28:29], v[26:27], 1, v[40:41]
	flat_store_short v[28:29], v30
.LBB246_44:
	s_or_b64 exec, exec, s[6:7]
	v_add_u32_e32 v28, 16, v24
	v_cmp_gt_i32_e64 s[6:7], s20, v28
	s_and_b64 s[10:11], s[6:7], s[18:19]
	v_ashrrev_i32_e32 v29, 31, v28
	s_and_saveexec_b64 s[8:9], s[10:11]
	;; [unrolled: 34-line block ×6, first 2 shown]
	s_cbranch_execz .LBB246_69
; %bb.65:
	s_and_b64 vcc, exec, s[0:1]
	s_cbranch_vccnz .LBB246_67
; %bb.66:
	v_lshl_add_u64 v[38:39], v[36:37], 1, v[42:43]
	flat_load_ushort v38, v[38:39]
	s_waitcnt vmcnt(0) lgkmcnt(0)
	v_mul_f16_e32 v38, v44, v38
	s_branch .LBB246_68
.LBB246_67:
	v_mov_b32_e32 v38, 0
.LBB246_68:
	v_pk_max_f16 v39, v20, v20
	v_pk_max_f16 v72, v0, v0
	s_nop 0
	v_pk_min_f16 v39, v72, v39
	v_pk_max_f16 v72, v1, v1
	v_pk_add_f16 v39, v71, v39
	v_pk_max_f16 v71, v21, v21
	s_nop 0
	v_pk_min_f16 v71, v72, v71
	s_nop 0
	v_pk_add_f16 v39, v39, v71
	s_nop 0
	v_add_f16_sdwa v39, v39, v39 dst_sel:DWORD dst_unused:UNUSED_PAD src0_sel:DWORD src1_sel:WORD_1
	v_add_f16_e32 v71, v39, v38
	v_lshl_add_u64 v[38:39], v[36:37], 1, v[40:41]
	flat_store_short v[38:39], v71
.LBB246_69:
	s_or_b64 exec, exec, s[16:17]
	v_add_u32_e32 v38, 56, v24
	v_cmp_gt_i32_e64 s[16:17], s20, v38
	s_and_b64 s[26:27], s[16:17], s[18:19]
	v_ashrrev_i32_e32 v39, 31, v38
	s_and_saveexec_b64 s[18:19], s[26:27]
	s_cbranch_execz .LBB246_74
; %bb.70:
	s_and_b64 vcc, exec, s[0:1]
	s_cbranch_vccnz .LBB246_72
; %bb.71:
	v_lshl_add_u64 v[42:43], v[38:39], 1, v[42:43]
	flat_load_ushort v42, v[42:43]
	s_waitcnt vmcnt(0) lgkmcnt(0)
	v_mul_f16_e32 v42, v44, v42
	s_branch .LBB246_73
.LBB246_72:
	v_mov_b32_e32 v42, 0
.LBB246_73:
	v_pk_max_f16 v20, v20, v20
	v_pk_max_f16 v43, v2, v2
	;; [unrolled: 1-line block ×3, first 2 shown]
	v_pk_min_f16 v20, v43, v20
	v_pk_max_f16 v43, v3, v3
	v_pk_add_f16 v20, v69, v20
	v_pk_min_f16 v21, v43, v21
	s_nop 0
	v_pk_add_f16 v20, v20, v21
	s_nop 0
	v_add_f16_sdwa v20, v20, v20 dst_sel:DWORD dst_unused:UNUSED_PAD src0_sel:DWORD src1_sel:WORD_1
	v_add_f16_e32 v42, v20, v42
	v_lshl_add_u64 v[20:21], v[38:39], 1, v[40:41]
	flat_store_short v[20:21], v42
.LBB246_74:
	s_or_b64 exec, exec, s[18:19]
	v_add_u32_e32 v42, 32, v70
	v_mad_i64_i32 v[20:21], s[26:27], v42, s29, 0
	v_cmp_gt_i32_e64 s[18:19], s21, v42
	v_lshl_add_u64 v[40:41], v[20:21], 1, s[24:25]
	v_mad_i64_i32 v[20:21], s[26:27], v42, s28, 0
	v_lshl_add_u64 v[20:21], v[20:21], 1, s[22:23]
	s_and_b64 s[30:31], s[4:5], s[18:19]
	s_and_saveexec_b64 s[26:27], s[30:31]
	s_cbranch_execnz .LBB246_82
; %bb.75:
	s_or_b64 exec, exec, s[26:27]
	s_and_b64 s[30:31], s[2:3], s[18:19]
	s_and_saveexec_b64 s[26:27], s[30:31]
	s_cbranch_execnz .LBB246_86
.LBB246_76:
	s_or_b64 exec, exec, s[26:27]
	s_and_b64 s[30:31], s[6:7], s[18:19]
	s_and_saveexec_b64 s[26:27], s[30:31]
	s_cbranch_execnz .LBB246_90
.LBB246_77:
	s_or_b64 exec, exec, s[26:27]
	s_and_b64 s[30:31], s[8:9], s[18:19]
	s_and_saveexec_b64 s[26:27], s[30:31]
	s_cbranch_execnz .LBB246_94
.LBB246_78:
	s_or_b64 exec, exec, s[26:27]
	s_and_b64 s[30:31], s[10:11], s[18:19]
	s_and_saveexec_b64 s[26:27], s[30:31]
	s_cbranch_execnz .LBB246_98
.LBB246_79:
	s_or_b64 exec, exec, s[26:27]
	s_and_b64 s[30:31], s[12:13], s[18:19]
	s_and_saveexec_b64 s[26:27], s[30:31]
	s_cbranch_execnz .LBB246_102
.LBB246_80:
	s_or_b64 exec, exec, s[26:27]
	s_and_b64 s[30:31], s[14:15], s[18:19]
	s_and_saveexec_b64 s[26:27], s[30:31]
	s_cbranch_execnz .LBB246_106
.LBB246_81:
	s_or_b64 exec, exec, s[26:27]
	s_and_b64 s[26:27], s[16:17], s[18:19]
	s_and_saveexec_b64 s[18:19], s[26:27]
	s_cbranch_execnz .LBB246_110
	s_branch .LBB246_114
.LBB246_82:
	s_and_b64 vcc, exec, s[0:1]
	s_cbranch_vccnz .LBB246_84
; %bb.83:
	v_lshl_add_u64 v[42:43], v[24:25], 1, v[40:41]
	flat_load_ushort v42, v[42:43]
	s_waitcnt vmcnt(0) lgkmcnt(0)
	v_mul_f16_e32 v42, v44, v42
	s_branch .LBB246_85
.LBB246_84:
	v_mov_b32_e32 v42, 0
.LBB246_85:
	v_pk_max_f16 v43, v22, v22
	v_pk_max_f16 v69, v16, v16
	s_nop 0
	v_pk_min_f16 v43, v69, v43
	v_pk_max_f16 v69, v17, v17
	v_pk_add_f16 v43, v68, v43
	v_pk_max_f16 v68, v23, v23
	s_nop 0
	v_pk_min_f16 v68, v69, v68
	s_nop 0
	v_pk_add_f16 v43, v43, v68
	s_nop 0
	v_add_f16_sdwa v43, v43, v43 dst_sel:DWORD dst_unused:UNUSED_PAD src0_sel:DWORD src1_sel:WORD_1
	v_add_f16_e32 v68, v43, v42
	v_lshl_add_u64 v[42:43], v[24:25], 1, v[20:21]
	flat_store_short v[42:43], v68
	s_or_b64 exec, exec, s[26:27]
	s_and_b64 s[30:31], s[2:3], s[18:19]
	s_and_saveexec_b64 s[26:27], s[30:31]
	s_cbranch_execz .LBB246_76
.LBB246_86:
	s_and_b64 vcc, exec, s[0:1]
	s_cbranch_vccnz .LBB246_88
; %bb.87:
	v_lshl_add_u64 v[42:43], v[26:27], 1, v[40:41]
	flat_load_ushort v42, v[42:43]
	s_waitcnt vmcnt(0) lgkmcnt(0)
	v_mul_f16_e32 v42, v44, v42
	s_branch .LBB246_89
.LBB246_88:
	v_mov_b32_e32 v42, 0
.LBB246_89:
	v_pk_max_f16 v43, v22, v22
	v_pk_max_f16 v68, v18, v18
	s_nop 0
	v_pk_min_f16 v43, v68, v43
	v_pk_max_f16 v68, v19, v19
	v_pk_add_f16 v43, v67, v43
	v_pk_max_f16 v67, v23, v23
	s_nop 0
	v_pk_min_f16 v67, v68, v67
	s_nop 0
	v_pk_add_f16 v43, v43, v67
	s_nop 0
	v_add_f16_sdwa v43, v43, v43 dst_sel:DWORD dst_unused:UNUSED_PAD src0_sel:DWORD src1_sel:WORD_1
	v_add_f16_e32 v67, v43, v42
	v_lshl_add_u64 v[42:43], v[26:27], 1, v[20:21]
	flat_store_short v[42:43], v67
	s_or_b64 exec, exec, s[26:27]
	s_and_b64 s[30:31], s[6:7], s[18:19]
	s_and_saveexec_b64 s[26:27], s[30:31]
	s_cbranch_execz .LBB246_77
.LBB246_90:
	s_and_b64 vcc, exec, s[0:1]
	s_cbranch_vccnz .LBB246_92
; %bb.91:
	v_lshl_add_u64 v[42:43], v[28:29], 1, v[40:41]
	flat_load_ushort v42, v[42:43]
	s_waitcnt vmcnt(0) lgkmcnt(0)
	v_mul_f16_e32 v42, v44, v42
	s_branch .LBB246_93
.LBB246_92:
	v_mov_b32_e32 v42, 0
.LBB246_93:
	v_pk_max_f16 v43, v22, v22
	v_pk_max_f16 v67, v12, v12
	s_nop 0
	v_pk_min_f16 v43, v67, v43
	v_pk_max_f16 v67, v13, v13
	v_pk_add_f16 v43, v66, v43
	v_pk_max_f16 v66, v23, v23
	s_nop 0
	v_pk_min_f16 v66, v67, v66
	s_nop 0
	v_pk_add_f16 v43, v43, v66
	s_nop 0
	v_add_f16_sdwa v43, v43, v43 dst_sel:DWORD dst_unused:UNUSED_PAD src0_sel:DWORD src1_sel:WORD_1
	v_add_f16_e32 v66, v43, v42
	v_lshl_add_u64 v[42:43], v[28:29], 1, v[20:21]
	flat_store_short v[42:43], v66
	s_or_b64 exec, exec, s[26:27]
	s_and_b64 s[30:31], s[8:9], s[18:19]
	s_and_saveexec_b64 s[26:27], s[30:31]
	s_cbranch_execz .LBB246_78
.LBB246_94:
	s_and_b64 vcc, exec, s[0:1]
	s_cbranch_vccnz .LBB246_96
; %bb.95:
	v_lshl_add_u64 v[42:43], v[30:31], 1, v[40:41]
	flat_load_ushort v42, v[42:43]
	s_waitcnt vmcnt(0) lgkmcnt(0)
	v_mul_f16_e32 v42, v44, v42
	s_branch .LBB246_97
.LBB246_96:
	v_mov_b32_e32 v42, 0
.LBB246_97:
	v_pk_max_f16 v43, v22, v22
	v_pk_max_f16 v66, v14, v14
	s_nop 0
	v_pk_min_f16 v43, v66, v43
	v_pk_max_f16 v66, v15, v15
	v_pk_add_f16 v43, v65, v43
	v_pk_max_f16 v65, v23, v23
	s_nop 0
	v_pk_min_f16 v65, v66, v65
	s_nop 0
	v_pk_add_f16 v43, v43, v65
	s_nop 0
	v_add_f16_sdwa v43, v43, v43 dst_sel:DWORD dst_unused:UNUSED_PAD src0_sel:DWORD src1_sel:WORD_1
	v_add_f16_e32 v65, v43, v42
	v_lshl_add_u64 v[42:43], v[30:31], 1, v[20:21]
	flat_store_short v[42:43], v65
	s_or_b64 exec, exec, s[26:27]
	s_and_b64 s[30:31], s[10:11], s[18:19]
	s_and_saveexec_b64 s[26:27], s[30:31]
	s_cbranch_execz .LBB246_79
.LBB246_98:
	s_and_b64 vcc, exec, s[0:1]
	s_cbranch_vccnz .LBB246_100
; %bb.99:
	v_lshl_add_u64 v[42:43], v[32:33], 1, v[40:41]
	flat_load_ushort v42, v[42:43]
	s_waitcnt vmcnt(0) lgkmcnt(0)
	v_mul_f16_e32 v42, v44, v42
	s_branch .LBB246_101
.LBB246_100:
	v_mov_b32_e32 v42, 0
.LBB246_101:
	v_pk_max_f16 v43, v22, v22
	v_pk_max_f16 v65, v8, v8
	s_nop 0
	v_pk_min_f16 v43, v65, v43
	v_pk_max_f16 v65, v9, v9
	v_pk_add_f16 v43, v64, v43
	v_pk_max_f16 v64, v23, v23
	s_nop 0
	v_pk_min_f16 v64, v65, v64
	s_nop 0
	v_pk_add_f16 v43, v43, v64
	s_nop 0
	v_add_f16_sdwa v43, v43, v43 dst_sel:DWORD dst_unused:UNUSED_PAD src0_sel:DWORD src1_sel:WORD_1
	v_add_f16_e32 v64, v43, v42
	v_lshl_add_u64 v[42:43], v[32:33], 1, v[20:21]
	flat_store_short v[42:43], v64
	s_or_b64 exec, exec, s[26:27]
	s_and_b64 s[30:31], s[12:13], s[18:19]
	s_and_saveexec_b64 s[26:27], s[30:31]
	s_cbranch_execz .LBB246_80
.LBB246_102:
	s_and_b64 vcc, exec, s[0:1]
	s_cbranch_vccnz .LBB246_104
; %bb.103:
	v_lshl_add_u64 v[42:43], v[34:35], 1, v[40:41]
	flat_load_ushort v42, v[42:43]
	s_waitcnt vmcnt(0) lgkmcnt(0)
	v_mul_f16_e32 v42, v44, v42
	s_branch .LBB246_105
.LBB246_104:
	v_mov_b32_e32 v42, 0
.LBB246_105:
	v_pk_max_f16 v43, v22, v22
	v_pk_max_f16 v64, v10, v10
	s_nop 0
	v_pk_min_f16 v43, v64, v43
	v_pk_max_f16 v64, v11, v11
	v_pk_add_f16 v43, v63, v43
	v_pk_max_f16 v63, v23, v23
	s_nop 0
	v_pk_min_f16 v63, v64, v63
	s_nop 0
	v_pk_add_f16 v43, v43, v63
	s_nop 0
	v_add_f16_sdwa v43, v43, v43 dst_sel:DWORD dst_unused:UNUSED_PAD src0_sel:DWORD src1_sel:WORD_1
	v_add_f16_e32 v63, v43, v42
	v_lshl_add_u64 v[42:43], v[34:35], 1, v[20:21]
	flat_store_short v[42:43], v63
	s_or_b64 exec, exec, s[26:27]
	s_and_b64 s[30:31], s[14:15], s[18:19]
	s_and_saveexec_b64 s[26:27], s[30:31]
	s_cbranch_execz .LBB246_81
.LBB246_106:
	s_and_b64 vcc, exec, s[0:1]
	s_cbranch_vccnz .LBB246_108
; %bb.107:
	v_lshl_add_u64 v[42:43], v[36:37], 1, v[40:41]
	flat_load_ushort v42, v[42:43]
	s_waitcnt vmcnt(0) lgkmcnt(0)
	v_mul_f16_e32 v42, v44, v42
	s_branch .LBB246_109
.LBB246_108:
	v_mov_b32_e32 v42, 0
.LBB246_109:
	v_pk_max_f16 v43, v22, v22
	v_pk_max_f16 v63, v0, v0
	s_nop 0
	v_pk_min_f16 v43, v63, v43
	v_pk_max_f16 v63, v1, v1
	v_pk_add_f16 v43, v62, v43
	v_pk_max_f16 v62, v23, v23
	s_nop 0
	v_pk_min_f16 v62, v63, v62
	s_nop 0
	v_pk_add_f16 v43, v43, v62
	s_nop 0
	v_add_f16_sdwa v43, v43, v43 dst_sel:DWORD dst_unused:UNUSED_PAD src0_sel:DWORD src1_sel:WORD_1
	v_add_f16_e32 v62, v43, v42
	v_lshl_add_u64 v[42:43], v[36:37], 1, v[20:21]
	flat_store_short v[42:43], v62
	s_or_b64 exec, exec, s[26:27]
	s_and_b64 s[26:27], s[16:17], s[18:19]
	s_and_saveexec_b64 s[18:19], s[26:27]
	s_cbranch_execz .LBB246_114
.LBB246_110:
	s_and_b64 vcc, exec, s[0:1]
	s_cbranch_vccnz .LBB246_112
; %bb.111:
	v_lshl_add_u64 v[40:41], v[38:39], 1, v[40:41]
	flat_load_ushort v40, v[40:41]
	s_waitcnt vmcnt(0) lgkmcnt(0)
	v_mul_f16_e32 v40, v44, v40
	s_branch .LBB246_113
.LBB246_112:
	v_mov_b32_e32 v40, 0
.LBB246_113:
	v_pk_max_f16 v22, v22, v22
	v_pk_max_f16 v41, v2, v2
	;; [unrolled: 1-line block ×3, first 2 shown]
	v_pk_min_f16 v22, v41, v22
	v_pk_max_f16 v41, v3, v3
	v_pk_add_f16 v22, v61, v22
	v_pk_min_f16 v23, v41, v23
	v_lshl_add_u64 v[20:21], v[38:39], 1, v[20:21]
	v_pk_add_f16 v22, v22, v23
	s_nop 0
	v_add_f16_sdwa v22, v22, v22 dst_sel:DWORD dst_unused:UNUSED_PAD src0_sel:DWORD src1_sel:WORD_1
	v_add_f16_e32 v22, v22, v40
	flat_store_short v[20:21], v22
.LBB246_114:
	s_or_b64 exec, exec, s[18:19]
	v_add_u32_e32 v40, 64, v70
	v_mad_i64_i32 v[20:21], s[26:27], v40, s29, 0
	v_cmp_gt_i32_e64 s[18:19], s21, v40
	v_lshl_add_u64 v[22:23], v[20:21], 1, s[24:25]
	v_mad_i64_i32 v[20:21], s[26:27], v40, s28, 0
	v_lshl_add_u64 v[20:21], v[20:21], 1, s[22:23]
	s_and_b64 s[30:31], s[4:5], s[18:19]
	s_and_saveexec_b64 s[26:27], s[30:31]
	s_cbranch_execnz .LBB246_122
; %bb.115:
	s_or_b64 exec, exec, s[26:27]
	s_and_b64 s[30:31], s[2:3], s[18:19]
	s_and_saveexec_b64 s[26:27], s[30:31]
	s_cbranch_execnz .LBB246_126
.LBB246_116:
	s_or_b64 exec, exec, s[26:27]
	s_and_b64 s[30:31], s[6:7], s[18:19]
	s_and_saveexec_b64 s[26:27], s[30:31]
	s_cbranch_execnz .LBB246_130
.LBB246_117:
	s_or_b64 exec, exec, s[26:27]
	s_and_b64 s[30:31], s[8:9], s[18:19]
	s_and_saveexec_b64 s[26:27], s[30:31]
	s_cbranch_execnz .LBB246_134
.LBB246_118:
	s_or_b64 exec, exec, s[26:27]
	s_and_b64 s[30:31], s[10:11], s[18:19]
	s_and_saveexec_b64 s[26:27], s[30:31]
	s_cbranch_execnz .LBB246_138
.LBB246_119:
	s_or_b64 exec, exec, s[26:27]
	s_and_b64 s[30:31], s[12:13], s[18:19]
	s_and_saveexec_b64 s[26:27], s[30:31]
	s_cbranch_execnz .LBB246_142
.LBB246_120:
	s_or_b64 exec, exec, s[26:27]
	s_and_b64 s[30:31], s[14:15], s[18:19]
	s_and_saveexec_b64 s[26:27], s[30:31]
	s_cbranch_execnz .LBB246_146
.LBB246_121:
	s_or_b64 exec, exec, s[26:27]
	s_and_b64 s[26:27], s[16:17], s[18:19]
	s_and_saveexec_b64 s[18:19], s[26:27]
	s_cbranch_execnz .LBB246_150
	s_branch .LBB246_154
.LBB246_122:
	s_and_b64 vcc, exec, s[0:1]
	s_cbranch_vccnz .LBB246_124
; %bb.123:
	v_lshl_add_u64 v[40:41], v[24:25], 1, v[22:23]
	flat_load_ushort v40, v[40:41]
	s_waitcnt vmcnt(0) lgkmcnt(0)
	v_mul_f16_e32 v40, v44, v40
	s_branch .LBB246_125
.LBB246_124:
	v_mov_b32_e32 v40, 0
.LBB246_125:
	v_pk_max_f16 v41, v4, v4
	v_pk_max_f16 v42, v16, v16
	;; [unrolled: 1-line block ×3, first 2 shown]
	v_pk_min_f16 v41, v42, v41
	v_pk_max_f16 v42, v5, v5
	v_pk_add_f16 v41, v60, v41
	v_pk_min_f16 v42, v43, v42
	s_nop 0
	v_pk_add_f16 v41, v41, v42
	s_nop 0
	v_add_f16_sdwa v41, v41, v41 dst_sel:DWORD dst_unused:UNUSED_PAD src0_sel:DWORD src1_sel:WORD_1
	v_add_f16_e32 v42, v41, v40
	v_lshl_add_u64 v[40:41], v[24:25], 1, v[20:21]
	flat_store_short v[40:41], v42
	s_or_b64 exec, exec, s[26:27]
	s_and_b64 s[30:31], s[2:3], s[18:19]
	s_and_saveexec_b64 s[26:27], s[30:31]
	s_cbranch_execz .LBB246_116
.LBB246_126:
	s_and_b64 vcc, exec, s[0:1]
	s_cbranch_vccnz .LBB246_128
; %bb.127:
	v_lshl_add_u64 v[40:41], v[26:27], 1, v[22:23]
	flat_load_ushort v40, v[40:41]
	s_waitcnt vmcnt(0) lgkmcnt(0)
	v_mul_f16_e32 v40, v44, v40
	s_branch .LBB246_129
.LBB246_128:
	v_mov_b32_e32 v40, 0
.LBB246_129:
	v_pk_max_f16 v41, v4, v4
	v_pk_max_f16 v42, v18, v18
	;; [unrolled: 1-line block ×3, first 2 shown]
	v_pk_min_f16 v41, v42, v41
	v_pk_max_f16 v42, v5, v5
	v_pk_add_f16 v41, v59, v41
	v_pk_min_f16 v42, v43, v42
	s_nop 0
	v_pk_add_f16 v41, v41, v42
	s_nop 0
	v_add_f16_sdwa v41, v41, v41 dst_sel:DWORD dst_unused:UNUSED_PAD src0_sel:DWORD src1_sel:WORD_1
	v_add_f16_e32 v42, v41, v40
	v_lshl_add_u64 v[40:41], v[26:27], 1, v[20:21]
	flat_store_short v[40:41], v42
	s_or_b64 exec, exec, s[26:27]
	s_and_b64 s[30:31], s[6:7], s[18:19]
	s_and_saveexec_b64 s[26:27], s[30:31]
	s_cbranch_execz .LBB246_117
.LBB246_130:
	s_and_b64 vcc, exec, s[0:1]
	s_cbranch_vccnz .LBB246_132
; %bb.131:
	v_lshl_add_u64 v[40:41], v[28:29], 1, v[22:23]
	flat_load_ushort v40, v[40:41]
	s_waitcnt vmcnt(0) lgkmcnt(0)
	v_mul_f16_e32 v40, v44, v40
	s_branch .LBB246_133
.LBB246_132:
	v_mov_b32_e32 v40, 0
.LBB246_133:
	v_pk_max_f16 v41, v4, v4
	v_pk_max_f16 v42, v12, v12
	;; [unrolled: 1-line block ×3, first 2 shown]
	v_pk_min_f16 v41, v42, v41
	v_pk_max_f16 v42, v5, v5
	v_pk_add_f16 v41, v58, v41
	v_pk_min_f16 v42, v43, v42
	s_nop 0
	v_pk_add_f16 v41, v41, v42
	s_nop 0
	v_add_f16_sdwa v41, v41, v41 dst_sel:DWORD dst_unused:UNUSED_PAD src0_sel:DWORD src1_sel:WORD_1
	v_add_f16_e32 v42, v41, v40
	v_lshl_add_u64 v[40:41], v[28:29], 1, v[20:21]
	flat_store_short v[40:41], v42
	s_or_b64 exec, exec, s[26:27]
	s_and_b64 s[30:31], s[8:9], s[18:19]
	s_and_saveexec_b64 s[26:27], s[30:31]
	s_cbranch_execz .LBB246_118
.LBB246_134:
	s_and_b64 vcc, exec, s[0:1]
	s_cbranch_vccnz .LBB246_136
; %bb.135:
	v_lshl_add_u64 v[40:41], v[30:31], 1, v[22:23]
	flat_load_ushort v40, v[40:41]
	s_waitcnt vmcnt(0) lgkmcnt(0)
	v_mul_f16_e32 v40, v44, v40
	s_branch .LBB246_137
.LBB246_136:
	v_mov_b32_e32 v40, 0
.LBB246_137:
	v_pk_max_f16 v41, v4, v4
	v_pk_max_f16 v42, v14, v14
	;; [unrolled: 1-line block ×3, first 2 shown]
	v_pk_min_f16 v41, v42, v41
	v_pk_max_f16 v42, v5, v5
	v_pk_add_f16 v41, v57, v41
	v_pk_min_f16 v42, v43, v42
	s_nop 0
	v_pk_add_f16 v41, v41, v42
	s_nop 0
	v_add_f16_sdwa v41, v41, v41 dst_sel:DWORD dst_unused:UNUSED_PAD src0_sel:DWORD src1_sel:WORD_1
	v_add_f16_e32 v42, v41, v40
	v_lshl_add_u64 v[40:41], v[30:31], 1, v[20:21]
	flat_store_short v[40:41], v42
	s_or_b64 exec, exec, s[26:27]
	s_and_b64 s[30:31], s[10:11], s[18:19]
	s_and_saveexec_b64 s[26:27], s[30:31]
	s_cbranch_execz .LBB246_119
.LBB246_138:
	s_and_b64 vcc, exec, s[0:1]
	s_cbranch_vccnz .LBB246_140
; %bb.139:
	v_lshl_add_u64 v[40:41], v[32:33], 1, v[22:23]
	flat_load_ushort v40, v[40:41]
	s_waitcnt vmcnt(0) lgkmcnt(0)
	v_mul_f16_e32 v40, v44, v40
	s_branch .LBB246_141
.LBB246_140:
	v_mov_b32_e32 v40, 0
.LBB246_141:
	v_pk_max_f16 v41, v4, v4
	v_pk_max_f16 v42, v8, v8
	;; [unrolled: 1-line block ×3, first 2 shown]
	v_pk_min_f16 v41, v42, v41
	v_pk_max_f16 v42, v5, v5
	v_pk_add_f16 v41, v56, v41
	v_pk_min_f16 v42, v43, v42
	s_nop 0
	v_pk_add_f16 v41, v41, v42
	s_nop 0
	v_add_f16_sdwa v41, v41, v41 dst_sel:DWORD dst_unused:UNUSED_PAD src0_sel:DWORD src1_sel:WORD_1
	v_add_f16_e32 v42, v41, v40
	v_lshl_add_u64 v[40:41], v[32:33], 1, v[20:21]
	flat_store_short v[40:41], v42
	s_or_b64 exec, exec, s[26:27]
	s_and_b64 s[30:31], s[12:13], s[18:19]
	s_and_saveexec_b64 s[26:27], s[30:31]
	s_cbranch_execz .LBB246_120
.LBB246_142:
	s_and_b64 vcc, exec, s[0:1]
	s_cbranch_vccnz .LBB246_144
; %bb.143:
	v_lshl_add_u64 v[40:41], v[34:35], 1, v[22:23]
	flat_load_ushort v40, v[40:41]
	s_waitcnt vmcnt(0) lgkmcnt(0)
	v_mul_f16_e32 v40, v44, v40
	s_branch .LBB246_145
.LBB246_144:
	v_mov_b32_e32 v40, 0
.LBB246_145:
	v_pk_max_f16 v41, v4, v4
	v_pk_max_f16 v42, v10, v10
	;; [unrolled: 1-line block ×3, first 2 shown]
	v_pk_min_f16 v41, v42, v41
	v_pk_max_f16 v42, v5, v5
	v_pk_add_f16 v41, v55, v41
	v_pk_min_f16 v42, v43, v42
	s_nop 0
	v_pk_add_f16 v41, v41, v42
	s_nop 0
	v_add_f16_sdwa v41, v41, v41 dst_sel:DWORD dst_unused:UNUSED_PAD src0_sel:DWORD src1_sel:WORD_1
	v_add_f16_e32 v42, v41, v40
	v_lshl_add_u64 v[40:41], v[34:35], 1, v[20:21]
	flat_store_short v[40:41], v42
	s_or_b64 exec, exec, s[26:27]
	s_and_b64 s[30:31], s[14:15], s[18:19]
	s_and_saveexec_b64 s[26:27], s[30:31]
	s_cbranch_execz .LBB246_121
.LBB246_146:
	s_and_b64 vcc, exec, s[0:1]
	s_cbranch_vccnz .LBB246_148
; %bb.147:
	v_lshl_add_u64 v[40:41], v[36:37], 1, v[22:23]
	flat_load_ushort v40, v[40:41]
	s_waitcnt vmcnt(0) lgkmcnt(0)
	v_mul_f16_e32 v40, v44, v40
	s_branch .LBB246_149
.LBB246_148:
	v_mov_b32_e32 v40, 0
.LBB246_149:
	v_pk_max_f16 v41, v4, v4
	v_pk_max_f16 v42, v0, v0
	;; [unrolled: 1-line block ×3, first 2 shown]
	v_pk_min_f16 v41, v42, v41
	v_pk_max_f16 v42, v5, v5
	v_pk_add_f16 v41, v54, v41
	v_pk_min_f16 v42, v43, v42
	s_nop 0
	v_pk_add_f16 v41, v41, v42
	s_nop 0
	v_add_f16_sdwa v41, v41, v41 dst_sel:DWORD dst_unused:UNUSED_PAD src0_sel:DWORD src1_sel:WORD_1
	v_add_f16_e32 v42, v41, v40
	v_lshl_add_u64 v[40:41], v[36:37], 1, v[20:21]
	flat_store_short v[40:41], v42
	s_or_b64 exec, exec, s[26:27]
	s_and_b64 s[26:27], s[16:17], s[18:19]
	s_and_saveexec_b64 s[18:19], s[26:27]
	s_cbranch_execz .LBB246_154
.LBB246_150:
	s_and_b64 vcc, exec, s[0:1]
	s_cbranch_vccnz .LBB246_152
; %bb.151:
	v_lshl_add_u64 v[22:23], v[38:39], 1, v[22:23]
	flat_load_ushort v22, v[22:23]
	s_waitcnt vmcnt(0) lgkmcnt(0)
	v_mul_f16_e32 v22, v44, v22
	s_branch .LBB246_153
.LBB246_152:
	v_mov_b32_e32 v22, 0
.LBB246_153:
	v_pk_max_f16 v4, v4, v4
	v_pk_max_f16 v23, v2, v2
	;; [unrolled: 1-line block ×3, first 2 shown]
	v_pk_min_f16 v4, v23, v4
	v_pk_max_f16 v23, v3, v3
	v_pk_add_f16 v4, v53, v4
	v_pk_min_f16 v5, v23, v5
	s_nop 0
	v_pk_add_f16 v4, v4, v5
	s_nop 0
	v_add_f16_sdwa v4, v4, v4 dst_sel:DWORD dst_unused:UNUSED_PAD src0_sel:DWORD src1_sel:WORD_1
	v_add_f16_e32 v22, v4, v22
	v_lshl_add_u64 v[4:5], v[38:39], 1, v[20:21]
	flat_store_short v[4:5], v22
.LBB246_154:
	s_or_b64 exec, exec, s[18:19]
	v_add_u32_e32 v22, 0x60, v70
	v_cmp_gt_i32_e64 s[18:19], s21, v22
	v_mad_i64_i32 v[4:5], s[20:21], v22, s29, 0
	v_lshl_add_u64 v[20:21], v[4:5], 1, s[24:25]
	v_mad_i64_i32 v[4:5], s[20:21], v22, s28, 0
	v_lshl_add_u64 v[4:5], v[4:5], 1, s[22:23]
	s_and_b64 s[20:21], s[4:5], s[18:19]
	s_and_saveexec_b64 s[4:5], s[20:21]
	s_cbranch_execnz .LBB246_163
; %bb.155:
	s_or_b64 exec, exec, s[4:5]
	s_and_b64 s[4:5], s[2:3], s[18:19]
	s_and_saveexec_b64 s[2:3], s[4:5]
	s_cbranch_execnz .LBB246_167
.LBB246_156:
	s_or_b64 exec, exec, s[2:3]
	s_and_b64 s[4:5], s[6:7], s[18:19]
	s_and_saveexec_b64 s[2:3], s[4:5]
	s_cbranch_execnz .LBB246_171
.LBB246_157:
	s_or_b64 exec, exec, s[2:3]
	s_and_b64 s[4:5], s[8:9], s[18:19]
	s_and_saveexec_b64 s[2:3], s[4:5]
	s_cbranch_execnz .LBB246_175
.LBB246_158:
	s_or_b64 exec, exec, s[2:3]
	s_and_b64 s[4:5], s[10:11], s[18:19]
	s_and_saveexec_b64 s[2:3], s[4:5]
	s_cbranch_execnz .LBB246_179
.LBB246_159:
	s_or_b64 exec, exec, s[2:3]
	s_and_b64 s[4:5], s[12:13], s[18:19]
	s_and_saveexec_b64 s[2:3], s[4:5]
	s_cbranch_execnz .LBB246_183
.LBB246_160:
	s_or_b64 exec, exec, s[2:3]
	s_and_b64 s[4:5], s[14:15], s[18:19]
	s_and_saveexec_b64 s[2:3], s[4:5]
	s_cbranch_execnz .LBB246_187
.LBB246_161:
	s_or_b64 exec, exec, s[2:3]
	s_and_b64 s[2:3], s[16:17], s[18:19]
	s_and_saveexec_b64 s[4:5], s[2:3]
	s_cbranch_execnz .LBB246_191
.LBB246_162:
	s_endpgm
.LBB246_163:
	s_and_b64 vcc, exec, s[0:1]
	s_cbranch_vccnz .LBB246_165
; %bb.164:
	v_lshl_add_u64 v[22:23], v[24:25], 1, v[20:21]
	flat_load_ushort v22, v[22:23]
	s_waitcnt vmcnt(0) lgkmcnt(0)
	v_mul_f16_e32 v22, v44, v22
	s_branch .LBB246_166
.LBB246_165:
	v_mov_b32_e32 v22, 0
.LBB246_166:
	v_pk_max_f16 v23, v6, v6
	v_pk_max_f16 v16, v16, v16
	;; [unrolled: 1-line block ×3, first 2 shown]
	v_pk_min_f16 v16, v16, v23
	v_pk_max_f16 v23, v7, v7
	v_pk_add_f16 v16, v52, v16
	v_pk_min_f16 v17, v17, v23
	s_nop 0
	v_pk_add_f16 v16, v16, v17
	s_nop 0
	v_add_f16_sdwa v16, v16, v16 dst_sel:DWORD dst_unused:UNUSED_PAD src0_sel:DWORD src1_sel:WORD_1
	v_add_f16_e32 v22, v16, v22
	v_lshl_add_u64 v[16:17], v[24:25], 1, v[4:5]
	flat_store_short v[16:17], v22
	s_or_b64 exec, exec, s[4:5]
	s_and_b64 s[4:5], s[2:3], s[18:19]
	s_and_saveexec_b64 s[2:3], s[4:5]
	s_cbranch_execz .LBB246_156
.LBB246_167:
	s_and_b64 vcc, exec, s[0:1]
	s_cbranch_vccnz .LBB246_169
; %bb.168:
	v_lshl_add_u64 v[16:17], v[26:27], 1, v[20:21]
	flat_load_ushort v16, v[16:17]
	s_waitcnt vmcnt(0) lgkmcnt(0)
	v_mul_f16_e32 v16, v44, v16
	s_branch .LBB246_170
.LBB246_169:
	v_mov_b32_e32 v16, 0
.LBB246_170:
	v_pk_max_f16 v17, v6, v6
	v_pk_max_f16 v18, v18, v18
	;; [unrolled: 1-line block ×3, first 2 shown]
	v_pk_min_f16 v17, v18, v17
	v_pk_max_f16 v18, v7, v7
	v_pk_add_f16 v17, v51, v17
	v_pk_min_f16 v18, v19, v18
	s_nop 0
	v_pk_add_f16 v17, v17, v18
	s_nop 0
	v_add_f16_sdwa v17, v17, v17 dst_sel:DWORD dst_unused:UNUSED_PAD src0_sel:DWORD src1_sel:WORD_1
	v_add_f16_e32 v18, v17, v16
	v_lshl_add_u64 v[16:17], v[26:27], 1, v[4:5]
	flat_store_short v[16:17], v18
	s_or_b64 exec, exec, s[2:3]
	s_and_b64 s[4:5], s[6:7], s[18:19]
	s_and_saveexec_b64 s[2:3], s[4:5]
	s_cbranch_execz .LBB246_157
.LBB246_171:
	s_and_b64 vcc, exec, s[0:1]
	s_cbranch_vccnz .LBB246_173
; %bb.172:
	v_lshl_add_u64 v[16:17], v[28:29], 1, v[20:21]
	flat_load_ushort v16, v[16:17]
	s_waitcnt vmcnt(0) lgkmcnt(0)
	v_mul_f16_e32 v16, v44, v16
	s_branch .LBB246_174
.LBB246_173:
	v_mov_b32_e32 v16, 0
.LBB246_174:
	v_pk_max_f16 v17, v6, v6
	v_pk_max_f16 v12, v12, v12
	;; [unrolled: 1-line block ×3, first 2 shown]
	v_pk_min_f16 v12, v12, v17
	v_pk_max_f16 v17, v7, v7
	v_pk_add_f16 v12, v50, v12
	v_pk_min_f16 v13, v13, v17
	s_nop 0
	v_pk_add_f16 v12, v12, v13
	s_nop 0
	v_add_f16_sdwa v12, v12, v12 dst_sel:DWORD dst_unused:UNUSED_PAD src0_sel:DWORD src1_sel:WORD_1
	v_add_f16_e32 v16, v12, v16
	v_lshl_add_u64 v[12:13], v[28:29], 1, v[4:5]
	flat_store_short v[12:13], v16
	s_or_b64 exec, exec, s[2:3]
	s_and_b64 s[4:5], s[8:9], s[18:19]
	s_and_saveexec_b64 s[2:3], s[4:5]
	s_cbranch_execz .LBB246_158
.LBB246_175:
	s_and_b64 vcc, exec, s[0:1]
	s_cbranch_vccnz .LBB246_177
; %bb.176:
	v_lshl_add_u64 v[12:13], v[30:31], 1, v[20:21]
	flat_load_ushort v12, v[12:13]
	s_waitcnt vmcnt(0) lgkmcnt(0)
	v_mul_f16_e32 v12, v44, v12
	s_branch .LBB246_178
.LBB246_177:
	v_mov_b32_e32 v12, 0
.LBB246_178:
	v_pk_max_f16 v13, v6, v6
	v_pk_max_f16 v14, v14, v14
	;; [unrolled: 1-line block ×3, first 2 shown]
	v_pk_min_f16 v13, v14, v13
	v_pk_max_f16 v14, v7, v7
	v_pk_add_f16 v13, v49, v13
	v_pk_min_f16 v14, v15, v14
	s_nop 0
	v_pk_add_f16 v13, v13, v14
	s_nop 0
	v_add_f16_sdwa v13, v13, v13 dst_sel:DWORD dst_unused:UNUSED_PAD src0_sel:DWORD src1_sel:WORD_1
	v_add_f16_e32 v14, v13, v12
	v_lshl_add_u64 v[12:13], v[30:31], 1, v[4:5]
	flat_store_short v[12:13], v14
	s_or_b64 exec, exec, s[2:3]
	s_and_b64 s[4:5], s[10:11], s[18:19]
	s_and_saveexec_b64 s[2:3], s[4:5]
	s_cbranch_execz .LBB246_159
.LBB246_179:
	s_and_b64 vcc, exec, s[0:1]
	s_cbranch_vccnz .LBB246_181
; %bb.180:
	v_lshl_add_u64 v[12:13], v[32:33], 1, v[20:21]
	flat_load_ushort v12, v[12:13]
	s_waitcnt vmcnt(0) lgkmcnt(0)
	v_mul_f16_e32 v12, v44, v12
	s_branch .LBB246_182
.LBB246_181:
	v_mov_b32_e32 v12, 0
.LBB246_182:
	v_pk_max_f16 v13, v6, v6
	v_pk_max_f16 v8, v8, v8
	;; [unrolled: 1-line block ×3, first 2 shown]
	v_pk_min_f16 v8, v8, v13
	v_pk_max_f16 v13, v7, v7
	v_pk_add_f16 v8, v48, v8
	v_pk_min_f16 v9, v9, v13
	s_nop 0
	v_pk_add_f16 v8, v8, v9
	s_nop 0
	v_add_f16_sdwa v8, v8, v8 dst_sel:DWORD dst_unused:UNUSED_PAD src0_sel:DWORD src1_sel:WORD_1
	v_add_f16_e32 v12, v8, v12
	v_lshl_add_u64 v[8:9], v[32:33], 1, v[4:5]
	flat_store_short v[8:9], v12
	s_or_b64 exec, exec, s[2:3]
	s_and_b64 s[4:5], s[12:13], s[18:19]
	s_and_saveexec_b64 s[2:3], s[4:5]
	s_cbranch_execz .LBB246_160
.LBB246_183:
	s_and_b64 vcc, exec, s[0:1]
	s_cbranch_vccnz .LBB246_185
; %bb.184:
	v_lshl_add_u64 v[8:9], v[34:35], 1, v[20:21]
	flat_load_ushort v8, v[8:9]
	s_waitcnt vmcnt(0) lgkmcnt(0)
	v_mul_f16_e32 v8, v44, v8
	s_branch .LBB246_186
.LBB246_185:
	v_mov_b32_e32 v8, 0
.LBB246_186:
	v_pk_max_f16 v9, v6, v6
	v_pk_max_f16 v10, v10, v10
	;; [unrolled: 1-line block ×3, first 2 shown]
	v_pk_min_f16 v9, v10, v9
	v_pk_max_f16 v10, v7, v7
	v_pk_add_f16 v9, v47, v9
	v_pk_min_f16 v10, v11, v10
	s_nop 0
	v_pk_add_f16 v9, v9, v10
	s_nop 0
	v_add_f16_sdwa v9, v9, v9 dst_sel:DWORD dst_unused:UNUSED_PAD src0_sel:DWORD src1_sel:WORD_1
	v_add_f16_e32 v10, v9, v8
	v_lshl_add_u64 v[8:9], v[34:35], 1, v[4:5]
	flat_store_short v[8:9], v10
	s_or_b64 exec, exec, s[2:3]
	s_and_b64 s[4:5], s[14:15], s[18:19]
	s_and_saveexec_b64 s[2:3], s[4:5]
	s_cbranch_execz .LBB246_161
.LBB246_187:
	s_and_b64 vcc, exec, s[0:1]
	s_cbranch_vccnz .LBB246_189
; %bb.188:
	v_lshl_add_u64 v[8:9], v[36:37], 1, v[20:21]
	flat_load_ushort v8, v[8:9]
	s_waitcnt vmcnt(0) lgkmcnt(0)
	v_mul_f16_e32 v8, v44, v8
	s_branch .LBB246_190
.LBB246_189:
	v_mov_b32_e32 v8, 0
.LBB246_190:
	v_pk_max_f16 v9, v6, v6
	v_pk_max_f16 v0, v0, v0
	v_pk_max_f16 v1, v1, v1
	v_pk_min_f16 v0, v0, v9
	v_pk_max_f16 v9, v7, v7
	v_pk_add_f16 v0, v46, v0
	v_pk_min_f16 v1, v1, v9
	s_nop 0
	v_pk_add_f16 v0, v0, v1
	s_nop 0
	v_add_f16_sdwa v0, v0, v0 dst_sel:DWORD dst_unused:UNUSED_PAD src0_sel:DWORD src1_sel:WORD_1
	v_add_f16_e32 v8, v0, v8
	v_lshl_add_u64 v[0:1], v[36:37], 1, v[4:5]
	flat_store_short v[0:1], v8
	s_or_b64 exec, exec, s[2:3]
	s_and_b64 s[2:3], s[16:17], s[18:19]
	s_and_saveexec_b64 s[4:5], s[2:3]
	s_cbranch_execz .LBB246_162
.LBB246_191:
	s_and_b64 vcc, exec, s[0:1]
	s_cbranch_vccnz .LBB246_193
; %bb.192:
	v_lshl_add_u64 v[0:1], v[38:39], 1, v[20:21]
	flat_load_ushort v0, v[0:1]
	s_waitcnt vmcnt(0) lgkmcnt(0)
	v_mul_f16_e32 v0, v44, v0
	s_branch .LBB246_194
.LBB246_193:
	v_mov_b32_e32 v0, 0
.LBB246_194:
	v_pk_max_f16 v1, v6, v6
	v_pk_max_f16 v2, v2, v2
	v_pk_max_f16 v3, v3, v3
	v_pk_min_f16 v1, v2, v1
	v_pk_max_f16 v2, v7, v7
	v_pk_add_f16 v1, v45, v1
	v_pk_min_f16 v2, v3, v2
	s_nop 0
	v_pk_add_f16 v1, v1, v2
	s_nop 0
	v_add_f16_sdwa v1, v1, v1 dst_sel:DWORD dst_unused:UNUSED_PAD src0_sel:DWORD src1_sel:WORD_1
	v_add_f16_e32 v2, v1, v0
	v_lshl_add_u64 v[0:1], v[38:39], 1, v[4:5]
	flat_store_short v[0:1], v2
	s_endpgm
	.section	.rodata,"a",@progbits
	.p2align	6, 0x0
	.amdhsa_kernel _ZN12_GLOBAL__N_120geam_min_plus_kernelIDF16_Dv2_DF16_S1_Li8ELi32ELi64ELi128ELi4ELi64ELi4ELi64ELi4ELc78ELc84ELb0ELb1ELb0EPKDF16_KS3_KPDF16_EEviiiT16_PT17_ilS9_ilS7_S9_ilPT18_ili26rocblas_geam_ex_operation_
		.amdhsa_group_segment_fixed_size 3072
		.amdhsa_private_segment_fixed_size 0
		.amdhsa_kernarg_size 136
		.amdhsa_user_sgpr_count 2
		.amdhsa_user_sgpr_dispatch_ptr 0
		.amdhsa_user_sgpr_queue_ptr 0
		.amdhsa_user_sgpr_kernarg_segment_ptr 1
		.amdhsa_user_sgpr_dispatch_id 0
		.amdhsa_user_sgpr_kernarg_preload_length 0
		.amdhsa_user_sgpr_kernarg_preload_offset 0
		.amdhsa_user_sgpr_private_segment_size 0
		.amdhsa_uses_dynamic_stack 0
		.amdhsa_enable_private_segment 0
		.amdhsa_system_sgpr_workgroup_id_x 1
		.amdhsa_system_sgpr_workgroup_id_y 0
		.amdhsa_system_sgpr_workgroup_id_z 1
		.amdhsa_system_sgpr_workgroup_info 0
		.amdhsa_system_vgpr_workitem_id 1
		.amdhsa_next_free_vgpr 123
		.amdhsa_next_free_sgpr 36
		.amdhsa_accum_offset 124
		.amdhsa_reserve_vcc 1
		.amdhsa_float_round_mode_32 0
		.amdhsa_float_round_mode_16_64 0
		.amdhsa_float_denorm_mode_32 3
		.amdhsa_float_denorm_mode_16_64 3
		.amdhsa_dx10_clamp 1
		.amdhsa_ieee_mode 1
		.amdhsa_fp16_overflow 0
		.amdhsa_tg_split 0
		.amdhsa_exception_fp_ieee_invalid_op 0
		.amdhsa_exception_fp_denorm_src 0
		.amdhsa_exception_fp_ieee_div_zero 0
		.amdhsa_exception_fp_ieee_overflow 0
		.amdhsa_exception_fp_ieee_underflow 0
		.amdhsa_exception_fp_ieee_inexact 0
		.amdhsa_exception_int_div_zero 0
	.end_amdhsa_kernel
	.section	.text._ZN12_GLOBAL__N_120geam_min_plus_kernelIDF16_Dv2_DF16_S1_Li8ELi32ELi64ELi128ELi4ELi64ELi4ELi64ELi4ELc78ELc84ELb0ELb1ELb0EPKDF16_KS3_KPDF16_EEviiiT16_PT17_ilS9_ilS7_S9_ilPT18_ili26rocblas_geam_ex_operation_,"axG",@progbits,_ZN12_GLOBAL__N_120geam_min_plus_kernelIDF16_Dv2_DF16_S1_Li8ELi32ELi64ELi128ELi4ELi64ELi4ELi64ELi4ELc78ELc84ELb0ELb1ELb0EPKDF16_KS3_KPDF16_EEviiiT16_PT17_ilS9_ilS7_S9_ilPT18_ili26rocblas_geam_ex_operation_,comdat
.Lfunc_end246:
	.size	_ZN12_GLOBAL__N_120geam_min_plus_kernelIDF16_Dv2_DF16_S1_Li8ELi32ELi64ELi128ELi4ELi64ELi4ELi64ELi4ELc78ELc84ELb0ELb1ELb0EPKDF16_KS3_KPDF16_EEviiiT16_PT17_ilS9_ilS7_S9_ilPT18_ili26rocblas_geam_ex_operation_, .Lfunc_end246-_ZN12_GLOBAL__N_120geam_min_plus_kernelIDF16_Dv2_DF16_S1_Li8ELi32ELi64ELi128ELi4ELi64ELi4ELi64ELi4ELc78ELc84ELb0ELb1ELb0EPKDF16_KS3_KPDF16_EEviiiT16_PT17_ilS9_ilS7_S9_ilPT18_ili26rocblas_geam_ex_operation_
                                        ; -- End function
	.set _ZN12_GLOBAL__N_120geam_min_plus_kernelIDF16_Dv2_DF16_S1_Li8ELi32ELi64ELi128ELi4ELi64ELi4ELi64ELi4ELc78ELc84ELb0ELb1ELb0EPKDF16_KS3_KPDF16_EEviiiT16_PT17_ilS9_ilS7_S9_ilPT18_ili26rocblas_geam_ex_operation_.num_vgpr, 123
	.set _ZN12_GLOBAL__N_120geam_min_plus_kernelIDF16_Dv2_DF16_S1_Li8ELi32ELi64ELi128ELi4ELi64ELi4ELi64ELi4ELc78ELc84ELb0ELb1ELb0EPKDF16_KS3_KPDF16_EEviiiT16_PT17_ilS9_ilS7_S9_ilPT18_ili26rocblas_geam_ex_operation_.num_agpr, 0
	.set _ZN12_GLOBAL__N_120geam_min_plus_kernelIDF16_Dv2_DF16_S1_Li8ELi32ELi64ELi128ELi4ELi64ELi4ELi64ELi4ELc78ELc84ELb0ELb1ELb0EPKDF16_KS3_KPDF16_EEviiiT16_PT17_ilS9_ilS7_S9_ilPT18_ili26rocblas_geam_ex_operation_.numbered_sgpr, 36
	.set _ZN12_GLOBAL__N_120geam_min_plus_kernelIDF16_Dv2_DF16_S1_Li8ELi32ELi64ELi128ELi4ELi64ELi4ELi64ELi4ELc78ELc84ELb0ELb1ELb0EPKDF16_KS3_KPDF16_EEviiiT16_PT17_ilS9_ilS7_S9_ilPT18_ili26rocblas_geam_ex_operation_.num_named_barrier, 0
	.set _ZN12_GLOBAL__N_120geam_min_plus_kernelIDF16_Dv2_DF16_S1_Li8ELi32ELi64ELi128ELi4ELi64ELi4ELi64ELi4ELc78ELc84ELb0ELb1ELb0EPKDF16_KS3_KPDF16_EEviiiT16_PT17_ilS9_ilS7_S9_ilPT18_ili26rocblas_geam_ex_operation_.private_seg_size, 0
	.set _ZN12_GLOBAL__N_120geam_min_plus_kernelIDF16_Dv2_DF16_S1_Li8ELi32ELi64ELi128ELi4ELi64ELi4ELi64ELi4ELc78ELc84ELb0ELb1ELb0EPKDF16_KS3_KPDF16_EEviiiT16_PT17_ilS9_ilS7_S9_ilPT18_ili26rocblas_geam_ex_operation_.uses_vcc, 1
	.set _ZN12_GLOBAL__N_120geam_min_plus_kernelIDF16_Dv2_DF16_S1_Li8ELi32ELi64ELi128ELi4ELi64ELi4ELi64ELi4ELc78ELc84ELb0ELb1ELb0EPKDF16_KS3_KPDF16_EEviiiT16_PT17_ilS9_ilS7_S9_ilPT18_ili26rocblas_geam_ex_operation_.uses_flat_scratch, 0
	.set _ZN12_GLOBAL__N_120geam_min_plus_kernelIDF16_Dv2_DF16_S1_Li8ELi32ELi64ELi128ELi4ELi64ELi4ELi64ELi4ELc78ELc84ELb0ELb1ELb0EPKDF16_KS3_KPDF16_EEviiiT16_PT17_ilS9_ilS7_S9_ilPT18_ili26rocblas_geam_ex_operation_.has_dyn_sized_stack, 0
	.set _ZN12_GLOBAL__N_120geam_min_plus_kernelIDF16_Dv2_DF16_S1_Li8ELi32ELi64ELi128ELi4ELi64ELi4ELi64ELi4ELc78ELc84ELb0ELb1ELb0EPKDF16_KS3_KPDF16_EEviiiT16_PT17_ilS9_ilS7_S9_ilPT18_ili26rocblas_geam_ex_operation_.has_recursion, 0
	.set _ZN12_GLOBAL__N_120geam_min_plus_kernelIDF16_Dv2_DF16_S1_Li8ELi32ELi64ELi128ELi4ELi64ELi4ELi64ELi4ELc78ELc84ELb0ELb1ELb0EPKDF16_KS3_KPDF16_EEviiiT16_PT17_ilS9_ilS7_S9_ilPT18_ili26rocblas_geam_ex_operation_.has_indirect_call, 0
	.section	.AMDGPU.csdata,"",@progbits
; Kernel info:
; codeLenInByte = 11284
; TotalNumSgprs: 42
; NumVgprs: 123
; NumAgprs: 0
; TotalNumVgprs: 123
; ScratchSize: 0
; MemoryBound: 0
; FloatMode: 240
; IeeeMode: 1
; LDSByteSize: 3072 bytes/workgroup (compile time only)
; SGPRBlocks: 5
; VGPRBlocks: 15
; NumSGPRsForWavesPerEU: 42
; NumVGPRsForWavesPerEU: 123
; AccumOffset: 124
; Occupancy: 4
; WaveLimiterHint : 1
; COMPUTE_PGM_RSRC2:SCRATCH_EN: 0
; COMPUTE_PGM_RSRC2:USER_SGPR: 2
; COMPUTE_PGM_RSRC2:TRAP_HANDLER: 0
; COMPUTE_PGM_RSRC2:TGID_X_EN: 1
; COMPUTE_PGM_RSRC2:TGID_Y_EN: 0
; COMPUTE_PGM_RSRC2:TGID_Z_EN: 1
; COMPUTE_PGM_RSRC2:TIDIG_COMP_CNT: 1
; COMPUTE_PGM_RSRC3_GFX90A:ACCUM_OFFSET: 30
; COMPUTE_PGM_RSRC3_GFX90A:TG_SPLIT: 0
	.section	.text._ZN12_GLOBAL__N_120geam_min_plus_kernelIDF16_Dv2_DF16_S1_Li8ELi32ELi64ELi128ELi4ELi64ELi4ELi64ELi4ELc78ELc84ELb1ELb1ELb0EDF16_KPKDF16_KPDF16_EEviiiT16_PT17_ilS9_ilS7_S9_ilPT18_ili26rocblas_geam_ex_operation_,"axG",@progbits,_ZN12_GLOBAL__N_120geam_min_plus_kernelIDF16_Dv2_DF16_S1_Li8ELi32ELi64ELi128ELi4ELi64ELi4ELi64ELi4ELc78ELc84ELb1ELb1ELb0EDF16_KPKDF16_KPDF16_EEviiiT16_PT17_ilS9_ilS7_S9_ilPT18_ili26rocblas_geam_ex_operation_,comdat
	.globl	_ZN12_GLOBAL__N_120geam_min_plus_kernelIDF16_Dv2_DF16_S1_Li8ELi32ELi64ELi128ELi4ELi64ELi4ELi64ELi4ELc78ELc84ELb1ELb1ELb0EDF16_KPKDF16_KPDF16_EEviiiT16_PT17_ilS9_ilS7_S9_ilPT18_ili26rocblas_geam_ex_operation_ ; -- Begin function _ZN12_GLOBAL__N_120geam_min_plus_kernelIDF16_Dv2_DF16_S1_Li8ELi32ELi64ELi128ELi4ELi64ELi4ELi64ELi4ELc78ELc84ELb1ELb1ELb0EDF16_KPKDF16_KPDF16_EEviiiT16_PT17_ilS9_ilS7_S9_ilPT18_ili26rocblas_geam_ex_operation_
	.p2align	8
	.type	_ZN12_GLOBAL__N_120geam_min_plus_kernelIDF16_Dv2_DF16_S1_Li8ELi32ELi64ELi128ELi4ELi64ELi4ELi64ELi4ELc78ELc84ELb1ELb1ELb0EDF16_KPKDF16_KPDF16_EEviiiT16_PT17_ilS9_ilS7_S9_ilPT18_ili26rocblas_geam_ex_operation_,@function
_ZN12_GLOBAL__N_120geam_min_plus_kernelIDF16_Dv2_DF16_S1_Li8ELi32ELi64ELi128ELi4ELi64ELi4ELi64ELi4ELc78ELc84ELb1ELb1ELb0EDF16_KPKDF16_KPDF16_EEviiiT16_PT17_ilS9_ilS7_S9_ilPT18_ili26rocblas_geam_ex_operation_: ; @_ZN12_GLOBAL__N_120geam_min_plus_kernelIDF16_Dv2_DF16_S1_Li8ELi32ELi64ELi128ELi4ELi64ELi4ELi64ELi4ELc78ELc84ELb1ELb1ELb0EDF16_KPKDF16_KPDF16_EEviiiT16_PT17_ilS9_ilS7_S9_ilPT18_ili26rocblas_geam_ex_operation_
; %bb.0:
	s_load_dwordx4 s[20:23], s[0:1], 0x0
	s_load_dwordx4 s[4:7], s[0:1], 0x20
	s_mov_b32 s8, s3
	s_mov_b32 s9, 0
	s_waitcnt lgkmcnt(0)
	v_cmp_eq_f16_e64 s[10:11], s23, 0
	s_and_b64 vcc, exec, s[10:11]
	s_cbranch_vccnz .LBB247_3
; %bb.1:
	s_load_dwordx2 s[12:13], s[0:1], 0x10
	s_lshl_b64 s[14:15], s[8:9], 3
	s_waitcnt lgkmcnt(0)
	s_add_u32 s12, s12, s14
	s_addc_u32 s13, s13, s15
	s_load_dwordx2 s[12:13], s[12:13], 0x0
	s_lshl_b64 s[4:5], s[4:5], 1
	s_waitcnt lgkmcnt(0)
	s_add_u32 s12, s12, s4
	s_addc_u32 s13, s13, s5
	s_andn2_b64 vcc, exec, s[10:11]
	s_cbranch_vccnz .LBB247_4
.LBB247_2:
	s_mov_b32 s11, 0
	s_mov_b32 s10, s8
	s_mov_b64 s[24:25], 0
	s_mov_b64 s[14:15], 0
	s_cbranch_execz .LBB247_5
	s_branch .LBB247_6
.LBB247_3:
	s_mov_b64 s[12:13], 0
	s_andn2_b64 vcc, exec, s[10:11]
	s_cbranch_vccz .LBB247_2
.LBB247_4:
	s_mov_b64 s[10:11], s[8:9]
	s_mov_b64 s[24:25], 0
	;; [unrolled: 1-line block ×3, first 2 shown]
.LBB247_5:
	s_lshl_b64 s[8:9], s[8:9], 3
	s_add_u32 s6, s6, s8
	s_load_dwordx2 s[4:5], s[0:1], 0x38
	s_addc_u32 s7, s7, s9
	s_load_dwordx2 s[6:7], s[6:7], 0x0
	s_waitcnt lgkmcnt(0)
	s_lshl_b64 s[4:5], s[4:5], 1
	s_add_u32 s14, s6, s4
	s_addc_u32 s15, s7, s5
.LBB247_6:
	s_load_dword s28, s[0:1], 0x40
	s_load_dwordx4 s[4:7], s[0:1], 0x58
	s_waitcnt lgkmcnt(0)
	v_cmp_eq_f16_e64 s[16:17], s28, 0
	v_cmp_neq_f16_e64 s[8:9], s28, 0
	s_and_b64 vcc, exec, s[16:17]
	s_cbranch_vccnz .LBB247_8
; %bb.7:
	s_load_dwordx2 s[16:17], s[0:1], 0x48
	s_lshl_b64 s[18:19], s[10:11], 3
	s_waitcnt lgkmcnt(0)
	s_add_u32 s16, s16, s18
	s_addc_u32 s17, s17, s19
	s_load_dwordx2 s[16:17], s[16:17], 0x0
	s_lshl_b64 s[4:5], s[4:5], 1
	s_waitcnt lgkmcnt(0)
	s_add_u32 s24, s16, s4
	s_addc_u32 s25, s17, s5
.LBB247_8:
	s_load_dword s16, s[0:1], 0x18
	s_lshl_b64 s[4:5], s[10:11], 3
	v_and_b32_e32 v25, 0x3ff, v0
	v_bfe_u32 v40, v0, 10, 10
	v_mov_b32_e32 v10, 0
	s_waitcnt lgkmcnt(0)
	s_ashr_i32 s17, s16, 31
	s_add_u32 s10, s6, s4
	s_addc_u32 s11, s7, s5
	s_add_i32 s3, s20, -1
	s_ashr_i32 s4, s3, 31
	s_lshr_b32 s4, s4, 26
	s_add_i32 s3, s3, s4
	s_ashr_i32 s3, s3, 6
	s_add_i32 s5, s3, 1
	v_cvt_f32_u32_e32 v1, s5
	s_not_b32 s3, s3
	v_mov_b32_e32 v11, 0
	v_rcp_iflag_f32_e32 v0, v1
	v_lshl_add_u32 v1, v40, 3, v25
	v_and_b32_e32 v6, 63, v1
	v_lshrrev_b32_e32 v24, 6, v1
	v_mul_f32_e32 v0, 0x4f7ffffe, v0
	v_cvt_u32_f32_e32 v0, v0
	v_cmp_le_i32_e64 s[6:7], s22, v24
	v_readfirstlane_b32 s4, v0
	s_mul_i32 s3, s3, s4
	s_mul_hi_u32 s3, s4, s3
	s_add_i32 s4, s4, s3
	s_mul_hi_u32 s3, s2, s4
	s_mul_i32 s4, s3, s5
	s_sub_i32 s4, s2, s4
	s_add_i32 s18, s3, 1
	s_sub_i32 s19, s4, s5
	s_cmp_ge_u32 s4, s5
	s_cselect_b32 s3, s18, s3
	s_cselect_b32 s4, s19, s4
	s_add_i32 s18, s3, 1
	s_cmp_ge_u32 s4, s5
	s_cselect_b32 s4, s18, s3
	s_mul_i32 s3, s4, s5
	s_sub_i32 s2, s2, s3
	s_lshl_b32 s29, s2, 6
	v_or_b32_e32 v0, s29, v6
	v_cmp_le_i32_e32 vcc, s20, v0
	v_ashrrev_i32_e32 v1, 31, v0
	s_nor_b64 s[18:19], s[6:7], vcc
	s_and_saveexec_b64 s[2:3], s[18:19]
	s_cbranch_execz .LBB247_10
; %bb.9:
	v_mad_i64_i32 v[2:3], s[18:19], s16, v24, 0
	v_lshl_add_u64 v[2:3], v[2:3], 1, s[12:13]
	v_lshl_add_u64 v[2:3], v[0:1], 1, v[2:3]
	flat_load_ushort v11, v[2:3]
.LBB247_10:
	s_or_b64 exec, exec, s[2:3]
	s_load_dword s18, s[0:1], 0x30
	s_lshl_b32 s30, s4, 7
	v_or_b32_e32 v2, s30, v6
	v_ashrrev_i32_e32 v3, 31, v2
	s_waitcnt lgkmcnt(0)
	v_mad_i64_i32 v[4:5], s[2:3], v24, s18, 0
	v_cmp_le_i32_e64 s[2:3], s21, v2
	s_ashr_i32 s19, s18, 31
	v_lshl_add_u64 v[4:5], v[4:5], 1, s[14:15]
	s_nor_b64 s[26:27], s[6:7], s[2:3]
	s_and_saveexec_b64 s[4:5], s[26:27]
	s_cbranch_execz .LBB247_12
; %bb.11:
	v_lshl_add_u64 v[8:9], v[2:3], 1, v[4:5]
	flat_load_ushort v10, v[8:9]
.LBB247_12:
	s_or_b64 exec, exec, s[4:5]
	v_or_b32_e32 v7, 64, v2
	v_cmp_le_i32_e64 s[4:5], s21, v7
	s_nor_b64 s[26:27], s[6:7], s[4:5]
	v_mov_b32_e32 v7, 0
	v_mov_b32_e32 v12, 0
	s_and_saveexec_b64 s[6:7], s[26:27]
	s_cbranch_execz .LBB247_14
; %bb.13:
	v_lshl_add_u64 v[4:5], v[2:3], 1, v[4:5]
	flat_load_ushort v12, v[4:5] offset:128
.LBB247_14:
	s_or_b64 exec, exec, s[6:7]
	v_add_u32_e32 v4, 4, v24
	v_cmp_le_i32_e64 s[6:7], s22, v4
	s_nor_b64 s[34:35], vcc, s[6:7]
	s_and_saveexec_b64 s[26:27], s[34:35]
	s_cbranch_execz .LBB247_16
; %bb.15:
	v_mad_u64_u32 v[8:9], s[34:35], s16, v4, 0
	v_mov_b32_e32 v14, v9
	v_mad_u64_u32 v[14:15], s[34:35], s17, v4, v[14:15]
	v_mov_b32_e32 v9, v14
	v_lshl_add_u64 v[8:9], v[8:9], 1, s[12:13]
	v_lshl_add_u64 v[8:9], v[0:1], 1, v[8:9]
	flat_load_ushort v7, v[8:9]
.LBB247_16:
	s_or_b64 exec, exec, s[26:27]
	v_mad_u64_u32 v[8:9], s[26:27], v4, s18, 0
	v_mov_b32_e32 v14, v9
	v_mad_u64_u32 v[4:5], s[26:27], v4, s19, v[14:15]
	v_mov_b32_e32 v9, v4
	v_lshl_add_u64 v[4:5], v[8:9], 1, s[14:15]
	s_nor_b64 s[34:35], s[2:3], s[6:7]
	v_mov_b32_e32 v8, 0
	v_mov_b32_e32 v9, 0
	s_and_saveexec_b64 s[26:27], s[34:35]
	s_cbranch_execz .LBB247_18
; %bb.17:
	v_lshl_add_u64 v[14:15], v[2:3], 1, v[4:5]
	flat_load_ushort v9, v[14:15]
.LBB247_18:
	s_or_b64 exec, exec, s[26:27]
	s_nor_b64 s[26:27], s[4:5], s[6:7]
	s_and_saveexec_b64 s[6:7], s[26:27]
	s_cbranch_execz .LBB247_20
; %bb.19:
	v_lshl_add_u64 v[4:5], v[2:3], 1, v[4:5]
	flat_load_ushort v8, v[4:5] offset:128
.LBB247_20:
	s_or_b64 exec, exec, s[6:7]
	v_lshlrev_b32_e32 v4, 3, v6
	v_lshlrev_b32_e32 v42, 3, v25
	v_lshl_add_u32 v43, v24, 1, v4
	v_lshlrev_b32_e32 v41, 3, v40
	v_add_u32_e32 v69, 0x800, v42
	s_load_dwordx2 s[10:11], s[10:11], 0x0
	s_waitcnt vmcnt(0)
	ds_write_b16 v43, v11 offset:2048
	s_waitcnt lgkmcnt(0)
	ds_write_b16 v43, v10
	ds_write_b16 v43, v12 offset:512
	s_waitcnt lgkmcnt(0)
	s_barrier
	ds_read2_b64 v[10:13], v41 offset1:32
	ds_read2_b64 v[14:17], v69 offset0:48 offset1:56
	ds_read2_b64 v[18:21], v41 offset0:64 offset1:96
	ds_read2_b64 v[26:29], v69 offset1:8
	s_mov_b32 s23, 0
	s_waitcnt lgkmcnt(3)
	v_pk_max_f16 v4, v10, v10
	s_waitcnt lgkmcnt(2)
	v_pk_max_f16 v5, v16, v16
	;; [unrolled: 2-line block ×4, first 2 shown]
	v_pk_max_f16 v28, v28, v28
	v_pk_min_f16 v30, v22, v16
	v_pk_max_f16 v10, v12, v12
	v_pk_add_f16 v38, v30, 0
	v_pk_min_f16 v30, v28, v4
	v_pk_min_f16 v34, v28, v16
	v_pk_add_f16 v39, v30, 0
	v_pk_min_f16 v30, v28, v10
	v_pk_add_f16 v45, v34, 0
	v_pk_add_f16 v44, v30, 0
	ds_read2_b64 v[30:33], v69 offset0:16 offset1:24
	v_pk_min_f16 v6, v5, v4
	v_pk_max_f16 v20, v20, v20
	v_pk_max_f16 v11, v11, v11
	;; [unrolled: 1-line block ×3, first 2 shown]
	s_waitcnt lgkmcnt(0)
	v_pk_max_f16 v30, v30, v30
	v_pk_max_f16 v32, v32, v32
	v_pk_min_f16 v34, v30, v4
	v_pk_min_f16 v49, v32, v16
	v_pk_add_f16 v46, v34, 0
	v_pk_min_f16 v34, v30, v10
	v_pk_add_f16 v55, v49, 0
	v_pk_add_f16 v47, v34, 0
	v_pk_min_f16 v34, v30, v16
	v_pk_max_f16 v17, v17, v17
	v_pk_add_f16 v48, v34, 0
	v_pk_min_f16 v34, v32, v4
	v_pk_add_f16 v6, v6, 0
	v_pk_add_f16 v53, v34, 0
	v_pk_min_f16 v34, v32, v10
	v_pk_min_f16 v12, v5, v10
	v_pk_add_f16 v54, v34, 0
	ds_read2_b64 v[34:37], v69 offset0:32 offset1:40
	v_pk_min_f16 v18, v5, v16
	v_pk_min_f16 v23, v22, v4
	;; [unrolled: 1-line block ×4, first 2 shown]
	s_waitcnt lgkmcnt(0)
	v_pk_max_f16 v34, v34, v34
	v_pk_max_f16 v36, v36, v36
	v_pk_min_f16 v49, v34, v4
	v_pk_min_f16 v28, v28, v20
	v_pk_add_f16 v61, v49, 0
	v_pk_min_f16 v49, v34, v10
	v_pk_min_f16 v30, v30, v20
	v_pk_add_f16 v62, v49, 0
	;; [unrolled: 3-line block ×3, first 2 shown]
	v_pk_min_f16 v49, v36, v4
	v_pk_max_f16 v13, v13, v13
	v_pk_add_f16 v71, v49, 0
	v_pk_min_f16 v49, v36, v10
	v_pk_min_f16 v34, v34, v20
	v_pk_add_f16 v77, v49, 0
	v_pk_min_f16 v49, v36, v16
	v_pk_min_f16 v36, v36, v20
	;; [unrolled: 1-line block ×8, first 2 shown]
	v_pk_add_f16 v12, v12, 0
	v_pk_max_f16 v19, v19, v19
	v_pk_add_f16 v68, v6, v20
	v_pk_min_f16 v6, v17, v13
	v_pk_add_f16 v18, v18, 0
	v_pk_max_f16 v27, v27, v27
	v_pk_add_f16 v60, v12, v6
	v_pk_min_f16 v6, v17, v19
	v_pk_add_f16 v23, v23, 0
	v_pk_add_f16 v52, v18, v6
	v_pk_min_f16 v6, v27, v11
	v_pk_add_f16 v26, v26, 0
	v_pk_add_f16 v76, v23, v6
	v_pk_min_f16 v6, v27, v13
	v_pk_max_f16 v21, v21, v21
	v_pk_add_f16 v67, v26, v6
	v_pk_min_f16 v6, v27, v19
	v_pk_add_f16 v22, v22, 0
	v_pk_max_f16 v29, v29, v29
	v_pk_add_f16 v59, v38, v6
	v_pk_min_f16 v6, v27, v21
	v_pk_add_f16 v28, v28, 0
	v_pk_add_f16 v51, v22, v6
	v_pk_min_f16 v6, v29, v11
	v_pk_add_f16 v30, v30, 0
	;; [unrolled: 3-line block ×5, first 2 shown]
	v_pk_add_f16 v50, v28, v6
	v_pk_max_f16 v6, v31, v31
	v_pk_add_f16 v36, v36, 0
	v_pk_min_f16 v12, v6, v11
	v_pk_add_f16 v4, v4, 0
	v_pk_add_f16 v74, v46, v12
	v_pk_min_f16 v12, v6, v13
	v_pk_add_f16 v10, v10, 0
	v_pk_add_f16 v65, v47, v12
	v_pk_min_f16 v12, v6, v19
	v_pk_min_f16 v6, v6, v21
	v_pk_add_f16 v57, v48, v12
	v_pk_add_f16 v49, v30, v6
	v_pk_max_f16 v6, v33, v33
	v_pk_add_f16 v16, v16, 0
	v_pk_min_f16 v12, v6, v11
	v_pk_add_f16 v14, v14, 0
	v_pk_add_f16 v73, v53, v12
	v_pk_min_f16 v12, v6, v13
	v_pk_add_f16 v5, v5, 0
	v_pk_add_f16 v64, v54, v12
	v_pk_min_f16 v12, v6, v19
	v_pk_min_f16 v6, v6, v21
	v_pk_add_f16 v56, v55, v12
	v_pk_add_f16 v48, v32, v6
	v_pk_max_f16 v6, v35, v35
	s_cmp_lt_i32 s22, 9
	v_pk_min_f16 v12, v6, v11
	ds_write_b16 v43, v7 offset:2560
	ds_write_b16 v43, v9 offset:1024
	;; [unrolled: 1-line block ×3, first 2 shown]
	v_pk_add_f16 v72, v61, v12
	v_pk_min_f16 v12, v6, v13
	s_waitcnt lgkmcnt(0)
	v_pk_add_f16 v63, v62, v12
	v_pk_min_f16 v12, v6, v19
	v_pk_min_f16 v6, v6, v21
	v_pk_add_f16 v55, v70, v12
	v_pk_add_f16 v47, v34, v6
	v_pk_max_f16 v6, v37, v37
	s_barrier
	v_pk_min_f16 v12, v6, v11
	s_nop 0
	v_pk_add_f16 v71, v71, v12
	v_pk_min_f16 v12, v6, v13
	s_nop 0
	v_pk_add_f16 v62, v77, v12
	v_pk_min_f16 v12, v6, v19
	v_pk_min_f16 v6, v6, v21
	v_pk_add_f16 v54, v78, v12
	v_pk_add_f16 v46, v36, v6
	v_pk_max_f16 v6, v15, v15
	s_nop 0
	v_pk_min_f16 v11, v6, v11
	s_nop 0
	v_pk_add_f16 v70, v4, v11
	v_pk_min_f16 v4, v6, v13
	s_nop 0
	v_pk_add_f16 v61, v10, v4
	v_pk_min_f16 v4, v6, v19
	s_nop 0
	v_pk_add_f16 v53, v16, v4
	v_pk_min_f16 v4, v6, v21
	s_nop 0
	v_pk_add_f16 v45, v14, v4
	v_pk_min_f16 v4, v17, v21
	s_nop 0
	v_pk_add_f16 v44, v5, v4
	s_cbranch_scc1 .LBB247_35
; %bb.21:
	v_lshl_add_u64 v[26:27], v[0:1], 1, s[12:13]
	v_mov_b32_e32 v0, 0xa00
	v_lshl_add_u32 v80, v25, 3, v0
	v_add_u32_e32 v0, v41, v25
	v_lshrrev_b32_e32 v4, 6, v0
	v_add_u32_e32 v5, 12, v4
	v_mad_i64_i32 v[0:1], s[6:7], v5, s18, 0
	v_lshlrev_b64 v[28:29], 1, v[0:1]
	v_lshl_add_u64 v[30:31], v[2:3], 1, s[14:15]
	v_mad_i64_i32 v[0:1], s[6:7], v5, s16, 0
	v_add_u32_e32 v2, 8, v4
	v_lshlrev_b64 v[32:33], 1, v[0:1]
	v_mad_i64_i32 v[0:1], s[6:7], v2, s16, 0
	v_lshlrev_b64 v[34:35], 1, v[0:1]
	v_mad_i64_i32 v[0:1], s[6:7], v2, s18, 0
	v_or_b32_e32 v77, 0x800, v43
	v_add_u32_e32 v78, 0xa00, v43
	v_or_b32_e32 v79, 0x400, v43
	s_add_i32 s26, s22, -8
	v_add_u32_e32 v81, 0x400, v41
	s_lshl_b64 s[12:13], s[18:19], 4
	s_lshl_b64 s[14:15], s[16:17], 4
	v_lshlrev_b64 v[36:37], 1, v[0:1]
	s_branch .LBB247_23
.LBB247_22:                             ;   in Loop: Header=BB247_23 Depth=1
	s_or_b64 exec, exec, s[6:7]
	v_pk_max_f16 v2, v2, v2
	v_pk_max_f16 v20, v20, v20
	;; [unrolled: 1-line block ×7, first 2 shown]
	v_pk_min_f16 v38, v2, v20
	v_pk_min_f16 v39, v2, v22
	v_pk_max_f16 v12, v12, v12
	v_pk_max_f16 v14, v14, v14
	;; [unrolled: 1-line block ×10, first 2 shown]
	v_pk_min_f16 v98, v4, v20
	v_pk_max_f16 v9, v9, v9
	v_pk_max_f16 v11, v11, v11
	v_pk_min_f16 v99, v4, v22
	v_pk_max_f16 v5, v5, v5
	v_pk_max_f16 v7, v7, v7
	v_pk_min_f16 v100, v4, v16
	v_pk_min_f16 v4, v4, v18
	v_pk_max_f16 v0, v0, v0
	v_pk_max_f16 v3, v3, v3
	;; [unrolled: 1-line block ×3, first 2 shown]
	v_pk_min_f16 v101, v6, v20
	v_pk_min_f16 v102, v6, v22
	;; [unrolled: 1-line block ×58, first 2 shown]
	v_pk_add_f16 v1, v68, v38
	v_pk_add_f16 v3, v60, v39
	;; [unrolled: 1-line block ×12, first 2 shown]
	ds_read2_b64 v[0:3], v69 offset0:48 offset1:56
	ds_read2_b64 v[4:7], v41 offset1:32
	v_pk_add_f16 v38, v52, v85
	v_pk_add_f16 v39, v76, v86
	;; [unrolled: 1-line block ×7, first 2 shown]
	s_waitcnt lgkmcnt(0)
	v_pk_max_f16 v2, v2, v2
	v_pk_max_f16 v4, v4, v4
	v_pk_add_f16 v60, v66, v90
	v_pk_add_f16 v14, v50, v14
	;; [unrolled: 1-line block ×8, first 2 shown]
	ds_read2_b64 v[8:11], v41 offset0:64 offset1:96
	v_pk_min_f16 v12, v2, v4
	v_pk_add_f16 v22, v61, v22
	v_pk_add_f16 v61, v14, v15
	;; [unrolled: 1-line block ×3, first 2 shown]
	ds_read2_b64 v[12:15], v69 offset1:8
	v_pk_max_f16 v6, v6, v6
	v_pk_add_f16 v49, v73, v95
	v_pk_add_f16 v73, v16, v17
	v_pk_min_f16 v16, v2, v6
	s_waitcnt lgkmcnt(0)
	v_pk_max_f16 v8, v8, v8
	v_pk_add_f16 v38, v38, v123
	v_pk_add_f16 v53, v53, v16
	v_pk_min_f16 v16, v2, v8
	v_pk_max_f16 v12, v12, v12
	v_pk_add_f16 v38, v38, v16
	v_pk_min_f16 v16, v12, v4
	v_pk_add_f16 v50, v74, v92
	v_pk_add_f16 v74, v18, v16
	v_pk_min_f16 v16, v12, v6
	v_pk_add_f16 v51, v75, v89
	v_pk_add_f16 v39, v39, v16
	v_pk_min_f16 v16, v12, v8
	v_pk_max_f16 v14, v14, v14
	v_pk_add_f16 v51, v51, v106
	v_pk_add_f16 v75, v52, v16
	v_pk_min_f16 v16, v14, v4
	v_pk_add_f16 v60, v60, v107
	v_pk_add_f16 v85, v51, v16
	v_pk_min_f16 v16, v14, v6
	v_pk_add_f16 v44, v44, v19
	v_pk_add_f16 v86, v60, v16
	ds_read2_b64 v[16:19], v69 offset0:16 offset1:24
	v_pk_add_f16 v58, v58, v91
	v_pk_add_f16 v47, v71, v101
	;; [unrolled: 1-line block ×4, first 2 shown]
	v_pk_max_f16 v10, v10, v10
	v_pk_min_f16 v20, v14, v8
	s_waitcnt lgkmcnt(0)
	v_pk_max_f16 v16, v16, v16
	v_pk_add_f16 v65, v65, v93
	v_pk_add_f16 v50, v50, v109
	;; [unrolled: 1-line block ×3, first 2 shown]
	v_pk_min_f16 v14, v14, v10
	v_pk_min_f16 v20, v16, v4
	v_pk_add_f16 v57, v57, v94
	v_pk_add_f16 v65, v65, v110
	;; [unrolled: 1-line block ×4, first 2 shown]
	v_pk_min_f16 v20, v16, v6
	v_pk_add_f16 v57, v57, v111
	v_pk_add_f16 v65, v65, v20
	v_pk_min_f16 v20, v16, v8
	v_pk_max_f16 v18, v18, v18
	v_pk_add_f16 v64, v64, v96
	v_pk_add_f16 v49, v49, v112
	;; [unrolled: 1-line block ×3, first 2 shown]
	v_pk_min_f16 v20, v18, v4
	v_pk_add_f16 v64, v64, v113
	v_pk_add_f16 v87, v49, v20
	v_pk_min_f16 v20, v18, v6
	v_pk_add_f16 v48, v72, v98
	v_pk_add_f16 v72, v22, v23
	;; [unrolled: 1-line block ×3, first 2 shown]
	ds_read2_b64 v[20:23], v69 offset0:32 offset1:40
	v_pk_add_f16 v56, v56, v97
	v_pk_min_f16 v49, v18, v8
	v_pk_add_f16 v56, v56, v114
	v_pk_add_f16 v63, v63, v99
	s_waitcnt lgkmcnt(0)
	v_pk_max_f16 v20, v20, v20
	v_pk_add_f16 v48, v48, v115
	v_pk_add_f16 v56, v56, v49
	v_pk_min_f16 v49, v20, v4
	v_pk_add_f16 v55, v55, v100
	v_pk_add_f16 v63, v63, v116
	;; [unrolled: 1-line block ×3, first 2 shown]
	v_pk_min_f16 v48, v20, v6
	v_pk_add_f16 v55, v55, v117
	v_pk_add_f16 v63, v63, v48
	v_pk_min_f16 v48, v20, v8
	v_pk_max_f16 v22, v22, v22
	v_pk_add_f16 v62, v62, v102
	v_pk_add_f16 v47, v47, v118
	;; [unrolled: 1-line block ×3, first 2 shown]
	v_pk_min_f16 v48, v22, v4
	v_pk_add_f16 v62, v62, v119
	v_pk_add_f16 v89, v47, v48
	v_pk_min_f16 v47, v22, v6
	v_pk_max_f16 v0, v0, v0
	v_pk_max_f16 v3, v3, v3
	;; [unrolled: 1-line block ×3, first 2 shown]
	v_pk_min_f16 v12, v12, v10
	v_pk_min_f16 v16, v16, v10
	;; [unrolled: 1-line block ×4, first 2 shown]
	v_pk_add_f16 v62, v62, v47
	v_pk_min_f16 v47, v22, v8
	v_pk_min_f16 v22, v22, v10
	;; [unrolled: 1-line block ×8, first 2 shown]
	v_pk_max_f16 v7, v7, v7
	v_pk_add_f16 v20, v68, v20
	v_pk_add_f16 v68, v46, v10
	v_pk_min_f16 v10, v3, v7
	v_pk_max_f16 v9, v9, v9
	v_pk_add_f16 v60, v53, v10
	v_pk_min_f16 v10, v3, v9
	v_pk_max_f16 v11, v11, v11
	v_pk_add_f16 v52, v38, v10
	v_pk_max_f16 v10, v13, v13
	v_pk_add_f16 v12, v59, v12
	v_pk_min_f16 v13, v10, v5
	v_pk_add_f16 v18, v67, v18
	v_pk_add_f16 v76, v74, v13
	v_pk_min_f16 v13, v10, v7
	v_pk_add_f16 v16, v66, v16
	v_pk_add_f16 v67, v39, v13
	v_pk_min_f16 v13, v10, v9
	v_pk_min_f16 v10, v10, v11
	v_pk_add_f16 v59, v75, v13
	v_pk_add_f16 v51, v12, v10
	v_pk_max_f16 v10, v15, v15
	v_pk_add_f16 v8, v73, v8
	v_pk_min_f16 v12, v10, v5
	v_pk_add_f16 v54, v54, v103
	v_pk_add_f16 v75, v85, v12
	v_pk_min_f16 v12, v10, v7
	v_pk_add_f16 v6, v72, v6
	v_pk_add_f16 v66, v86, v12
	v_pk_min_f16 v12, v10, v9
	v_pk_min_f16 v10, v10, v11
	v_pk_add_f16 v58, v58, v12
	v_pk_add_f16 v50, v14, v10
	v_pk_max_f16 v10, v17, v17
	v_pk_add_f16 v54, v54, v120
	v_pk_min_f16 v12, v10, v5
	v_pk_add_f16 v54, v54, v47
	v_pk_add_f16 v74, v61, v12
	v_pk_min_f16 v12, v10, v7
	v_pk_max_f16 v1, v1, v1
	v_pk_add_f16 v65, v65, v12
	v_pk_min_f16 v12, v10, v9
	v_pk_min_f16 v10, v10, v11
	v_pk_add_f16 v57, v57, v12
	v_pk_add_f16 v49, v16, v10
	v_pk_max_f16 v10, v19, v19
	v_pk_add_f16 v4, v71, v4
	v_pk_min_f16 v12, v10, v5
	v_pk_add_f16 v45, v45, v124
	v_pk_add_f16 v73, v87, v12
	v_pk_min_f16 v12, v10, v7
	v_pk_add_f16 v22, v70, v22
	v_pk_add_f16 v64, v64, v12
	v_pk_min_f16 v12, v10, v9
	v_pk_min_f16 v10, v10, v11
	v_pk_add_f16 v56, v56, v12
	v_pk_add_f16 v48, v18, v10
	v_pk_max_f16 v10, v21, v21
	v_pk_add_f16 v0, v45, v0
	v_pk_min_f16 v12, v10, v5
	v_pk_add_f16 v2, v44, v2
	v_pk_add_f16 v72, v88, v12
	v_pk_min_f16 v12, v10, v7
	s_add_i32 s23, s23, 8
	v_pk_add_f16 v63, v63, v12
	v_pk_min_f16 v12, v10, v9
	v_pk_min_f16 v10, v10, v11
	v_pk_add_f16 v55, v55, v12
	v_pk_add_f16 v47, v20, v10
	v_pk_max_f16 v10, v23, v23
	v_lshl_add_u64 v[30:31], v[30:31], 0, s[12:13]
	v_pk_min_f16 v12, v10, v5
	v_pk_min_f16 v5, v1, v5
	v_pk_add_f16 v71, v89, v12
	v_pk_add_f16 v70, v4, v5
	v_pk_min_f16 v4, v1, v7
	v_pk_min_f16 v12, v10, v7
	v_pk_add_f16 v61, v6, v4
	v_pk_min_f16 v4, v1, v9
	v_pk_min_f16 v1, v1, v11
	;; [unrolled: 3-line block ×3, first 2 shown]
	v_pk_add_f16 v45, v0, v1
	v_pk_min_f16 v0, v3, v11
	v_pk_add_f16 v54, v54, v12
	v_pk_add_f16 v46, v22, v10
	;; [unrolled: 1-line block ×4, first 2 shown]
	s_cmp_ge_i32 s23, s26
	v_lshl_add_u64 v[26:27], v[26:27], 0, s[14:15]
	s_waitcnt vmcnt(0)
	ds_write_b16 v78, v82
	ds_write_b16 v79, v84
	ds_write_b16 v79, v83 offset:512
	s_waitcnt lgkmcnt(0)
	s_barrier
	s_cbranch_scc1 .LBB247_35
.LBB247_23:                             ; =>This Inner Loop Header: Depth=1
	v_add_u32_e32 v38, s23, v24
	v_add_u32_e32 v0, 8, v38
	v_cmp_le_i32_e64 s[6:7], s22, v0
	s_nor_b64 s[18:19], vcc, s[6:7]
	v_mov_b32_e32 v39, 0
	v_mov_b32_e32 v83, 0
	s_and_saveexec_b64 s[16:17], s[18:19]
	s_cbranch_execz .LBB247_25
; %bb.24:                               ;   in Loop: Header=BB247_23 Depth=1
	v_lshl_add_u64 v[0:1], v[26:27], 0, v[34:35]
	flat_load_ushort v83, v[0:1]
.LBB247_25:                             ;   in Loop: Header=BB247_23 Depth=1
	s_or_b64 exec, exec, s[16:17]
	s_nor_b64 s[18:19], s[2:3], s[6:7]
	v_lshl_add_u64 v[0:1], v[30:31], 0, v[36:37]
	s_and_saveexec_b64 s[16:17], s[18:19]
	s_cbranch_execz .LBB247_27
; %bb.26:                               ;   in Loop: Header=BB247_23 Depth=1
	flat_load_ushort v39, v[0:1]
.LBB247_27:                             ;   in Loop: Header=BB247_23 Depth=1
	s_or_b64 exec, exec, s[16:17]
	s_nor_b64 s[16:17], s[4:5], s[6:7]
	v_mov_b32_e32 v82, 0
	v_mov_b32_e32 v84, 0
	s_and_saveexec_b64 s[6:7], s[16:17]
	s_cbranch_execz .LBB247_29
; %bb.28:                               ;   in Loop: Header=BB247_23 Depth=1
	flat_load_ushort v84, v[0:1] offset:128
.LBB247_29:                             ;   in Loop: Header=BB247_23 Depth=1
	s_or_b64 exec, exec, s[6:7]
	ds_read2_b64 v[0:3], v80 offset0:48 offset1:56
	ds_read2_b64 v[16:19], v81 offset0:64 offset1:96
	ds_read2_b64 v[20:23], v81 offset1:32
	ds_read2_b64 v[12:15], v80 offset1:8
	ds_read2_b64 v[8:11], v80 offset0:16 offset1:24
	ds_read2_b64 v[4:7], v80 offset0:32 offset1:40
	v_add_u32_e32 v38, 12, v38
	v_cmp_le_i32_e64 s[6:7], s22, v38
	s_nor_b64 s[16:17], vcc, s[6:7]
	s_waitcnt vmcnt(0) lgkmcnt(0)
	ds_write_b16 v77, v83
	ds_write_b16 v43, v39
	ds_write_b16 v43, v84 offset:512
	s_waitcnt lgkmcnt(0)
	s_barrier
	s_and_saveexec_b64 s[18:19], s[16:17]
	s_xor_b64 s[16:17], exec, s[18:19]
	s_cbranch_execz .LBB247_31
; %bb.30:                               ;   in Loop: Header=BB247_23 Depth=1
	v_lshl_add_u64 v[38:39], v[26:27], 0, v[32:33]
	flat_load_ushort v82, v[38:39]
.LBB247_31:                             ;   in Loop: Header=BB247_23 Depth=1
	s_or_b64 exec, exec, s[16:17]
	s_nor_b64 s[18:19], s[2:3], s[6:7]
	v_mov_b32_e32 v83, 0
	v_lshl_add_u64 v[38:39], v[30:31], 0, v[28:29]
	v_mov_b32_e32 v84, 0
	s_and_saveexec_b64 s[16:17], s[18:19]
	s_cbranch_execz .LBB247_33
; %bb.32:                               ;   in Loop: Header=BB247_23 Depth=1
	flat_load_ushort v84, v[38:39]
.LBB247_33:                             ;   in Loop: Header=BB247_23 Depth=1
	s_or_b64 exec, exec, s[16:17]
	s_nor_b64 s[16:17], s[4:5], s[6:7]
	s_and_saveexec_b64 s[6:7], s[16:17]
	s_cbranch_execz .LBB247_22
; %bb.34:                               ;   in Loop: Header=BB247_23 Depth=1
	flat_load_ushort v83, v[38:39] offset:128
	s_branch .LBB247_22
.LBB247_35:
	s_load_dwordx2 s[2:3], s[0:1], 0x70
	s_load_dword s33, s[0:1], 0x50
	s_load_dword s31, s[0:1], 0x68
	v_add_u32_e32 v8, 0x800, v42
	ds_read2_b64 v[0:3], v8 offset0:112 offset1:120
	ds_read2_b64 v[4:7], v41 offset0:192 offset1:224
	;; [unrolled: 1-line block ×6, first 2 shown]
	s_waitcnt lgkmcnt(0)
	s_lshl_b64 s[0:1], s[2:3], 1
	s_add_u32 s22, s10, s0
	v_add_u32_e32 v69, s30, v40
	s_addc_u32 s23, s11, s1
	v_mad_i64_i32 v[26:27], s[0:1], v69, s33, 0
	v_add_u32_e32 v24, s29, v25
	v_lshl_add_u64 v[42:43], v[26:27], 1, s[24:25]
	v_mad_i64_i32 v[26:27], s[0:1], v69, s31, 0
	v_cmp_gt_i32_e64 s[18:19], s21, v69
	v_lshl_add_u64 v[40:41], v[26:27], 1, s[22:23]
	v_cmp_gt_i32_e64 s[2:3], s20, v24
	v_cndmask_b32_e64 v26, 0, 1, s[8:9]
	s_and_b64 s[4:5], s[2:3], s[18:19]
	v_ashrrev_i32_e32 v25, 31, v24
	v_cmp_ne_u32_e64 s[0:1], 1, v26
	s_and_saveexec_b64 s[6:7], s[4:5]
	s_xor_b64 s[4:5], exec, s[6:7]
	s_cbranch_execz .LBB247_40
; %bb.36:
	s_and_b64 vcc, exec, s[0:1]
	s_cbranch_vccnz .LBB247_38
; %bb.37:
	v_lshl_add_u64 v[26:27], v[24:25], 1, v[42:43]
	flat_load_ushort v26, v[26:27]
	s_waitcnt vmcnt(0) lgkmcnt(0)
	v_mul_f16_e32 v26, s28, v26
	s_branch .LBB247_39
.LBB247_38:
	v_mov_b32_e32 v26, 0
.LBB247_39:
	v_pk_max_f16 v27, v20, v20
	v_pk_max_f16 v28, v16, v16
	v_pk_max_f16 v29, v17, v17
	v_pk_min_f16 v27, v28, v27
	v_pk_max_f16 v28, v21, v21
	v_pk_add_f16 v27, v76, v27
	v_pk_min_f16 v28, v29, v28
	s_nop 0
	v_pk_add_f16 v27, v27, v28
	s_nop 0
	v_add_f16_sdwa v27, v27, v27 dst_sel:DWORD dst_unused:UNUSED_PAD src0_sel:DWORD src1_sel:WORD_1
	v_add_f16_e32 v28, v27, v26
	v_lshl_add_u64 v[26:27], v[24:25], 1, v[40:41]
	flat_store_short v[26:27], v28
.LBB247_40:
	s_or_b64 exec, exec, s[4:5]
	v_add_u32_e32 v26, 8, v24
	v_cmp_gt_i32_e64 s[4:5], s20, v26
	s_and_b64 s[8:9], s[4:5], s[18:19]
	v_ashrrev_i32_e32 v27, 31, v26
	s_and_saveexec_b64 s[6:7], s[8:9]
	s_cbranch_execz .LBB247_45
; %bb.41:
	s_and_b64 vcc, exec, s[0:1]
	s_cbranch_vccnz .LBB247_43
; %bb.42:
	v_lshl_add_u64 v[28:29], v[26:27], 1, v[42:43]
	flat_load_ushort v28, v[28:29]
	s_waitcnt vmcnt(0) lgkmcnt(0)
	v_mul_f16_e32 v28, s28, v28
	s_branch .LBB247_44
.LBB247_43:
	v_mov_b32_e32 v28, 0
.LBB247_44:
	v_pk_max_f16 v29, v20, v20
	v_pk_max_f16 v30, v18, v18
	v_pk_max_f16 v31, v19, v19
	v_pk_min_f16 v29, v30, v29
	v_pk_max_f16 v30, v21, v21
	v_pk_add_f16 v29, v75, v29
	v_pk_min_f16 v30, v31, v30
	s_nop 0
	v_pk_add_f16 v29, v29, v30
	s_nop 0
	v_add_f16_sdwa v29, v29, v29 dst_sel:DWORD dst_unused:UNUSED_PAD src0_sel:DWORD src1_sel:WORD_1
	v_add_f16_e32 v30, v29, v28
	v_lshl_add_u64 v[28:29], v[26:27], 1, v[40:41]
	flat_store_short v[28:29], v30
.LBB247_45:
	s_or_b64 exec, exec, s[6:7]
	v_add_u32_e32 v28, 16, v24
	v_cmp_gt_i32_e64 s[6:7], s20, v28
	s_and_b64 s[10:11], s[6:7], s[18:19]
	v_ashrrev_i32_e32 v29, 31, v28
	s_and_saveexec_b64 s[8:9], s[10:11]
	s_cbranch_execz .LBB247_50
; %bb.46:
	s_and_b64 vcc, exec, s[0:1]
	s_cbranch_vccnz .LBB247_48
; %bb.47:
	v_lshl_add_u64 v[30:31], v[28:29], 1, v[42:43]
	flat_load_ushort v30, v[30:31]
	s_waitcnt vmcnt(0) lgkmcnt(0)
	v_mul_f16_e32 v30, s28, v30
	s_branch .LBB247_49
.LBB247_48:
	v_mov_b32_e32 v30, 0
.LBB247_49:
	v_pk_max_f16 v31, v20, v20
	v_pk_max_f16 v32, v12, v12
	v_pk_max_f16 v33, v13, v13
	v_pk_min_f16 v31, v32, v31
	v_pk_max_f16 v32, v21, v21
	v_pk_add_f16 v31, v74, v31
	v_pk_min_f16 v32, v33, v32
	s_nop 0
	v_pk_add_f16 v31, v31, v32
	s_nop 0
	v_add_f16_sdwa v31, v31, v31 dst_sel:DWORD dst_unused:UNUSED_PAD src0_sel:DWORD src1_sel:WORD_1
	v_add_f16_e32 v32, v31, v30
	v_lshl_add_u64 v[30:31], v[28:29], 1, v[40:41]
	flat_store_short v[30:31], v32
.LBB247_50:
	s_or_b64 exec, exec, s[8:9]
	v_add_u32_e32 v30, 24, v24
	v_cmp_gt_i32_e64 s[8:9], s20, v30
	s_and_b64 s[12:13], s[8:9], s[18:19]
	v_ashrrev_i32_e32 v31, 31, v30
	s_and_saveexec_b64 s[10:11], s[12:13]
	s_cbranch_execz .LBB247_55
; %bb.51:
	s_and_b64 vcc, exec, s[0:1]
	s_cbranch_vccnz .LBB247_53
; %bb.52:
	v_lshl_add_u64 v[32:33], v[30:31], 1, v[42:43]
	flat_load_ushort v32, v[32:33]
	s_waitcnt vmcnt(0) lgkmcnt(0)
	v_mul_f16_e32 v32, s28, v32
	s_branch .LBB247_54
.LBB247_53:
	v_mov_b32_e32 v32, 0
.LBB247_54:
	v_pk_max_f16 v33, v20, v20
	v_pk_max_f16 v34, v14, v14
	v_pk_max_f16 v35, v15, v15
	v_pk_min_f16 v33, v34, v33
	v_pk_max_f16 v34, v21, v21
	v_pk_add_f16 v33, v73, v33
	v_pk_min_f16 v34, v35, v34
	s_nop 0
	v_pk_add_f16 v33, v33, v34
	s_nop 0
	v_add_f16_sdwa v33, v33, v33 dst_sel:DWORD dst_unused:UNUSED_PAD src0_sel:DWORD src1_sel:WORD_1
	v_add_f16_e32 v34, v33, v32
	v_lshl_add_u64 v[32:33], v[30:31], 1, v[40:41]
	flat_store_short v[32:33], v34
.LBB247_55:
	s_or_b64 exec, exec, s[10:11]
	v_add_u32_e32 v32, 32, v24
	v_cmp_gt_i32_e64 s[10:11], s20, v32
	s_and_b64 s[14:15], s[10:11], s[18:19]
	v_ashrrev_i32_e32 v33, 31, v32
	s_and_saveexec_b64 s[12:13], s[14:15]
	s_cbranch_execz .LBB247_60
; %bb.56:
	s_and_b64 vcc, exec, s[0:1]
	s_cbranch_vccnz .LBB247_58
; %bb.57:
	v_lshl_add_u64 v[34:35], v[32:33], 1, v[42:43]
	flat_load_ushort v34, v[34:35]
	s_waitcnt vmcnt(0) lgkmcnt(0)
	v_mul_f16_e32 v34, s28, v34
	s_branch .LBB247_59
.LBB247_58:
	v_mov_b32_e32 v34, 0
.LBB247_59:
	v_pk_max_f16 v35, v20, v20
	v_pk_max_f16 v36, v8, v8
	v_pk_max_f16 v37, v9, v9
	v_pk_min_f16 v35, v36, v35
	v_pk_max_f16 v36, v21, v21
	v_pk_add_f16 v35, v72, v35
	v_pk_min_f16 v36, v37, v36
	s_nop 0
	v_pk_add_f16 v35, v35, v36
	s_nop 0
	v_add_f16_sdwa v35, v35, v35 dst_sel:DWORD dst_unused:UNUSED_PAD src0_sel:DWORD src1_sel:WORD_1
	v_add_f16_e32 v36, v35, v34
	v_lshl_add_u64 v[34:35], v[32:33], 1, v[40:41]
	flat_store_short v[34:35], v36
.LBB247_60:
	s_or_b64 exec, exec, s[12:13]
	v_add_u32_e32 v34, 40, v24
	v_cmp_gt_i32_e64 s[12:13], s20, v34
	s_and_b64 s[16:17], s[12:13], s[18:19]
	v_ashrrev_i32_e32 v35, 31, v34
	s_and_saveexec_b64 s[14:15], s[16:17]
	s_cbranch_execz .LBB247_65
; %bb.61:
	s_and_b64 vcc, exec, s[0:1]
	s_cbranch_vccnz .LBB247_63
; %bb.62:
	v_lshl_add_u64 v[36:37], v[34:35], 1, v[42:43]
	flat_load_ushort v36, v[36:37]
	s_waitcnt vmcnt(0) lgkmcnt(0)
	v_mul_f16_e32 v36, s28, v36
	s_branch .LBB247_64
.LBB247_63:
	v_mov_b32_e32 v36, 0
.LBB247_64:
	v_pk_max_f16 v37, v20, v20
	v_pk_max_f16 v38, v10, v10
	v_pk_max_f16 v39, v11, v11
	v_pk_min_f16 v37, v38, v37
	v_pk_max_f16 v38, v21, v21
	v_pk_add_f16 v37, v71, v37
	v_pk_min_f16 v38, v39, v38
	s_nop 0
	v_pk_add_f16 v37, v37, v38
	s_nop 0
	v_add_f16_sdwa v37, v37, v37 dst_sel:DWORD dst_unused:UNUSED_PAD src0_sel:DWORD src1_sel:WORD_1
	v_add_f16_e32 v38, v37, v36
	v_lshl_add_u64 v[36:37], v[34:35], 1, v[40:41]
	flat_store_short v[36:37], v38
.LBB247_65:
	s_or_b64 exec, exec, s[14:15]
	v_add_u32_e32 v36, 48, v24
	v_cmp_gt_i32_e64 s[14:15], s20, v36
	s_and_b64 s[26:27], s[14:15], s[18:19]
	v_ashrrev_i32_e32 v37, 31, v36
	s_and_saveexec_b64 s[16:17], s[26:27]
	s_cbranch_execz .LBB247_70
; %bb.66:
	s_and_b64 vcc, exec, s[0:1]
	s_cbranch_vccnz .LBB247_68
; %bb.67:
	v_lshl_add_u64 v[38:39], v[36:37], 1, v[42:43]
	flat_load_ushort v38, v[38:39]
	s_waitcnt vmcnt(0) lgkmcnt(0)
	v_mul_f16_e32 v38, s28, v38
	s_branch .LBB247_69
.LBB247_68:
	v_mov_b32_e32 v38, 0
.LBB247_69:
	v_pk_max_f16 v39, v20, v20
	v_pk_max_f16 v71, v0, v0
	s_nop 0
	v_pk_min_f16 v39, v71, v39
	v_pk_max_f16 v71, v1, v1
	v_pk_add_f16 v39, v70, v39
	v_pk_max_f16 v70, v21, v21
	s_nop 0
	v_pk_min_f16 v70, v71, v70
	s_nop 0
	v_pk_add_f16 v39, v39, v70
	s_nop 0
	v_add_f16_sdwa v39, v39, v39 dst_sel:DWORD dst_unused:UNUSED_PAD src0_sel:DWORD src1_sel:WORD_1
	v_add_f16_e32 v70, v39, v38
	v_lshl_add_u64 v[38:39], v[36:37], 1, v[40:41]
	flat_store_short v[38:39], v70
.LBB247_70:
	s_or_b64 exec, exec, s[16:17]
	v_add_u32_e32 v38, 56, v24
	v_cmp_gt_i32_e64 s[16:17], s20, v38
	s_and_b64 s[26:27], s[16:17], s[18:19]
	v_ashrrev_i32_e32 v39, 31, v38
	s_and_saveexec_b64 s[18:19], s[26:27]
	s_cbranch_execz .LBB247_75
; %bb.71:
	s_and_b64 vcc, exec, s[0:1]
	s_cbranch_vccnz .LBB247_73
; %bb.72:
	v_lshl_add_u64 v[42:43], v[38:39], 1, v[42:43]
	flat_load_ushort v42, v[42:43]
	s_waitcnt vmcnt(0) lgkmcnt(0)
	v_mul_f16_e32 v42, s28, v42
	s_branch .LBB247_74
.LBB247_73:
	v_mov_b32_e32 v42, 0
.LBB247_74:
	v_pk_max_f16 v20, v20, v20
	v_pk_max_f16 v43, v2, v2
	;; [unrolled: 1-line block ×3, first 2 shown]
	v_pk_min_f16 v20, v43, v20
	v_pk_max_f16 v43, v3, v3
	v_pk_add_f16 v20, v68, v20
	v_pk_min_f16 v21, v43, v21
	s_nop 0
	v_pk_add_f16 v20, v20, v21
	s_nop 0
	v_add_f16_sdwa v20, v20, v20 dst_sel:DWORD dst_unused:UNUSED_PAD src0_sel:DWORD src1_sel:WORD_1
	v_add_f16_e32 v42, v20, v42
	v_lshl_add_u64 v[20:21], v[38:39], 1, v[40:41]
	flat_store_short v[20:21], v42
.LBB247_75:
	s_or_b64 exec, exec, s[18:19]
	v_add_u32_e32 v42, 32, v69
	v_mad_i64_i32 v[20:21], s[26:27], v42, s33, 0
	v_cmp_gt_i32_e64 s[18:19], s21, v42
	v_lshl_add_u64 v[40:41], v[20:21], 1, s[24:25]
	v_mad_i64_i32 v[20:21], s[26:27], v42, s31, 0
	v_lshl_add_u64 v[20:21], v[20:21], 1, s[22:23]
	s_and_b64 s[34:35], s[2:3], s[18:19]
	s_and_saveexec_b64 s[26:27], s[34:35]
	s_cbranch_execnz .LBB247_83
; %bb.76:
	s_or_b64 exec, exec, s[26:27]
	s_and_b64 s[34:35], s[4:5], s[18:19]
	s_and_saveexec_b64 s[26:27], s[34:35]
	s_cbranch_execnz .LBB247_87
.LBB247_77:
	s_or_b64 exec, exec, s[26:27]
	s_and_b64 s[34:35], s[6:7], s[18:19]
	s_and_saveexec_b64 s[26:27], s[34:35]
	s_cbranch_execnz .LBB247_91
.LBB247_78:
	s_or_b64 exec, exec, s[26:27]
	s_and_b64 s[34:35], s[8:9], s[18:19]
	s_and_saveexec_b64 s[26:27], s[34:35]
	s_cbranch_execnz .LBB247_95
.LBB247_79:
	s_or_b64 exec, exec, s[26:27]
	s_and_b64 s[34:35], s[10:11], s[18:19]
	s_and_saveexec_b64 s[26:27], s[34:35]
	s_cbranch_execnz .LBB247_99
.LBB247_80:
	s_or_b64 exec, exec, s[26:27]
	s_and_b64 s[34:35], s[12:13], s[18:19]
	s_and_saveexec_b64 s[26:27], s[34:35]
	s_cbranch_execnz .LBB247_103
.LBB247_81:
	s_or_b64 exec, exec, s[26:27]
	s_and_b64 s[34:35], s[14:15], s[18:19]
	s_and_saveexec_b64 s[26:27], s[34:35]
	s_cbranch_execnz .LBB247_107
.LBB247_82:
	s_or_b64 exec, exec, s[26:27]
	s_and_b64 s[26:27], s[16:17], s[18:19]
	s_and_saveexec_b64 s[18:19], s[26:27]
	s_cbranch_execnz .LBB247_111
	s_branch .LBB247_115
.LBB247_83:
	s_and_b64 vcc, exec, s[0:1]
	s_cbranch_vccnz .LBB247_85
; %bb.84:
	v_lshl_add_u64 v[42:43], v[24:25], 1, v[40:41]
	flat_load_ushort v42, v[42:43]
	s_waitcnt vmcnt(0) lgkmcnt(0)
	v_mul_f16_e32 v42, s28, v42
	s_branch .LBB247_86
.LBB247_85:
	v_mov_b32_e32 v42, 0
.LBB247_86:
	v_pk_max_f16 v43, v22, v22
	v_pk_max_f16 v68, v16, v16
	s_nop 0
	v_pk_min_f16 v43, v68, v43
	v_pk_max_f16 v68, v17, v17
	v_pk_add_f16 v43, v67, v43
	v_pk_max_f16 v67, v23, v23
	s_nop 0
	v_pk_min_f16 v67, v68, v67
	s_nop 0
	v_pk_add_f16 v43, v43, v67
	s_nop 0
	v_add_f16_sdwa v43, v43, v43 dst_sel:DWORD dst_unused:UNUSED_PAD src0_sel:DWORD src1_sel:WORD_1
	v_add_f16_e32 v67, v43, v42
	v_lshl_add_u64 v[42:43], v[24:25], 1, v[20:21]
	flat_store_short v[42:43], v67
	s_or_b64 exec, exec, s[26:27]
	s_and_b64 s[34:35], s[4:5], s[18:19]
	s_and_saveexec_b64 s[26:27], s[34:35]
	s_cbranch_execz .LBB247_77
.LBB247_87:
	s_and_b64 vcc, exec, s[0:1]
	s_cbranch_vccnz .LBB247_89
; %bb.88:
	v_lshl_add_u64 v[42:43], v[26:27], 1, v[40:41]
	flat_load_ushort v42, v[42:43]
	s_waitcnt vmcnt(0) lgkmcnt(0)
	v_mul_f16_e32 v42, s28, v42
	s_branch .LBB247_90
.LBB247_89:
	v_mov_b32_e32 v42, 0
.LBB247_90:
	v_pk_max_f16 v43, v22, v22
	v_pk_max_f16 v67, v18, v18
	s_nop 0
	v_pk_min_f16 v43, v67, v43
	v_pk_max_f16 v67, v19, v19
	v_pk_add_f16 v43, v66, v43
	v_pk_max_f16 v66, v23, v23
	s_nop 0
	v_pk_min_f16 v66, v67, v66
	s_nop 0
	v_pk_add_f16 v43, v43, v66
	s_nop 0
	v_add_f16_sdwa v43, v43, v43 dst_sel:DWORD dst_unused:UNUSED_PAD src0_sel:DWORD src1_sel:WORD_1
	v_add_f16_e32 v66, v43, v42
	v_lshl_add_u64 v[42:43], v[26:27], 1, v[20:21]
	flat_store_short v[42:43], v66
	s_or_b64 exec, exec, s[26:27]
	s_and_b64 s[34:35], s[6:7], s[18:19]
	s_and_saveexec_b64 s[26:27], s[34:35]
	s_cbranch_execz .LBB247_78
.LBB247_91:
	s_and_b64 vcc, exec, s[0:1]
	s_cbranch_vccnz .LBB247_93
; %bb.92:
	v_lshl_add_u64 v[42:43], v[28:29], 1, v[40:41]
	flat_load_ushort v42, v[42:43]
	s_waitcnt vmcnt(0) lgkmcnt(0)
	v_mul_f16_e32 v42, s28, v42
	s_branch .LBB247_94
.LBB247_93:
	v_mov_b32_e32 v42, 0
.LBB247_94:
	v_pk_max_f16 v43, v22, v22
	v_pk_max_f16 v66, v12, v12
	s_nop 0
	v_pk_min_f16 v43, v66, v43
	v_pk_max_f16 v66, v13, v13
	v_pk_add_f16 v43, v65, v43
	v_pk_max_f16 v65, v23, v23
	s_nop 0
	v_pk_min_f16 v65, v66, v65
	s_nop 0
	v_pk_add_f16 v43, v43, v65
	s_nop 0
	v_add_f16_sdwa v43, v43, v43 dst_sel:DWORD dst_unused:UNUSED_PAD src0_sel:DWORD src1_sel:WORD_1
	v_add_f16_e32 v65, v43, v42
	v_lshl_add_u64 v[42:43], v[28:29], 1, v[20:21]
	flat_store_short v[42:43], v65
	s_or_b64 exec, exec, s[26:27]
	s_and_b64 s[34:35], s[8:9], s[18:19]
	s_and_saveexec_b64 s[26:27], s[34:35]
	s_cbranch_execz .LBB247_79
.LBB247_95:
	s_and_b64 vcc, exec, s[0:1]
	s_cbranch_vccnz .LBB247_97
; %bb.96:
	v_lshl_add_u64 v[42:43], v[30:31], 1, v[40:41]
	flat_load_ushort v42, v[42:43]
	s_waitcnt vmcnt(0) lgkmcnt(0)
	v_mul_f16_e32 v42, s28, v42
	s_branch .LBB247_98
.LBB247_97:
	v_mov_b32_e32 v42, 0
.LBB247_98:
	v_pk_max_f16 v43, v22, v22
	v_pk_max_f16 v65, v14, v14
	s_nop 0
	v_pk_min_f16 v43, v65, v43
	v_pk_max_f16 v65, v15, v15
	v_pk_add_f16 v43, v64, v43
	v_pk_max_f16 v64, v23, v23
	s_nop 0
	v_pk_min_f16 v64, v65, v64
	s_nop 0
	v_pk_add_f16 v43, v43, v64
	s_nop 0
	v_add_f16_sdwa v43, v43, v43 dst_sel:DWORD dst_unused:UNUSED_PAD src0_sel:DWORD src1_sel:WORD_1
	v_add_f16_e32 v64, v43, v42
	v_lshl_add_u64 v[42:43], v[30:31], 1, v[20:21]
	flat_store_short v[42:43], v64
	s_or_b64 exec, exec, s[26:27]
	s_and_b64 s[34:35], s[10:11], s[18:19]
	s_and_saveexec_b64 s[26:27], s[34:35]
	s_cbranch_execz .LBB247_80
.LBB247_99:
	s_and_b64 vcc, exec, s[0:1]
	s_cbranch_vccnz .LBB247_101
; %bb.100:
	v_lshl_add_u64 v[42:43], v[32:33], 1, v[40:41]
	flat_load_ushort v42, v[42:43]
	s_waitcnt vmcnt(0) lgkmcnt(0)
	v_mul_f16_e32 v42, s28, v42
	s_branch .LBB247_102
.LBB247_101:
	v_mov_b32_e32 v42, 0
.LBB247_102:
	v_pk_max_f16 v43, v22, v22
	v_pk_max_f16 v64, v8, v8
	s_nop 0
	v_pk_min_f16 v43, v64, v43
	v_pk_max_f16 v64, v9, v9
	v_pk_add_f16 v43, v63, v43
	v_pk_max_f16 v63, v23, v23
	s_nop 0
	v_pk_min_f16 v63, v64, v63
	s_nop 0
	v_pk_add_f16 v43, v43, v63
	s_nop 0
	v_add_f16_sdwa v43, v43, v43 dst_sel:DWORD dst_unused:UNUSED_PAD src0_sel:DWORD src1_sel:WORD_1
	v_add_f16_e32 v63, v43, v42
	v_lshl_add_u64 v[42:43], v[32:33], 1, v[20:21]
	flat_store_short v[42:43], v63
	s_or_b64 exec, exec, s[26:27]
	s_and_b64 s[34:35], s[12:13], s[18:19]
	s_and_saveexec_b64 s[26:27], s[34:35]
	s_cbranch_execz .LBB247_81
.LBB247_103:
	s_and_b64 vcc, exec, s[0:1]
	s_cbranch_vccnz .LBB247_105
; %bb.104:
	v_lshl_add_u64 v[42:43], v[34:35], 1, v[40:41]
	flat_load_ushort v42, v[42:43]
	s_waitcnt vmcnt(0) lgkmcnt(0)
	v_mul_f16_e32 v42, s28, v42
	s_branch .LBB247_106
.LBB247_105:
	v_mov_b32_e32 v42, 0
.LBB247_106:
	v_pk_max_f16 v43, v22, v22
	v_pk_max_f16 v63, v10, v10
	s_nop 0
	v_pk_min_f16 v43, v63, v43
	v_pk_max_f16 v63, v11, v11
	v_pk_add_f16 v43, v62, v43
	v_pk_max_f16 v62, v23, v23
	s_nop 0
	v_pk_min_f16 v62, v63, v62
	s_nop 0
	v_pk_add_f16 v43, v43, v62
	s_nop 0
	v_add_f16_sdwa v43, v43, v43 dst_sel:DWORD dst_unused:UNUSED_PAD src0_sel:DWORD src1_sel:WORD_1
	v_add_f16_e32 v62, v43, v42
	v_lshl_add_u64 v[42:43], v[34:35], 1, v[20:21]
	flat_store_short v[42:43], v62
	s_or_b64 exec, exec, s[26:27]
	s_and_b64 s[34:35], s[14:15], s[18:19]
	s_and_saveexec_b64 s[26:27], s[34:35]
	s_cbranch_execz .LBB247_82
.LBB247_107:
	s_and_b64 vcc, exec, s[0:1]
	s_cbranch_vccnz .LBB247_109
; %bb.108:
	v_lshl_add_u64 v[42:43], v[36:37], 1, v[40:41]
	flat_load_ushort v42, v[42:43]
	s_waitcnt vmcnt(0) lgkmcnt(0)
	v_mul_f16_e32 v42, s28, v42
	s_branch .LBB247_110
.LBB247_109:
	v_mov_b32_e32 v42, 0
.LBB247_110:
	v_pk_max_f16 v43, v22, v22
	v_pk_max_f16 v62, v0, v0
	s_nop 0
	v_pk_min_f16 v43, v62, v43
	v_pk_max_f16 v62, v1, v1
	v_pk_add_f16 v43, v61, v43
	v_pk_max_f16 v61, v23, v23
	s_nop 0
	v_pk_min_f16 v61, v62, v61
	s_nop 0
	v_pk_add_f16 v43, v43, v61
	s_nop 0
	v_add_f16_sdwa v43, v43, v43 dst_sel:DWORD dst_unused:UNUSED_PAD src0_sel:DWORD src1_sel:WORD_1
	v_add_f16_e32 v61, v43, v42
	v_lshl_add_u64 v[42:43], v[36:37], 1, v[20:21]
	flat_store_short v[42:43], v61
	s_or_b64 exec, exec, s[26:27]
	s_and_b64 s[26:27], s[16:17], s[18:19]
	s_and_saveexec_b64 s[18:19], s[26:27]
	s_cbranch_execz .LBB247_115
.LBB247_111:
	s_and_b64 vcc, exec, s[0:1]
	s_cbranch_vccnz .LBB247_113
; %bb.112:
	v_lshl_add_u64 v[40:41], v[38:39], 1, v[40:41]
	flat_load_ushort v40, v[40:41]
	s_waitcnt vmcnt(0) lgkmcnt(0)
	v_mul_f16_e32 v40, s28, v40
	s_branch .LBB247_114
.LBB247_113:
	v_mov_b32_e32 v40, 0
.LBB247_114:
	v_pk_max_f16 v22, v22, v22
	v_pk_max_f16 v41, v2, v2
	;; [unrolled: 1-line block ×3, first 2 shown]
	v_pk_min_f16 v22, v41, v22
	v_pk_max_f16 v41, v3, v3
	v_pk_add_f16 v22, v60, v22
	v_pk_min_f16 v23, v41, v23
	v_lshl_add_u64 v[20:21], v[38:39], 1, v[20:21]
	v_pk_add_f16 v22, v22, v23
	s_nop 0
	v_add_f16_sdwa v22, v22, v22 dst_sel:DWORD dst_unused:UNUSED_PAD src0_sel:DWORD src1_sel:WORD_1
	v_add_f16_e32 v22, v22, v40
	flat_store_short v[20:21], v22
.LBB247_115:
	s_or_b64 exec, exec, s[18:19]
	v_add_u32_e32 v40, 64, v69
	v_mad_i64_i32 v[20:21], s[26:27], v40, s33, 0
	v_cmp_gt_i32_e64 s[18:19], s21, v40
	v_lshl_add_u64 v[22:23], v[20:21], 1, s[24:25]
	v_mad_i64_i32 v[20:21], s[26:27], v40, s31, 0
	v_lshl_add_u64 v[20:21], v[20:21], 1, s[22:23]
	s_and_b64 s[34:35], s[2:3], s[18:19]
	s_and_saveexec_b64 s[26:27], s[34:35]
	s_cbranch_execnz .LBB247_123
; %bb.116:
	s_or_b64 exec, exec, s[26:27]
	s_and_b64 s[34:35], s[4:5], s[18:19]
	s_and_saveexec_b64 s[26:27], s[34:35]
	s_cbranch_execnz .LBB247_127
.LBB247_117:
	s_or_b64 exec, exec, s[26:27]
	s_and_b64 s[34:35], s[6:7], s[18:19]
	s_and_saveexec_b64 s[26:27], s[34:35]
	s_cbranch_execnz .LBB247_131
.LBB247_118:
	s_or_b64 exec, exec, s[26:27]
	s_and_b64 s[34:35], s[8:9], s[18:19]
	s_and_saveexec_b64 s[26:27], s[34:35]
	s_cbranch_execnz .LBB247_135
.LBB247_119:
	s_or_b64 exec, exec, s[26:27]
	s_and_b64 s[34:35], s[10:11], s[18:19]
	s_and_saveexec_b64 s[26:27], s[34:35]
	s_cbranch_execnz .LBB247_139
.LBB247_120:
	s_or_b64 exec, exec, s[26:27]
	s_and_b64 s[34:35], s[12:13], s[18:19]
	s_and_saveexec_b64 s[26:27], s[34:35]
	s_cbranch_execnz .LBB247_143
.LBB247_121:
	s_or_b64 exec, exec, s[26:27]
	s_and_b64 s[34:35], s[14:15], s[18:19]
	s_and_saveexec_b64 s[26:27], s[34:35]
	s_cbranch_execnz .LBB247_147
.LBB247_122:
	s_or_b64 exec, exec, s[26:27]
	s_and_b64 s[26:27], s[16:17], s[18:19]
	s_and_saveexec_b64 s[18:19], s[26:27]
	s_cbranch_execnz .LBB247_151
	s_branch .LBB247_155
.LBB247_123:
	s_and_b64 vcc, exec, s[0:1]
	s_cbranch_vccnz .LBB247_125
; %bb.124:
	v_lshl_add_u64 v[40:41], v[24:25], 1, v[22:23]
	flat_load_ushort v40, v[40:41]
	s_waitcnt vmcnt(0) lgkmcnt(0)
	v_mul_f16_e32 v40, s28, v40
	s_branch .LBB247_126
.LBB247_125:
	v_mov_b32_e32 v40, 0
.LBB247_126:
	v_pk_max_f16 v41, v4, v4
	v_pk_max_f16 v42, v16, v16
	;; [unrolled: 1-line block ×3, first 2 shown]
	v_pk_min_f16 v41, v42, v41
	v_pk_max_f16 v42, v5, v5
	v_pk_add_f16 v41, v59, v41
	v_pk_min_f16 v42, v43, v42
	s_nop 0
	v_pk_add_f16 v41, v41, v42
	s_nop 0
	v_add_f16_sdwa v41, v41, v41 dst_sel:DWORD dst_unused:UNUSED_PAD src0_sel:DWORD src1_sel:WORD_1
	v_add_f16_e32 v42, v41, v40
	v_lshl_add_u64 v[40:41], v[24:25], 1, v[20:21]
	flat_store_short v[40:41], v42
	s_or_b64 exec, exec, s[26:27]
	s_and_b64 s[34:35], s[4:5], s[18:19]
	s_and_saveexec_b64 s[26:27], s[34:35]
	s_cbranch_execz .LBB247_117
.LBB247_127:
	s_and_b64 vcc, exec, s[0:1]
	s_cbranch_vccnz .LBB247_129
; %bb.128:
	v_lshl_add_u64 v[40:41], v[26:27], 1, v[22:23]
	flat_load_ushort v40, v[40:41]
	s_waitcnt vmcnt(0) lgkmcnt(0)
	v_mul_f16_e32 v40, s28, v40
	s_branch .LBB247_130
.LBB247_129:
	v_mov_b32_e32 v40, 0
.LBB247_130:
	v_pk_max_f16 v41, v4, v4
	v_pk_max_f16 v42, v18, v18
	;; [unrolled: 1-line block ×3, first 2 shown]
	v_pk_min_f16 v41, v42, v41
	v_pk_max_f16 v42, v5, v5
	v_pk_add_f16 v41, v58, v41
	v_pk_min_f16 v42, v43, v42
	s_nop 0
	v_pk_add_f16 v41, v41, v42
	s_nop 0
	v_add_f16_sdwa v41, v41, v41 dst_sel:DWORD dst_unused:UNUSED_PAD src0_sel:DWORD src1_sel:WORD_1
	v_add_f16_e32 v42, v41, v40
	v_lshl_add_u64 v[40:41], v[26:27], 1, v[20:21]
	flat_store_short v[40:41], v42
	s_or_b64 exec, exec, s[26:27]
	s_and_b64 s[34:35], s[6:7], s[18:19]
	s_and_saveexec_b64 s[26:27], s[34:35]
	s_cbranch_execz .LBB247_118
.LBB247_131:
	s_and_b64 vcc, exec, s[0:1]
	s_cbranch_vccnz .LBB247_133
; %bb.132:
	v_lshl_add_u64 v[40:41], v[28:29], 1, v[22:23]
	flat_load_ushort v40, v[40:41]
	s_waitcnt vmcnt(0) lgkmcnt(0)
	v_mul_f16_e32 v40, s28, v40
	s_branch .LBB247_134
.LBB247_133:
	v_mov_b32_e32 v40, 0
.LBB247_134:
	v_pk_max_f16 v41, v4, v4
	v_pk_max_f16 v42, v12, v12
	;; [unrolled: 1-line block ×3, first 2 shown]
	v_pk_min_f16 v41, v42, v41
	v_pk_max_f16 v42, v5, v5
	v_pk_add_f16 v41, v57, v41
	v_pk_min_f16 v42, v43, v42
	s_nop 0
	v_pk_add_f16 v41, v41, v42
	s_nop 0
	v_add_f16_sdwa v41, v41, v41 dst_sel:DWORD dst_unused:UNUSED_PAD src0_sel:DWORD src1_sel:WORD_1
	v_add_f16_e32 v42, v41, v40
	v_lshl_add_u64 v[40:41], v[28:29], 1, v[20:21]
	flat_store_short v[40:41], v42
	s_or_b64 exec, exec, s[26:27]
	s_and_b64 s[34:35], s[8:9], s[18:19]
	s_and_saveexec_b64 s[26:27], s[34:35]
	s_cbranch_execz .LBB247_119
.LBB247_135:
	s_and_b64 vcc, exec, s[0:1]
	s_cbranch_vccnz .LBB247_137
; %bb.136:
	v_lshl_add_u64 v[40:41], v[30:31], 1, v[22:23]
	flat_load_ushort v40, v[40:41]
	s_waitcnt vmcnt(0) lgkmcnt(0)
	v_mul_f16_e32 v40, s28, v40
	s_branch .LBB247_138
.LBB247_137:
	v_mov_b32_e32 v40, 0
.LBB247_138:
	v_pk_max_f16 v41, v4, v4
	v_pk_max_f16 v42, v14, v14
	v_pk_max_f16 v43, v15, v15
	v_pk_min_f16 v41, v42, v41
	v_pk_max_f16 v42, v5, v5
	v_pk_add_f16 v41, v56, v41
	v_pk_min_f16 v42, v43, v42
	s_nop 0
	v_pk_add_f16 v41, v41, v42
	s_nop 0
	v_add_f16_sdwa v41, v41, v41 dst_sel:DWORD dst_unused:UNUSED_PAD src0_sel:DWORD src1_sel:WORD_1
	v_add_f16_e32 v42, v41, v40
	v_lshl_add_u64 v[40:41], v[30:31], 1, v[20:21]
	flat_store_short v[40:41], v42
	s_or_b64 exec, exec, s[26:27]
	s_and_b64 s[34:35], s[10:11], s[18:19]
	s_and_saveexec_b64 s[26:27], s[34:35]
	s_cbranch_execz .LBB247_120
.LBB247_139:
	s_and_b64 vcc, exec, s[0:1]
	s_cbranch_vccnz .LBB247_141
; %bb.140:
	v_lshl_add_u64 v[40:41], v[32:33], 1, v[22:23]
	flat_load_ushort v40, v[40:41]
	s_waitcnt vmcnt(0) lgkmcnt(0)
	v_mul_f16_e32 v40, s28, v40
	s_branch .LBB247_142
.LBB247_141:
	v_mov_b32_e32 v40, 0
.LBB247_142:
	v_pk_max_f16 v41, v4, v4
	v_pk_max_f16 v42, v8, v8
	;; [unrolled: 1-line block ×3, first 2 shown]
	v_pk_min_f16 v41, v42, v41
	v_pk_max_f16 v42, v5, v5
	v_pk_add_f16 v41, v55, v41
	v_pk_min_f16 v42, v43, v42
	s_nop 0
	v_pk_add_f16 v41, v41, v42
	s_nop 0
	v_add_f16_sdwa v41, v41, v41 dst_sel:DWORD dst_unused:UNUSED_PAD src0_sel:DWORD src1_sel:WORD_1
	v_add_f16_e32 v42, v41, v40
	v_lshl_add_u64 v[40:41], v[32:33], 1, v[20:21]
	flat_store_short v[40:41], v42
	s_or_b64 exec, exec, s[26:27]
	s_and_b64 s[34:35], s[12:13], s[18:19]
	s_and_saveexec_b64 s[26:27], s[34:35]
	s_cbranch_execz .LBB247_121
.LBB247_143:
	s_and_b64 vcc, exec, s[0:1]
	s_cbranch_vccnz .LBB247_145
; %bb.144:
	v_lshl_add_u64 v[40:41], v[34:35], 1, v[22:23]
	flat_load_ushort v40, v[40:41]
	s_waitcnt vmcnt(0) lgkmcnt(0)
	v_mul_f16_e32 v40, s28, v40
	s_branch .LBB247_146
.LBB247_145:
	v_mov_b32_e32 v40, 0
.LBB247_146:
	v_pk_max_f16 v41, v4, v4
	v_pk_max_f16 v42, v10, v10
	;; [unrolled: 1-line block ×3, first 2 shown]
	v_pk_min_f16 v41, v42, v41
	v_pk_max_f16 v42, v5, v5
	v_pk_add_f16 v41, v54, v41
	v_pk_min_f16 v42, v43, v42
	s_nop 0
	v_pk_add_f16 v41, v41, v42
	s_nop 0
	v_add_f16_sdwa v41, v41, v41 dst_sel:DWORD dst_unused:UNUSED_PAD src0_sel:DWORD src1_sel:WORD_1
	v_add_f16_e32 v42, v41, v40
	v_lshl_add_u64 v[40:41], v[34:35], 1, v[20:21]
	flat_store_short v[40:41], v42
	s_or_b64 exec, exec, s[26:27]
	s_and_b64 s[34:35], s[14:15], s[18:19]
	s_and_saveexec_b64 s[26:27], s[34:35]
	s_cbranch_execz .LBB247_122
.LBB247_147:
	s_and_b64 vcc, exec, s[0:1]
	s_cbranch_vccnz .LBB247_149
; %bb.148:
	v_lshl_add_u64 v[40:41], v[36:37], 1, v[22:23]
	flat_load_ushort v40, v[40:41]
	s_waitcnt vmcnt(0) lgkmcnt(0)
	v_mul_f16_e32 v40, s28, v40
	s_branch .LBB247_150
.LBB247_149:
	v_mov_b32_e32 v40, 0
.LBB247_150:
	v_pk_max_f16 v41, v4, v4
	v_pk_max_f16 v42, v0, v0
	v_pk_max_f16 v43, v1, v1
	v_pk_min_f16 v41, v42, v41
	v_pk_max_f16 v42, v5, v5
	v_pk_add_f16 v41, v53, v41
	v_pk_min_f16 v42, v43, v42
	s_nop 0
	v_pk_add_f16 v41, v41, v42
	s_nop 0
	v_add_f16_sdwa v41, v41, v41 dst_sel:DWORD dst_unused:UNUSED_PAD src0_sel:DWORD src1_sel:WORD_1
	v_add_f16_e32 v42, v41, v40
	v_lshl_add_u64 v[40:41], v[36:37], 1, v[20:21]
	flat_store_short v[40:41], v42
	s_or_b64 exec, exec, s[26:27]
	s_and_b64 s[26:27], s[16:17], s[18:19]
	s_and_saveexec_b64 s[18:19], s[26:27]
	s_cbranch_execz .LBB247_155
.LBB247_151:
	s_and_b64 vcc, exec, s[0:1]
	s_cbranch_vccnz .LBB247_153
; %bb.152:
	v_lshl_add_u64 v[22:23], v[38:39], 1, v[22:23]
	flat_load_ushort v22, v[22:23]
	s_waitcnt vmcnt(0) lgkmcnt(0)
	v_mul_f16_e32 v22, s28, v22
	s_branch .LBB247_154
.LBB247_153:
	v_mov_b32_e32 v22, 0
.LBB247_154:
	v_pk_max_f16 v4, v4, v4
	v_pk_max_f16 v23, v2, v2
	v_pk_max_f16 v5, v5, v5
	v_pk_min_f16 v4, v23, v4
	v_pk_max_f16 v23, v3, v3
	v_pk_add_f16 v4, v52, v4
	v_pk_min_f16 v5, v23, v5
	s_nop 0
	v_pk_add_f16 v4, v4, v5
	s_nop 0
	v_add_f16_sdwa v4, v4, v4 dst_sel:DWORD dst_unused:UNUSED_PAD src0_sel:DWORD src1_sel:WORD_1
	v_add_f16_e32 v22, v4, v22
	v_lshl_add_u64 v[4:5], v[38:39], 1, v[20:21]
	flat_store_short v[4:5], v22
.LBB247_155:
	s_or_b64 exec, exec, s[18:19]
	v_add_u32_e32 v22, 0x60, v69
	v_cmp_gt_i32_e64 s[18:19], s21, v22
	v_mad_i64_i32 v[4:5], s[20:21], v22, s33, 0
	v_lshl_add_u64 v[20:21], v[4:5], 1, s[24:25]
	v_mad_i64_i32 v[4:5], s[20:21], v22, s31, 0
	v_lshl_add_u64 v[4:5], v[4:5], 1, s[22:23]
	s_and_b64 s[20:21], s[2:3], s[18:19]
	s_and_saveexec_b64 s[2:3], s[20:21]
	s_cbranch_execnz .LBB247_164
; %bb.156:
	s_or_b64 exec, exec, s[2:3]
	s_and_b64 s[4:5], s[4:5], s[18:19]
	s_and_saveexec_b64 s[2:3], s[4:5]
	s_cbranch_execnz .LBB247_168
.LBB247_157:
	s_or_b64 exec, exec, s[2:3]
	s_and_b64 s[4:5], s[6:7], s[18:19]
	s_and_saveexec_b64 s[2:3], s[4:5]
	s_cbranch_execnz .LBB247_172
.LBB247_158:
	s_or_b64 exec, exec, s[2:3]
	s_and_b64 s[4:5], s[8:9], s[18:19]
	s_and_saveexec_b64 s[2:3], s[4:5]
	s_cbranch_execnz .LBB247_176
.LBB247_159:
	s_or_b64 exec, exec, s[2:3]
	s_and_b64 s[4:5], s[10:11], s[18:19]
	s_and_saveexec_b64 s[2:3], s[4:5]
	s_cbranch_execnz .LBB247_180
.LBB247_160:
	s_or_b64 exec, exec, s[2:3]
	s_and_b64 s[4:5], s[12:13], s[18:19]
	s_and_saveexec_b64 s[2:3], s[4:5]
	s_cbranch_execnz .LBB247_184
.LBB247_161:
	s_or_b64 exec, exec, s[2:3]
	s_and_b64 s[4:5], s[14:15], s[18:19]
	s_and_saveexec_b64 s[2:3], s[4:5]
	s_cbranch_execnz .LBB247_188
.LBB247_162:
	s_or_b64 exec, exec, s[2:3]
	s_and_b64 s[2:3], s[16:17], s[18:19]
	s_and_saveexec_b64 s[4:5], s[2:3]
	s_cbranch_execnz .LBB247_192
.LBB247_163:
	s_endpgm
.LBB247_164:
	s_and_b64 vcc, exec, s[0:1]
	s_cbranch_vccnz .LBB247_166
; %bb.165:
	v_lshl_add_u64 v[22:23], v[24:25], 1, v[20:21]
	flat_load_ushort v22, v[22:23]
	s_waitcnt vmcnt(0) lgkmcnt(0)
	v_mul_f16_e32 v22, s28, v22
	s_branch .LBB247_167
.LBB247_166:
	v_mov_b32_e32 v22, 0
.LBB247_167:
	v_pk_max_f16 v23, v6, v6
	v_pk_max_f16 v16, v16, v16
	;; [unrolled: 1-line block ×3, first 2 shown]
	v_pk_min_f16 v16, v16, v23
	v_pk_max_f16 v23, v7, v7
	v_pk_add_f16 v16, v51, v16
	v_pk_min_f16 v17, v17, v23
	s_nop 0
	v_pk_add_f16 v16, v16, v17
	s_nop 0
	v_add_f16_sdwa v16, v16, v16 dst_sel:DWORD dst_unused:UNUSED_PAD src0_sel:DWORD src1_sel:WORD_1
	v_add_f16_e32 v22, v16, v22
	v_lshl_add_u64 v[16:17], v[24:25], 1, v[4:5]
	flat_store_short v[16:17], v22
	s_or_b64 exec, exec, s[2:3]
	s_and_b64 s[4:5], s[4:5], s[18:19]
	s_and_saveexec_b64 s[2:3], s[4:5]
	s_cbranch_execz .LBB247_157
.LBB247_168:
	s_and_b64 vcc, exec, s[0:1]
	s_cbranch_vccnz .LBB247_170
; %bb.169:
	v_lshl_add_u64 v[16:17], v[26:27], 1, v[20:21]
	flat_load_ushort v16, v[16:17]
	s_waitcnt vmcnt(0) lgkmcnt(0)
	v_mul_f16_e32 v16, s28, v16
	s_branch .LBB247_171
.LBB247_170:
	v_mov_b32_e32 v16, 0
.LBB247_171:
	v_pk_max_f16 v17, v6, v6
	v_pk_max_f16 v18, v18, v18
	;; [unrolled: 1-line block ×3, first 2 shown]
	v_pk_min_f16 v17, v18, v17
	v_pk_max_f16 v18, v7, v7
	v_pk_add_f16 v17, v50, v17
	v_pk_min_f16 v18, v19, v18
	s_nop 0
	v_pk_add_f16 v17, v17, v18
	s_nop 0
	v_add_f16_sdwa v17, v17, v17 dst_sel:DWORD dst_unused:UNUSED_PAD src0_sel:DWORD src1_sel:WORD_1
	v_add_f16_e32 v18, v17, v16
	v_lshl_add_u64 v[16:17], v[26:27], 1, v[4:5]
	flat_store_short v[16:17], v18
	s_or_b64 exec, exec, s[2:3]
	s_and_b64 s[4:5], s[6:7], s[18:19]
	s_and_saveexec_b64 s[2:3], s[4:5]
	s_cbranch_execz .LBB247_158
.LBB247_172:
	s_and_b64 vcc, exec, s[0:1]
	s_cbranch_vccnz .LBB247_174
; %bb.173:
	v_lshl_add_u64 v[16:17], v[28:29], 1, v[20:21]
	flat_load_ushort v16, v[16:17]
	s_waitcnt vmcnt(0) lgkmcnt(0)
	v_mul_f16_e32 v16, s28, v16
	s_branch .LBB247_175
.LBB247_174:
	v_mov_b32_e32 v16, 0
.LBB247_175:
	v_pk_max_f16 v17, v6, v6
	v_pk_max_f16 v12, v12, v12
	;; [unrolled: 1-line block ×3, first 2 shown]
	v_pk_min_f16 v12, v12, v17
	v_pk_max_f16 v17, v7, v7
	v_pk_add_f16 v12, v49, v12
	v_pk_min_f16 v13, v13, v17
	s_nop 0
	v_pk_add_f16 v12, v12, v13
	s_nop 0
	v_add_f16_sdwa v12, v12, v12 dst_sel:DWORD dst_unused:UNUSED_PAD src0_sel:DWORD src1_sel:WORD_1
	v_add_f16_e32 v16, v12, v16
	v_lshl_add_u64 v[12:13], v[28:29], 1, v[4:5]
	flat_store_short v[12:13], v16
	s_or_b64 exec, exec, s[2:3]
	s_and_b64 s[4:5], s[8:9], s[18:19]
	s_and_saveexec_b64 s[2:3], s[4:5]
	s_cbranch_execz .LBB247_159
.LBB247_176:
	s_and_b64 vcc, exec, s[0:1]
	s_cbranch_vccnz .LBB247_178
; %bb.177:
	v_lshl_add_u64 v[12:13], v[30:31], 1, v[20:21]
	flat_load_ushort v12, v[12:13]
	s_waitcnt vmcnt(0) lgkmcnt(0)
	v_mul_f16_e32 v12, s28, v12
	s_branch .LBB247_179
.LBB247_178:
	v_mov_b32_e32 v12, 0
.LBB247_179:
	v_pk_max_f16 v13, v6, v6
	v_pk_max_f16 v14, v14, v14
	;; [unrolled: 1-line block ×3, first 2 shown]
	v_pk_min_f16 v13, v14, v13
	v_pk_max_f16 v14, v7, v7
	v_pk_add_f16 v13, v48, v13
	v_pk_min_f16 v14, v15, v14
	s_nop 0
	v_pk_add_f16 v13, v13, v14
	s_nop 0
	v_add_f16_sdwa v13, v13, v13 dst_sel:DWORD dst_unused:UNUSED_PAD src0_sel:DWORD src1_sel:WORD_1
	v_add_f16_e32 v14, v13, v12
	v_lshl_add_u64 v[12:13], v[30:31], 1, v[4:5]
	flat_store_short v[12:13], v14
	s_or_b64 exec, exec, s[2:3]
	s_and_b64 s[4:5], s[10:11], s[18:19]
	s_and_saveexec_b64 s[2:3], s[4:5]
	s_cbranch_execz .LBB247_160
.LBB247_180:
	s_and_b64 vcc, exec, s[0:1]
	s_cbranch_vccnz .LBB247_182
; %bb.181:
	v_lshl_add_u64 v[12:13], v[32:33], 1, v[20:21]
	flat_load_ushort v12, v[12:13]
	s_waitcnt vmcnt(0) lgkmcnt(0)
	v_mul_f16_e32 v12, s28, v12
	s_branch .LBB247_183
.LBB247_182:
	v_mov_b32_e32 v12, 0
.LBB247_183:
	v_pk_max_f16 v13, v6, v6
	v_pk_max_f16 v8, v8, v8
	;; [unrolled: 1-line block ×3, first 2 shown]
	v_pk_min_f16 v8, v8, v13
	v_pk_max_f16 v13, v7, v7
	v_pk_add_f16 v8, v47, v8
	v_pk_min_f16 v9, v9, v13
	s_nop 0
	v_pk_add_f16 v8, v8, v9
	s_nop 0
	v_add_f16_sdwa v8, v8, v8 dst_sel:DWORD dst_unused:UNUSED_PAD src0_sel:DWORD src1_sel:WORD_1
	v_add_f16_e32 v12, v8, v12
	v_lshl_add_u64 v[8:9], v[32:33], 1, v[4:5]
	flat_store_short v[8:9], v12
	s_or_b64 exec, exec, s[2:3]
	s_and_b64 s[4:5], s[12:13], s[18:19]
	s_and_saveexec_b64 s[2:3], s[4:5]
	s_cbranch_execz .LBB247_161
.LBB247_184:
	s_and_b64 vcc, exec, s[0:1]
	s_cbranch_vccnz .LBB247_186
; %bb.185:
	v_lshl_add_u64 v[8:9], v[34:35], 1, v[20:21]
	flat_load_ushort v8, v[8:9]
	s_waitcnt vmcnt(0) lgkmcnt(0)
	v_mul_f16_e32 v8, s28, v8
	s_branch .LBB247_187
.LBB247_186:
	v_mov_b32_e32 v8, 0
.LBB247_187:
	v_pk_max_f16 v9, v6, v6
	v_pk_max_f16 v10, v10, v10
	;; [unrolled: 1-line block ×3, first 2 shown]
	v_pk_min_f16 v9, v10, v9
	v_pk_max_f16 v10, v7, v7
	v_pk_add_f16 v9, v46, v9
	v_pk_min_f16 v10, v11, v10
	s_nop 0
	v_pk_add_f16 v9, v9, v10
	s_nop 0
	v_add_f16_sdwa v9, v9, v9 dst_sel:DWORD dst_unused:UNUSED_PAD src0_sel:DWORD src1_sel:WORD_1
	v_add_f16_e32 v10, v9, v8
	v_lshl_add_u64 v[8:9], v[34:35], 1, v[4:5]
	flat_store_short v[8:9], v10
	s_or_b64 exec, exec, s[2:3]
	s_and_b64 s[4:5], s[14:15], s[18:19]
	s_and_saveexec_b64 s[2:3], s[4:5]
	s_cbranch_execz .LBB247_162
.LBB247_188:
	s_and_b64 vcc, exec, s[0:1]
	s_cbranch_vccnz .LBB247_190
; %bb.189:
	v_lshl_add_u64 v[8:9], v[36:37], 1, v[20:21]
	flat_load_ushort v8, v[8:9]
	s_waitcnt vmcnt(0) lgkmcnt(0)
	v_mul_f16_e32 v8, s28, v8
	s_branch .LBB247_191
.LBB247_190:
	v_mov_b32_e32 v8, 0
.LBB247_191:
	v_pk_max_f16 v9, v6, v6
	v_pk_max_f16 v0, v0, v0
	;; [unrolled: 1-line block ×3, first 2 shown]
	v_pk_min_f16 v0, v0, v9
	v_pk_max_f16 v9, v7, v7
	v_pk_add_f16 v0, v45, v0
	v_pk_min_f16 v1, v1, v9
	s_nop 0
	v_pk_add_f16 v0, v0, v1
	s_nop 0
	v_add_f16_sdwa v0, v0, v0 dst_sel:DWORD dst_unused:UNUSED_PAD src0_sel:DWORD src1_sel:WORD_1
	v_add_f16_e32 v8, v0, v8
	v_lshl_add_u64 v[0:1], v[36:37], 1, v[4:5]
	flat_store_short v[0:1], v8
	s_or_b64 exec, exec, s[2:3]
	s_and_b64 s[2:3], s[16:17], s[18:19]
	s_and_saveexec_b64 s[4:5], s[2:3]
	s_cbranch_execz .LBB247_163
.LBB247_192:
	s_and_b64 vcc, exec, s[0:1]
	s_cbranch_vccnz .LBB247_194
; %bb.193:
	v_lshl_add_u64 v[0:1], v[38:39], 1, v[20:21]
	flat_load_ushort v0, v[0:1]
	s_waitcnt vmcnt(0) lgkmcnt(0)
	v_mul_f16_e32 v0, s28, v0
	s_branch .LBB247_195
.LBB247_194:
	v_mov_b32_e32 v0, 0
.LBB247_195:
	v_pk_max_f16 v1, v6, v6
	v_pk_max_f16 v2, v2, v2
	;; [unrolled: 1-line block ×3, first 2 shown]
	v_pk_min_f16 v1, v2, v1
	v_pk_max_f16 v2, v7, v7
	v_pk_add_f16 v1, v44, v1
	v_pk_min_f16 v2, v3, v2
	s_nop 0
	v_pk_add_f16 v1, v1, v2
	s_nop 0
	v_add_f16_sdwa v1, v1, v1 dst_sel:DWORD dst_unused:UNUSED_PAD src0_sel:DWORD src1_sel:WORD_1
	v_add_f16_e32 v2, v1, v0
	v_lshl_add_u64 v[0:1], v[38:39], 1, v[4:5]
	flat_store_short v[0:1], v2
	s_endpgm
	.section	.rodata,"a",@progbits
	.p2align	6, 0x0
	.amdhsa_kernel _ZN12_GLOBAL__N_120geam_min_plus_kernelIDF16_Dv2_DF16_S1_Li8ELi32ELi64ELi128ELi4ELi64ELi4ELi64ELi4ELc78ELc84ELb1ELb1ELb0EDF16_KPKDF16_KPDF16_EEviiiT16_PT17_ilS9_ilS7_S9_ilPT18_ili26rocblas_geam_ex_operation_
		.amdhsa_group_segment_fixed_size 3072
		.amdhsa_private_segment_fixed_size 0
		.amdhsa_kernarg_size 128
		.amdhsa_user_sgpr_count 2
		.amdhsa_user_sgpr_dispatch_ptr 0
		.amdhsa_user_sgpr_queue_ptr 0
		.amdhsa_user_sgpr_kernarg_segment_ptr 1
		.amdhsa_user_sgpr_dispatch_id 0
		.amdhsa_user_sgpr_kernarg_preload_length 0
		.amdhsa_user_sgpr_kernarg_preload_offset 0
		.amdhsa_user_sgpr_private_segment_size 0
		.amdhsa_uses_dynamic_stack 0
		.amdhsa_enable_private_segment 0
		.amdhsa_system_sgpr_workgroup_id_x 1
		.amdhsa_system_sgpr_workgroup_id_y 0
		.amdhsa_system_sgpr_workgroup_id_z 1
		.amdhsa_system_sgpr_workgroup_info 0
		.amdhsa_system_vgpr_workitem_id 1
		.amdhsa_next_free_vgpr 125
		.amdhsa_next_free_sgpr 36
		.amdhsa_accum_offset 128
		.amdhsa_reserve_vcc 1
		.amdhsa_float_round_mode_32 0
		.amdhsa_float_round_mode_16_64 0
		.amdhsa_float_denorm_mode_32 3
		.amdhsa_float_denorm_mode_16_64 3
		.amdhsa_dx10_clamp 1
		.amdhsa_ieee_mode 1
		.amdhsa_fp16_overflow 0
		.amdhsa_tg_split 0
		.amdhsa_exception_fp_ieee_invalid_op 0
		.amdhsa_exception_fp_denorm_src 0
		.amdhsa_exception_fp_ieee_div_zero 0
		.amdhsa_exception_fp_ieee_overflow 0
		.amdhsa_exception_fp_ieee_underflow 0
		.amdhsa_exception_fp_ieee_inexact 0
		.amdhsa_exception_int_div_zero 0
	.end_amdhsa_kernel
	.section	.text._ZN12_GLOBAL__N_120geam_min_plus_kernelIDF16_Dv2_DF16_S1_Li8ELi32ELi64ELi128ELi4ELi64ELi4ELi64ELi4ELc78ELc84ELb1ELb1ELb0EDF16_KPKDF16_KPDF16_EEviiiT16_PT17_ilS9_ilS7_S9_ilPT18_ili26rocblas_geam_ex_operation_,"axG",@progbits,_ZN12_GLOBAL__N_120geam_min_plus_kernelIDF16_Dv2_DF16_S1_Li8ELi32ELi64ELi128ELi4ELi64ELi4ELi64ELi4ELc78ELc84ELb1ELb1ELb0EDF16_KPKDF16_KPDF16_EEviiiT16_PT17_ilS9_ilS7_S9_ilPT18_ili26rocblas_geam_ex_operation_,comdat
.Lfunc_end247:
	.size	_ZN12_GLOBAL__N_120geam_min_plus_kernelIDF16_Dv2_DF16_S1_Li8ELi32ELi64ELi128ELi4ELi64ELi4ELi64ELi4ELc78ELc84ELb1ELb1ELb0EDF16_KPKDF16_KPDF16_EEviiiT16_PT17_ilS9_ilS7_S9_ilPT18_ili26rocblas_geam_ex_operation_, .Lfunc_end247-_ZN12_GLOBAL__N_120geam_min_plus_kernelIDF16_Dv2_DF16_S1_Li8ELi32ELi64ELi128ELi4ELi64ELi4ELi64ELi4ELc78ELc84ELb1ELb1ELb0EDF16_KPKDF16_KPDF16_EEviiiT16_PT17_ilS9_ilS7_S9_ilPT18_ili26rocblas_geam_ex_operation_
                                        ; -- End function
	.set _ZN12_GLOBAL__N_120geam_min_plus_kernelIDF16_Dv2_DF16_S1_Li8ELi32ELi64ELi128ELi4ELi64ELi4ELi64ELi4ELc78ELc84ELb1ELb1ELb0EDF16_KPKDF16_KPDF16_EEviiiT16_PT17_ilS9_ilS7_S9_ilPT18_ili26rocblas_geam_ex_operation_.num_vgpr, 125
	.set _ZN12_GLOBAL__N_120geam_min_plus_kernelIDF16_Dv2_DF16_S1_Li8ELi32ELi64ELi128ELi4ELi64ELi4ELi64ELi4ELc78ELc84ELb1ELb1ELb0EDF16_KPKDF16_KPDF16_EEviiiT16_PT17_ilS9_ilS7_S9_ilPT18_ili26rocblas_geam_ex_operation_.num_agpr, 0
	.set _ZN12_GLOBAL__N_120geam_min_plus_kernelIDF16_Dv2_DF16_S1_Li8ELi32ELi64ELi128ELi4ELi64ELi4ELi64ELi4ELc78ELc84ELb1ELb1ELb0EDF16_KPKDF16_KPDF16_EEviiiT16_PT17_ilS9_ilS7_S9_ilPT18_ili26rocblas_geam_ex_operation_.numbered_sgpr, 36
	.set _ZN12_GLOBAL__N_120geam_min_plus_kernelIDF16_Dv2_DF16_S1_Li8ELi32ELi64ELi128ELi4ELi64ELi4ELi64ELi4ELc78ELc84ELb1ELb1ELb0EDF16_KPKDF16_KPDF16_EEviiiT16_PT17_ilS9_ilS7_S9_ilPT18_ili26rocblas_geam_ex_operation_.num_named_barrier, 0
	.set _ZN12_GLOBAL__N_120geam_min_plus_kernelIDF16_Dv2_DF16_S1_Li8ELi32ELi64ELi128ELi4ELi64ELi4ELi64ELi4ELc78ELc84ELb1ELb1ELb0EDF16_KPKDF16_KPDF16_EEviiiT16_PT17_ilS9_ilS7_S9_ilPT18_ili26rocblas_geam_ex_operation_.private_seg_size, 0
	.set _ZN12_GLOBAL__N_120geam_min_plus_kernelIDF16_Dv2_DF16_S1_Li8ELi32ELi64ELi128ELi4ELi64ELi4ELi64ELi4ELc78ELc84ELb1ELb1ELb0EDF16_KPKDF16_KPDF16_EEviiiT16_PT17_ilS9_ilS7_S9_ilPT18_ili26rocblas_geam_ex_operation_.uses_vcc, 1
	.set _ZN12_GLOBAL__N_120geam_min_plus_kernelIDF16_Dv2_DF16_S1_Li8ELi32ELi64ELi128ELi4ELi64ELi4ELi64ELi4ELc78ELc84ELb1ELb1ELb0EDF16_KPKDF16_KPDF16_EEviiiT16_PT17_ilS9_ilS7_S9_ilPT18_ili26rocblas_geam_ex_operation_.uses_flat_scratch, 0
	.set _ZN12_GLOBAL__N_120geam_min_plus_kernelIDF16_Dv2_DF16_S1_Li8ELi32ELi64ELi128ELi4ELi64ELi4ELi64ELi4ELc78ELc84ELb1ELb1ELb0EDF16_KPKDF16_KPDF16_EEviiiT16_PT17_ilS9_ilS7_S9_ilPT18_ili26rocblas_geam_ex_operation_.has_dyn_sized_stack, 0
	.set _ZN12_GLOBAL__N_120geam_min_plus_kernelIDF16_Dv2_DF16_S1_Li8ELi32ELi64ELi128ELi4ELi64ELi4ELi64ELi4ELc78ELc84ELb1ELb1ELb0EDF16_KPKDF16_KPDF16_EEviiiT16_PT17_ilS9_ilS7_S9_ilPT18_ili26rocblas_geam_ex_operation_.has_recursion, 0
	.set _ZN12_GLOBAL__N_120geam_min_plus_kernelIDF16_Dv2_DF16_S1_Li8ELi32ELi64ELi128ELi4ELi64ELi4ELi64ELi4ELc78ELc84ELb1ELb1ELb0EDF16_KPKDF16_KPDF16_EEviiiT16_PT17_ilS9_ilS7_S9_ilPT18_ili26rocblas_geam_ex_operation_.has_indirect_call, 0
	.section	.AMDGPU.csdata,"",@progbits
; Kernel info:
; codeLenInByte = 11160
; TotalNumSgprs: 42
; NumVgprs: 125
; NumAgprs: 0
; TotalNumVgprs: 125
; ScratchSize: 0
; MemoryBound: 0
; FloatMode: 240
; IeeeMode: 1
; LDSByteSize: 3072 bytes/workgroup (compile time only)
; SGPRBlocks: 5
; VGPRBlocks: 15
; NumSGPRsForWavesPerEU: 42
; NumVGPRsForWavesPerEU: 125
; AccumOffset: 128
; Occupancy: 4
; WaveLimiterHint : 1
; COMPUTE_PGM_RSRC2:SCRATCH_EN: 0
; COMPUTE_PGM_RSRC2:USER_SGPR: 2
; COMPUTE_PGM_RSRC2:TRAP_HANDLER: 0
; COMPUTE_PGM_RSRC2:TGID_X_EN: 1
; COMPUTE_PGM_RSRC2:TGID_Y_EN: 0
; COMPUTE_PGM_RSRC2:TGID_Z_EN: 1
; COMPUTE_PGM_RSRC2:TIDIG_COMP_CNT: 1
; COMPUTE_PGM_RSRC3_GFX90A:ACCUM_OFFSET: 31
; COMPUTE_PGM_RSRC3_GFX90A:TG_SPLIT: 0
	.section	.text._ZN12_GLOBAL__N_120geam_min_plus_kernelIDF16_Dv2_DF16_S1_Li8ELi32ELi64ELi128ELi4ELi64ELi4ELi64ELi4ELc78ELc84ELb0ELb1ELb0EDF16_KPKDF16_KPDF16_EEviiiT16_PT17_ilS9_ilS7_S9_ilPT18_ili26rocblas_geam_ex_operation_,"axG",@progbits,_ZN12_GLOBAL__N_120geam_min_plus_kernelIDF16_Dv2_DF16_S1_Li8ELi32ELi64ELi128ELi4ELi64ELi4ELi64ELi4ELc78ELc84ELb0ELb1ELb0EDF16_KPKDF16_KPDF16_EEviiiT16_PT17_ilS9_ilS7_S9_ilPT18_ili26rocblas_geam_ex_operation_,comdat
	.globl	_ZN12_GLOBAL__N_120geam_min_plus_kernelIDF16_Dv2_DF16_S1_Li8ELi32ELi64ELi128ELi4ELi64ELi4ELi64ELi4ELc78ELc84ELb0ELb1ELb0EDF16_KPKDF16_KPDF16_EEviiiT16_PT17_ilS9_ilS7_S9_ilPT18_ili26rocblas_geam_ex_operation_ ; -- Begin function _ZN12_GLOBAL__N_120geam_min_plus_kernelIDF16_Dv2_DF16_S1_Li8ELi32ELi64ELi128ELi4ELi64ELi4ELi64ELi4ELc78ELc84ELb0ELb1ELb0EDF16_KPKDF16_KPDF16_EEviiiT16_PT17_ilS9_ilS7_S9_ilPT18_ili26rocblas_geam_ex_operation_
	.p2align	8
	.type	_ZN12_GLOBAL__N_120geam_min_plus_kernelIDF16_Dv2_DF16_S1_Li8ELi32ELi64ELi128ELi4ELi64ELi4ELi64ELi4ELc78ELc84ELb0ELb1ELb0EDF16_KPKDF16_KPDF16_EEviiiT16_PT17_ilS9_ilS7_S9_ilPT18_ili26rocblas_geam_ex_operation_,@function
_ZN12_GLOBAL__N_120geam_min_plus_kernelIDF16_Dv2_DF16_S1_Li8ELi32ELi64ELi128ELi4ELi64ELi4ELi64ELi4ELc78ELc84ELb0ELb1ELb0EDF16_KPKDF16_KPDF16_EEviiiT16_PT17_ilS9_ilS7_S9_ilPT18_ili26rocblas_geam_ex_operation_: ; @_ZN12_GLOBAL__N_120geam_min_plus_kernelIDF16_Dv2_DF16_S1_Li8ELi32ELi64ELi128ELi4ELi64ELi4ELi64ELi4ELc78ELc84ELb0ELb1ELb0EDF16_KPKDF16_KPDF16_EEviiiT16_PT17_ilS9_ilS7_S9_ilPT18_ili26rocblas_geam_ex_operation_
; %bb.0:
	s_load_dwordx4 s[20:23], s[0:1], 0x0
	s_load_dwordx4 s[4:7], s[0:1], 0x20
	s_mov_b32 s8, s3
	s_mov_b32 s9, 0
	s_waitcnt lgkmcnt(0)
	v_cmp_eq_f16_e64 s[12:13], s23, 0
	v_cmp_neq_f16_e64 s[10:11], s23, 0
	s_and_b64 vcc, exec, s[12:13]
	s_cbranch_vccnz .LBB248_3
; %bb.1:
	s_load_dwordx2 s[14:15], s[0:1], 0x10
	s_lshl_b64 s[16:17], s[8:9], 3
	s_waitcnt lgkmcnt(0)
	s_add_u32 s14, s14, s16
	s_addc_u32 s15, s15, s17
	s_load_dwordx2 s[14:15], s[14:15], 0x0
	s_lshl_b64 s[4:5], s[4:5], 1
	s_waitcnt lgkmcnt(0)
	s_add_u32 s18, s14, s4
	s_addc_u32 s19, s15, s5
	s_andn2_b64 vcc, exec, s[12:13]
	s_cbranch_vccnz .LBB248_4
.LBB248_2:
	s_mov_b32 s15, 0
	s_mov_b32 s14, s8
	s_mov_b64 s[24:25], 0
	s_mov_b64 s[12:13], 0
	s_cbranch_execz .LBB248_5
	s_branch .LBB248_6
.LBB248_3:
	s_mov_b64 s[18:19], 0
	s_andn2_b64 vcc, exec, s[12:13]
	s_cbranch_vccz .LBB248_2
.LBB248_4:
	s_mov_b64 s[14:15], s[8:9]
	s_mov_b64 s[24:25], 0
	;; [unrolled: 1-line block ×3, first 2 shown]
.LBB248_5:
	s_lshl_b64 s[8:9], s[8:9], 3
	s_add_u32 s6, s6, s8
	s_load_dwordx2 s[4:5], s[0:1], 0x38
	s_addc_u32 s7, s7, s9
	s_load_dwordx2 s[6:7], s[6:7], 0x0
	s_waitcnt lgkmcnt(0)
	s_lshl_b64 s[4:5], s[4:5], 1
	s_add_u32 s12, s6, s4
	s_addc_u32 s13, s7, s5
.LBB248_6:
	s_load_dword s30, s[0:1], 0x40
	s_load_dwordx4 s[4:7], s[0:1], 0x58
	s_waitcnt lgkmcnt(0)
	v_cmp_eq_f16_e64 s[16:17], s30, 0
	v_cmp_neq_f16_e64 s[8:9], s30, 0
	s_and_b64 vcc, exec, s[16:17]
	s_cbranch_vccnz .LBB248_8
; %bb.7:
	s_load_dwordx2 s[16:17], s[0:1], 0x48
	s_lshl_b64 s[24:25], s[14:15], 3
	s_waitcnt lgkmcnt(0)
	s_add_u32 s16, s16, s24
	s_addc_u32 s17, s17, s25
	s_load_dwordx2 s[16:17], s[16:17], 0x0
	s_lshl_b64 s[4:5], s[4:5], 1
	s_waitcnt lgkmcnt(0)
	s_add_u32 s24, s16, s4
	s_addc_u32 s25, s17, s5
.LBB248_8:
	s_load_dword s26, s[0:1], 0x18
	s_lshl_b64 s[4:5], s[14:15], 3
	v_and_b32_e32 v34, 0x3ff, v0
	v_bfe_u32 v35, v0, 10, 10
	v_mov_b32_e32 v8, 0
	s_waitcnt lgkmcnt(0)
	s_ashr_i32 s27, s26, 31
	s_add_u32 s14, s6, s4
	s_addc_u32 s15, s7, s5
	s_add_i32 s3, s20, -1
	s_ashr_i32 s4, s3, 31
	s_lshr_b32 s4, s4, 26
	s_add_i32 s3, s3, s4
	s_ashr_i32 s3, s3, 6
	s_add_i32 s7, s3, 1
	v_cvt_f32_u32_e32 v1, s7
	s_not_b32 s3, s3
	v_mov_b32_e32 v9, 0
	v_rcp_iflag_f32_e32 v0, v1
	v_lshl_add_u32 v1, v35, 3, v34
	v_and_b32_e32 v7, 63, v1
	v_lshrrev_b32_e32 v36, 6, v1
	v_mul_f32_e32 v0, 0x4f7ffffe, v0
	v_cvt_u32_f32_e32 v0, v0
	v_cmp_gt_i32_e64 s[4:5], s22, v36
	v_readfirstlane_b32 s6, v0
	s_mul_i32 s3, s3, s6
	s_mul_hi_u32 s3, s6, s3
	s_add_i32 s6, s6, s3
	s_mul_hi_u32 s3, s2, s6
	s_mul_i32 s6, s3, s7
	s_sub_i32 s6, s2, s6
	s_add_i32 s16, s3, 1
	s_sub_i32 s17, s6, s7
	s_cmp_ge_u32 s6, s7
	s_cselect_b32 s3, s16, s3
	s_cselect_b32 s6, s17, s6
	s_add_i32 s16, s3, 1
	s_cmp_ge_u32 s6, s7
	s_cselect_b32 s6, s16, s3
	s_mul_i32 s3, s6, s7
	s_sub_i32 s2, s2, s3
	s_lshl_b32 s31, s2, 6
	v_or_b32_e32 v0, s31, v7
	v_cmp_gt_i32_e32 vcc, s20, v0
	s_and_b64 s[2:3], s[4:5], vcc
	v_ashrrev_i32_e32 v1, 31, v0
	s_and_b64 s[4:5], s[10:11], s[2:3]
	s_and_saveexec_b64 s[2:3], s[4:5]
	s_cbranch_execz .LBB248_10
; %bb.9:
	v_mad_i64_i32 v[2:3], s[4:5], s26, v36, 0
	v_lshl_add_u64 v[2:3], v[2:3], 1, s[18:19]
	v_lshl_add_u64 v[2:3], v[0:1], 1, v[2:3]
	flat_load_ushort v2, v[2:3]
	s_waitcnt vmcnt(0) lgkmcnt(0)
	v_mul_f16_e32 v9, s23, v2
.LBB248_10:
	s_or_b64 exec, exec, s[2:3]
	s_load_dword s34, s[0:1], 0x30
	s_add_i32 s35, s22, -1
	s_lshl_b32 s33, s6, 7
	v_min_i32_e32 v2, s35, v36
	v_or_b32_e32 v24, s33, v7
	s_waitcnt lgkmcnt(0)
	v_mad_i64_i32 v[2:3], s[2:3], s34, v2, 0
	v_cmp_le_i32_e64 s[6:7], s22, v36
	v_cmp_le_i32_e64 s[2:3], s21, v24
	s_or_b64 s[4:5], s[6:7], s[2:3]
	s_xor_b64 s[16:17], s[10:11], -1
	v_lshl_add_u64 v[2:3], v[2:3], 1, s[12:13]
	s_nor_b64 s[28:29], s[4:5], s[16:17]
	v_ashrrev_i32_e32 v25, 31, v24
	s_and_saveexec_b64 s[4:5], s[28:29]
	s_cbranch_execz .LBB248_12
; %bb.11:
	v_lshl_add_u64 v[4:5], v[24:25], 1, v[2:3]
	flat_load_ushort v4, v[4:5]
	s_waitcnt vmcnt(0) lgkmcnt(0)
	v_mul_f16_e32 v8, s23, v4
.LBB248_12:
	s_or_b64 exec, exec, s[4:5]
	v_or_b32_e32 v4, 64, v24
	v_cmp_le_i32_e64 s[4:5], s21, v4
	s_or_b64 s[6:7], s[6:7], s[4:5]
	s_nor_b64 s[28:29], s[6:7], s[16:17]
	v_mov_b32_e32 v4, 0
	v_mov_b32_e32 v10, 0
	s_and_saveexec_b64 s[6:7], s[28:29]
	s_cbranch_execz .LBB248_14
; %bb.13:
	v_lshl_add_u64 v[2:3], v[24:25], 1, v[2:3]
	flat_load_ushort v2, v[2:3] offset:128
	s_waitcnt vmcnt(0) lgkmcnt(0)
	v_mul_f16_e32 v10, s23, v2
.LBB248_14:
	s_or_b64 exec, exec, s[6:7]
	v_add_u32_e32 v2, 4, v36
	v_cmp_gt_i32_e64 s[6:7], s22, v2
	s_and_b64 s[6:7], vcc, s[6:7]
	s_and_b64 s[28:29], s[10:11], s[6:7]
	s_and_saveexec_b64 s[6:7], s[28:29]
	s_cbranch_execz .LBB248_16
; %bb.15:
	v_mad_u64_u32 v[4:5], s[28:29], s26, v2, 0
	v_mov_b32_e32 v6, v5
	v_mad_u64_u32 v[12:13], s[28:29], s27, v2, v[6:7]
	v_mov_b32_e32 v5, v12
	v_lshl_add_u64 v[4:5], v[4:5], 1, s[18:19]
	v_lshl_add_u64 v[4:5], v[0:1], 1, v[4:5]
	flat_load_ushort v3, v[4:5]
	s_waitcnt vmcnt(0) lgkmcnt(0)
	v_mul_f16_e32 v4, s23, v3
.LBB248_16:
	s_or_b64 exec, exec, s[6:7]
	v_cmp_le_i32_e64 s[6:7], s22, v2
	v_min_i32_e32 v2, s35, v2
	v_mad_i64_i32 v[2:3], s[28:29], s34, v2, 0
	s_or_b64 s[28:29], s[2:3], s[6:7]
	v_lshl_add_u64 v[2:3], v[2:3], 1, s[12:13]
	s_nor_b64 s[36:37], s[28:29], s[16:17]
	v_mov_b32_e32 v5, 0
	v_mov_b32_e32 v6, 0
	s_and_saveexec_b64 s[28:29], s[36:37]
	s_cbranch_execz .LBB248_18
; %bb.17:
	v_lshl_add_u64 v[12:13], v[24:25], 1, v[2:3]
	flat_load_ushort v6, v[12:13]
	s_waitcnt vmcnt(0) lgkmcnt(0)
	v_mul_f16_e32 v6, s23, v6
.LBB248_18:
	s_or_b64 exec, exec, s[28:29]
	s_or_b64 s[6:7], s[4:5], s[6:7]
	s_nor_b64 s[28:29], s[6:7], s[16:17]
	s_and_saveexec_b64 s[6:7], s[28:29]
	s_cbranch_execz .LBB248_20
; %bb.19:
	v_lshl_add_u64 v[2:3], v[24:25], 1, v[2:3]
	flat_load_ushort v2, v[2:3] offset:128
	s_waitcnt vmcnt(0) lgkmcnt(0)
	v_mul_f16_e32 v5, s23, v2
.LBB248_20:
	s_or_b64 exec, exec, s[6:7]
	v_lshlrev_b32_e32 v2, 3, v7
	v_lshlrev_b32_e32 v38, 3, v34
	v_lshl_add_u32 v39, v36, 1, v2
	v_lshlrev_b32_e32 v37, 3, v35
	v_add_u32_e32 v40, 0x800, v38
	s_load_dwordx2 s[14:15], s[14:15], 0x0
	ds_write_b16 v39, v9 offset:2048
	ds_write_b16 v39, v8
	ds_write_b16 v39, v10 offset:512
	s_waitcnt lgkmcnt(0)
	s_barrier
	ds_read2_b64 v[8:11], v37 offset1:32
	ds_read2_b64 v[12:15], v40 offset0:48 offset1:56
	ds_read2_b64 v[16:19], v37 offset0:64 offset1:96
	ds_read2_b64 v[20:23], v40 offset1:8
	ds_read2_b64 v[26:29], v40 offset0:16 offset1:24
	ds_read2_b64 v[30:33], v40 offset0:32 offset1:40
	s_waitcnt lgkmcnt(5)
	v_pk_max_f16 v2, v8, v8
	s_waitcnt lgkmcnt(4)
	v_pk_max_f16 v3, v14, v14
	v_pk_max_f16 v8, v10, v10
	v_pk_min_f16 v7, v3, v2
	s_waitcnt lgkmcnt(3)
	v_pk_max_f16 v14, v16, v16
	s_waitcnt lgkmcnt(2)
	v_pk_max_f16 v16, v20, v20
	v_pk_max_f16 v18, v18, v18
	;; [unrolled: 1-line block ×3, first 2 shown]
	s_waitcnt lgkmcnt(1)
	v_pk_max_f16 v26, v26, v26
	v_pk_max_f16 v28, v28, v28
	s_waitcnt lgkmcnt(0)
	v_pk_max_f16 v30, v30, v30
	v_pk_max_f16 v9, v9, v9
	;; [unrolled: 1-line block ×5, first 2 shown]
	v_pk_min_f16 v10, v3, v8
	v_pk_min_f16 v20, v16, v2
	;; [unrolled: 1-line block ×18, first 2 shown]
	v_pk_max_f16 v11, v11, v11
	v_pk_min_f16 v56, v30, v8
	v_pk_min_f16 v61, v30, v14
	;; [unrolled: 1-line block ×13, first 2 shown]
	v_pk_add_f16 v7, v7, 0
	v_pk_min_f16 v18, v15, v9
	v_pk_max_f16 v17, v17, v17
	v_pk_add_f16 v68, v7, v18
	v_pk_add_f16 v7, v10, 0
	v_pk_min_f16 v10, v15, v11
	v_pk_max_f16 v21, v21, v21
	v_pk_add_f16 v60, v7, v10
	;; [unrolled: 4-line block ×4, first 2 shown]
	v_pk_add_f16 v7, v41, 0
	v_pk_min_f16 v10, v21, v11
	v_pk_add_f16 v18, v53, 0
	v_pk_add_f16 v67, v7, v10
	;; [unrolled: 1-line block ×3, first 2 shown]
	v_pk_min_f16 v10, v21, v17
	v_pk_add_f16 v41, v64, 0
	v_pk_add_f16 v59, v7, v10
	;; [unrolled: 1-line block ×3, first 2 shown]
	v_pk_min_f16 v10, v21, v19
	v_pk_min_f16 v16, v23, v19
	v_pk_add_f16 v51, v7, v10
	v_pk_add_f16 v7, v43, 0
	v_pk_min_f16 v10, v23, v9
	v_pk_add_f16 v21, v28, 0
	v_pk_add_f16 v75, v7, v10
	v_pk_add_f16 v7, v44, 0
	v_pk_min_f16 v10, v23, v11
	v_pk_add_f16 v20, v54, 0
	;; [unrolled: 4-line block ×3, first 2 shown]
	v_pk_add_f16 v58, v7, v10
	v_pk_add_f16 v7, v22, 0
	;; [unrolled: 1-line block ×4, first 2 shown]
	v_pk_max_f16 v7, v27, v27
	v_pk_add_f16 v22, v55, 0
	v_pk_min_f16 v16, v7, v9
	v_pk_add_f16 v27, v30, 0
	v_pk_add_f16 v74, v10, v16
	;; [unrolled: 1-line block ×3, first 2 shown]
	v_pk_min_f16 v16, v7, v11
	v_pk_add_f16 v30, v63, 0
	v_pk_add_f16 v65, v10, v16
	;; [unrolled: 1-line block ×3, first 2 shown]
	v_pk_min_f16 v16, v7, v17
	v_pk_min_f16 v7, v7, v19
	v_pk_add_f16 v57, v10, v16
	v_pk_add_f16 v10, v26, 0
	;; [unrolled: 1-line block ×4, first 2 shown]
	v_pk_max_f16 v7, v29, v29
	v_pk_add_f16 v26, v61, 0
	v_pk_min_f16 v10, v7, v9
	v_pk_add_f16 v28, v62, 0
	v_pk_add_f16 v73, v16, v10
	v_pk_min_f16 v10, v7, v11
	v_pk_add_f16 v32, v32, 0
	v_pk_add_f16 v64, v18, v10
	v_pk_min_f16 v10, v7, v17
	v_pk_min_f16 v7, v7, v19
	v_pk_add_f16 v56, v20, v10
	v_pk_add_f16 v48, v21, v7
	v_pk_max_f16 v7, v31, v31
	v_pk_add_f16 v2, v2, 0
	v_pk_min_f16 v10, v7, v9
	v_pk_add_f16 v8, v8, 0
	v_pk_add_f16 v72, v22, v10
	v_pk_min_f16 v10, v7, v11
	v_pk_add_f16 v14, v14, 0
	v_pk_add_f16 v63, v23, v10
	v_pk_min_f16 v10, v7, v17
	v_pk_min_f16 v7, v7, v19
	v_pk_add_f16 v55, v26, v10
	v_pk_add_f16 v47, v27, v7
	v_pk_max_f16 v7, v33, v33
	v_pk_add_f16 v12, v12, 0
	v_pk_min_f16 v10, v7, v9
	v_pk_add_f16 v3, v3, 0
	v_pk_add_f16 v71, v28, v10
	v_pk_min_f16 v10, v7, v11
	s_mov_b32 s28, 0
	v_pk_add_f16 v62, v30, v10
	v_pk_min_f16 v10, v7, v17
	v_pk_min_f16 v7, v7, v19
	v_pk_add_f16 v54, v41, v10
	v_pk_add_f16 v46, v32, v7
	v_pk_max_f16 v7, v13, v13
	s_cmp_lt_i32 s22, 9
	v_pk_min_f16 v9, v7, v9
	ds_write_b16 v39, v4 offset:2560
	ds_write_b16 v39, v6 offset:1024
	;; [unrolled: 1-line block ×3, first 2 shown]
	v_pk_add_f16 v70, v2, v9
	v_pk_min_f16 v2, v7, v11
	s_waitcnt lgkmcnt(0)
	v_pk_add_f16 v61, v8, v2
	v_pk_min_f16 v2, v7, v17
	s_barrier
	v_pk_add_f16 v53, v14, v2
	v_pk_min_f16 v2, v7, v19
	s_nop 0
	v_pk_add_f16 v45, v12, v2
	v_pk_min_f16 v2, v15, v19
	s_nop 0
	v_pk_add_f16 v44, v3, v2
	s_cbranch_scc1 .LBB248_35
; %bb.21:
	v_lshl_add_u64 v[26:27], v[0:1], 1, s[18:19]
	v_mov_b32_e32 v0, 0xa00
	v_lshl_add_u32 v69, v34, 3, v0
	v_add_u32_e32 v0, v37, v34
	v_lshrrev_b32_e32 v2, 6, v0
	v_add_u32_e32 v0, 12, v2
	v_mad_i64_i32 v[0:1], s[6:7], v0, s26, 0
	v_lshlrev_b64 v[28:29], 1, v[0:1]
	v_add_u32_e32 v0, 8, v2
	v_mad_i64_i32 v[0:1], s[6:7], v0, s26, 0
	v_or_b32_e32 v41, 0x800, v39
	v_add_u32_e32 v42, 0xa00, v39
	v_or_b32_e32 v43, 0x400, v39
	s_add_i32 s29, s22, -8
	v_add_u32_e32 v77, 0x400, v37
	s_lshl_b64 s[18:19], s[26:27], 4
	v_lshlrev_b64 v[30:31], 1, v[0:1]
	s_branch .LBB248_23
.LBB248_22:                             ;   in Loop: Header=BB248_23 Depth=1
	s_or_b64 exec, exec, s[6:7]
	v_pk_max_f16 v2, v2, v2
	v_pk_max_f16 v20, v20, v20
	;; [unrolled: 1-line block ×7, first 2 shown]
	v_pk_min_f16 v32, v2, v20
	v_pk_min_f16 v33, v2, v22
	v_pk_max_f16 v12, v12, v12
	v_pk_max_f16 v14, v14, v14
	;; [unrolled: 1-line block ×10, first 2 shown]
	v_pk_min_f16 v93, v4, v20
	v_pk_max_f16 v9, v9, v9
	v_pk_max_f16 v11, v11, v11
	v_pk_min_f16 v94, v4, v22
	v_pk_max_f16 v5, v5, v5
	v_pk_max_f16 v7, v7, v7
	v_pk_min_f16 v95, v4, v16
	v_pk_min_f16 v4, v4, v18
	v_pk_max_f16 v0, v0, v0
	v_pk_max_f16 v3, v3, v3
	;; [unrolled: 1-line block ×3, first 2 shown]
	v_pk_min_f16 v96, v6, v20
	v_pk_min_f16 v97, v6, v22
	;; [unrolled: 1-line block ×58, first 2 shown]
	v_pk_add_f16 v1, v68, v32
	v_pk_add_f16 v3, v60, v33
	;; [unrolled: 1-line block ×12, first 2 shown]
	ds_read2_b64 v[0:3], v40 offset0:48 offset1:56
	ds_read2_b64 v[4:7], v37 offset1:32
	v_pk_add_f16 v32, v52, v99
	v_pk_add_f16 v33, v76, v81
	v_pk_add_f16 v52, v67, v82
	v_pk_add_f16 v59, v59, v83
	v_pk_add_f16 v12, v51, v12
	v_pk_add_f16 v8, v49, v8
	v_pk_add_f16 v10, v48, v10
	s_waitcnt lgkmcnt(1)
	v_pk_max_f16 v2, v2, v2
	s_waitcnt lgkmcnt(0)
	v_pk_max_f16 v4, v4, v4
	v_pk_add_f16 v60, v66, v85
	v_pk_add_f16 v14, v50, v14
	;; [unrolled: 1-line block ×8, first 2 shown]
	ds_read2_b64 v[8:11], v37 offset0:64 offset1:96
	v_pk_min_f16 v12, v2, v4
	v_pk_add_f16 v22, v61, v22
	v_pk_add_f16 v61, v14, v15
	;; [unrolled: 1-line block ×3, first 2 shown]
	ds_read2_b64 v[12:15], v40 offset1:8
	v_pk_max_f16 v6, v6, v6
	v_pk_add_f16 v49, v73, v90
	v_pk_add_f16 v73, v16, v17
	v_pk_min_f16 v16, v2, v6
	s_waitcnt lgkmcnt(1)
	v_pk_max_f16 v8, v8, v8
	v_pk_add_f16 v32, v32, v119
	v_pk_add_f16 v53, v53, v16
	v_pk_min_f16 v16, v2, v8
	s_waitcnt lgkmcnt(0)
	v_pk_max_f16 v12, v12, v12
	v_pk_add_f16 v32, v32, v16
	v_pk_min_f16 v16, v12, v4
	v_pk_add_f16 v50, v74, v87
	v_pk_add_f16 v74, v18, v16
	v_pk_min_f16 v16, v12, v6
	v_pk_add_f16 v51, v75, v84
	v_pk_add_f16 v33, v33, v16
	v_pk_min_f16 v16, v12, v8
	v_pk_max_f16 v14, v14, v14
	v_pk_add_f16 v51, v51, v102
	v_pk_add_f16 v75, v52, v16
	v_pk_min_f16 v16, v14, v4
	v_pk_add_f16 v60, v60, v103
	v_pk_add_f16 v81, v51, v16
	v_pk_min_f16 v16, v14, v6
	v_pk_add_f16 v44, v44, v19
	v_pk_add_f16 v82, v60, v16
	ds_read2_b64 v[16:19], v40 offset0:16 offset1:24
	v_pk_add_f16 v58, v58, v86
	v_pk_add_f16 v47, v71, v96
	;; [unrolled: 1-line block ×4, first 2 shown]
	v_pk_max_f16 v10, v10, v10
	v_pk_min_f16 v20, v14, v8
	s_waitcnt lgkmcnt(0)
	v_pk_max_f16 v16, v16, v16
	v_pk_add_f16 v65, v65, v88
	v_pk_add_f16 v50, v50, v105
	;; [unrolled: 1-line block ×3, first 2 shown]
	v_pk_min_f16 v14, v14, v10
	v_pk_min_f16 v20, v16, v4
	v_pk_add_f16 v57, v57, v89
	v_pk_add_f16 v65, v65, v106
	;; [unrolled: 1-line block ×4, first 2 shown]
	v_pk_min_f16 v20, v16, v6
	v_pk_add_f16 v57, v57, v107
	v_pk_add_f16 v65, v65, v20
	v_pk_min_f16 v20, v16, v8
	v_pk_max_f16 v18, v18, v18
	v_pk_add_f16 v64, v64, v91
	v_pk_add_f16 v49, v49, v108
	;; [unrolled: 1-line block ×3, first 2 shown]
	v_pk_min_f16 v20, v18, v4
	v_pk_add_f16 v64, v64, v109
	v_pk_add_f16 v83, v49, v20
	v_pk_min_f16 v20, v18, v6
	v_pk_add_f16 v48, v72, v93
	v_pk_add_f16 v72, v22, v23
	;; [unrolled: 1-line block ×3, first 2 shown]
	ds_read2_b64 v[20:23], v40 offset0:32 offset1:40
	v_pk_add_f16 v56, v56, v92
	v_pk_min_f16 v49, v18, v8
	v_pk_add_f16 v56, v56, v110
	v_pk_add_f16 v63, v63, v94
	s_waitcnt lgkmcnt(0)
	v_pk_max_f16 v20, v20, v20
	v_pk_add_f16 v48, v48, v111
	v_pk_add_f16 v56, v56, v49
	v_pk_min_f16 v49, v20, v4
	v_pk_add_f16 v55, v55, v95
	v_pk_add_f16 v63, v63, v112
	;; [unrolled: 1-line block ×3, first 2 shown]
	v_pk_min_f16 v48, v20, v6
	v_pk_add_f16 v55, v55, v113
	v_pk_add_f16 v63, v63, v48
	v_pk_min_f16 v48, v20, v8
	v_pk_max_f16 v22, v22, v22
	v_pk_add_f16 v62, v62, v97
	v_pk_add_f16 v47, v47, v114
	;; [unrolled: 1-line block ×3, first 2 shown]
	v_pk_min_f16 v48, v22, v4
	v_pk_add_f16 v62, v62, v115
	v_pk_add_f16 v85, v47, v48
	v_pk_min_f16 v47, v22, v6
	v_pk_max_f16 v0, v0, v0
	v_pk_max_f16 v3, v3, v3
	;; [unrolled: 1-line block ×3, first 2 shown]
	v_pk_min_f16 v12, v12, v10
	v_pk_min_f16 v16, v16, v10
	;; [unrolled: 1-line block ×4, first 2 shown]
	v_pk_add_f16 v62, v62, v47
	v_pk_min_f16 v47, v22, v8
	v_pk_min_f16 v22, v22, v10
	;; [unrolled: 1-line block ×8, first 2 shown]
	v_pk_max_f16 v7, v7, v7
	v_pk_add_f16 v20, v68, v20
	v_pk_add_f16 v68, v46, v10
	v_pk_min_f16 v10, v3, v7
	v_pk_max_f16 v9, v9, v9
	v_pk_add_f16 v60, v53, v10
	v_pk_min_f16 v10, v3, v9
	v_pk_max_f16 v11, v11, v11
	v_pk_add_f16 v52, v32, v10
	v_pk_max_f16 v10, v13, v13
	v_pk_add_f16 v12, v59, v12
	v_pk_min_f16 v13, v10, v5
	v_pk_add_f16 v18, v67, v18
	v_pk_add_f16 v76, v74, v13
	v_pk_min_f16 v13, v10, v7
	v_pk_add_f16 v16, v66, v16
	v_pk_add_f16 v67, v33, v13
	v_pk_min_f16 v13, v10, v9
	v_pk_min_f16 v10, v10, v11
	v_pk_add_f16 v59, v75, v13
	v_pk_add_f16 v51, v12, v10
	v_pk_max_f16 v10, v15, v15
	v_pk_add_f16 v8, v73, v8
	v_pk_min_f16 v12, v10, v5
	v_pk_add_f16 v54, v54, v98
	v_pk_add_f16 v75, v81, v12
	v_pk_min_f16 v12, v10, v7
	v_pk_add_f16 v6, v72, v6
	v_pk_add_f16 v66, v82, v12
	v_pk_min_f16 v12, v10, v9
	v_pk_min_f16 v10, v10, v11
	v_pk_add_f16 v58, v58, v12
	v_pk_add_f16 v50, v14, v10
	v_pk_max_f16 v10, v17, v17
	v_pk_add_f16 v54, v54, v116
	v_pk_min_f16 v12, v10, v5
	v_pk_add_f16 v54, v54, v47
	v_pk_add_f16 v74, v61, v12
	v_pk_min_f16 v12, v10, v7
	v_pk_max_f16 v1, v1, v1
	v_pk_add_f16 v65, v65, v12
	v_pk_min_f16 v12, v10, v9
	v_pk_min_f16 v10, v10, v11
	v_pk_add_f16 v57, v57, v12
	v_pk_add_f16 v49, v16, v10
	v_pk_max_f16 v10, v19, v19
	v_pk_add_f16 v4, v71, v4
	v_pk_min_f16 v12, v10, v5
	v_pk_add_f16 v45, v45, v120
	v_pk_add_f16 v73, v83, v12
	v_pk_min_f16 v12, v10, v7
	v_pk_add_f16 v22, v70, v22
	v_pk_add_f16 v64, v64, v12
	v_pk_min_f16 v12, v10, v9
	v_pk_min_f16 v10, v10, v11
	v_pk_add_f16 v56, v56, v12
	v_pk_add_f16 v48, v18, v10
	v_pk_max_f16 v10, v21, v21
	v_pk_add_f16 v0, v45, v0
	v_pk_min_f16 v12, v10, v5
	v_pk_add_f16 v2, v44, v2
	v_pk_add_f16 v72, v84, v12
	v_pk_min_f16 v12, v10, v7
	s_add_i32 s28, s28, 8
	v_pk_add_f16 v63, v63, v12
	v_pk_min_f16 v12, v10, v9
	v_pk_min_f16 v10, v10, v11
	v_pk_add_f16 v55, v55, v12
	v_pk_add_f16 v47, v20, v10
	v_pk_max_f16 v10, v23, v23
	s_cmp_ge_i32 s28, s29
	v_pk_min_f16 v12, v10, v5
	v_pk_min_f16 v5, v1, v5
	v_pk_add_f16 v71, v85, v12
	v_pk_add_f16 v70, v4, v5
	v_pk_min_f16 v4, v1, v7
	v_pk_min_f16 v12, v10, v7
	v_pk_add_f16 v61, v6, v4
	v_pk_min_f16 v4, v1, v9
	v_pk_min_f16 v1, v1, v11
	;; [unrolled: 3-line block ×3, first 2 shown]
	v_pk_add_f16 v45, v0, v1
	v_pk_min_f16 v0, v3, v11
	v_pk_add_f16 v54, v54, v12
	v_pk_add_f16 v46, v22, v10
	;; [unrolled: 1-line block ×4, first 2 shown]
	v_lshl_add_u64 v[26:27], v[26:27], 0, s[18:19]
	ds_write_b16 v42, v78
	ds_write_b16 v43, v80
	ds_write_b16 v43, v79 offset:512
	s_waitcnt lgkmcnt(0)
	s_barrier
	s_cbranch_scc1 .LBB248_35
.LBB248_23:                             ; =>This Inner Loop Header: Depth=1
	v_add_u32_e32 v32, s28, v36
	v_add_u32_e32 v0, 8, v32
	v_cmp_gt_i32_e64 s[6:7], s22, v0
	s_and_b64 s[6:7], vcc, s[6:7]
	s_and_b64 s[26:27], s[10:11], s[6:7]
	v_mov_b32_e32 v33, 0
	v_mov_b32_e32 v79, 0
	s_and_saveexec_b64 s[6:7], s[26:27]
	s_cbranch_execz .LBB248_25
; %bb.24:                               ;   in Loop: Header=BB248_23 Depth=1
	v_lshl_add_u64 v[2:3], v[26:27], 0, v[30:31]
	flat_load_ushort v1, v[2:3]
	s_waitcnt vmcnt(0) lgkmcnt(0)
	v_mul_f16_e32 v79, s23, v1
.LBB248_25:                             ;   in Loop: Header=BB248_23 Depth=1
	s_or_b64 exec, exec, s[6:7]
	v_cmp_le_i32_e64 s[6:7], s22, v0
	v_min_i32_e32 v0, s35, v0
	v_mad_i64_i32 v[0:1], s[26:27], v0, s34, 0
	v_lshl_add_u64 v[0:1], v[0:1], 1, s[12:13]
	s_or_b64 s[26:27], s[2:3], s[6:7]
	s_nor_b64 s[36:37], s[26:27], s[16:17]
	v_lshl_add_u64 v[0:1], v[24:25], 1, v[0:1]
	s_and_saveexec_b64 s[26:27], s[36:37]
	s_cbranch_execz .LBB248_27
; %bb.26:                               ;   in Loop: Header=BB248_23 Depth=1
	flat_load_ushort v2, v[0:1]
	s_waitcnt vmcnt(0) lgkmcnt(0)
	v_mul_f16_e32 v33, s23, v2
.LBB248_27:                             ;   in Loop: Header=BB248_23 Depth=1
	s_or_b64 exec, exec, s[26:27]
	s_or_b64 s[6:7], s[4:5], s[6:7]
	s_nor_b64 s[26:27], s[6:7], s[16:17]
	v_mov_b32_e32 v78, 0
	v_mov_b32_e32 v80, 0
	s_and_saveexec_b64 s[6:7], s[26:27]
	s_cbranch_execz .LBB248_29
; %bb.28:                               ;   in Loop: Header=BB248_23 Depth=1
	flat_load_ushort v0, v[0:1] offset:128
	s_waitcnt vmcnt(0) lgkmcnt(0)
	v_mul_f16_e32 v80, s23, v0
.LBB248_29:                             ;   in Loop: Header=BB248_23 Depth=1
	s_or_b64 exec, exec, s[6:7]
	ds_read2_b64 v[0:3], v69 offset0:48 offset1:56
	ds_read2_b64 v[16:19], v77 offset0:64 offset1:96
	ds_read2_b64 v[20:23], v77 offset1:32
	ds_read2_b64 v[12:15], v69 offset1:8
	ds_read2_b64 v[8:11], v69 offset0:16 offset1:24
	ds_read2_b64 v[4:7], v69 offset0:32 offset1:40
	v_add_u32_e32 v32, 12, v32
	v_cmp_gt_i32_e64 s[6:7], s22, v32
	s_and_b64 s[6:7], vcc, s[6:7]
	s_and_b64 s[6:7], s[10:11], s[6:7]
	ds_write_b16 v41, v79
	ds_write_b16 v39, v33
	ds_write_b16 v39, v80 offset:512
	s_waitcnt lgkmcnt(0)
	s_barrier
	s_and_saveexec_b64 s[26:27], s[6:7]
	s_xor_b64 s[6:7], exec, s[26:27]
	s_cbranch_execz .LBB248_31
; %bb.30:                               ;   in Loop: Header=BB248_23 Depth=1
	v_lshl_add_u64 v[78:79], v[26:27], 0, v[28:29]
	flat_load_ushort v33, v[78:79]
	s_waitcnt vmcnt(0) lgkmcnt(0)
	v_mul_f16_e32 v78, s23, v33
.LBB248_31:                             ;   in Loop: Header=BB248_23 Depth=1
	s_or_b64 exec, exec, s[6:7]
	v_cmp_le_i32_e64 s[6:7], s22, v32
	v_min_i32_e32 v32, s35, v32
	v_mad_i64_i32 v[32:33], s[26:27], v32, s34, 0
	v_lshl_add_u64 v[32:33], v[32:33], 1, s[12:13]
	s_or_b64 s[26:27], s[2:3], s[6:7]
	s_nor_b64 s[36:37], s[26:27], s[16:17]
	v_mov_b32_e32 v79, 0
	v_lshl_add_u64 v[32:33], v[24:25], 1, v[32:33]
	v_mov_b32_e32 v80, 0
	s_and_saveexec_b64 s[26:27], s[36:37]
	s_cbranch_execz .LBB248_33
; %bb.32:                               ;   in Loop: Header=BB248_23 Depth=1
	flat_load_ushort v80, v[32:33]
	s_waitcnt vmcnt(0) lgkmcnt(0)
	v_mul_f16_e32 v80, s23, v80
.LBB248_33:                             ;   in Loop: Header=BB248_23 Depth=1
	s_or_b64 exec, exec, s[26:27]
	s_or_b64 s[6:7], s[4:5], s[6:7]
	s_nor_b64 s[26:27], s[6:7], s[16:17]
	s_and_saveexec_b64 s[6:7], s[26:27]
	s_cbranch_execz .LBB248_22
; %bb.34:                               ;   in Loop: Header=BB248_23 Depth=1
	flat_load_ushort v32, v[32:33] offset:128
	s_waitcnt vmcnt(0) lgkmcnt(0)
	v_mul_f16_e32 v79, s23, v32
	s_branch .LBB248_22
.LBB248_35:
	s_load_dwordx2 s[2:3], s[0:1], 0x70
	s_load_dword s29, s[0:1], 0x50
	s_load_dword s28, s[0:1], 0x68
	v_add_u32_e32 v8, 0x800, v38
	ds_read2_b64 v[0:3], v8 offset0:112 offset1:120
	ds_read2_b64 v[4:7], v37 offset0:192 offset1:224
	ds_read2_b64 v[20:23], v37 offset0:128 offset1:160
	ds_read2_b64 v[16:19], v8 offset0:64 offset1:72
	ds_read2_b64 v[12:15], v8 offset0:80 offset1:88
	ds_read2_b64 v[8:11], v8 offset0:96 offset1:104
	s_waitcnt lgkmcnt(0)
	s_lshl_b64 s[0:1], s[2:3], 1
	s_add_u32 s22, s14, s0
	v_add_u32_e32 v69, s33, v35
	s_addc_u32 s23, s15, s1
	v_mad_i64_i32 v[26:27], s[0:1], v69, s29, 0
	v_add_u32_e32 v24, s31, v34
	v_lshl_add_u64 v[42:43], v[26:27], 1, s[24:25]
	v_mad_i64_i32 v[26:27], s[0:1], v69, s28, 0
	v_cmp_gt_i32_e64 s[18:19], s21, v69
	v_lshl_add_u64 v[40:41], v[26:27], 1, s[22:23]
	v_cmp_gt_i32_e64 s[2:3], s20, v24
	v_cndmask_b32_e64 v26, 0, 1, s[8:9]
	s_and_b64 s[4:5], s[2:3], s[18:19]
	v_ashrrev_i32_e32 v25, 31, v24
	v_cmp_ne_u32_e64 s[0:1], 1, v26
	s_and_saveexec_b64 s[6:7], s[4:5]
	s_xor_b64 s[4:5], exec, s[6:7]
	s_cbranch_execz .LBB248_40
; %bb.36:
	s_and_b64 vcc, exec, s[0:1]
	s_cbranch_vccnz .LBB248_38
; %bb.37:
	v_lshl_add_u64 v[26:27], v[24:25], 1, v[42:43]
	flat_load_ushort v26, v[26:27]
	s_waitcnt vmcnt(0) lgkmcnt(0)
	v_mul_f16_e32 v26, s30, v26
	s_branch .LBB248_39
.LBB248_38:
	v_mov_b32_e32 v26, 0
.LBB248_39:
	v_pk_max_f16 v27, v20, v20
	v_pk_max_f16 v28, v16, v16
	v_pk_max_f16 v29, v17, v17
	v_pk_min_f16 v27, v28, v27
	v_pk_max_f16 v28, v21, v21
	v_pk_add_f16 v27, v76, v27
	v_pk_min_f16 v28, v29, v28
	s_nop 0
	v_pk_add_f16 v27, v27, v28
	s_nop 0
	v_add_f16_sdwa v27, v27, v27 dst_sel:DWORD dst_unused:UNUSED_PAD src0_sel:DWORD src1_sel:WORD_1
	v_add_f16_e32 v28, v27, v26
	v_lshl_add_u64 v[26:27], v[24:25], 1, v[40:41]
	flat_store_short v[26:27], v28
.LBB248_40:
	s_or_b64 exec, exec, s[4:5]
	v_add_u32_e32 v26, 8, v24
	v_cmp_gt_i32_e64 s[4:5], s20, v26
	s_and_b64 s[8:9], s[4:5], s[18:19]
	v_ashrrev_i32_e32 v27, 31, v26
	s_and_saveexec_b64 s[6:7], s[8:9]
	s_cbranch_execz .LBB248_45
; %bb.41:
	s_and_b64 vcc, exec, s[0:1]
	s_cbranch_vccnz .LBB248_43
; %bb.42:
	v_lshl_add_u64 v[28:29], v[26:27], 1, v[42:43]
	flat_load_ushort v28, v[28:29]
	s_waitcnt vmcnt(0) lgkmcnt(0)
	v_mul_f16_e32 v28, s30, v28
	s_branch .LBB248_44
.LBB248_43:
	v_mov_b32_e32 v28, 0
.LBB248_44:
	v_pk_max_f16 v29, v20, v20
	v_pk_max_f16 v30, v18, v18
	v_pk_max_f16 v31, v19, v19
	v_pk_min_f16 v29, v30, v29
	v_pk_max_f16 v30, v21, v21
	v_pk_add_f16 v29, v75, v29
	v_pk_min_f16 v30, v31, v30
	s_nop 0
	v_pk_add_f16 v29, v29, v30
	s_nop 0
	v_add_f16_sdwa v29, v29, v29 dst_sel:DWORD dst_unused:UNUSED_PAD src0_sel:DWORD src1_sel:WORD_1
	v_add_f16_e32 v30, v29, v28
	v_lshl_add_u64 v[28:29], v[26:27], 1, v[40:41]
	flat_store_short v[28:29], v30
.LBB248_45:
	s_or_b64 exec, exec, s[6:7]
	v_add_u32_e32 v28, 16, v24
	v_cmp_gt_i32_e64 s[6:7], s20, v28
	s_and_b64 s[10:11], s[6:7], s[18:19]
	v_ashrrev_i32_e32 v29, 31, v28
	s_and_saveexec_b64 s[8:9], s[10:11]
	;; [unrolled: 34-line block ×6, first 2 shown]
	s_cbranch_execz .LBB248_70
; %bb.66:
	s_and_b64 vcc, exec, s[0:1]
	s_cbranch_vccnz .LBB248_68
; %bb.67:
	v_lshl_add_u64 v[38:39], v[36:37], 1, v[42:43]
	flat_load_ushort v38, v[38:39]
	s_waitcnt vmcnt(0) lgkmcnt(0)
	v_mul_f16_e32 v38, s30, v38
	s_branch .LBB248_69
.LBB248_68:
	v_mov_b32_e32 v38, 0
.LBB248_69:
	v_pk_max_f16 v39, v20, v20
	v_pk_max_f16 v71, v0, v0
	s_nop 0
	v_pk_min_f16 v39, v71, v39
	v_pk_max_f16 v71, v1, v1
	v_pk_add_f16 v39, v70, v39
	v_pk_max_f16 v70, v21, v21
	s_nop 0
	v_pk_min_f16 v70, v71, v70
	s_nop 0
	v_pk_add_f16 v39, v39, v70
	s_nop 0
	v_add_f16_sdwa v39, v39, v39 dst_sel:DWORD dst_unused:UNUSED_PAD src0_sel:DWORD src1_sel:WORD_1
	v_add_f16_e32 v70, v39, v38
	v_lshl_add_u64 v[38:39], v[36:37], 1, v[40:41]
	flat_store_short v[38:39], v70
.LBB248_70:
	s_or_b64 exec, exec, s[16:17]
	v_add_u32_e32 v38, 56, v24
	v_cmp_gt_i32_e64 s[16:17], s20, v38
	s_and_b64 s[26:27], s[16:17], s[18:19]
	v_ashrrev_i32_e32 v39, 31, v38
	s_and_saveexec_b64 s[18:19], s[26:27]
	s_cbranch_execz .LBB248_75
; %bb.71:
	s_and_b64 vcc, exec, s[0:1]
	s_cbranch_vccnz .LBB248_73
; %bb.72:
	v_lshl_add_u64 v[42:43], v[38:39], 1, v[42:43]
	flat_load_ushort v42, v[42:43]
	s_waitcnt vmcnt(0) lgkmcnt(0)
	v_mul_f16_e32 v42, s30, v42
	s_branch .LBB248_74
.LBB248_73:
	v_mov_b32_e32 v42, 0
.LBB248_74:
	v_pk_max_f16 v20, v20, v20
	v_pk_max_f16 v43, v2, v2
	;; [unrolled: 1-line block ×3, first 2 shown]
	v_pk_min_f16 v20, v43, v20
	v_pk_max_f16 v43, v3, v3
	v_pk_add_f16 v20, v68, v20
	v_pk_min_f16 v21, v43, v21
	s_nop 0
	v_pk_add_f16 v20, v20, v21
	s_nop 0
	v_add_f16_sdwa v20, v20, v20 dst_sel:DWORD dst_unused:UNUSED_PAD src0_sel:DWORD src1_sel:WORD_1
	v_add_f16_e32 v42, v20, v42
	v_lshl_add_u64 v[20:21], v[38:39], 1, v[40:41]
	flat_store_short v[20:21], v42
.LBB248_75:
	s_or_b64 exec, exec, s[18:19]
	v_add_u32_e32 v42, 32, v69
	v_mad_i64_i32 v[20:21], s[26:27], v42, s29, 0
	v_cmp_gt_i32_e64 s[18:19], s21, v42
	v_lshl_add_u64 v[40:41], v[20:21], 1, s[24:25]
	v_mad_i64_i32 v[20:21], s[26:27], v42, s28, 0
	v_lshl_add_u64 v[20:21], v[20:21], 1, s[22:23]
	s_and_b64 s[34:35], s[2:3], s[18:19]
	s_and_saveexec_b64 s[26:27], s[34:35]
	s_cbranch_execnz .LBB248_83
; %bb.76:
	s_or_b64 exec, exec, s[26:27]
	s_and_b64 s[34:35], s[4:5], s[18:19]
	s_and_saveexec_b64 s[26:27], s[34:35]
	s_cbranch_execnz .LBB248_87
.LBB248_77:
	s_or_b64 exec, exec, s[26:27]
	s_and_b64 s[34:35], s[6:7], s[18:19]
	s_and_saveexec_b64 s[26:27], s[34:35]
	s_cbranch_execnz .LBB248_91
.LBB248_78:
	s_or_b64 exec, exec, s[26:27]
	s_and_b64 s[34:35], s[8:9], s[18:19]
	s_and_saveexec_b64 s[26:27], s[34:35]
	s_cbranch_execnz .LBB248_95
.LBB248_79:
	s_or_b64 exec, exec, s[26:27]
	s_and_b64 s[34:35], s[10:11], s[18:19]
	s_and_saveexec_b64 s[26:27], s[34:35]
	s_cbranch_execnz .LBB248_99
.LBB248_80:
	s_or_b64 exec, exec, s[26:27]
	s_and_b64 s[34:35], s[12:13], s[18:19]
	s_and_saveexec_b64 s[26:27], s[34:35]
	s_cbranch_execnz .LBB248_103
.LBB248_81:
	s_or_b64 exec, exec, s[26:27]
	s_and_b64 s[34:35], s[14:15], s[18:19]
	s_and_saveexec_b64 s[26:27], s[34:35]
	s_cbranch_execnz .LBB248_107
.LBB248_82:
	s_or_b64 exec, exec, s[26:27]
	s_and_b64 s[26:27], s[16:17], s[18:19]
	s_and_saveexec_b64 s[18:19], s[26:27]
	s_cbranch_execnz .LBB248_111
	s_branch .LBB248_115
.LBB248_83:
	s_and_b64 vcc, exec, s[0:1]
	s_cbranch_vccnz .LBB248_85
; %bb.84:
	v_lshl_add_u64 v[42:43], v[24:25], 1, v[40:41]
	flat_load_ushort v42, v[42:43]
	s_waitcnt vmcnt(0) lgkmcnt(0)
	v_mul_f16_e32 v42, s30, v42
	s_branch .LBB248_86
.LBB248_85:
	v_mov_b32_e32 v42, 0
.LBB248_86:
	v_pk_max_f16 v43, v22, v22
	v_pk_max_f16 v68, v16, v16
	s_nop 0
	v_pk_min_f16 v43, v68, v43
	v_pk_max_f16 v68, v17, v17
	v_pk_add_f16 v43, v67, v43
	v_pk_max_f16 v67, v23, v23
	s_nop 0
	v_pk_min_f16 v67, v68, v67
	s_nop 0
	v_pk_add_f16 v43, v43, v67
	s_nop 0
	v_add_f16_sdwa v43, v43, v43 dst_sel:DWORD dst_unused:UNUSED_PAD src0_sel:DWORD src1_sel:WORD_1
	v_add_f16_e32 v67, v43, v42
	v_lshl_add_u64 v[42:43], v[24:25], 1, v[20:21]
	flat_store_short v[42:43], v67
	s_or_b64 exec, exec, s[26:27]
	s_and_b64 s[34:35], s[4:5], s[18:19]
	s_and_saveexec_b64 s[26:27], s[34:35]
	s_cbranch_execz .LBB248_77
.LBB248_87:
	s_and_b64 vcc, exec, s[0:1]
	s_cbranch_vccnz .LBB248_89
; %bb.88:
	v_lshl_add_u64 v[42:43], v[26:27], 1, v[40:41]
	flat_load_ushort v42, v[42:43]
	s_waitcnt vmcnt(0) lgkmcnt(0)
	v_mul_f16_e32 v42, s30, v42
	s_branch .LBB248_90
.LBB248_89:
	v_mov_b32_e32 v42, 0
.LBB248_90:
	v_pk_max_f16 v43, v22, v22
	v_pk_max_f16 v67, v18, v18
	s_nop 0
	v_pk_min_f16 v43, v67, v43
	v_pk_max_f16 v67, v19, v19
	v_pk_add_f16 v43, v66, v43
	v_pk_max_f16 v66, v23, v23
	s_nop 0
	v_pk_min_f16 v66, v67, v66
	s_nop 0
	v_pk_add_f16 v43, v43, v66
	s_nop 0
	v_add_f16_sdwa v43, v43, v43 dst_sel:DWORD dst_unused:UNUSED_PAD src0_sel:DWORD src1_sel:WORD_1
	v_add_f16_e32 v66, v43, v42
	v_lshl_add_u64 v[42:43], v[26:27], 1, v[20:21]
	flat_store_short v[42:43], v66
	s_or_b64 exec, exec, s[26:27]
	s_and_b64 s[34:35], s[6:7], s[18:19]
	s_and_saveexec_b64 s[26:27], s[34:35]
	s_cbranch_execz .LBB248_78
.LBB248_91:
	s_and_b64 vcc, exec, s[0:1]
	s_cbranch_vccnz .LBB248_93
; %bb.92:
	v_lshl_add_u64 v[42:43], v[28:29], 1, v[40:41]
	flat_load_ushort v42, v[42:43]
	s_waitcnt vmcnt(0) lgkmcnt(0)
	v_mul_f16_e32 v42, s30, v42
	s_branch .LBB248_94
.LBB248_93:
	v_mov_b32_e32 v42, 0
.LBB248_94:
	v_pk_max_f16 v43, v22, v22
	v_pk_max_f16 v66, v12, v12
	s_nop 0
	v_pk_min_f16 v43, v66, v43
	v_pk_max_f16 v66, v13, v13
	v_pk_add_f16 v43, v65, v43
	v_pk_max_f16 v65, v23, v23
	s_nop 0
	v_pk_min_f16 v65, v66, v65
	s_nop 0
	v_pk_add_f16 v43, v43, v65
	s_nop 0
	v_add_f16_sdwa v43, v43, v43 dst_sel:DWORD dst_unused:UNUSED_PAD src0_sel:DWORD src1_sel:WORD_1
	v_add_f16_e32 v65, v43, v42
	v_lshl_add_u64 v[42:43], v[28:29], 1, v[20:21]
	flat_store_short v[42:43], v65
	s_or_b64 exec, exec, s[26:27]
	s_and_b64 s[34:35], s[8:9], s[18:19]
	s_and_saveexec_b64 s[26:27], s[34:35]
	s_cbranch_execz .LBB248_79
.LBB248_95:
	s_and_b64 vcc, exec, s[0:1]
	s_cbranch_vccnz .LBB248_97
; %bb.96:
	v_lshl_add_u64 v[42:43], v[30:31], 1, v[40:41]
	flat_load_ushort v42, v[42:43]
	s_waitcnt vmcnt(0) lgkmcnt(0)
	v_mul_f16_e32 v42, s30, v42
	s_branch .LBB248_98
.LBB248_97:
	v_mov_b32_e32 v42, 0
.LBB248_98:
	v_pk_max_f16 v43, v22, v22
	v_pk_max_f16 v65, v14, v14
	s_nop 0
	v_pk_min_f16 v43, v65, v43
	v_pk_max_f16 v65, v15, v15
	v_pk_add_f16 v43, v64, v43
	v_pk_max_f16 v64, v23, v23
	s_nop 0
	v_pk_min_f16 v64, v65, v64
	s_nop 0
	v_pk_add_f16 v43, v43, v64
	s_nop 0
	v_add_f16_sdwa v43, v43, v43 dst_sel:DWORD dst_unused:UNUSED_PAD src0_sel:DWORD src1_sel:WORD_1
	v_add_f16_e32 v64, v43, v42
	v_lshl_add_u64 v[42:43], v[30:31], 1, v[20:21]
	flat_store_short v[42:43], v64
	s_or_b64 exec, exec, s[26:27]
	s_and_b64 s[34:35], s[10:11], s[18:19]
	s_and_saveexec_b64 s[26:27], s[34:35]
	s_cbranch_execz .LBB248_80
.LBB248_99:
	s_and_b64 vcc, exec, s[0:1]
	s_cbranch_vccnz .LBB248_101
; %bb.100:
	v_lshl_add_u64 v[42:43], v[32:33], 1, v[40:41]
	flat_load_ushort v42, v[42:43]
	s_waitcnt vmcnt(0) lgkmcnt(0)
	v_mul_f16_e32 v42, s30, v42
	s_branch .LBB248_102
.LBB248_101:
	v_mov_b32_e32 v42, 0
.LBB248_102:
	v_pk_max_f16 v43, v22, v22
	v_pk_max_f16 v64, v8, v8
	s_nop 0
	v_pk_min_f16 v43, v64, v43
	v_pk_max_f16 v64, v9, v9
	v_pk_add_f16 v43, v63, v43
	v_pk_max_f16 v63, v23, v23
	s_nop 0
	v_pk_min_f16 v63, v64, v63
	s_nop 0
	v_pk_add_f16 v43, v43, v63
	s_nop 0
	v_add_f16_sdwa v43, v43, v43 dst_sel:DWORD dst_unused:UNUSED_PAD src0_sel:DWORD src1_sel:WORD_1
	v_add_f16_e32 v63, v43, v42
	v_lshl_add_u64 v[42:43], v[32:33], 1, v[20:21]
	flat_store_short v[42:43], v63
	s_or_b64 exec, exec, s[26:27]
	s_and_b64 s[34:35], s[12:13], s[18:19]
	s_and_saveexec_b64 s[26:27], s[34:35]
	s_cbranch_execz .LBB248_81
.LBB248_103:
	s_and_b64 vcc, exec, s[0:1]
	s_cbranch_vccnz .LBB248_105
; %bb.104:
	v_lshl_add_u64 v[42:43], v[34:35], 1, v[40:41]
	flat_load_ushort v42, v[42:43]
	s_waitcnt vmcnt(0) lgkmcnt(0)
	v_mul_f16_e32 v42, s30, v42
	s_branch .LBB248_106
.LBB248_105:
	v_mov_b32_e32 v42, 0
.LBB248_106:
	v_pk_max_f16 v43, v22, v22
	v_pk_max_f16 v63, v10, v10
	s_nop 0
	v_pk_min_f16 v43, v63, v43
	v_pk_max_f16 v63, v11, v11
	v_pk_add_f16 v43, v62, v43
	v_pk_max_f16 v62, v23, v23
	s_nop 0
	v_pk_min_f16 v62, v63, v62
	s_nop 0
	v_pk_add_f16 v43, v43, v62
	s_nop 0
	v_add_f16_sdwa v43, v43, v43 dst_sel:DWORD dst_unused:UNUSED_PAD src0_sel:DWORD src1_sel:WORD_1
	v_add_f16_e32 v62, v43, v42
	v_lshl_add_u64 v[42:43], v[34:35], 1, v[20:21]
	flat_store_short v[42:43], v62
	s_or_b64 exec, exec, s[26:27]
	s_and_b64 s[34:35], s[14:15], s[18:19]
	s_and_saveexec_b64 s[26:27], s[34:35]
	s_cbranch_execz .LBB248_82
.LBB248_107:
	s_and_b64 vcc, exec, s[0:1]
	s_cbranch_vccnz .LBB248_109
; %bb.108:
	v_lshl_add_u64 v[42:43], v[36:37], 1, v[40:41]
	flat_load_ushort v42, v[42:43]
	s_waitcnt vmcnt(0) lgkmcnt(0)
	v_mul_f16_e32 v42, s30, v42
	s_branch .LBB248_110
.LBB248_109:
	v_mov_b32_e32 v42, 0
.LBB248_110:
	v_pk_max_f16 v43, v22, v22
	v_pk_max_f16 v62, v0, v0
	s_nop 0
	v_pk_min_f16 v43, v62, v43
	v_pk_max_f16 v62, v1, v1
	v_pk_add_f16 v43, v61, v43
	v_pk_max_f16 v61, v23, v23
	s_nop 0
	v_pk_min_f16 v61, v62, v61
	s_nop 0
	v_pk_add_f16 v43, v43, v61
	s_nop 0
	v_add_f16_sdwa v43, v43, v43 dst_sel:DWORD dst_unused:UNUSED_PAD src0_sel:DWORD src1_sel:WORD_1
	v_add_f16_e32 v61, v43, v42
	v_lshl_add_u64 v[42:43], v[36:37], 1, v[20:21]
	flat_store_short v[42:43], v61
	s_or_b64 exec, exec, s[26:27]
	s_and_b64 s[26:27], s[16:17], s[18:19]
	s_and_saveexec_b64 s[18:19], s[26:27]
	s_cbranch_execz .LBB248_115
.LBB248_111:
	s_and_b64 vcc, exec, s[0:1]
	s_cbranch_vccnz .LBB248_113
; %bb.112:
	v_lshl_add_u64 v[40:41], v[38:39], 1, v[40:41]
	flat_load_ushort v40, v[40:41]
	s_waitcnt vmcnt(0) lgkmcnt(0)
	v_mul_f16_e32 v40, s30, v40
	s_branch .LBB248_114
.LBB248_113:
	v_mov_b32_e32 v40, 0
.LBB248_114:
	v_pk_max_f16 v22, v22, v22
	v_pk_max_f16 v41, v2, v2
	;; [unrolled: 1-line block ×3, first 2 shown]
	v_pk_min_f16 v22, v41, v22
	v_pk_max_f16 v41, v3, v3
	v_pk_add_f16 v22, v60, v22
	v_pk_min_f16 v23, v41, v23
	v_lshl_add_u64 v[20:21], v[38:39], 1, v[20:21]
	v_pk_add_f16 v22, v22, v23
	s_nop 0
	v_add_f16_sdwa v22, v22, v22 dst_sel:DWORD dst_unused:UNUSED_PAD src0_sel:DWORD src1_sel:WORD_1
	v_add_f16_e32 v22, v22, v40
	flat_store_short v[20:21], v22
.LBB248_115:
	s_or_b64 exec, exec, s[18:19]
	v_add_u32_e32 v40, 64, v69
	v_mad_i64_i32 v[20:21], s[26:27], v40, s29, 0
	v_cmp_gt_i32_e64 s[18:19], s21, v40
	v_lshl_add_u64 v[22:23], v[20:21], 1, s[24:25]
	v_mad_i64_i32 v[20:21], s[26:27], v40, s28, 0
	v_lshl_add_u64 v[20:21], v[20:21], 1, s[22:23]
	s_and_b64 s[34:35], s[2:3], s[18:19]
	s_and_saveexec_b64 s[26:27], s[34:35]
	s_cbranch_execnz .LBB248_123
; %bb.116:
	s_or_b64 exec, exec, s[26:27]
	s_and_b64 s[34:35], s[4:5], s[18:19]
	s_and_saveexec_b64 s[26:27], s[34:35]
	s_cbranch_execnz .LBB248_127
.LBB248_117:
	s_or_b64 exec, exec, s[26:27]
	s_and_b64 s[34:35], s[6:7], s[18:19]
	s_and_saveexec_b64 s[26:27], s[34:35]
	s_cbranch_execnz .LBB248_131
.LBB248_118:
	s_or_b64 exec, exec, s[26:27]
	s_and_b64 s[34:35], s[8:9], s[18:19]
	s_and_saveexec_b64 s[26:27], s[34:35]
	s_cbranch_execnz .LBB248_135
.LBB248_119:
	s_or_b64 exec, exec, s[26:27]
	s_and_b64 s[34:35], s[10:11], s[18:19]
	s_and_saveexec_b64 s[26:27], s[34:35]
	s_cbranch_execnz .LBB248_139
.LBB248_120:
	s_or_b64 exec, exec, s[26:27]
	s_and_b64 s[34:35], s[12:13], s[18:19]
	s_and_saveexec_b64 s[26:27], s[34:35]
	s_cbranch_execnz .LBB248_143
.LBB248_121:
	s_or_b64 exec, exec, s[26:27]
	s_and_b64 s[34:35], s[14:15], s[18:19]
	s_and_saveexec_b64 s[26:27], s[34:35]
	s_cbranch_execnz .LBB248_147
.LBB248_122:
	s_or_b64 exec, exec, s[26:27]
	s_and_b64 s[26:27], s[16:17], s[18:19]
	s_and_saveexec_b64 s[18:19], s[26:27]
	s_cbranch_execnz .LBB248_151
	s_branch .LBB248_155
.LBB248_123:
	s_and_b64 vcc, exec, s[0:1]
	s_cbranch_vccnz .LBB248_125
; %bb.124:
	v_lshl_add_u64 v[40:41], v[24:25], 1, v[22:23]
	flat_load_ushort v40, v[40:41]
	s_waitcnt vmcnt(0) lgkmcnt(0)
	v_mul_f16_e32 v40, s30, v40
	s_branch .LBB248_126
.LBB248_125:
	v_mov_b32_e32 v40, 0
.LBB248_126:
	v_pk_max_f16 v41, v4, v4
	v_pk_max_f16 v42, v16, v16
	v_pk_max_f16 v43, v17, v17
	v_pk_min_f16 v41, v42, v41
	v_pk_max_f16 v42, v5, v5
	v_pk_add_f16 v41, v59, v41
	v_pk_min_f16 v42, v43, v42
	s_nop 0
	v_pk_add_f16 v41, v41, v42
	s_nop 0
	v_add_f16_sdwa v41, v41, v41 dst_sel:DWORD dst_unused:UNUSED_PAD src0_sel:DWORD src1_sel:WORD_1
	v_add_f16_e32 v42, v41, v40
	v_lshl_add_u64 v[40:41], v[24:25], 1, v[20:21]
	flat_store_short v[40:41], v42
	s_or_b64 exec, exec, s[26:27]
	s_and_b64 s[34:35], s[4:5], s[18:19]
	s_and_saveexec_b64 s[26:27], s[34:35]
	s_cbranch_execz .LBB248_117
.LBB248_127:
	s_and_b64 vcc, exec, s[0:1]
	s_cbranch_vccnz .LBB248_129
; %bb.128:
	v_lshl_add_u64 v[40:41], v[26:27], 1, v[22:23]
	flat_load_ushort v40, v[40:41]
	s_waitcnt vmcnt(0) lgkmcnt(0)
	v_mul_f16_e32 v40, s30, v40
	s_branch .LBB248_130
.LBB248_129:
	v_mov_b32_e32 v40, 0
.LBB248_130:
	v_pk_max_f16 v41, v4, v4
	v_pk_max_f16 v42, v18, v18
	;; [unrolled: 1-line block ×3, first 2 shown]
	v_pk_min_f16 v41, v42, v41
	v_pk_max_f16 v42, v5, v5
	v_pk_add_f16 v41, v58, v41
	v_pk_min_f16 v42, v43, v42
	s_nop 0
	v_pk_add_f16 v41, v41, v42
	s_nop 0
	v_add_f16_sdwa v41, v41, v41 dst_sel:DWORD dst_unused:UNUSED_PAD src0_sel:DWORD src1_sel:WORD_1
	v_add_f16_e32 v42, v41, v40
	v_lshl_add_u64 v[40:41], v[26:27], 1, v[20:21]
	flat_store_short v[40:41], v42
	s_or_b64 exec, exec, s[26:27]
	s_and_b64 s[34:35], s[6:7], s[18:19]
	s_and_saveexec_b64 s[26:27], s[34:35]
	s_cbranch_execz .LBB248_118
.LBB248_131:
	s_and_b64 vcc, exec, s[0:1]
	s_cbranch_vccnz .LBB248_133
; %bb.132:
	v_lshl_add_u64 v[40:41], v[28:29], 1, v[22:23]
	flat_load_ushort v40, v[40:41]
	s_waitcnt vmcnt(0) lgkmcnt(0)
	v_mul_f16_e32 v40, s30, v40
	s_branch .LBB248_134
.LBB248_133:
	v_mov_b32_e32 v40, 0
.LBB248_134:
	v_pk_max_f16 v41, v4, v4
	v_pk_max_f16 v42, v12, v12
	;; [unrolled: 1-line block ×3, first 2 shown]
	v_pk_min_f16 v41, v42, v41
	v_pk_max_f16 v42, v5, v5
	v_pk_add_f16 v41, v57, v41
	v_pk_min_f16 v42, v43, v42
	s_nop 0
	v_pk_add_f16 v41, v41, v42
	s_nop 0
	v_add_f16_sdwa v41, v41, v41 dst_sel:DWORD dst_unused:UNUSED_PAD src0_sel:DWORD src1_sel:WORD_1
	v_add_f16_e32 v42, v41, v40
	v_lshl_add_u64 v[40:41], v[28:29], 1, v[20:21]
	flat_store_short v[40:41], v42
	s_or_b64 exec, exec, s[26:27]
	s_and_b64 s[34:35], s[8:9], s[18:19]
	s_and_saveexec_b64 s[26:27], s[34:35]
	s_cbranch_execz .LBB248_119
.LBB248_135:
	s_and_b64 vcc, exec, s[0:1]
	s_cbranch_vccnz .LBB248_137
; %bb.136:
	v_lshl_add_u64 v[40:41], v[30:31], 1, v[22:23]
	flat_load_ushort v40, v[40:41]
	s_waitcnt vmcnt(0) lgkmcnt(0)
	v_mul_f16_e32 v40, s30, v40
	s_branch .LBB248_138
.LBB248_137:
	v_mov_b32_e32 v40, 0
.LBB248_138:
	v_pk_max_f16 v41, v4, v4
	v_pk_max_f16 v42, v14, v14
	;; [unrolled: 1-line block ×3, first 2 shown]
	v_pk_min_f16 v41, v42, v41
	v_pk_max_f16 v42, v5, v5
	v_pk_add_f16 v41, v56, v41
	v_pk_min_f16 v42, v43, v42
	s_nop 0
	v_pk_add_f16 v41, v41, v42
	s_nop 0
	v_add_f16_sdwa v41, v41, v41 dst_sel:DWORD dst_unused:UNUSED_PAD src0_sel:DWORD src1_sel:WORD_1
	v_add_f16_e32 v42, v41, v40
	v_lshl_add_u64 v[40:41], v[30:31], 1, v[20:21]
	flat_store_short v[40:41], v42
	s_or_b64 exec, exec, s[26:27]
	s_and_b64 s[34:35], s[10:11], s[18:19]
	s_and_saveexec_b64 s[26:27], s[34:35]
	s_cbranch_execz .LBB248_120
.LBB248_139:
	s_and_b64 vcc, exec, s[0:1]
	s_cbranch_vccnz .LBB248_141
; %bb.140:
	v_lshl_add_u64 v[40:41], v[32:33], 1, v[22:23]
	flat_load_ushort v40, v[40:41]
	s_waitcnt vmcnt(0) lgkmcnt(0)
	v_mul_f16_e32 v40, s30, v40
	s_branch .LBB248_142
.LBB248_141:
	v_mov_b32_e32 v40, 0
.LBB248_142:
	v_pk_max_f16 v41, v4, v4
	v_pk_max_f16 v42, v8, v8
	;; [unrolled: 1-line block ×3, first 2 shown]
	v_pk_min_f16 v41, v42, v41
	v_pk_max_f16 v42, v5, v5
	v_pk_add_f16 v41, v55, v41
	v_pk_min_f16 v42, v43, v42
	s_nop 0
	v_pk_add_f16 v41, v41, v42
	s_nop 0
	v_add_f16_sdwa v41, v41, v41 dst_sel:DWORD dst_unused:UNUSED_PAD src0_sel:DWORD src1_sel:WORD_1
	v_add_f16_e32 v42, v41, v40
	v_lshl_add_u64 v[40:41], v[32:33], 1, v[20:21]
	flat_store_short v[40:41], v42
	s_or_b64 exec, exec, s[26:27]
	s_and_b64 s[34:35], s[12:13], s[18:19]
	s_and_saveexec_b64 s[26:27], s[34:35]
	s_cbranch_execz .LBB248_121
.LBB248_143:
	s_and_b64 vcc, exec, s[0:1]
	s_cbranch_vccnz .LBB248_145
; %bb.144:
	v_lshl_add_u64 v[40:41], v[34:35], 1, v[22:23]
	flat_load_ushort v40, v[40:41]
	s_waitcnt vmcnt(0) lgkmcnt(0)
	v_mul_f16_e32 v40, s30, v40
	s_branch .LBB248_146
.LBB248_145:
	v_mov_b32_e32 v40, 0
.LBB248_146:
	v_pk_max_f16 v41, v4, v4
	v_pk_max_f16 v42, v10, v10
	;; [unrolled: 1-line block ×3, first 2 shown]
	v_pk_min_f16 v41, v42, v41
	v_pk_max_f16 v42, v5, v5
	v_pk_add_f16 v41, v54, v41
	v_pk_min_f16 v42, v43, v42
	s_nop 0
	v_pk_add_f16 v41, v41, v42
	s_nop 0
	v_add_f16_sdwa v41, v41, v41 dst_sel:DWORD dst_unused:UNUSED_PAD src0_sel:DWORD src1_sel:WORD_1
	v_add_f16_e32 v42, v41, v40
	v_lshl_add_u64 v[40:41], v[34:35], 1, v[20:21]
	flat_store_short v[40:41], v42
	s_or_b64 exec, exec, s[26:27]
	s_and_b64 s[34:35], s[14:15], s[18:19]
	s_and_saveexec_b64 s[26:27], s[34:35]
	s_cbranch_execz .LBB248_122
.LBB248_147:
	s_and_b64 vcc, exec, s[0:1]
	s_cbranch_vccnz .LBB248_149
; %bb.148:
	v_lshl_add_u64 v[40:41], v[36:37], 1, v[22:23]
	flat_load_ushort v40, v[40:41]
	s_waitcnt vmcnt(0) lgkmcnt(0)
	v_mul_f16_e32 v40, s30, v40
	s_branch .LBB248_150
.LBB248_149:
	v_mov_b32_e32 v40, 0
.LBB248_150:
	v_pk_max_f16 v41, v4, v4
	v_pk_max_f16 v42, v0, v0
	;; [unrolled: 1-line block ×3, first 2 shown]
	v_pk_min_f16 v41, v42, v41
	v_pk_max_f16 v42, v5, v5
	v_pk_add_f16 v41, v53, v41
	v_pk_min_f16 v42, v43, v42
	s_nop 0
	v_pk_add_f16 v41, v41, v42
	s_nop 0
	v_add_f16_sdwa v41, v41, v41 dst_sel:DWORD dst_unused:UNUSED_PAD src0_sel:DWORD src1_sel:WORD_1
	v_add_f16_e32 v42, v41, v40
	v_lshl_add_u64 v[40:41], v[36:37], 1, v[20:21]
	flat_store_short v[40:41], v42
	s_or_b64 exec, exec, s[26:27]
	s_and_b64 s[26:27], s[16:17], s[18:19]
	s_and_saveexec_b64 s[18:19], s[26:27]
	s_cbranch_execz .LBB248_155
.LBB248_151:
	s_and_b64 vcc, exec, s[0:1]
	s_cbranch_vccnz .LBB248_153
; %bb.152:
	v_lshl_add_u64 v[22:23], v[38:39], 1, v[22:23]
	flat_load_ushort v22, v[22:23]
	s_waitcnt vmcnt(0) lgkmcnt(0)
	v_mul_f16_e32 v22, s30, v22
	s_branch .LBB248_154
.LBB248_153:
	v_mov_b32_e32 v22, 0
.LBB248_154:
	v_pk_max_f16 v4, v4, v4
	v_pk_max_f16 v23, v2, v2
	;; [unrolled: 1-line block ×3, first 2 shown]
	v_pk_min_f16 v4, v23, v4
	v_pk_max_f16 v23, v3, v3
	v_pk_add_f16 v4, v52, v4
	v_pk_min_f16 v5, v23, v5
	s_nop 0
	v_pk_add_f16 v4, v4, v5
	s_nop 0
	v_add_f16_sdwa v4, v4, v4 dst_sel:DWORD dst_unused:UNUSED_PAD src0_sel:DWORD src1_sel:WORD_1
	v_add_f16_e32 v22, v4, v22
	v_lshl_add_u64 v[4:5], v[38:39], 1, v[20:21]
	flat_store_short v[4:5], v22
.LBB248_155:
	s_or_b64 exec, exec, s[18:19]
	v_add_u32_e32 v22, 0x60, v69
	v_cmp_gt_i32_e64 s[18:19], s21, v22
	v_mad_i64_i32 v[4:5], s[20:21], v22, s29, 0
	v_lshl_add_u64 v[20:21], v[4:5], 1, s[24:25]
	v_mad_i64_i32 v[4:5], s[20:21], v22, s28, 0
	v_lshl_add_u64 v[4:5], v[4:5], 1, s[22:23]
	s_and_b64 s[20:21], s[2:3], s[18:19]
	s_and_saveexec_b64 s[2:3], s[20:21]
	s_cbranch_execnz .LBB248_164
; %bb.156:
	s_or_b64 exec, exec, s[2:3]
	s_and_b64 s[4:5], s[4:5], s[18:19]
	s_and_saveexec_b64 s[2:3], s[4:5]
	s_cbranch_execnz .LBB248_168
.LBB248_157:
	s_or_b64 exec, exec, s[2:3]
	s_and_b64 s[4:5], s[6:7], s[18:19]
	s_and_saveexec_b64 s[2:3], s[4:5]
	s_cbranch_execnz .LBB248_172
.LBB248_158:
	s_or_b64 exec, exec, s[2:3]
	s_and_b64 s[4:5], s[8:9], s[18:19]
	s_and_saveexec_b64 s[2:3], s[4:5]
	s_cbranch_execnz .LBB248_176
.LBB248_159:
	s_or_b64 exec, exec, s[2:3]
	s_and_b64 s[4:5], s[10:11], s[18:19]
	s_and_saveexec_b64 s[2:3], s[4:5]
	s_cbranch_execnz .LBB248_180
.LBB248_160:
	s_or_b64 exec, exec, s[2:3]
	s_and_b64 s[4:5], s[12:13], s[18:19]
	s_and_saveexec_b64 s[2:3], s[4:5]
	s_cbranch_execnz .LBB248_184
.LBB248_161:
	s_or_b64 exec, exec, s[2:3]
	s_and_b64 s[4:5], s[14:15], s[18:19]
	s_and_saveexec_b64 s[2:3], s[4:5]
	s_cbranch_execnz .LBB248_188
.LBB248_162:
	s_or_b64 exec, exec, s[2:3]
	s_and_b64 s[2:3], s[16:17], s[18:19]
	s_and_saveexec_b64 s[4:5], s[2:3]
	s_cbranch_execnz .LBB248_192
.LBB248_163:
	s_endpgm
.LBB248_164:
	s_and_b64 vcc, exec, s[0:1]
	s_cbranch_vccnz .LBB248_166
; %bb.165:
	v_lshl_add_u64 v[22:23], v[24:25], 1, v[20:21]
	flat_load_ushort v22, v[22:23]
	s_waitcnt vmcnt(0) lgkmcnt(0)
	v_mul_f16_e32 v22, s30, v22
	s_branch .LBB248_167
.LBB248_166:
	v_mov_b32_e32 v22, 0
.LBB248_167:
	v_pk_max_f16 v23, v6, v6
	v_pk_max_f16 v16, v16, v16
	;; [unrolled: 1-line block ×3, first 2 shown]
	v_pk_min_f16 v16, v16, v23
	v_pk_max_f16 v23, v7, v7
	v_pk_add_f16 v16, v51, v16
	v_pk_min_f16 v17, v17, v23
	s_nop 0
	v_pk_add_f16 v16, v16, v17
	s_nop 0
	v_add_f16_sdwa v16, v16, v16 dst_sel:DWORD dst_unused:UNUSED_PAD src0_sel:DWORD src1_sel:WORD_1
	v_add_f16_e32 v22, v16, v22
	v_lshl_add_u64 v[16:17], v[24:25], 1, v[4:5]
	flat_store_short v[16:17], v22
	s_or_b64 exec, exec, s[2:3]
	s_and_b64 s[4:5], s[4:5], s[18:19]
	s_and_saveexec_b64 s[2:3], s[4:5]
	s_cbranch_execz .LBB248_157
.LBB248_168:
	s_and_b64 vcc, exec, s[0:1]
	s_cbranch_vccnz .LBB248_170
; %bb.169:
	v_lshl_add_u64 v[16:17], v[26:27], 1, v[20:21]
	flat_load_ushort v16, v[16:17]
	s_waitcnt vmcnt(0) lgkmcnt(0)
	v_mul_f16_e32 v16, s30, v16
	s_branch .LBB248_171
.LBB248_170:
	v_mov_b32_e32 v16, 0
.LBB248_171:
	v_pk_max_f16 v17, v6, v6
	v_pk_max_f16 v18, v18, v18
	;; [unrolled: 1-line block ×3, first 2 shown]
	v_pk_min_f16 v17, v18, v17
	v_pk_max_f16 v18, v7, v7
	v_pk_add_f16 v17, v50, v17
	v_pk_min_f16 v18, v19, v18
	s_nop 0
	v_pk_add_f16 v17, v17, v18
	s_nop 0
	v_add_f16_sdwa v17, v17, v17 dst_sel:DWORD dst_unused:UNUSED_PAD src0_sel:DWORD src1_sel:WORD_1
	v_add_f16_e32 v18, v17, v16
	v_lshl_add_u64 v[16:17], v[26:27], 1, v[4:5]
	flat_store_short v[16:17], v18
	s_or_b64 exec, exec, s[2:3]
	s_and_b64 s[4:5], s[6:7], s[18:19]
	s_and_saveexec_b64 s[2:3], s[4:5]
	s_cbranch_execz .LBB248_158
.LBB248_172:
	s_and_b64 vcc, exec, s[0:1]
	s_cbranch_vccnz .LBB248_174
; %bb.173:
	v_lshl_add_u64 v[16:17], v[28:29], 1, v[20:21]
	flat_load_ushort v16, v[16:17]
	s_waitcnt vmcnt(0) lgkmcnt(0)
	v_mul_f16_e32 v16, s30, v16
	s_branch .LBB248_175
.LBB248_174:
	v_mov_b32_e32 v16, 0
.LBB248_175:
	v_pk_max_f16 v17, v6, v6
	v_pk_max_f16 v12, v12, v12
	;; [unrolled: 1-line block ×3, first 2 shown]
	v_pk_min_f16 v12, v12, v17
	v_pk_max_f16 v17, v7, v7
	v_pk_add_f16 v12, v49, v12
	v_pk_min_f16 v13, v13, v17
	s_nop 0
	v_pk_add_f16 v12, v12, v13
	s_nop 0
	v_add_f16_sdwa v12, v12, v12 dst_sel:DWORD dst_unused:UNUSED_PAD src0_sel:DWORD src1_sel:WORD_1
	v_add_f16_e32 v16, v12, v16
	v_lshl_add_u64 v[12:13], v[28:29], 1, v[4:5]
	flat_store_short v[12:13], v16
	s_or_b64 exec, exec, s[2:3]
	s_and_b64 s[4:5], s[8:9], s[18:19]
	s_and_saveexec_b64 s[2:3], s[4:5]
	s_cbranch_execz .LBB248_159
.LBB248_176:
	s_and_b64 vcc, exec, s[0:1]
	s_cbranch_vccnz .LBB248_178
; %bb.177:
	v_lshl_add_u64 v[12:13], v[30:31], 1, v[20:21]
	flat_load_ushort v12, v[12:13]
	s_waitcnt vmcnt(0) lgkmcnt(0)
	v_mul_f16_e32 v12, s30, v12
	s_branch .LBB248_179
.LBB248_178:
	v_mov_b32_e32 v12, 0
.LBB248_179:
	v_pk_max_f16 v13, v6, v6
	v_pk_max_f16 v14, v14, v14
	;; [unrolled: 1-line block ×3, first 2 shown]
	v_pk_min_f16 v13, v14, v13
	v_pk_max_f16 v14, v7, v7
	v_pk_add_f16 v13, v48, v13
	v_pk_min_f16 v14, v15, v14
	s_nop 0
	v_pk_add_f16 v13, v13, v14
	s_nop 0
	v_add_f16_sdwa v13, v13, v13 dst_sel:DWORD dst_unused:UNUSED_PAD src0_sel:DWORD src1_sel:WORD_1
	v_add_f16_e32 v14, v13, v12
	v_lshl_add_u64 v[12:13], v[30:31], 1, v[4:5]
	flat_store_short v[12:13], v14
	s_or_b64 exec, exec, s[2:3]
	s_and_b64 s[4:5], s[10:11], s[18:19]
	s_and_saveexec_b64 s[2:3], s[4:5]
	s_cbranch_execz .LBB248_160
.LBB248_180:
	s_and_b64 vcc, exec, s[0:1]
	s_cbranch_vccnz .LBB248_182
; %bb.181:
	v_lshl_add_u64 v[12:13], v[32:33], 1, v[20:21]
	flat_load_ushort v12, v[12:13]
	s_waitcnt vmcnt(0) lgkmcnt(0)
	v_mul_f16_e32 v12, s30, v12
	s_branch .LBB248_183
.LBB248_182:
	v_mov_b32_e32 v12, 0
.LBB248_183:
	v_pk_max_f16 v13, v6, v6
	v_pk_max_f16 v8, v8, v8
	;; [unrolled: 1-line block ×3, first 2 shown]
	v_pk_min_f16 v8, v8, v13
	v_pk_max_f16 v13, v7, v7
	v_pk_add_f16 v8, v47, v8
	v_pk_min_f16 v9, v9, v13
	s_nop 0
	v_pk_add_f16 v8, v8, v9
	s_nop 0
	v_add_f16_sdwa v8, v8, v8 dst_sel:DWORD dst_unused:UNUSED_PAD src0_sel:DWORD src1_sel:WORD_1
	v_add_f16_e32 v12, v8, v12
	v_lshl_add_u64 v[8:9], v[32:33], 1, v[4:5]
	flat_store_short v[8:9], v12
	s_or_b64 exec, exec, s[2:3]
	s_and_b64 s[4:5], s[12:13], s[18:19]
	s_and_saveexec_b64 s[2:3], s[4:5]
	s_cbranch_execz .LBB248_161
.LBB248_184:
	s_and_b64 vcc, exec, s[0:1]
	s_cbranch_vccnz .LBB248_186
; %bb.185:
	v_lshl_add_u64 v[8:9], v[34:35], 1, v[20:21]
	flat_load_ushort v8, v[8:9]
	s_waitcnt vmcnt(0) lgkmcnt(0)
	v_mul_f16_e32 v8, s30, v8
	s_branch .LBB248_187
.LBB248_186:
	v_mov_b32_e32 v8, 0
.LBB248_187:
	v_pk_max_f16 v9, v6, v6
	v_pk_max_f16 v10, v10, v10
	;; [unrolled: 1-line block ×3, first 2 shown]
	v_pk_min_f16 v9, v10, v9
	v_pk_max_f16 v10, v7, v7
	v_pk_add_f16 v9, v46, v9
	v_pk_min_f16 v10, v11, v10
	s_nop 0
	v_pk_add_f16 v9, v9, v10
	s_nop 0
	v_add_f16_sdwa v9, v9, v9 dst_sel:DWORD dst_unused:UNUSED_PAD src0_sel:DWORD src1_sel:WORD_1
	v_add_f16_e32 v10, v9, v8
	v_lshl_add_u64 v[8:9], v[34:35], 1, v[4:5]
	flat_store_short v[8:9], v10
	s_or_b64 exec, exec, s[2:3]
	s_and_b64 s[4:5], s[14:15], s[18:19]
	s_and_saveexec_b64 s[2:3], s[4:5]
	s_cbranch_execz .LBB248_162
.LBB248_188:
	s_and_b64 vcc, exec, s[0:1]
	s_cbranch_vccnz .LBB248_190
; %bb.189:
	v_lshl_add_u64 v[8:9], v[36:37], 1, v[20:21]
	flat_load_ushort v8, v[8:9]
	s_waitcnt vmcnt(0) lgkmcnt(0)
	v_mul_f16_e32 v8, s30, v8
	s_branch .LBB248_191
.LBB248_190:
	v_mov_b32_e32 v8, 0
.LBB248_191:
	v_pk_max_f16 v9, v6, v6
	v_pk_max_f16 v0, v0, v0
	;; [unrolled: 1-line block ×3, first 2 shown]
	v_pk_min_f16 v0, v0, v9
	v_pk_max_f16 v9, v7, v7
	v_pk_add_f16 v0, v45, v0
	v_pk_min_f16 v1, v1, v9
	s_nop 0
	v_pk_add_f16 v0, v0, v1
	s_nop 0
	v_add_f16_sdwa v0, v0, v0 dst_sel:DWORD dst_unused:UNUSED_PAD src0_sel:DWORD src1_sel:WORD_1
	v_add_f16_e32 v8, v0, v8
	v_lshl_add_u64 v[0:1], v[36:37], 1, v[4:5]
	flat_store_short v[0:1], v8
	s_or_b64 exec, exec, s[2:3]
	s_and_b64 s[2:3], s[16:17], s[18:19]
	s_and_saveexec_b64 s[4:5], s[2:3]
	s_cbranch_execz .LBB248_163
.LBB248_192:
	s_and_b64 vcc, exec, s[0:1]
	s_cbranch_vccnz .LBB248_194
; %bb.193:
	v_lshl_add_u64 v[0:1], v[38:39], 1, v[20:21]
	flat_load_ushort v0, v[0:1]
	s_waitcnt vmcnt(0) lgkmcnt(0)
	v_mul_f16_e32 v0, s30, v0
	s_branch .LBB248_195
.LBB248_194:
	v_mov_b32_e32 v0, 0
.LBB248_195:
	v_pk_max_f16 v1, v6, v6
	v_pk_max_f16 v2, v2, v2
	;; [unrolled: 1-line block ×3, first 2 shown]
	v_pk_min_f16 v1, v2, v1
	v_pk_max_f16 v2, v7, v7
	v_pk_add_f16 v1, v44, v1
	v_pk_min_f16 v2, v3, v2
	s_nop 0
	v_pk_add_f16 v1, v1, v2
	s_nop 0
	v_add_f16_sdwa v1, v1, v1 dst_sel:DWORD dst_unused:UNUSED_PAD src0_sel:DWORD src1_sel:WORD_1
	v_add_f16_e32 v2, v1, v0
	v_lshl_add_u64 v[0:1], v[38:39], 1, v[4:5]
	flat_store_short v[0:1], v2
	s_endpgm
	.section	.rodata,"a",@progbits
	.p2align	6, 0x0
	.amdhsa_kernel _ZN12_GLOBAL__N_120geam_min_plus_kernelIDF16_Dv2_DF16_S1_Li8ELi32ELi64ELi128ELi4ELi64ELi4ELi64ELi4ELc78ELc84ELb0ELb1ELb0EDF16_KPKDF16_KPDF16_EEviiiT16_PT17_ilS9_ilS7_S9_ilPT18_ili26rocblas_geam_ex_operation_
		.amdhsa_group_segment_fixed_size 3072
		.amdhsa_private_segment_fixed_size 0
		.amdhsa_kernarg_size 128
		.amdhsa_user_sgpr_count 2
		.amdhsa_user_sgpr_dispatch_ptr 0
		.amdhsa_user_sgpr_queue_ptr 0
		.amdhsa_user_sgpr_kernarg_segment_ptr 1
		.amdhsa_user_sgpr_dispatch_id 0
		.amdhsa_user_sgpr_kernarg_preload_length 0
		.amdhsa_user_sgpr_kernarg_preload_offset 0
		.amdhsa_user_sgpr_private_segment_size 0
		.amdhsa_uses_dynamic_stack 0
		.amdhsa_enable_private_segment 0
		.amdhsa_system_sgpr_workgroup_id_x 1
		.amdhsa_system_sgpr_workgroup_id_y 0
		.amdhsa_system_sgpr_workgroup_id_z 1
		.amdhsa_system_sgpr_workgroup_info 0
		.amdhsa_system_vgpr_workitem_id 1
		.amdhsa_next_free_vgpr 121
		.amdhsa_next_free_sgpr 38
		.amdhsa_accum_offset 124
		.amdhsa_reserve_vcc 1
		.amdhsa_float_round_mode_32 0
		.amdhsa_float_round_mode_16_64 0
		.amdhsa_float_denorm_mode_32 3
		.amdhsa_float_denorm_mode_16_64 3
		.amdhsa_dx10_clamp 1
		.amdhsa_ieee_mode 1
		.amdhsa_fp16_overflow 0
		.amdhsa_tg_split 0
		.amdhsa_exception_fp_ieee_invalid_op 0
		.amdhsa_exception_fp_denorm_src 0
		.amdhsa_exception_fp_ieee_div_zero 0
		.amdhsa_exception_fp_ieee_overflow 0
		.amdhsa_exception_fp_ieee_underflow 0
		.amdhsa_exception_fp_ieee_inexact 0
		.amdhsa_exception_int_div_zero 0
	.end_amdhsa_kernel
	.section	.text._ZN12_GLOBAL__N_120geam_min_plus_kernelIDF16_Dv2_DF16_S1_Li8ELi32ELi64ELi128ELi4ELi64ELi4ELi64ELi4ELc78ELc84ELb0ELb1ELb0EDF16_KPKDF16_KPDF16_EEviiiT16_PT17_ilS9_ilS7_S9_ilPT18_ili26rocblas_geam_ex_operation_,"axG",@progbits,_ZN12_GLOBAL__N_120geam_min_plus_kernelIDF16_Dv2_DF16_S1_Li8ELi32ELi64ELi128ELi4ELi64ELi4ELi64ELi4ELc78ELc84ELb0ELb1ELb0EDF16_KPKDF16_KPDF16_EEviiiT16_PT17_ilS9_ilS7_S9_ilPT18_ili26rocblas_geam_ex_operation_,comdat
.Lfunc_end248:
	.size	_ZN12_GLOBAL__N_120geam_min_plus_kernelIDF16_Dv2_DF16_S1_Li8ELi32ELi64ELi128ELi4ELi64ELi4ELi64ELi4ELc78ELc84ELb0ELb1ELb0EDF16_KPKDF16_KPDF16_EEviiiT16_PT17_ilS9_ilS7_S9_ilPT18_ili26rocblas_geam_ex_operation_, .Lfunc_end248-_ZN12_GLOBAL__N_120geam_min_plus_kernelIDF16_Dv2_DF16_S1_Li8ELi32ELi64ELi128ELi4ELi64ELi4ELi64ELi4ELc78ELc84ELb0ELb1ELb0EDF16_KPKDF16_KPDF16_EEviiiT16_PT17_ilS9_ilS7_S9_ilPT18_ili26rocblas_geam_ex_operation_
                                        ; -- End function
	.set _ZN12_GLOBAL__N_120geam_min_plus_kernelIDF16_Dv2_DF16_S1_Li8ELi32ELi64ELi128ELi4ELi64ELi4ELi64ELi4ELc78ELc84ELb0ELb1ELb0EDF16_KPKDF16_KPDF16_EEviiiT16_PT17_ilS9_ilS7_S9_ilPT18_ili26rocblas_geam_ex_operation_.num_vgpr, 121
	.set _ZN12_GLOBAL__N_120geam_min_plus_kernelIDF16_Dv2_DF16_S1_Li8ELi32ELi64ELi128ELi4ELi64ELi4ELi64ELi4ELc78ELc84ELb0ELb1ELb0EDF16_KPKDF16_KPDF16_EEviiiT16_PT17_ilS9_ilS7_S9_ilPT18_ili26rocblas_geam_ex_operation_.num_agpr, 0
	.set _ZN12_GLOBAL__N_120geam_min_plus_kernelIDF16_Dv2_DF16_S1_Li8ELi32ELi64ELi128ELi4ELi64ELi4ELi64ELi4ELc78ELc84ELb0ELb1ELb0EDF16_KPKDF16_KPDF16_EEviiiT16_PT17_ilS9_ilS7_S9_ilPT18_ili26rocblas_geam_ex_operation_.numbered_sgpr, 38
	.set _ZN12_GLOBAL__N_120geam_min_plus_kernelIDF16_Dv2_DF16_S1_Li8ELi32ELi64ELi128ELi4ELi64ELi4ELi64ELi4ELc78ELc84ELb0ELb1ELb0EDF16_KPKDF16_KPDF16_EEviiiT16_PT17_ilS9_ilS7_S9_ilPT18_ili26rocblas_geam_ex_operation_.num_named_barrier, 0
	.set _ZN12_GLOBAL__N_120geam_min_plus_kernelIDF16_Dv2_DF16_S1_Li8ELi32ELi64ELi128ELi4ELi64ELi4ELi64ELi4ELc78ELc84ELb0ELb1ELb0EDF16_KPKDF16_KPDF16_EEviiiT16_PT17_ilS9_ilS7_S9_ilPT18_ili26rocblas_geam_ex_operation_.private_seg_size, 0
	.set _ZN12_GLOBAL__N_120geam_min_plus_kernelIDF16_Dv2_DF16_S1_Li8ELi32ELi64ELi128ELi4ELi64ELi4ELi64ELi4ELc78ELc84ELb0ELb1ELb0EDF16_KPKDF16_KPDF16_EEviiiT16_PT17_ilS9_ilS7_S9_ilPT18_ili26rocblas_geam_ex_operation_.uses_vcc, 1
	.set _ZN12_GLOBAL__N_120geam_min_plus_kernelIDF16_Dv2_DF16_S1_Li8ELi32ELi64ELi128ELi4ELi64ELi4ELi64ELi4ELc78ELc84ELb0ELb1ELb0EDF16_KPKDF16_KPDF16_EEviiiT16_PT17_ilS9_ilS7_S9_ilPT18_ili26rocblas_geam_ex_operation_.uses_flat_scratch, 0
	.set _ZN12_GLOBAL__N_120geam_min_plus_kernelIDF16_Dv2_DF16_S1_Li8ELi32ELi64ELi128ELi4ELi64ELi4ELi64ELi4ELc78ELc84ELb0ELb1ELb0EDF16_KPKDF16_KPDF16_EEviiiT16_PT17_ilS9_ilS7_S9_ilPT18_ili26rocblas_geam_ex_operation_.has_dyn_sized_stack, 0
	.set _ZN12_GLOBAL__N_120geam_min_plus_kernelIDF16_Dv2_DF16_S1_Li8ELi32ELi64ELi128ELi4ELi64ELi4ELi64ELi4ELc78ELc84ELb0ELb1ELb0EDF16_KPKDF16_KPDF16_EEviiiT16_PT17_ilS9_ilS7_S9_ilPT18_ili26rocblas_geam_ex_operation_.has_recursion, 0
	.set _ZN12_GLOBAL__N_120geam_min_plus_kernelIDF16_Dv2_DF16_S1_Li8ELi32ELi64ELi128ELi4ELi64ELi4ELi64ELi4ELc78ELc84ELb0ELb1ELb0EDF16_KPKDF16_KPDF16_EEviiiT16_PT17_ilS9_ilS7_S9_ilPT18_ili26rocblas_geam_ex_operation_.has_indirect_call, 0
	.section	.AMDGPU.csdata,"",@progbits
; Kernel info:
; codeLenInByte = 11296
; TotalNumSgprs: 44
; NumVgprs: 121
; NumAgprs: 0
; TotalNumVgprs: 121
; ScratchSize: 0
; MemoryBound: 0
; FloatMode: 240
; IeeeMode: 1
; LDSByteSize: 3072 bytes/workgroup (compile time only)
; SGPRBlocks: 5
; VGPRBlocks: 15
; NumSGPRsForWavesPerEU: 44
; NumVGPRsForWavesPerEU: 121
; AccumOffset: 124
; Occupancy: 4
; WaveLimiterHint : 1
; COMPUTE_PGM_RSRC2:SCRATCH_EN: 0
; COMPUTE_PGM_RSRC2:USER_SGPR: 2
; COMPUTE_PGM_RSRC2:TRAP_HANDLER: 0
; COMPUTE_PGM_RSRC2:TGID_X_EN: 1
; COMPUTE_PGM_RSRC2:TGID_Y_EN: 0
; COMPUTE_PGM_RSRC2:TGID_Z_EN: 1
; COMPUTE_PGM_RSRC2:TIDIG_COMP_CNT: 1
; COMPUTE_PGM_RSRC3_GFX90A:ACCUM_OFFSET: 30
; COMPUTE_PGM_RSRC3_GFX90A:TG_SPLIT: 0
	.section	.text._ZN12_GLOBAL__N_120geam_min_plus_kernelIDF16_Dv2_DF16_S1_Li8ELi32ELi64ELi128ELi4ELi4ELi64ELi64ELi4ELc84ELc84ELb0ELb0ELb0EPKDF16_KS3_KPDF16_EEviiiT16_PT17_ilS9_ilS7_S9_ilPT18_ili26rocblas_geam_ex_operation_,"axG",@progbits,_ZN12_GLOBAL__N_120geam_min_plus_kernelIDF16_Dv2_DF16_S1_Li8ELi32ELi64ELi128ELi4ELi4ELi64ELi64ELi4ELc84ELc84ELb0ELb0ELb0EPKDF16_KS3_KPDF16_EEviiiT16_PT17_ilS9_ilS7_S9_ilPT18_ili26rocblas_geam_ex_operation_,comdat
	.globl	_ZN12_GLOBAL__N_120geam_min_plus_kernelIDF16_Dv2_DF16_S1_Li8ELi32ELi64ELi128ELi4ELi4ELi64ELi64ELi4ELc84ELc84ELb0ELb0ELb0EPKDF16_KS3_KPDF16_EEviiiT16_PT17_ilS9_ilS7_S9_ilPT18_ili26rocblas_geam_ex_operation_ ; -- Begin function _ZN12_GLOBAL__N_120geam_min_plus_kernelIDF16_Dv2_DF16_S1_Li8ELi32ELi64ELi128ELi4ELi4ELi64ELi64ELi4ELc84ELc84ELb0ELb0ELb0EPKDF16_KS3_KPDF16_EEviiiT16_PT17_ilS9_ilS7_S9_ilPT18_ili26rocblas_geam_ex_operation_
	.p2align	8
	.type	_ZN12_GLOBAL__N_120geam_min_plus_kernelIDF16_Dv2_DF16_S1_Li8ELi32ELi64ELi128ELi4ELi4ELi64ELi64ELi4ELc84ELc84ELb0ELb0ELb0EPKDF16_KS3_KPDF16_EEviiiT16_PT17_ilS9_ilS7_S9_ilPT18_ili26rocblas_geam_ex_operation_,@function
_ZN12_GLOBAL__N_120geam_min_plus_kernelIDF16_Dv2_DF16_S1_Li8ELi32ELi64ELi128ELi4ELi4ELi64ELi64ELi4ELc84ELc84ELb0ELb0ELb0EPKDF16_KS3_KPDF16_EEviiiT16_PT17_ilS9_ilS7_S9_ilPT18_ili26rocblas_geam_ex_operation_: ; @_ZN12_GLOBAL__N_120geam_min_plus_kernelIDF16_Dv2_DF16_S1_Li8ELi32ELi64ELi128ELi4ELi4ELi64ELi64ELi4ELc84ELc84ELb0ELb0ELb0EPKDF16_KS3_KPDF16_EEviiiT16_PT17_ilS9_ilS7_S9_ilPT18_ili26rocblas_geam_ex_operation_
; %bb.0:
	s_load_dwordx4 s[8:11], s[0:1], 0x10
	s_load_dwordx4 s[12:15], s[0:1], 0x28
	s_mov_b32 s22, s3
	s_mov_b32 s23, 0
	s_lshl_b64 s[4:5], s[22:23], 1
	s_waitcnt lgkmcnt(0)
	s_add_u32 s6, s8, s4
	s_addc_u32 s7, s9, s5
	v_mov_b32_e32 v1, 0
	global_load_ushort v33, v1, s[6:7]
	s_load_dwordx4 s[16:19], s[0:1], 0x40
	s_load_dwordx2 s[24:25], s[0:1], 0x50
	s_mov_b64 s[20:21], 0
	s_waitcnt lgkmcnt(0)
	s_add_u32 s4, s18, s4
	s_addc_u32 s5, s19, s5
	s_mov_b64 s[18:19], 0
	s_waitcnt vmcnt(0)
	v_cmp_eq_f16_e32 vcc, 0, v33
	s_and_b64 s[8:9], exec, vcc
	v_cmp_neq_f16_e64 s[6:7], 0, v33
	s_mov_b64 vcc, s[8:9]
	s_cbranch_vccnz .LBB249_2
; %bb.1:
	s_lshl_b64 s[18:19], s[22:23], 3
	s_add_u32 s10, s10, s18
	s_addc_u32 s11, s11, s19
	s_load_dwordx2 s[10:11], s[10:11], 0x0
	s_lshl_b64 s[12:13], s[12:13], 1
	s_waitcnt lgkmcnt(0)
	s_add_u32 s18, s10, s12
	s_addc_u32 s19, s11, s13
.LBB249_2:
	global_load_ushort v52, v1, s[4:5]
	v_cndmask_b32_e64 v1, 0, 1, s[6:7]
	v_cmp_ne_u32_e64 s[4:5], 1, v1
	s_andn2_b64 vcc, exec, s[6:7]
	s_cbranch_vccnz .LBB249_4
; %bb.3:
	s_lshl_b64 s[6:7], s[22:23], 3
	s_add_u32 s6, s14, s6
	s_addc_u32 s7, s15, s7
	s_load_dwordx2 s[6:7], s[6:7], 0x0
	s_lshl_b64 s[10:11], s[16:17], 1
	s_waitcnt lgkmcnt(0)
	s_add_u32 s20, s6, s10
	s_addc_u32 s21, s7, s11
.LBB249_4:
	s_load_dwordx4 s[12:15], s[0:1], 0x60
	s_waitcnt vmcnt(0)
	v_cmp_eq_f16_e32 vcc, 0, v52
	s_cbranch_vccnz .LBB249_6
; %bb.5:
	s_lshl_b64 s[6:7], s[22:23], 3
	s_add_u32 s6, s24, s6
	s_addc_u32 s7, s25, s7
	s_load_dwordx2 s[6:7], s[6:7], 0x0
	s_waitcnt lgkmcnt(0)
	s_lshl_b64 s[10:11], s[12:13], 1
	s_add_u32 s6, s6, s10
	s_addc_u32 s7, s7, s11
	s_branch .LBB249_7
.LBB249_6:
	s_mov_b64 s[6:7], 0
.LBB249_7:
	s_load_dword s10, s[0:1], 0x38
	s_load_dword s3, s[0:1], 0x0
	;; [unrolled: 1-line block ×3, first 2 shown]
	s_waitcnt lgkmcnt(0)
	s_lshl_b64 s[12:13], s[22:23], 3
	v_and_b32_e32 v32, 0x3ff, v0
	s_ashr_i32 s11, s10, 31
	s_add_u32 s12, s14, s12
	s_addc_u32 s13, s15, s13
	s_add_i32 s3, s3, -1
	s_ashr_i32 s14, s3, 31
	s_lshr_b32 s14, s14, 26
	s_add_i32 s3, s3, s14
	s_ashr_i32 s3, s3, 6
	s_add_i32 s14, s3, 1
	v_cvt_f32_u32_e32 v1, s14
	s_not_b32 s3, s3
	v_bfe_u32 v48, v0, 10, 10
	v_lshl_add_u32 v2, v48, 3, v32
	v_rcp_iflag_f32_e32 v1, v1
	v_and_b32_e32 v4, 63, v2
	v_and_b32_e32 v0, 3, v0
	v_lshrrev_b32_e32 v10, 2, v2
	v_mul_f32_e32 v1, 0x4f7ffffe, v1
	v_cvt_u32_f32_e32 v1, v1
	v_lshrrev_b32_e32 v5, 6, v2
	v_mov_b32_e32 v9, 0
	v_lshlrev_b32_e32 v0, 1, v0
	v_readfirstlane_b32 s15, v1
	s_mul_i32 s3, s3, s15
	s_mul_hi_u32 s3, s15, s3
	s_add_i32 s15, s15, s3
	s_mul_hi_u32 s3, s2, s15
	s_mul_i32 s15, s3, s14
	s_sub_i32 s15, s2, s15
	s_add_i32 s17, s3, 1
	s_sub_i32 s22, s15, s14
	s_cmp_ge_u32 s15, s14
	s_cselect_b32 s3, s17, s3
	s_cselect_b32 s15, s22, s15
	s_add_i32 s17, s3, 1
	s_cmp_ge_u32 s15, s14
	s_cselect_b32 s3, s17, s3
	s_mul_i32 s14, s3, s14
	s_sub_i32 s2, s2, s14
	s_lshl_b32 s14, s3, 7
	s_lshl_b32 s15, s2, 6
	v_or_b32_e32 v2, s14, v4
	s_and_b64 vcc, exec, s[4:5]
	v_add_u32_e32 v6, s15, v10
	v_ashrrev_i32_e32 v3, 31, v2
	s_cbranch_vccnz .LBB249_10
; %bb.8:
	v_mad_i64_i32 v[12:13], s[2:3], v6, s16, 0
	v_lshl_add_u64 v[12:13], v[12:13], 1, s[18:19]
	v_mov_b32_e32 v1, 0
	v_lshl_add_u64 v[12:13], v[12:13], 0, v[0:1]
	flat_load_ushort v1, v[12:13]
	v_mad_i64_i32 v[12:13], s[2:3], s10, v5, 0
	v_lshl_add_u64 v[12:13], v[12:13], 1, s[20:21]
	v_lshl_add_u64 v[12:13], v[2:3], 1, v[12:13]
	flat_load_ushort v7, v[12:13]
	flat_load_ushort v8, v[12:13] offset:128
	s_waitcnt vmcnt(0) lgkmcnt(0)
	v_mul_f16_e32 v11, v33, v1
	v_mul_f16_e32 v1, v33, v7
	v_pack_b32_f16 v7, v1, 0
	v_mul_f16_e32 v8, v33, v8
	s_and_b64 vcc, exec, s[4:5]
	s_cbranch_vccnz .LBB249_11
.LBB249_9:
	v_mad_i64_i32 v[12:13], s[2:3], v6, s16, 0
	v_lshl_add_u64 v[12:13], v[12:13], 1, s[18:19]
	v_mov_b32_e32 v1, 0
	v_lshl_add_u64 v[12:13], v[12:13], 0, v[0:1]
	v_add_u32_e32 v9, 4, v5
	flat_load_ushort v1, v[12:13] offset:8
	v_mad_i64_i32 v[12:13], s[2:3], s10, v9, 0
	v_lshl_add_u64 v[12:13], v[12:13], 1, s[20:21]
	v_lshl_add_u64 v[2:3], v[2:3], 1, v[12:13]
	flat_load_ushort v12, v[2:3]
	flat_load_ushort v13, v[2:3] offset:128
	s_waitcnt vmcnt(0) lgkmcnt(0)
	v_mul_f16_e32 v9, v33, v1
	v_mul_f16_e32 v1, v33, v12
	v_pack_b32_f16 v1, v1, 0
	v_mul_f16_e32 v2, v33, v13
	s_branch .LBB249_12
.LBB249_10:
	v_mov_b32_e32 v7, 0
	v_mov_b32_e32 v11, 0
	v_mov_b32_e32 v8, 0
	s_and_b64 vcc, exec, s[4:5]
	s_cbranch_vccz .LBB249_9
.LBB249_11:
	v_mov_b32_e32 v1, 0
	v_mov_b32_e32 v2, 0
.LBB249_12:
	v_lshlrev_b32_e32 v3, 3, v4
	v_lshlrev_b32_e32 v35, 3, v32
	v_lshl_or_b32 v0, v10, 3, v0
	v_lshl_add_u32 v36, v5, 1, v3
	v_lshlrev_b32_e32 v34, 3, v48
	v_add_u32_e32 v37, 0x800, v35
	s_load_dwordx2 s[2:3], s[12:13], 0x0
	ds_write_b16 v0, v11 offset:2048
	ds_write_b16 v36, v7
	ds_write_b16 v36, v8 offset:512
	s_waitcnt lgkmcnt(0)
	s_barrier
	ds_read2_b64 v[10:13], v34 offset1:32
	ds_read2_b64 v[14:17], v37 offset0:48 offset1:56
	ds_read2_b64 v[18:21], v34 offset0:64 offset1:96
	;; [unrolled: 1-line block ×3, first 2 shown]
	ds_read2_b64 v[22:25], v37 offset1:8
	ds_read2_b64 v[26:29], v37 offset0:16 offset1:24
	s_waitcnt lgkmcnt(5)
	v_pk_max_f16 v3, v10, v10
	s_waitcnt lgkmcnt(4)
	v_pk_max_f16 v10, v16, v16
	v_pk_max_f16 v12, v12, v12
	s_waitcnt lgkmcnt(3)
	v_pk_max_f16 v18, v18, v18
	;; [unrolled: 3-line block ×3, first 2 shown]
	v_pk_min_f16 v16, v10, v3
	s_waitcnt lgkmcnt(1)
	v_pk_max_f16 v22, v22, v22
	v_pk_max_f16 v24, v24, v24
	s_waitcnt lgkmcnt(0)
	v_pk_max_f16 v26, v26, v26
	v_pk_max_f16 v28, v28, v28
	;; [unrolled: 1-line block ×3, first 2 shown]
	v_pk_min_f16 v60, v38, v3
	v_pk_min_f16 v64, v38, v12
	;; [unrolled: 1-line block ×4, first 2 shown]
	v_pk_max_f16 v38, v62, v62
	v_pk_max_f16 v14, v14, v14
	;; [unrolled: 1-line block ×3, first 2 shown]
	v_pk_min_f16 v30, v22, v3
	v_pk_min_f16 v31, v22, v12
	v_pk_min_f16 v43, v22, v18
	v_pk_min_f16 v22, v22, v20
	v_pk_min_f16 v45, v24, v3
	v_pk_min_f16 v47, v24, v12
	v_pk_min_f16 v49, v24, v18
	v_pk_min_f16 v24, v24, v20
	v_pk_min_f16 v51, v26, v3
	v_pk_min_f16 v53, v26, v12
	v_pk_min_f16 v54, v26, v18
	v_pk_min_f16 v26, v26, v20
	v_pk_min_f16 v55, v28, v3
	v_pk_min_f16 v57, v28, v12
	v_pk_max_f16 v13, v13, v13
	v_pk_min_f16 v59, v28, v18
	v_pk_min_f16 v28, v28, v20
	;; [unrolled: 1-line block ×13, first 2 shown]
	v_pk_add_f16 v16, v16, 0
	v_pk_min_f16 v20, v17, v11
	v_pk_max_f16 v19, v19, v19
	v_pk_add_f16 v41, v16, v20
	v_pk_add_f16 v16, v38, 0
	v_pk_min_f16 v20, v17, v13
	v_pk_max_f16 v23, v23, v23
	v_pk_add_f16 v38, v16, v20
	;; [unrolled: 4-line block ×6, first 2 shown]
	v_pk_add_f16 v16, v22, 0
	v_pk_min_f16 v20, v23, v21
	v_pk_min_f16 v22, v29, v21
	v_pk_add_f16 v44, v16, v20
	v_pk_add_f16 v16, v45, 0
	v_pk_min_f16 v20, v25, v11
	v_pk_max_f16 v15, v15, v15
	v_pk_add_f16 v46, v16, v20
	v_pk_add_f16 v16, v47, 0
	v_pk_min_f16 v20, v25, v13
	s_load_dword s12, s[0:1], 0x8
	v_pk_add_f16 v50, v16, v20
	v_pk_add_f16 v16, v49, 0
	v_pk_min_f16 v20, v25, v19
	v_pk_add_f16 v3, v3, 0
	v_pk_add_f16 v45, v16, v20
	v_pk_add_f16 v16, v24, 0
	v_pk_min_f16 v20, v25, v21
	v_pk_add_f16 v23, v67, 0
	;; [unrolled: 4-line block ×8, first 2 shown]
	v_pk_add_f16 v58, v16, v20
	v_pk_add_f16 v16, v59, 0
	v_pk_min_f16 v20, v29, v19
	s_waitcnt lgkmcnt(0)
	s_cmp_lt_i32 s12, 9
	v_pk_add_f16 v55, v16, v20
	v_pk_add_f16 v16, v28, 0
	;; [unrolled: 1-line block ×4, first 2 shown]
	v_pk_max_f16 v16, v61, v61
	ds_write_b16 v0, v9 offset:2560
	ds_write_b16 v36, v1 offset:1024
	;; [unrolled: 1-line block ×3, first 2 shown]
	v_pk_min_f16 v22, v16, v11
	s_waitcnt lgkmcnt(0)
	v_pk_add_f16 v57, v20, v22
	v_pk_add_f16 v20, v64, 0
	v_pk_min_f16 v22, v16, v13
	s_barrier
	v_pk_add_f16 v60, v20, v22
	v_pk_add_f16 v20, v65, 0
	v_pk_min_f16 v22, v16, v19
	v_pk_min_f16 v16, v16, v21
	v_pk_add_f16 v61, v20, v22
	v_pk_add_f16 v20, v66, 0
	;; [unrolled: 1-line block ×4, first 2 shown]
	v_pk_max_f16 v16, v63, v63
	s_nop 0
	v_pk_min_f16 v20, v16, v11
	v_pk_min_f16 v11, v15, v11
	v_pk_add_f16 v63, v22, v20
	v_pk_add_f16 v67, v3, v11
	v_pk_min_f16 v3, v15, v13
	v_pk_min_f16 v20, v16, v13
	v_pk_add_f16 v68, v12, v3
	v_pk_min_f16 v3, v15, v19
	v_pk_add_f16 v64, v23, v20
	v_pk_add_f16 v69, v18, v3
	v_pk_min_f16 v3, v15, v21
	v_pk_min_f16 v20, v16, v19
	;; [unrolled: 1-line block ×3, first 2 shown]
	v_pk_add_f16 v70, v14, v3
	v_pk_min_f16 v3, v17, v21
	v_pk_add_f16 v65, v24, v20
	v_pk_add_f16 v66, v25, v16
	;; [unrolled: 1-line block ×3, first 2 shown]
	s_cbranch_scc1 .LBB249_23
; %bb.13:
	s_mov_b32 s13, 0x5040100
	v_perm_b32 v82, v2, v1, s13
	v_mov_b32_e32 v1, 0xa00
	v_lshl_add_u32 v75, v32, 3, v1
	v_mov_b32_e32 v1, 0x400
	v_lshl_add_u32 v76, v48, 3, v1
	v_add_u32_e32 v1, 12, v5
	v_mad_i64_i32 v[2:3], s[4:5], v1, s10, 0
	v_lshlrev_b64 v[24:25], 1, v[2:3]
	v_add_u32_e32 v2, s14, v4
	v_ashrrev_i32_e32 v3, 31, v2
	v_and_b32_e32 v1, 3, v32
	v_add_u32_e32 v72, 0x800, v0
	v_add_u32_e32 v73, 0xa00, v0
	v_perm_b32 v0, v8, v7, s13
	v_lshl_add_u64 v[26:27], v[2:3], 1, s[20:21]
	v_mad_i64_i32 v[2:3], s[16:17], s16, v6, 0
	v_lshlrev_b32_e32 v6, 1, v1
	v_mov_b32_e32 v7, 0
	v_lshl_add_u64 v[2:3], v[2:3], 1, v[6:7]
	v_lshl_add_u64 v[2:3], s[18:19], 0, v[2:3]
	v_add_u32_e32 v1, 8, v5
	s_lshl_b64 s[4:5], s[10:11], 4
	v_lshl_add_u64 v[28:29], v[2:3], 0, 16
	v_mad_i64_i32 v[2:3], s[10:11], v1, s10, 0
	v_or_b32_e32 v74, 0x400, v36
	s_add_i32 s12, s12, -8
	v_lshlrev_b64 v[30:31], 1, v[2:3]
	s_mov_b32 s16, 0
	s_mov_b32 s17, 0xffff
	s_branch .LBB249_15
.LBB249_14:                             ;   in Loop: Header=BB249_15 Depth=1
	v_pk_max_f16 v2, v2, v2
	v_pk_max_f16 v20, v20, v20
	;; [unrolled: 1-line block ×10, first 2 shown]
	v_pk_min_f16 v88, v8, v20
	v_pk_max_f16 v21, v21, v21
	v_pk_max_f16 v23, v23, v23
	v_pk_min_f16 v89, v8, v22
	v_pk_min_f16 v90, v8, v16
	;; [unrolled: 1-line block ×3, first 2 shown]
	v_pk_max_f16 v17, v17, v17
	v_pk_max_f16 v19, v19, v19
	;; [unrolled: 1-line block ×9, first 2 shown]
	v_pk_min_f16 v94, v4, v20
	v_pk_max_f16 v0, v0, v0
	v_pk_max_f16 v3, v3, v3
	;; [unrolled: 1-line block ×3, first 2 shown]
	v_pk_min_f16 v95, v4, v22
	v_pk_min_f16 v96, v4, v16
	;; [unrolled: 1-line block ×59, first 2 shown]
	v_pk_add_f16 v3, v41, v100
	v_pk_add_f16 v8, v54, v8
	v_pk_add_f16 v4, v62, v4
	v_pk_add_f16 v6, v66, v6
	v_pk_add_f16 v12, v44, v12
	v_pk_add_f16 v44, v50, v86
	v_pk_add_f16 v14, v49, v14
	v_pk_add_f16 v49, v53, v90
	v_pk_add_f16 v50, v56, v91
	v_pk_add_f16 v53, v55, v93
	v_pk_add_f16 v10, v59, v10
	v_pk_add_f16 v54, v57, v94
	v_pk_add_f16 v55, v60, v95
	v_pk_add_f16 v56, v61, v96
	v_pk_add_f16 v57, v63, v97
	v_pk_add_f16 v59, v65, v99
	v_pk_add_f16 v60, v71, v2
	v_pk_add_f16 v61, v3, v120
	v_pk_add_f16 v63, v8, v9
	v_pk_add_f16 v65, v4, v5
	v_pk_add_f16 v66, v6, v7
	ds_read2_b64 v[2:5], v37 offset0:48 offset1:56
	ds_read2_b64 v[6:9], v34 offset1:32
	v_pk_add_f16 v39, v39, v82
	v_pk_add_f16 v41, v42, v83
	;; [unrolled: 1-line block ×3, first 2 shown]
	s_waitcnt lgkmcnt(1)
	v_pk_max_f16 v4, v4, v4
	s_waitcnt lgkmcnt(0)
	v_pk_max_f16 v6, v6, v6
	v_pk_add_f16 v43, v46, v85
	v_pk_add_f16 v46, v47, v88
	;; [unrolled: 1-line block ×13, first 2 shown]
	ds_read2_b64 v[10:13], v34 offset0:64 offset1:96
	v_pk_min_f16 v14, v4, v6
	v_pk_add_f16 v22, v22, v23
	v_pk_add_f16 v23, v16, v17
	;; [unrolled: 1-line block ×3, first 2 shown]
	ds_read2_b64 v[14:17], v37 offset1:8
	v_pk_add_f16 v38, v38, v101
	v_pk_max_f16 v8, v8, v8
	v_pk_add_f16 v40, v40, v102
	v_pk_add_f16 v38, v38, v121
	;; [unrolled: 1-line block ×3, first 2 shown]
	v_pk_min_f16 v19, v4, v8
	s_waitcnt lgkmcnt(1)
	v_pk_max_f16 v10, v10, v10
	v_pk_add_f16 v40, v40, v122
	v_pk_add_f16 v38, v38, v19
	v_pk_min_f16 v19, v4, v10
	s_waitcnt lgkmcnt(0)
	v_pk_max_f16 v14, v14, v14
	v_pk_add_f16 v40, v40, v19
	v_pk_min_f16 v19, v14, v6
	v_pk_add_f16 v0, v70, v0
	v_pk_add_f16 v70, v18, v19
	v_pk_min_f16 v18, v14, v8
	v_pk_max_f16 v16, v16, v16
	v_pk_add_f16 v71, v39, v18
	v_pk_min_f16 v18, v14, v10
	v_pk_add_f16 v43, v43, v105
	v_pk_add_f16 v1, v0, v1
	v_perm_b32 v0, v81, v80, s13
	v_pk_add_f16 v80, v41, v18
	v_pk_min_f16 v18, v16, v6
	v_pk_add_f16 v20, v67, v20
	v_pk_add_f16 v44, v44, v106
	;; [unrolled: 1-line block ×3, first 2 shown]
	v_pk_min_f16 v18, v16, v8
	v_pk_add_f16 v67, v20, v21
	v_pk_add_f16 v82, v44, v18
	ds_read2_b64 v[18:21], v37 offset0:16 offset1:24
	v_pk_add_f16 v45, v45, v87
	v_pk_min_f16 v39, v16, v10
	v_pk_add_f16 v45, v45, v107
	v_pk_add_f16 v46, v46, v108
	s_waitcnt lgkmcnt(0)
	v_pk_max_f16 v18, v18, v18
	v_pk_add_f16 v45, v45, v39
	v_pk_min_f16 v39, v18, v6
	v_pk_add_f16 v47, v47, v109
	v_pk_max_f16 v12, v12, v12
	v_pk_add_f16 v83, v46, v39
	v_pk_min_f16 v39, v18, v8
	v_pk_min_f16 v16, v16, v12
	v_pk_add_f16 v84, v47, v39
	v_pk_min_f16 v39, v18, v10
	v_pk_min_f16 v18, v18, v12
	v_pk_add_f16 v16, v62, v16
	v_pk_add_f16 v18, v63, v18
	ds_read2_b64 v[60:63], v37 offset0:32 offset1:40
	v_pk_add_f16 v49, v49, v110
	v_pk_max_f16 v20, v20, v20
	v_pk_add_f16 v50, v50, v111
	v_pk_add_f16 v85, v49, v39
	v_pk_min_f16 v39, v20, v6
	v_pk_add_f16 v51, v51, v112
	v_pk_add_f16 v86, v50, v39
	v_pk_min_f16 v39, v20, v8
	;; [unrolled: 3-line block ×3, first 2 shown]
	v_pk_add_f16 v54, v54, v114
	v_pk_add_f16 v88, v53, v39
	s_waitcnt lgkmcnt(0)
	v_pk_max_f16 v39, v60, v60
	v_pk_add_f16 v55, v55, v115
	v_pk_min_f16 v41, v39, v6
	v_pk_min_f16 v20, v20, v12
	v_pk_add_f16 v60, v54, v41
	v_pk_min_f16 v41, v39, v8
	v_pk_add_f16 v20, v64, v20
	v_pk_add_f16 v64, v55, v41
	v_pk_min_f16 v41, v39, v10
	v_pk_min_f16 v39, v39, v12
	v_pk_add_f16 v56, v56, v116
	v_pk_add_f16 v65, v65, v39
	v_pk_max_f16 v39, v62, v62
	v_pk_add_f16 v57, v57, v117
	v_pk_add_f16 v89, v56, v41
	v_pk_min_f16 v41, v39, v6
	v_pk_add_f16 v58, v58, v118
	v_pk_add_f16 v90, v57, v41
	v_pk_min_f16 v41, v39, v8
	v_pk_max_f16 v2, v2, v2
	v_pk_add_f16 v91, v58, v41
	v_pk_min_f16 v41, v39, v10
	v_pk_min_f16 v6, v2, v6
	v_pk_min_f16 v8, v2, v8
	v_pk_min_f16 v10, v2, v10
	v_pk_min_f16 v2, v2, v12
	v_pk_add_f16 v59, v59, v119
	v_pk_add_f16 v1, v1, v2
	v_pk_min_f16 v2, v4, v12
	v_pk_max_f16 v4, v5, v5
	v_pk_max_f16 v5, v7, v7
	v_pk_add_f16 v92, v59, v41
	v_pk_min_f16 v7, v4, v5
	v_pk_min_f16 v14, v14, v12
	v_pk_add_f16 v41, v69, v7
	v_pk_max_f16 v7, v9, v9
	v_pk_min_f16 v39, v39, v12
	v_pk_min_f16 v9, v4, v7
	v_pk_add_f16 v66, v66, v39
	v_pk_add_f16 v38, v38, v9
	v_pk_max_f16 v9, v11, v11
	v_pk_add_f16 v14, v42, v14
	v_pk_min_f16 v11, v4, v9
	v_pk_max_f16 v3, v3, v3
	v_pk_add_f16 v40, v40, v11
	v_pk_max_f16 v11, v15, v15
	v_pk_add_f16 v6, v67, v6
	v_pk_min_f16 v12, v11, v5
	v_pk_add_f16 v8, v22, v8
	v_pk_add_f16 v39, v70, v12
	v_pk_min_f16 v12, v11, v7
	v_pk_add_f16 v2, v68, v2
	v_pk_add_f16 v42, v71, v12
	v_pk_min_f16 v12, v11, v9
	v_pk_add_f16 v10, v23, v10
	v_pk_add_f16 v43, v80, v12
	v_pk_max_f16 v12, v13, v13
	s_add_i32 s16, s16, 8
	v_pk_min_f16 v11, v11, v12
	v_lshl_add_u64 v[26:27], v[26:27], 0, s[4:5]
	v_pk_add_f16 v44, v14, v11
	v_pk_max_f16 v11, v17, v17
	s_cmp_ge_i32 s16, s12
	v_pk_min_f16 v13, v11, v5
	v_lshl_add_u64 v[28:29], v[28:29], 0, 16
	v_pk_add_f16 v46, v81, v13
	v_pk_min_f16 v13, v11, v7
	ds_write_b16 v73, v78
	ds_write_b16 v74, v77
	ds_write_b16 v74, v79 offset:512
	v_pk_add_f16 v50, v82, v13
	v_pk_min_f16 v13, v11, v9
	v_pk_min_f16 v11, v11, v12
	v_pk_add_f16 v45, v45, v13
	v_pk_add_f16 v49, v16, v11
	v_pk_max_f16 v11, v19, v19
	v_perm_b32 v82, v79, v77, s13
	v_pk_min_f16 v13, v11, v5
	s_waitcnt lgkmcnt(0)
	v_pk_add_f16 v47, v83, v13
	v_pk_min_f16 v13, v11, v7
	s_barrier
	v_pk_add_f16 v51, v84, v13
	v_pk_min_f16 v13, v11, v9
	v_pk_min_f16 v11, v11, v12
	v_pk_add_f16 v53, v85, v13
	v_pk_add_f16 v54, v18, v11
	v_pk_max_f16 v11, v21, v21
	s_nop 0
	v_pk_min_f16 v13, v11, v5
	s_nop 0
	v_pk_add_f16 v56, v86, v13
	v_pk_min_f16 v13, v11, v7
	s_nop 0
	v_pk_add_f16 v58, v87, v13
	v_pk_min_f16 v13, v11, v9
	v_pk_min_f16 v11, v11, v12
	v_pk_add_f16 v55, v88, v13
	v_pk_add_f16 v59, v20, v11
	v_pk_max_f16 v11, v61, v61
	s_nop 0
	v_pk_min_f16 v13, v11, v5
	s_nop 0
	v_pk_add_f16 v57, v60, v13
	v_pk_min_f16 v13, v11, v7
	s_nop 0
	v_pk_add_f16 v60, v64, v13
	v_pk_min_f16 v13, v11, v9
	v_pk_min_f16 v11, v11, v12
	v_pk_add_f16 v61, v89, v13
	v_pk_add_f16 v62, v65, v11
	v_pk_max_f16 v11, v63, v63
	s_nop 0
	v_pk_min_f16 v13, v11, v5
	v_pk_min_f16 v5, v3, v5
	v_pk_add_f16 v63, v90, v13
	v_pk_add_f16 v67, v6, v5
	v_pk_min_f16 v5, v3, v7
	v_pk_min_f16 v13, v11, v7
	v_pk_add_f16 v68, v8, v5
	v_pk_min_f16 v5, v3, v9
	v_pk_min_f16 v3, v3, v12
	;; [unrolled: 3-line block ×3, first 2 shown]
	v_pk_add_f16 v70, v1, v3
	v_pk_min_f16 v1, v4, v12
	v_pk_add_f16 v65, v92, v13
	v_pk_add_f16 v66, v66, v11
	;; [unrolled: 1-line block ×4, first 2 shown]
	s_cbranch_scc1 .LBB249_23
.LBB249_15:                             ; =>This Inner Loop Header: Depth=1
	s_mov_b64 s[10:11], -1
	s_mov_b64 vcc, s[8:9]
                                        ; implicit-def: $vgpr80
	s_cbranch_vccz .LBB249_17
; %bb.16:                               ;   in Loop: Header=BB249_15 Depth=1
	v_and_b32_e32 v80, 0xffff0000, v0
	s_mov_b64 s[10:11], 0
.LBB249_17:                             ;   in Loop: Header=BB249_15 Depth=1
	v_mov_b32_e32 v77, 0
	s_andn2_b64 vcc, exec, s[10:11]
	v_mov_b32_e32 v81, 0
	s_cbranch_vccnz .LBB249_19
; %bb.18:                               ;   in Loop: Header=BB249_15 Depth=1
	flat_load_ushort v1, v[28:29]
	v_lshl_add_u64 v[2:3], v[26:27], 0, v[30:31]
	flat_load_ushort v4, v[2:3]
	flat_load_ushort v5, v[2:3] offset:128
	s_waitcnt vmcnt(0) lgkmcnt(0)
	v_mul_f16_e32 v77, v33, v1
	v_mul_f16_e32 v1, v33, v4
	v_bfi_b32 v80, s17, v1, v0
	v_mul_f16_e32 v81, v33, v5
.LBB249_19:                             ;   in Loop: Header=BB249_15 Depth=1
	ds_read2_b64 v[0:3], v75 offset0:48 offset1:56
	ds_read2_b64 v[16:19], v76 offset0:64 offset1:96
	ds_read2_b64 v[20:23], v76 offset1:32
	ds_read2_b64 v[12:15], v75 offset1:8
	ds_read2_b64 v[8:11], v75 offset0:16 offset1:24
	ds_read2_b64 v[4:7], v75 offset0:32 offset1:40
	s_mov_b64 s[10:11], -1
	s_mov_b64 vcc, s[8:9]
	ds_write_b16 v72, v77
	ds_write_b16 v36, v80
	ds_write_b16 v36, v81 offset:512
	s_waitcnt lgkmcnt(0)
	s_barrier
                                        ; implicit-def: $vgpr77
	s_cbranch_vccz .LBB249_21
; %bb.20:                               ;   in Loop: Header=BB249_15 Depth=1
	v_and_b32_e32 v77, 0xffff0000, v82
	s_mov_b64 s[10:11], 0
.LBB249_21:                             ;   in Loop: Header=BB249_15 Depth=1
	v_mov_b32_e32 v78, 0
	s_andn2_b64 vcc, exec, s[10:11]
	v_mov_b32_e32 v79, 0
	s_cbranch_vccnz .LBB249_14
; %bb.22:                               ;   in Loop: Header=BB249_15 Depth=1
	flat_load_ushort v77, v[28:29] offset:8
	v_lshl_add_u64 v[78:79], v[26:27], 0, v[24:25]
	flat_load_ushort v83, v[78:79]
	flat_load_ushort v84, v[78:79] offset:128
	s_waitcnt vmcnt(0) lgkmcnt(0)
	v_mul_f16_e32 v78, v33, v77
	v_mul_f16_e32 v77, v33, v83
	v_bfi_b32 v77, s17, v77, v82
	v_mul_f16_e32 v79, v33, v84
	s_branch .LBB249_14
.LBB249_23:
	v_add_u32_e32 v12, 0x800, v35
	s_load_dwordx2 s[8:9], s[0:1], 0x78
	s_load_dword s12, s[0:1], 0x58
	s_load_dword s13, s[0:1], 0x70
	ds_read2_b64 v[4:7], v12 offset0:112 offset1:120
	ds_read2_b64 v[8:11], v34 offset0:192 offset1:224
	;; [unrolled: 1-line block ×4, first 2 shown]
	s_waitcnt lgkmcnt(0)
	s_lshl_b64 s[0:1], s[8:9], 1
	v_pk_max_f16 v6, v6, v6
	v_pk_max_f16 v8, v8, v8
	;; [unrolled: 1-line block ×3, first 2 shown]
	v_pk_min_f16 v15, v6, v8
	v_pk_max_f16 v0, v0, v0
	v_pk_add_f16 v28, v40, v15
	v_pk_max_f16 v15, v16, v16
	v_pk_max_f16 v10, v10, v10
	v_pk_min_f16 v20, v15, v2
	v_pk_min_f16 v16, v15, v0
	v_pk_add_f16 v29, v42, v20
	v_pk_min_f16 v20, v15, v8
	v_pk_min_f16 v15, v15, v10
	v_pk_add_f16 v30, v43, v20
	v_pk_add_f16 v31, v44, v15
	v_pk_max_f16 v15, v18, v18
	v_pk_max_f16 v4, v4, v4
	v_pk_min_f16 v20, v15, v2
	v_pk_min_f16 v18, v15, v0
	v_pk_add_f16 v50, v50, v20
	ds_read2_b64 v[20:23], v12 offset0:80 offset1:88
	v_pk_min_f16 v24, v15, v8
	v_pk_min_f16 v15, v15, v10
	v_pk_add_f16 v72, v45, v24
	v_pk_add_f16 v49, v49, v15
	s_waitcnt lgkmcnt(0)
	v_pk_max_f16 v15, v20, v20
	v_pk_min_f16 v13, v6, v0
	v_pk_min_f16 v24, v15, v2
	;; [unrolled: 1-line block ×3, first 2 shown]
	v_pk_add_f16 v51, v51, v24
	v_pk_min_f16 v24, v15, v8
	v_pk_min_f16 v15, v15, v10
	v_pk_add_f16 v73, v53, v24
	v_pk_add_f16 v54, v54, v15
	v_pk_max_f16 v15, v22, v22
	v_pk_add_f16 v13, v41, v13
	v_pk_min_f16 v22, v15, v0
	v_pk_min_f16 v24, v15, v2
	v_pk_add_f16 v22, v56, v22
	v_pk_add_f16 v56, v58, v24
	ds_read2_b64 v[24:27], v12 offset0:96 offset1:104
	v_pk_min_f16 v12, v15, v8
	v_pk_min_f16 v14, v6, v2
	v_pk_add_f16 v55, v55, v12
	v_pk_min_f16 v12, v15, v10
	v_pk_add_f16 v14, v38, v14
	v_pk_add_f16 v58, v59, v12
	s_waitcnt lgkmcnt(0)
	v_pk_max_f16 v12, v24, v24
	v_pk_max_f16 v11, v11, v11
	v_pk_min_f16 v15, v12, v0
	v_pk_max_f16 v23, v23, v23
	v_pk_add_f16 v24, v57, v15
	v_pk_min_f16 v15, v12, v2
	v_pk_max_f16 v25, v25, v25
	v_pk_add_f16 v57, v60, v15
	v_pk_min_f16 v15, v12, v8
	v_pk_min_f16 v12, v12, v10
	v_pk_add_f16 v59, v61, v15
	v_pk_add_f16 v60, v62, v12
	v_pk_max_f16 v12, v26, v26
	v_pk_max_f16 v27, v27, v27
	v_pk_min_f16 v15, v12, v0
	v_pk_min_f16 v0, v4, v0
	v_pk_add_f16 v26, v63, v15
	v_pk_min_f16 v15, v12, v2
	v_pk_max_f16 v5, v5, v5
	v_pk_add_f16 v61, v64, v15
	v_pk_min_f16 v15, v12, v8
	v_pk_add_f16 v64, v67, v0
	v_pk_min_f16 v0, v4, v2
	;; [unrolled: 2-line block ×4, first 2 shown]
	v_pk_add_f16 v63, v66, v12
	v_pk_add_f16 v66, v69, v0
	v_pk_min_f16 v0, v4, v10
	v_pk_max_f16 v12, v19, v19
	v_pk_add_f16 v67, v70, v0
	v_pk_min_f16 v0, v6, v10
	v_pk_max_f16 v19, v21, v21
	v_pk_add_f16 v68, v71, v0
	v_pk_max_f16 v0, v1, v1
	v_pk_max_f16 v1, v7, v7
	v_add_u32_e32 v32, s15, v32
	v_pk_min_f16 v2, v1, v0
	s_add_u32 s8, s2, s0
	v_pk_add_f16 v7, v13, v2
	v_pk_max_f16 v2, v3, v3
	v_pk_add_f16 v16, v39, v16
	v_pk_min_f16 v3, v1, v2
	v_pk_add_f16 v18, v46, v18
	v_pk_add_f16 v15, v14, v3
	v_pk_max_f16 v3, v9, v9
	v_pk_add_f16 v20, v47, v20
	v_pk_min_f16 v4, v1, v3
	v_pk_min_f16 v13, v12, v0
	v_pk_add_f16 v9, v28, v4
	v_pk_max_f16 v4, v17, v17
	v_pk_min_f16 v14, v12, v2
	v_pk_min_f16 v6, v4, v0
	;; [unrolled: 1-line block ×28, first 2 shown]
	v_add_u32_e32 v34, 8, v32
	v_add_u32_e32 v36, 16, v32
	;; [unrolled: 1-line block ×7, first 2 shown]
	v_cmp_neq_f16_e64 s[4:5], 0, v52
	s_addc_u32 s9, s3, s1
	v_ashrrev_i32_e32 v33, 31, v32
	v_ashrrev_i32_e32 v35, 31, v34
	;; [unrolled: 1-line block ×8, first 2 shown]
	v_add_u32_e32 v53, s14, v48
	s_mov_b64 s[10:11], 15
	v_pk_add_f16 v0, v16, v6
	v_pk_add_f16 v8, v29, v8
	;; [unrolled: 1-line block ×29, first 2 shown]
	s_branch .LBB249_25
.LBB249_24:                             ;   in Loop: Header=BB249_25 Depth=1
	s_add_i32 s0, s10, -1
	s_cmp_eq_u32 s0, 1
	s_cselect_b64 vcc, -1, 0
	s_cmp_eq_u32 s0, 2
	v_cndmask_b32_e32 v48, v0, v54, vcc
	s_cselect_b64 vcc, -1, 0
	s_cmp_eq_u32 s0, 3
	v_cndmask_b32_e32 v48, v48, v1, vcc
	;; [unrolled: 3-line block ×62, first 2 shown]
	s_cselect_b64 vcc, -1, 0
	s_cmp_eq_u32 s10, 1
	s_cselect_b64 s[0:1], -1, 0
	s_cmp_eq_u32 s10, 2
	v_cndmask_b32_e64 v49, v0, v54, s[0:1]
	s_cselect_b64 s[0:1], -1, 0
	s_cmp_eq_u32 s10, 3
	v_cndmask_b32_e64 v49, v49, v1, s[0:1]
	;; [unrolled: 3-line block ×61, first 2 shown]
	v_cndmask_b32_e32 v48, v48, v85, vcc
	s_cselect_b64 vcc, -1, 0
	s_cmp_eq_u32 s10, 63
	v_cndmask_b32_e32 v49, v49, v31, vcc
	s_cselect_b64 vcc, -1, 0
	v_cndmask_b32_e32 v49, v49, v85, vcc
	s_add_u32 s10, s10, 16
	v_add_f16_e32 v48, v48, v49
	s_addc_u32 s11, s11, 0
	v_add_f16_e32 v54, v48, v86
	v_lshl_add_u64 v[48:49], v[46:47], 1, v[50:51]
	s_cmpk_lg_i32 s10, 0x4f
	v_add_u32_e32 v53, 32, v53
	flat_store_short v[48:49], v54
	s_cbranch_scc0 .LBB249_41
.LBB249_25:                             ; =>This Inner Loop Header: Depth=1
	v_mad_i64_i32 v[48:49], s[0:1], v53, s12, 0
	v_cndmask_b32_e64 v50, 0, 1, s[4:5]
	v_lshl_add_u64 v[48:49], v[48:49], 1, s[6:7]
	v_mov_b32_e32 v86, 0
	v_cmp_ne_u32_e64 s[2:3], 1, v50
	s_andn2_b64 vcc, exec, s[4:5]
	v_mov_b32_e32 v50, 0
	s_cbranch_vccnz .LBB249_27
; %bb.26:                               ;   in Loop: Header=BB249_25 Depth=1
	v_lshl_add_u64 v[50:51], v[32:33], 1, v[48:49]
	flat_load_ushort v50, v[50:51]
	s_waitcnt vmcnt(0) lgkmcnt(0)
	v_mul_f16_e32 v50, v52, v50
.LBB249_27:                             ;   in Loop: Header=BB249_25 Depth=1
	s_add_i32 s0, s10, -15
	s_cmp_eq_u32 s0, 1
	v_lshrrev_b32_e32 v54, 16, v0
	s_cselect_b64 vcc, -1, 0
	s_cmp_eq_u32 s0, 2
	v_cndmask_b32_e32 v51, v0, v54, vcc
	s_cselect_b64 vcc, -1, 0
	s_cmp_eq_u32 s0, 3
	v_cndmask_b32_e32 v51, v51, v1, vcc
	v_lshrrev_b32_e32 v55, 16, v1
	s_cselect_b64 vcc, -1, 0
	s_cmp_eq_u32 s0, 4
	v_cndmask_b32_e32 v51, v51, v55, vcc
	s_cselect_b64 vcc, -1, 0
	s_cmp_eq_u32 s0, 5
	v_cndmask_b32_e32 v51, v51, v4, vcc
	;; [unrolled: 7-line block ×31, first 2 shown]
	s_cselect_b64 vcc, -1, 0
	s_add_i32 s0, s10, -14
	v_lshrrev_b32_e32 v85, 16, v31
	s_cmp_eq_u32 s0, 1
	v_cndmask_b32_e32 v51, v51, v85, vcc
	s_cselect_b64 vcc, -1, 0
	s_cmp_eq_u32 s0, 2
	v_cndmask_b32_e32 v87, v0, v54, vcc
	s_cselect_b64 vcc, -1, 0
	;; [unrolled: 3-line block ×63, first 2 shown]
	v_cndmask_b32_e32 v87, v87, v85, vcc
	v_add_f16_e32 v51, v51, v87
	v_add_f16_e32 v87, v51, v50
	v_mad_i64_i32 v[50:51], s[0:1], v53, s13, 0
	v_lshl_add_u64 v[50:51], v[50:51], 1, s[8:9]
	v_lshl_add_u64 v[88:89], v[32:33], 1, v[50:51]
	s_and_b64 vcc, exec, s[2:3]
	flat_store_short v[88:89], v87
	s_cbranch_vccnz .LBB249_29
; %bb.28:                               ;   in Loop: Header=BB249_25 Depth=1
	v_lshl_add_u64 v[86:87], v[34:35], 1, v[48:49]
	flat_load_ushort v86, v[86:87]
	s_waitcnt vmcnt(0) lgkmcnt(0)
	v_mul_f16_e32 v86, v52, v86
.LBB249_29:                             ;   in Loop: Header=BB249_25 Depth=1
	s_add_i32 s0, s10, -13
	s_cmp_eq_u32 s0, 1
	s_cselect_b64 vcc, -1, 0
	s_cmp_eq_u32 s0, 2
	v_cndmask_b32_e32 v87, v0, v54, vcc
	s_cselect_b64 vcc, -1, 0
	s_cmp_eq_u32 s0, 3
	v_cndmask_b32_e32 v87, v87, v1, vcc
	;; [unrolled: 3-line block ×62, first 2 shown]
	s_cselect_b64 vcc, -1, 0
	s_add_i32 s0, s10, -12
	s_cmp_eq_u32 s0, 1
	v_cndmask_b32_e32 v87, v87, v85, vcc
	s_cselect_b64 vcc, -1, 0
	s_cmp_eq_u32 s0, 2
	v_cndmask_b32_e32 v88, v0, v54, vcc
	s_cselect_b64 vcc, -1, 0
	;; [unrolled: 3-line block ×63, first 2 shown]
	v_cndmask_b32_e32 v88, v88, v85, vcc
	v_add_f16_e32 v87, v87, v88
	v_add_f16_e32 v88, v87, v86
	v_lshl_add_u64 v[86:87], v[34:35], 1, v[50:51]
	flat_store_short v[86:87], v88
	s_and_b64 vcc, exec, s[2:3]
	v_mov_b32_e32 v86, 0
	v_mov_b32_e32 v87, 0
	s_cbranch_vccnz .LBB249_31
; %bb.30:                               ;   in Loop: Header=BB249_25 Depth=1
	v_lshl_add_u64 v[88:89], v[36:37], 1, v[48:49]
	flat_load_ushort v87, v[88:89]
	s_waitcnt vmcnt(0) lgkmcnt(0)
	v_mul_f16_e32 v87, v52, v87
.LBB249_31:                             ;   in Loop: Header=BB249_25 Depth=1
	s_add_i32 s0, s10, -11
	s_cmp_eq_u32 s0, 1
	s_cselect_b64 vcc, -1, 0
	s_cmp_eq_u32 s0, 2
	v_cndmask_b32_e32 v88, v0, v54, vcc
	s_cselect_b64 vcc, -1, 0
	s_cmp_eq_u32 s0, 3
	v_cndmask_b32_e32 v88, v88, v1, vcc
	;; [unrolled: 3-line block ×62, first 2 shown]
	s_cselect_b64 vcc, -1, 0
	s_add_i32 s0, s10, -10
	s_cmp_eq_u32 s0, 1
	v_cndmask_b32_e32 v88, v88, v85, vcc
	s_cselect_b64 vcc, -1, 0
	s_cmp_eq_u32 s0, 2
	v_cndmask_b32_e32 v89, v0, v54, vcc
	s_cselect_b64 vcc, -1, 0
	;; [unrolled: 3-line block ×63, first 2 shown]
	v_cndmask_b32_e32 v89, v89, v85, vcc
	v_add_f16_e32 v88, v88, v89
	v_add_f16_e32 v87, v88, v87
	v_lshl_add_u64 v[88:89], v[36:37], 1, v[50:51]
	s_and_b64 vcc, exec, s[2:3]
	flat_store_short v[88:89], v87
	s_cbranch_vccnz .LBB249_33
; %bb.32:                               ;   in Loop: Header=BB249_25 Depth=1
	v_lshl_add_u64 v[86:87], v[38:39], 1, v[48:49]
	flat_load_ushort v86, v[86:87]
	s_waitcnt vmcnt(0) lgkmcnt(0)
	v_mul_f16_e32 v86, v52, v86
.LBB249_33:                             ;   in Loop: Header=BB249_25 Depth=1
	s_add_i32 s0, s10, -9
	s_cmp_eq_u32 s0, 1
	s_cselect_b64 vcc, -1, 0
	s_cmp_eq_u32 s0, 2
	v_cndmask_b32_e32 v87, v0, v54, vcc
	s_cselect_b64 vcc, -1, 0
	s_cmp_eq_u32 s0, 3
	v_cndmask_b32_e32 v87, v87, v1, vcc
	;; [unrolled: 3-line block ×62, first 2 shown]
	s_cselect_b64 vcc, -1, 0
	s_add_i32 s0, s10, -8
	s_cmp_eq_u32 s0, 1
	v_cndmask_b32_e32 v87, v87, v85, vcc
	s_cselect_b64 vcc, -1, 0
	s_cmp_eq_u32 s0, 2
	v_cndmask_b32_e32 v88, v0, v54, vcc
	s_cselect_b64 vcc, -1, 0
	;; [unrolled: 3-line block ×63, first 2 shown]
	v_cndmask_b32_e32 v88, v88, v85, vcc
	v_add_f16_e32 v87, v87, v88
	v_add_f16_e32 v88, v87, v86
	v_lshl_add_u64 v[86:87], v[38:39], 1, v[50:51]
	flat_store_short v[86:87], v88
	s_and_b64 vcc, exec, s[2:3]
	v_mov_b32_e32 v86, 0
	v_mov_b32_e32 v87, 0
	s_cbranch_vccnz .LBB249_35
; %bb.34:                               ;   in Loop: Header=BB249_25 Depth=1
	v_lshl_add_u64 v[88:89], v[40:41], 1, v[48:49]
	flat_load_ushort v87, v[88:89]
	s_waitcnt vmcnt(0) lgkmcnt(0)
	v_mul_f16_e32 v87, v52, v87
.LBB249_35:                             ;   in Loop: Header=BB249_25 Depth=1
	s_add_i32 s0, s10, -7
	s_cmp_eq_u32 s0, 1
	s_cselect_b64 vcc, -1, 0
	s_cmp_eq_u32 s0, 2
	v_cndmask_b32_e32 v88, v0, v54, vcc
	s_cselect_b64 vcc, -1, 0
	s_cmp_eq_u32 s0, 3
	v_cndmask_b32_e32 v88, v88, v1, vcc
	;; [unrolled: 3-line block ×62, first 2 shown]
	s_cselect_b64 vcc, -1, 0
	s_add_i32 s0, s10, -6
	s_cmp_eq_u32 s0, 1
	v_cndmask_b32_e32 v88, v88, v85, vcc
	s_cselect_b64 vcc, -1, 0
	s_cmp_eq_u32 s0, 2
	v_cndmask_b32_e32 v89, v0, v54, vcc
	s_cselect_b64 vcc, -1, 0
	;; [unrolled: 3-line block ×63, first 2 shown]
	v_cndmask_b32_e32 v89, v89, v85, vcc
	v_add_f16_e32 v88, v88, v89
	v_add_f16_e32 v87, v88, v87
	v_lshl_add_u64 v[88:89], v[40:41], 1, v[50:51]
	s_and_b64 vcc, exec, s[2:3]
	flat_store_short v[88:89], v87
	s_cbranch_vccnz .LBB249_37
; %bb.36:                               ;   in Loop: Header=BB249_25 Depth=1
	v_lshl_add_u64 v[86:87], v[42:43], 1, v[48:49]
	flat_load_ushort v86, v[86:87]
	s_waitcnt vmcnt(0) lgkmcnt(0)
	v_mul_f16_e32 v86, v52, v86
.LBB249_37:                             ;   in Loop: Header=BB249_25 Depth=1
	s_add_i32 s0, s10, -5
	s_cmp_eq_u32 s0, 1
	s_cselect_b64 vcc, -1, 0
	s_cmp_eq_u32 s0, 2
	v_cndmask_b32_e32 v87, v0, v54, vcc
	s_cselect_b64 vcc, -1, 0
	s_cmp_eq_u32 s0, 3
	v_cndmask_b32_e32 v87, v87, v1, vcc
	;; [unrolled: 3-line block ×62, first 2 shown]
	s_cselect_b64 vcc, -1, 0
	s_add_i32 s0, s10, -4
	s_cmp_eq_u32 s0, 1
	v_cndmask_b32_e32 v87, v87, v85, vcc
	s_cselect_b64 vcc, -1, 0
	s_cmp_eq_u32 s0, 2
	v_cndmask_b32_e32 v88, v0, v54, vcc
	s_cselect_b64 vcc, -1, 0
	;; [unrolled: 3-line block ×63, first 2 shown]
	v_cndmask_b32_e32 v88, v88, v85, vcc
	v_add_f16_e32 v87, v87, v88
	v_add_f16_e32 v88, v87, v86
	v_lshl_add_u64 v[86:87], v[42:43], 1, v[50:51]
	flat_store_short v[86:87], v88
	s_and_b64 vcc, exec, s[2:3]
	v_mov_b32_e32 v86, 0
	v_mov_b32_e32 v87, 0
	s_cbranch_vccnz .LBB249_39
; %bb.38:                               ;   in Loop: Header=BB249_25 Depth=1
	v_lshl_add_u64 v[88:89], v[44:45], 1, v[48:49]
	flat_load_ushort v87, v[88:89]
	s_waitcnt vmcnt(0) lgkmcnt(0)
	v_mul_f16_e32 v87, v52, v87
.LBB249_39:                             ;   in Loop: Header=BB249_25 Depth=1
	s_add_i32 s0, s10, -3
	s_cmp_eq_u32 s0, 1
	s_cselect_b64 vcc, -1, 0
	s_cmp_eq_u32 s0, 2
	v_cndmask_b32_e32 v88, v0, v54, vcc
	s_cselect_b64 vcc, -1, 0
	s_cmp_eq_u32 s0, 3
	v_cndmask_b32_e32 v88, v88, v1, vcc
	;; [unrolled: 3-line block ×62, first 2 shown]
	s_cselect_b64 vcc, -1, 0
	s_add_i32 s0, s10, -2
	s_cmp_eq_u32 s0, 1
	v_cndmask_b32_e32 v88, v88, v85, vcc
	s_cselect_b64 vcc, -1, 0
	s_cmp_eq_u32 s0, 2
	v_cndmask_b32_e32 v89, v0, v54, vcc
	s_cselect_b64 vcc, -1, 0
	;; [unrolled: 3-line block ×63, first 2 shown]
	v_cndmask_b32_e32 v89, v89, v85, vcc
	v_add_f16_e32 v88, v88, v89
	v_add_f16_e32 v87, v88, v87
	v_lshl_add_u64 v[88:89], v[44:45], 1, v[50:51]
	s_and_b64 vcc, exec, s[2:3]
	flat_store_short v[88:89], v87
	s_cbranch_vccnz .LBB249_24
; %bb.40:                               ;   in Loop: Header=BB249_25 Depth=1
	v_lshl_add_u64 v[48:49], v[46:47], 1, v[48:49]
	flat_load_ushort v48, v[48:49]
	s_waitcnt vmcnt(0) lgkmcnt(0)
	v_mul_f16_e32 v86, v52, v48
	s_branch .LBB249_24
.LBB249_41:
	s_endpgm
	.section	.rodata,"a",@progbits
	.p2align	6, 0x0
	.amdhsa_kernel _ZN12_GLOBAL__N_120geam_min_plus_kernelIDF16_Dv2_DF16_S1_Li8ELi32ELi64ELi128ELi4ELi4ELi64ELi64ELi4ELc84ELc84ELb0ELb0ELb0EPKDF16_KS3_KPDF16_EEviiiT16_PT17_ilS9_ilS7_S9_ilPT18_ili26rocblas_geam_ex_operation_
		.amdhsa_group_segment_fixed_size 3072
		.amdhsa_private_segment_fixed_size 0
		.amdhsa_kernarg_size 136
		.amdhsa_user_sgpr_count 2
		.amdhsa_user_sgpr_dispatch_ptr 0
		.amdhsa_user_sgpr_queue_ptr 0
		.amdhsa_user_sgpr_kernarg_segment_ptr 1
		.amdhsa_user_sgpr_dispatch_id 0
		.amdhsa_user_sgpr_kernarg_preload_length 0
		.amdhsa_user_sgpr_kernarg_preload_offset 0
		.amdhsa_user_sgpr_private_segment_size 0
		.amdhsa_uses_dynamic_stack 0
		.amdhsa_enable_private_segment 0
		.amdhsa_system_sgpr_workgroup_id_x 1
		.amdhsa_system_sgpr_workgroup_id_y 0
		.amdhsa_system_sgpr_workgroup_id_z 1
		.amdhsa_system_sgpr_workgroup_info 0
		.amdhsa_system_vgpr_workitem_id 1
		.amdhsa_next_free_vgpr 123
		.amdhsa_next_free_sgpr 26
		.amdhsa_accum_offset 124
		.amdhsa_reserve_vcc 1
		.amdhsa_float_round_mode_32 0
		.amdhsa_float_round_mode_16_64 0
		.amdhsa_float_denorm_mode_32 3
		.amdhsa_float_denorm_mode_16_64 3
		.amdhsa_dx10_clamp 1
		.amdhsa_ieee_mode 1
		.amdhsa_fp16_overflow 0
		.amdhsa_tg_split 0
		.amdhsa_exception_fp_ieee_invalid_op 0
		.amdhsa_exception_fp_denorm_src 0
		.amdhsa_exception_fp_ieee_div_zero 0
		.amdhsa_exception_fp_ieee_overflow 0
		.amdhsa_exception_fp_ieee_underflow 0
		.amdhsa_exception_fp_ieee_inexact 0
		.amdhsa_exception_int_div_zero 0
	.end_amdhsa_kernel
	.section	.text._ZN12_GLOBAL__N_120geam_min_plus_kernelIDF16_Dv2_DF16_S1_Li8ELi32ELi64ELi128ELi4ELi4ELi64ELi64ELi4ELc84ELc84ELb0ELb0ELb0EPKDF16_KS3_KPDF16_EEviiiT16_PT17_ilS9_ilS7_S9_ilPT18_ili26rocblas_geam_ex_operation_,"axG",@progbits,_ZN12_GLOBAL__N_120geam_min_plus_kernelIDF16_Dv2_DF16_S1_Li8ELi32ELi64ELi128ELi4ELi4ELi64ELi64ELi4ELc84ELc84ELb0ELb0ELb0EPKDF16_KS3_KPDF16_EEviiiT16_PT17_ilS9_ilS7_S9_ilPT18_ili26rocblas_geam_ex_operation_,comdat
.Lfunc_end249:
	.size	_ZN12_GLOBAL__N_120geam_min_plus_kernelIDF16_Dv2_DF16_S1_Li8ELi32ELi64ELi128ELi4ELi4ELi64ELi64ELi4ELc84ELc84ELb0ELb0ELb0EPKDF16_KS3_KPDF16_EEviiiT16_PT17_ilS9_ilS7_S9_ilPT18_ili26rocblas_geam_ex_operation_, .Lfunc_end249-_ZN12_GLOBAL__N_120geam_min_plus_kernelIDF16_Dv2_DF16_S1_Li8ELi32ELi64ELi128ELi4ELi4ELi64ELi64ELi4ELc84ELc84ELb0ELb0ELb0EPKDF16_KS3_KPDF16_EEviiiT16_PT17_ilS9_ilS7_S9_ilPT18_ili26rocblas_geam_ex_operation_
                                        ; -- End function
	.set _ZN12_GLOBAL__N_120geam_min_plus_kernelIDF16_Dv2_DF16_S1_Li8ELi32ELi64ELi128ELi4ELi4ELi64ELi64ELi4ELc84ELc84ELb0ELb0ELb0EPKDF16_KS3_KPDF16_EEviiiT16_PT17_ilS9_ilS7_S9_ilPT18_ili26rocblas_geam_ex_operation_.num_vgpr, 123
	.set _ZN12_GLOBAL__N_120geam_min_plus_kernelIDF16_Dv2_DF16_S1_Li8ELi32ELi64ELi128ELi4ELi4ELi64ELi64ELi4ELc84ELc84ELb0ELb0ELb0EPKDF16_KS3_KPDF16_EEviiiT16_PT17_ilS9_ilS7_S9_ilPT18_ili26rocblas_geam_ex_operation_.num_agpr, 0
	.set _ZN12_GLOBAL__N_120geam_min_plus_kernelIDF16_Dv2_DF16_S1_Li8ELi32ELi64ELi128ELi4ELi4ELi64ELi64ELi4ELc84ELc84ELb0ELb0ELb0EPKDF16_KS3_KPDF16_EEviiiT16_PT17_ilS9_ilS7_S9_ilPT18_ili26rocblas_geam_ex_operation_.numbered_sgpr, 26
	.set _ZN12_GLOBAL__N_120geam_min_plus_kernelIDF16_Dv2_DF16_S1_Li8ELi32ELi64ELi128ELi4ELi4ELi64ELi64ELi4ELc84ELc84ELb0ELb0ELb0EPKDF16_KS3_KPDF16_EEviiiT16_PT17_ilS9_ilS7_S9_ilPT18_ili26rocblas_geam_ex_operation_.num_named_barrier, 0
	.set _ZN12_GLOBAL__N_120geam_min_plus_kernelIDF16_Dv2_DF16_S1_Li8ELi32ELi64ELi128ELi4ELi4ELi64ELi64ELi4ELc84ELc84ELb0ELb0ELb0EPKDF16_KS3_KPDF16_EEviiiT16_PT17_ilS9_ilS7_S9_ilPT18_ili26rocblas_geam_ex_operation_.private_seg_size, 0
	.set _ZN12_GLOBAL__N_120geam_min_plus_kernelIDF16_Dv2_DF16_S1_Li8ELi32ELi64ELi128ELi4ELi4ELi64ELi64ELi4ELc84ELc84ELb0ELb0ELb0EPKDF16_KS3_KPDF16_EEviiiT16_PT17_ilS9_ilS7_S9_ilPT18_ili26rocblas_geam_ex_operation_.uses_vcc, 1
	.set _ZN12_GLOBAL__N_120geam_min_plus_kernelIDF16_Dv2_DF16_S1_Li8ELi32ELi64ELi128ELi4ELi4ELi64ELi64ELi4ELc84ELc84ELb0ELb0ELb0EPKDF16_KS3_KPDF16_EEviiiT16_PT17_ilS9_ilS7_S9_ilPT18_ili26rocblas_geam_ex_operation_.uses_flat_scratch, 0
	.set _ZN12_GLOBAL__N_120geam_min_plus_kernelIDF16_Dv2_DF16_S1_Li8ELi32ELi64ELi128ELi4ELi4ELi64ELi64ELi4ELc84ELc84ELb0ELb0ELb0EPKDF16_KS3_KPDF16_EEviiiT16_PT17_ilS9_ilS7_S9_ilPT18_ili26rocblas_geam_ex_operation_.has_dyn_sized_stack, 0
	.set _ZN12_GLOBAL__N_120geam_min_plus_kernelIDF16_Dv2_DF16_S1_Li8ELi32ELi64ELi128ELi4ELi4ELi64ELi64ELi4ELc84ELc84ELb0ELb0ELb0EPKDF16_KS3_KPDF16_EEviiiT16_PT17_ilS9_ilS7_S9_ilPT18_ili26rocblas_geam_ex_operation_.has_recursion, 0
	.set _ZN12_GLOBAL__N_120geam_min_plus_kernelIDF16_Dv2_DF16_S1_Li8ELi32ELi64ELi128ELi4ELi4ELi64ELi64ELi4ELc84ELc84ELb0ELb0ELb0EPKDF16_KS3_KPDF16_EEviiiT16_PT17_ilS9_ilS7_S9_ilPT18_ili26rocblas_geam_ex_operation_.has_indirect_call, 0
	.section	.AMDGPU.csdata,"",@progbits
; Kernel info:
; codeLenInByte = 19760
; TotalNumSgprs: 32
; NumVgprs: 123
; NumAgprs: 0
; TotalNumVgprs: 123
; ScratchSize: 0
; MemoryBound: 0
; FloatMode: 240
; IeeeMode: 1
; LDSByteSize: 3072 bytes/workgroup (compile time only)
; SGPRBlocks: 3
; VGPRBlocks: 15
; NumSGPRsForWavesPerEU: 32
; NumVGPRsForWavesPerEU: 123
; AccumOffset: 124
; Occupancy: 4
; WaveLimiterHint : 1
; COMPUTE_PGM_RSRC2:SCRATCH_EN: 0
; COMPUTE_PGM_RSRC2:USER_SGPR: 2
; COMPUTE_PGM_RSRC2:TRAP_HANDLER: 0
; COMPUTE_PGM_RSRC2:TGID_X_EN: 1
; COMPUTE_PGM_RSRC2:TGID_Y_EN: 0
; COMPUTE_PGM_RSRC2:TGID_Z_EN: 1
; COMPUTE_PGM_RSRC2:TIDIG_COMP_CNT: 1
; COMPUTE_PGM_RSRC3_GFX90A:ACCUM_OFFSET: 30
; COMPUTE_PGM_RSRC3_GFX90A:TG_SPLIT: 0
	.section	.text._ZN12_GLOBAL__N_120geam_min_plus_kernelIDF16_Dv2_DF16_S1_Li8ELi32ELi64ELi128ELi4ELi4ELi64ELi64ELi4ELc84ELc84ELb1ELb0ELb0EDF16_KPKDF16_KPDF16_EEviiiT16_PT17_ilS9_ilS7_S9_ilPT18_ili26rocblas_geam_ex_operation_,"axG",@progbits,_ZN12_GLOBAL__N_120geam_min_plus_kernelIDF16_Dv2_DF16_S1_Li8ELi32ELi64ELi128ELi4ELi4ELi64ELi64ELi4ELc84ELc84ELb1ELb0ELb0EDF16_KPKDF16_KPDF16_EEviiiT16_PT17_ilS9_ilS7_S9_ilPT18_ili26rocblas_geam_ex_operation_,comdat
	.globl	_ZN12_GLOBAL__N_120geam_min_plus_kernelIDF16_Dv2_DF16_S1_Li8ELi32ELi64ELi128ELi4ELi4ELi64ELi64ELi4ELc84ELc84ELb1ELb0ELb0EDF16_KPKDF16_KPDF16_EEviiiT16_PT17_ilS9_ilS7_S9_ilPT18_ili26rocblas_geam_ex_operation_ ; -- Begin function _ZN12_GLOBAL__N_120geam_min_plus_kernelIDF16_Dv2_DF16_S1_Li8ELi32ELi64ELi128ELi4ELi4ELi64ELi64ELi4ELc84ELc84ELb1ELb0ELb0EDF16_KPKDF16_KPDF16_EEviiiT16_PT17_ilS9_ilS7_S9_ilPT18_ili26rocblas_geam_ex_operation_
	.p2align	8
	.type	_ZN12_GLOBAL__N_120geam_min_plus_kernelIDF16_Dv2_DF16_S1_Li8ELi32ELi64ELi128ELi4ELi4ELi64ELi64ELi4ELc84ELc84ELb1ELb0ELb0EDF16_KPKDF16_KPDF16_EEviiiT16_PT17_ilS9_ilS7_S9_ilPT18_ili26rocblas_geam_ex_operation_,@function
_ZN12_GLOBAL__N_120geam_min_plus_kernelIDF16_Dv2_DF16_S1_Li8ELi32ELi64ELi128ELi4ELi4ELi64ELi64ELi4ELc84ELc84ELb1ELb0ELb0EDF16_KPKDF16_KPDF16_EEviiiT16_PT17_ilS9_ilS7_S9_ilPT18_ili26rocblas_geam_ex_operation_: ; @_ZN12_GLOBAL__N_120geam_min_plus_kernelIDF16_Dv2_DF16_S1_Li8ELi32ELi64ELi128ELi4ELi4ELi64ELi64ELi4ELc84ELc84ELb1ELb0ELb0EDF16_KPKDF16_KPDF16_EEviiiT16_PT17_ilS9_ilS7_S9_ilPT18_ili26rocblas_geam_ex_operation_
; %bb.0:
	s_load_dwordx2 s[10:11], s[0:1], 0x8
	s_load_dwordx4 s[4:7], s[0:1], 0x20
	s_mov_b32 s16, s3
	s_mov_b32 s17, 0
	s_waitcnt lgkmcnt(0)
	v_cmp_eq_f16_e64 s[8:9], s11, 0
	s_and_b64 vcc, exec, s[8:9]
	s_cbranch_vccnz .LBB250_3
; %bb.1:
	s_load_dwordx2 s[12:13], s[0:1], 0x10
	s_lshl_b64 s[14:15], s[16:17], 3
	s_waitcnt lgkmcnt(0)
	s_add_u32 s12, s12, s14
	s_addc_u32 s13, s13, s15
	s_load_dwordx2 s[12:13], s[12:13], 0x0
	s_lshl_b64 s[4:5], s[4:5], 1
	s_waitcnt lgkmcnt(0)
	s_add_u32 s12, s12, s4
	s_addc_u32 s13, s13, s5
	s_andn2_b64 vcc, exec, s[8:9]
	s_cbranch_vccnz .LBB250_4
.LBB250_2:
	s_mov_b32 s19, 0
	s_mov_b32 s18, s16
	s_mov_b64 s[8:9], 0
	s_mov_b64 s[14:15], 0
	s_cbranch_execz .LBB250_5
	s_branch .LBB250_6
.LBB250_3:
	s_mov_b64 s[12:13], 0
	s_andn2_b64 vcc, exec, s[8:9]
	s_cbranch_vccz .LBB250_2
.LBB250_4:
	s_mov_b64 s[18:19], s[16:17]
	s_mov_b64 s[8:9], 0
	;; [unrolled: 1-line block ×3, first 2 shown]
.LBB250_5:
	s_lshl_b64 s[14:15], s[16:17], 3
	s_add_u32 s6, s6, s14
	s_load_dwordx2 s[4:5], s[0:1], 0x38
	s_addc_u32 s7, s7, s15
	s_load_dwordx2 s[6:7], s[6:7], 0x0
	s_waitcnt lgkmcnt(0)
	s_lshl_b64 s[4:5], s[4:5], 1
	s_add_u32 s14, s6, s4
	s_addc_u32 s15, s7, s5
.LBB250_6:
	s_load_dword s11, s[0:1], 0x40
	s_load_dwordx4 s[4:7], s[0:1], 0x58
	s_waitcnt lgkmcnt(0)
	v_cmp_eq_f16_e64 s[16:17], s11, 0
	s_and_b64 vcc, exec, s[16:17]
	s_cbranch_vccnz .LBB250_8
; %bb.7:
	s_load_dwordx2 s[8:9], s[0:1], 0x48
	s_lshl_b64 s[16:17], s[18:19], 3
	s_waitcnt lgkmcnt(0)
	s_add_u32 s8, s8, s16
	s_addc_u32 s9, s9, s17
	s_load_dwordx2 s[8:9], s[8:9], 0x0
	s_lshl_b64 s[4:5], s[4:5], 1
	s_waitcnt lgkmcnt(0)
	s_add_u32 s8, s8, s4
	s_addc_u32 s9, s9, s5
.LBB250_8:
	s_load_dword s3, s[0:1], 0x0
	s_load_dword s17, s[0:1], 0x18
	;; [unrolled: 1-line block ×3, first 2 shown]
	s_lshl_b64 s[4:5], s[18:19], 3
	s_add_u32 s4, s6, s4
	s_addc_u32 s5, s7, s5
	s_waitcnt lgkmcnt(0)
	s_add_i32 s3, s3, -1
	s_ashr_i32 s6, s3, 31
	s_lshr_b32 s6, s6, 26
	s_add_i32 s3, s3, s6
	s_ashr_i32 s3, s3, 6
	s_add_i32 s6, s3, 1
	v_cvt_f32_u32_e32 v1, s6
	s_not_b32 s3, s3
	v_bfe_u32 v12, v0, 10, 10
	v_and_b32_e32 v13, 0x3ff, v0
	v_rcp_iflag_f32_e32 v1, v1
	v_lshlrev_b32_e32 v14, 3, v12
	v_add_u32_e32 v2, v14, v13
	v_lshrrev_b32_e32 v11, 2, v2
	v_mul_f32_e32 v1, 0x4f7ffffe, v1
	v_cvt_u32_f32_e32 v1, v1
	v_and_b32_e32 v17, 63, v2
	v_lshlrev_b32_e32 v0, 1, v0
	v_lshrrev_b32_e32 v10, 6, v2
	v_readfirstlane_b32 s7, v1
	s_mul_i32 s3, s3, s7
	s_mul_hi_u32 s3, s7, s3
	s_add_i32 s7, s7, s3
	s_mul_hi_u32 s3, s2, s7
	s_mul_i32 s7, s3, s6
	s_sub_i32 s7, s2, s7
	s_add_i32 s18, s3, 1
	s_sub_i32 s19, s7, s6
	s_cmp_ge_u32 s7, s6
	s_cselect_b32 s3, s18, s3
	s_cselect_b32 s7, s19, s7
	s_add_i32 s18, s3, 1
	s_cmp_ge_u32 s7, s6
	s_cselect_b32 s3, s18, s3
	s_mul_i32 s6, s3, s6
	s_sub_i32 s2, s2, s6
	s_lshl_b32 s7, s2, 6
	v_add_u32_e32 v1, s7, v11
	s_lshl_b32 s6, s3, 7
	v_mad_i64_i32 v[6:7], s[2:3], v1, s17, 0
	v_lshl_add_u64 v[2:3], v[6:7], 1, s[12:13]
	v_and_b32_e32 v8, 6, v0
	v_mov_b32_e32 v9, 0
	v_or_b32_e32 v4, s6, v17
	v_lshl_add_u64 v[0:1], v[2:3], 0, v[8:9]
	v_mad_i64_i32 v[2:3], s[2:3], s16, v10, 0
	v_ashrrev_i32_e32 v5, 31, v4
	v_lshl_add_u64 v[2:3], v[2:3], 1, s[14:15]
	v_lshlrev_b64 v[18:19], 1, v[4:5]
	v_lshl_add_u64 v[2:3], v[2:3], 0, v[18:19]
	flat_load_ushort v20, v[2:3]
	flat_load_ushort v21, v[2:3] offset:128
	flat_load_ushort v22, v[0:1]
	v_add_u32_e32 v2, 4, v10
	v_mad_i64_i32 v[2:3], s[2:3], s16, v2, 0
	v_lshl_add_u64 v[2:3], v[2:3], 1, s[14:15]
	v_lshl_or_b32 v8, v11, 3, v8
	v_lshlrev_b32_e32 v11, 3, v17
	v_lshl_add_u64 v[2:3], v[2:3], 0, v[18:19]
	s_load_dwordx2 s[4:5], s[4:5], 0x0
	v_lshl_add_u32 v17, v10, 1, v11
	flat_load_ushort v11, v[2:3]
	flat_load_ushort v55, v[2:3] offset:128
	flat_load_ushort v56, v[0:1] offset:8
	v_lshlrev_b32_e32 v15, 3, v13
	v_add_u32_e32 v16, 0x800, v15
	s_cmp_lt_i32 s10, 9
	s_waitcnt vmcnt(0) lgkmcnt(0)
	ds_write_b16 v17, v20
	ds_write_b16 v17, v21 offset:512
	ds_write_b16 v8, v22 offset:2048
	s_waitcnt lgkmcnt(0)
	s_barrier
	ds_read2_b64 v[0:3], v16 offset0:48 offset1:56
	ds_read2_b64 v[18:21], v14 offset1:32
	ds_read2_b64 v[22:25], v14 offset0:64 offset1:96
	ds_read2_b64 v[26:29], v16 offset1:8
	ds_read2_b64 v[30:33], v16 offset0:16 offset1:24
	ds_read2_b64 v[34:37], v16 offset0:32 offset1:40
	s_waitcnt lgkmcnt(4)
	v_pk_max_f16 v18, v18, v18
	v_pk_max_f16 v2, v2, v2
	;; [unrolled: 1-line block ×3, first 2 shown]
	s_waitcnt lgkmcnt(3)
	v_pk_max_f16 v22, v22, v22
	s_waitcnt lgkmcnt(2)
	v_pk_max_f16 v26, v26, v26
	v_pk_max_f16 v24, v24, v24
	;; [unrolled: 1-line block ×3, first 2 shown]
	s_waitcnt lgkmcnt(1)
	v_pk_max_f16 v30, v30, v30
	v_pk_max_f16 v32, v32, v32
	s_waitcnt lgkmcnt(0)
	v_pk_max_f16 v34, v34, v34
	v_pk_max_f16 v36, v36, v36
	;; [unrolled: 1-line block ×4, first 2 shown]
	v_pk_min_f16 v23, v2, v18
	v_pk_max_f16 v0, v0, v0
	v_pk_max_f16 v3, v3, v3
	;; [unrolled: 1-line block ×9, first 2 shown]
	v_pk_min_f16 v29, v26, v18
	v_pk_min_f16 v31, v26, v20
	;; [unrolled: 1-line block ×31, first 2 shown]
	v_pk_add_f16 v23, v23, 0
	v_pk_min_f16 v24, v3, v19
	v_pk_max_f16 v42, v33, v33
	v_pk_add_f16 v34, v23, v24
	v_pk_add_f16 v23, v27, 0
	v_pk_min_f16 v24, v3, v21
	v_pk_min_f16 v32, v42, v19
	v_pk_add_f16 v27, v23, v24
	v_pk_add_f16 v23, v30, 0
	v_pk_min_f16 v24, v3, v41
	v_pk_min_f16 v30, v25, v19
	v_pk_add_f16 v23, v23, v24
	v_pk_add_f16 v24, v29, 0
	v_pk_min_f16 v29, v38, v19
	v_pk_max_f16 v1, v1, v1
	v_pk_add_f16 v39, v24, v29
	v_pk_add_f16 v24, v31, 0
	v_pk_min_f16 v29, v38, v21
	v_pk_add_f16 v18, v18, 0
	v_pk_add_f16 v33, v24, v29
	;; [unrolled: 1-line block ×3, first 2 shown]
	v_pk_min_f16 v29, v38, v41
	v_pk_min_f16 v35, v42, v57
	v_pk_add_f16 v29, v24, v29
	v_pk_add_f16 v24, v26, 0
	v_pk_min_f16 v26, v38, v57
	v_pk_add_f16 v20, v20, 0
	v_pk_add_f16 v24, v24, v26
	;; [unrolled: 1-line block ×3, first 2 shown]
	v_pk_min_f16 v37, v43, v19
	v_pk_add_f16 v46, v26, v30
	v_pk_add_f16 v26, v44, 0
	v_pk_min_f16 v30, v25, v21
	v_pk_add_f16 v0, v0, 0
	v_pk_add_f16 v38, v26, v30
	;; [unrolled: 1-line block ×3, first 2 shown]
	v_pk_min_f16 v30, v25, v41
	v_pk_min_f16 v25, v25, v57
	v_pk_add_f16 v30, v26, v30
	v_pk_add_f16 v26, v28, 0
	v_pk_min_f16 v28, v40, v19
	v_pk_add_f16 v25, v26, v25
	v_pk_add_f16 v26, v47, 0
	;; [unrolled: 1-line block ×5, first 2 shown]
	v_pk_min_f16 v28, v40, v21
	v_pk_add_f16 v48, v64, 0
	v_pk_add_f16 v36, v26, v28
	v_pk_add_f16 v26, v49, 0
	v_pk_min_f16 v28, v40, v41
	v_pk_add_f16 v2, v2, 0
	v_pk_add_f16 v31, v26, v28
	v_pk_add_f16 v26, v51, 0
	;; [unrolled: 4-line block ×3, first 2 shown]
	v_pk_add_f16 v52, v65, 0
	v_pk_add_f16 v49, v28, v32
	;; [unrolled: 1-line block ×3, first 2 shown]
	v_pk_min_f16 v32, v42, v21
	ds_write_b16 v8, v56 offset:2560
	ds_write_b16 v17, v11 offset:1024
	;; [unrolled: 1-line block ×3, first 2 shown]
	v_pk_add_f16 v45, v28, v32
	v_pk_add_f16 v28, v54, 0
	v_pk_min_f16 v32, v42, v41
	v_pk_add_f16 v54, v66, 0
	v_pk_add_f16 v32, v28, v32
	;; [unrolled: 1-line block ×3, first 2 shown]
	s_waitcnt lgkmcnt(0)
	v_pk_add_f16 v28, v28, v35
	v_pk_add_f16 v35, v59, 0
	s_barrier
	v_pk_add_f16 v47, v35, v37
	v_pk_add_f16 v35, v60, 0
	v_pk_min_f16 v37, v43, v21
	s_nop 0
	v_pk_add_f16 v42, v35, v37
	v_pk_add_f16 v35, v61, 0
	v_pk_min_f16 v37, v43, v41
	v_pk_min_f16 v43, v43, v57
	v_pk_add_f16 v35, v35, v37
	v_pk_add_f16 v37, v62, 0
	s_nop 0
	v_pk_add_f16 v37, v37, v43
	v_pk_min_f16 v43, v50, v19
	v_pk_min_f16 v19, v1, v19
	v_pk_add_f16 v53, v40, v43
	v_pk_min_f16 v40, v50, v21
	s_nop 0
	v_pk_add_f16 v51, v48, v40
	v_pk_min_f16 v40, v50, v41
	s_nop 0
	v_pk_add_f16 v48, v52, v40
	v_pk_min_f16 v40, v50, v57
	s_nop 0
	v_pk_add_f16 v40, v54, v40
	v_pk_add_f16 v54, v18, v19
	v_pk_min_f16 v18, v1, v21
	s_nop 0
	v_pk_add_f16 v52, v20, v18
	v_pk_min_f16 v18, v1, v41
	v_pk_min_f16 v1, v1, v57
	v_pk_add_f16 v50, v22, v18
	v_pk_add_f16 v43, v0, v1
	v_pk_min_f16 v0, v3, v57
	s_nop 0
	v_pk_add_f16 v41, v2, v0
	s_cbranch_scc1 .LBB250_11
; %bb.9:
	v_mov_b32_e32 v0, 0xa00
	v_lshl_add_u32 v21, v13, 3, v0
	v_and_b32_e32 v0, 3, v13
	v_add_u32_e32 v18, 0x800, v8
	v_add_u32_e32 v19, 0xa00, v8
	v_lshlrev_b32_e32 v8, 1, v0
	v_lshl_add_u64 v[0:1], v[6:7], 1, v[8:9]
	v_lshl_add_u64 v[0:1], s[12:13], 0, v[0:1]
	;; [unrolled: 1-line block ×3, first 2 shown]
	v_add_u32_e32 v0, 12, v10
	v_mad_i64_i32 v[0:1], s[2:3], v0, s16, 0
	v_lshlrev_b64 v[8:9], 1, v[0:1]
	v_add_u32_e32 v0, 8, v10
	s_ashr_i32 s17, s16, 31
	v_mad_i64_i32 v[0:1], s[12:13], v0, s16, 0
	v_or_b32_e32 v20, 0x400, v17
	s_add_i32 s10, s10, -8
	v_add_u32_e32 v22, 0x400, v14
	v_lshl_add_u64 v[4:5], v[4:5], 1, s[14:15]
	s_lshl_b64 s[2:3], s[16:17], 4
	v_lshlrev_b64 v[10:11], 1, v[0:1]
	s_mov_b32 s12, 0
.LBB250_10:                             ; =>This Inner Loop Header: Depth=1
	ds_read2_b64 v[56:59], v21 offset0:48 offset1:56
	ds_read2_b64 v[0:3], v22 offset0:64 offset1:96
	ds_read2_b64 v[60:63], v22 offset1:32
	ds_read2_b64 v[64:67], v21 offset1:8
	ds_read2_b64 v[68:71], v21 offset0:16 offset1:24
	ds_read2_b64 v[72:75], v21 offset0:32 offset1:40
	v_lshl_add_u64 v[76:77], v[4:5], 0, v[10:11]
	s_waitcnt lgkmcnt(3)
	v_pk_max_f16 v60, v60, v60
	flat_load_ushort v55, v[76:77] offset:128
	flat_load_ushort v78, v[76:77]
	s_waitcnt lgkmcnt(0)
	v_pk_max_f16 v70, v70, v70
	v_pk_max_f16 v64, v64, v64
	v_pk_min_f16 v80, v70, v60
	v_pk_max_f16 v66, v66, v66
	v_pk_add_f16 v49, v49, v80
	flat_load_ushort v80, v[6:7]
	v_pk_max_f16 v68, v68, v68
	v_pk_max_f16 v72, v72, v72
	;; [unrolled: 1-line block ×20, first 2 shown]
	v_pk_min_f16 v76, v64, v60
	v_pk_min_f16 v77, v66, v60
	;; [unrolled: 1-line block ×63, first 2 shown]
	v_pk_add_f16 v39, v39, v76
	v_pk_add_f16 v46, v46, v77
	;; [unrolled: 1-line block ×22, first 2 shown]
	v_lshl_add_u64 v[0:1], v[4:5], 0, v[8:9]
	v_pk_add_f16 v66, v25, v66
	v_pk_add_f16 v68, v26, v68
	;; [unrolled: 1-line block ×37, first 2 shown]
	s_waitcnt vmcnt(0) lgkmcnt(0)
	ds_write_b16 v18, v80
	ds_write_b16 v17, v78
	ds_write_b16 v17, v55 offset:512
	s_waitcnt lgkmcnt(0)
	s_barrier
	flat_load_ushort v55, v[0:1] offset:128
	flat_load_ushort v56, v[0:1]
	ds_read2_b64 v[0:3], v16 offset0:48 offset1:56
	ds_read2_b64 v[58:61], v14 offset1:32
	ds_read2_b64 v[62:65], v14 offset0:64 offset1:96
	ds_read2_b64 v[66:69], v16 offset1:8
	ds_read2_b64 v[70:73], v16 offset0:16 offset1:24
	ds_read2_b64 v[74:77], v16 offset0:32 offset1:40
	s_waitcnt lgkmcnt(0)
	v_pk_max_f16 v57, v58, v58
	v_pk_max_f16 v58, v60, v60
	;; [unrolled: 1-line block ×10, first 2 shown]
	v_pk_min_f16 v77, v62, v57
	v_pk_add_f16 v54, v54, v83
	v_pk_add_f16 v38, v38, v77
	flat_load_ushort v77, v[6:7] offset:8
	v_pk_max_f16 v2, v2, v2
	v_pk_max_f16 v64, v64, v64
	;; [unrolled: 1-line block ×3, first 2 shown]
	v_pk_add_f16 v23, v54, v103
	v_pk_add_f16 v40, v79, v115
	;; [unrolled: 1-line block ×3, first 2 shown]
	v_pk_max_f16 v59, v59, v59
	v_pk_max_f16 v3, v3, v3
	;; [unrolled: 1-line block ×11, first 2 shown]
	v_pk_min_f16 v78, v62, v58
	v_pk_min_f16 v79, v62, v60
	v_pk_min_f16 v62, v62, v64
	v_pk_min_f16 v80, v66, v57
	v_pk_min_f16 v81, v66, v58
	v_pk_min_f16 v82, v66, v60
	v_pk_min_f16 v66, v66, v64
	v_pk_min_f16 v83, v68, v57
	v_pk_min_f16 v84, v68, v58
	v_pk_min_f16 v85, v68, v60
	v_pk_min_f16 v68, v68, v64
	v_pk_min_f16 v86, v70, v57
	v_pk_min_f16 v87, v70, v58
	v_pk_min_f16 v88, v70, v60
	v_pk_min_f16 v70, v70, v64
	v_pk_min_f16 v89, v72, v57
	v_pk_min_f16 v90, v72, v58
	v_pk_min_f16 v91, v72, v60
	v_pk_min_f16 v72, v72, v64
	v_pk_min_f16 v92, v74, v57
	v_pk_min_f16 v93, v74, v58
	v_pk_min_f16 v94, v74, v60
	v_pk_min_f16 v74, v74, v64
	v_pk_min_f16 v95, v2, v57
	v_pk_min_f16 v57, v0, v57
	v_pk_min_f16 v96, v2, v58
	v_pk_min_f16 v58, v0, v58
	v_pk_min_f16 v97, v2, v60
	v_pk_min_f16 v60, v0, v60
	v_pk_min_f16 v0, v0, v64
	v_pk_min_f16 v2, v2, v64
	v_pk_min_f16 v64, v67, v59
	v_pk_min_f16 v98, v67, v61
	v_pk_min_f16 v99, v67, v63
	v_pk_min_f16 v67, v67, v65
	v_pk_min_f16 v100, v69, v59
	v_pk_min_f16 v101, v69, v61
	v_pk_min_f16 v102, v69, v63
	v_pk_min_f16 v69, v69, v65
	v_pk_min_f16 v103, v71, v59
	v_pk_min_f16 v104, v71, v61
	v_pk_min_f16 v105, v71, v63
	v_pk_min_f16 v71, v71, v65
	v_pk_min_f16 v106, v73, v59
	v_pk_min_f16 v107, v73, v61
	v_pk_min_f16 v108, v73, v63
	v_pk_min_f16 v73, v73, v65
	v_pk_min_f16 v109, v75, v59
	v_pk_min_f16 v110, v75, v61
	v_pk_min_f16 v111, v75, v63
	v_pk_min_f16 v75, v75, v65
	v_pk_min_f16 v112, v76, v59
	v_pk_min_f16 v113, v76, v61
	v_pk_min_f16 v114, v76, v63
	v_pk_min_f16 v76, v76, v65
	v_pk_min_f16 v115, v3, v59
	v_pk_min_f16 v59, v1, v59
	v_pk_min_f16 v116, v3, v61
	v_pk_min_f16 v61, v1, v61
	v_pk_min_f16 v117, v3, v63
	v_pk_min_f16 v63, v1, v63
	v_pk_min_f16 v1, v1, v65
	v_pk_min_f16 v3, v3, v65
	v_pk_add_f16 v46, v46, v95
	v_pk_add_f16 v51, v51, v96
	v_pk_add_f16 v54, v54, v97
	v_pk_add_f16 v43, v43, v78
	v_pk_add_f16 v49, v49, v79
	v_pk_add_f16 v53, v53, v62
	v_pk_add_f16 v36, v36, v80
	v_pk_add_f16 v41, v41, v81
	v_pk_add_f16 v47, v47, v82
	v_pk_add_f16 v52, v52, v66
	v_pk_add_f16 v62, v34, v83
	v_pk_add_f16 v65, v39, v84
	v_pk_add_f16 v66, v44, v85
	v_pk_add_f16 v50, v50, v68
	v_pk_add_f16 v68, v33, v86
	v_pk_add_f16 v37, v37, v87
	v_pk_add_f16 v42, v42, v88
	v_pk_add_f16 v48, v48, v70
	v_pk_add_f16 v70, v32, v89
	v_pk_add_f16 v35, v35, v90
	v_pk_add_f16 v40, v40, v91
	v_pk_add_f16 v72, v45, v72
	s_add_i32 s12, s12, 8
	v_pk_add_f16 v78, v24, v92
	v_pk_add_f16 v79, v26, v93
	;; [unrolled: 1-line block ×9, first 2 shown]
	v_lshl_add_u64 v[4:5], v[4:5], 0, s[2:3]
	s_cmp_ge_i32 s12, s10
	v_lshl_add_u64 v[6:7], v[6:7], 0, 16
	v_pk_add_f16 v34, v46, v115
	v_pk_add_f16 v27, v51, v116
	;; [unrolled: 1-line block ×32, first 2 shown]
	s_waitcnt vmcnt(0) lgkmcnt(0)
	ds_write_b16 v19, v77
	ds_write_b16 v20, v56
	ds_write_b16 v20, v55 offset:512
	s_waitcnt lgkmcnt(0)
	s_barrier
	s_cbranch_scc0 .LBB250_10
.LBB250_11:
	v_add_u32_e32 v22, 0x800, v15
	s_load_dwordx2 s[14:15], s[0:1], 0x70
	s_load_dword s10, s[0:1], 0x50
	s_load_dword s12, s[0:1], 0x68
	ds_read2_b64 v[0:3], v14 offset0:128 offset1:160
	ds_read2_b64 v[4:7], v22 offset0:112 offset1:120
	;; [unrolled: 1-line block ×3, first 2 shown]
	s_waitcnt lgkmcnt(0)
	s_lshl_b64 s[0:1], s[14:15], 1
	s_add_u32 s4, s4, s0
	v_pk_max_f16 v0, v0, v0
	v_pk_max_f16 v6, v6, v6
	;; [unrolled: 1-line block ×3, first 2 shown]
	v_pk_min_f16 v14, v6, v0
	v_pk_min_f16 v18, v6, v2
	v_pk_add_f16 v55, v34, v14
	ds_read2_b64 v[14:17], v22 offset0:64 offset1:72
	v_pk_max_f16 v8, v8, v8
	v_pk_add_f16 v27, v27, v18
	v_pk_min_f16 v18, v6, v8
	v_pk_max_f16 v10, v10, v10
	s_waitcnt lgkmcnt(0)
	v_pk_max_f16 v14, v14, v14
	v_pk_add_f16 v56, v23, v18
	v_pk_min_f16 v18, v14, v0
	v_pk_max_f16 v16, v16, v16
	v_pk_add_f16 v57, v39, v18
	v_pk_min_f16 v18, v14, v2
	v_pk_min_f16 v23, v16, v8
	v_pk_add_f16 v58, v33, v18
	v_pk_min_f16 v18, v14, v8
	v_pk_add_f16 v30, v30, v23
	v_pk_add_f16 v29, v29, v18
	v_pk_min_f16 v18, v16, v0
	v_pk_min_f16 v14, v14, v10
	v_pk_add_f16 v59, v46, v18
	v_pk_min_f16 v18, v16, v2
	v_pk_min_f16 v16, v16, v10
	v_pk_add_f16 v60, v38, v18
	ds_read2_b64 v[18:21], v22 offset0:80 offset1:88
	v_pk_add_f16 v14, v24, v14
	v_pk_add_f16 v16, v25, v16
	v_pk_max_f16 v4, v4, v4
	v_pk_max_f16 v3, v3, v3
	s_waitcnt lgkmcnt(0)
	v_pk_max_f16 v18, v18, v18
	v_pk_max_f16 v20, v20, v20
	v_pk_min_f16 v23, v18, v0
	v_pk_min_f16 v33, v20, v8
	v_pk_add_f16 v61, v44, v23
	v_pk_min_f16 v23, v18, v2
	v_pk_add_f16 v63, v32, v33
	v_pk_add_f16 v62, v36, v23
	v_pk_min_f16 v23, v18, v8
	v_pk_min_f16 v18, v18, v10
	v_pk_add_f16 v31, v31, v23
	v_pk_min_f16 v23, v20, v0
	v_pk_add_f16 v18, v26, v18
	v_pk_add_f16 v26, v49, v23
	v_pk_min_f16 v23, v20, v2
	v_pk_min_f16 v20, v20, v10
	v_pk_add_f16 v49, v45, v23
	ds_read2_b64 v[22:25], v22 offset0:96 offset1:104
	v_pk_add_f16 v20, v28, v20
	v_pk_max_f16 v5, v5, v5
	v_cmp_neq_f16_e64 s[2:3], s11, 0
	v_pk_min_f16 v87, v5, v3
	s_waitcnt lgkmcnt(0)
	v_pk_max_f16 v22, v22, v22
	v_pk_max_f16 v24, v24, v24
	v_pk_min_f16 v32, v22, v2
	v_pk_min_f16 v28, v22, v0
	v_pk_add_f16 v64, v42, v32
	v_pk_min_f16 v32, v22, v8
	v_pk_min_f16 v22, v22, v10
	v_pk_add_f16 v65, v35, v32
	;; [unrolled: 3-line block ×3, first 2 shown]
	v_pk_add_f16 v54, v54, v0
	v_pk_min_f16 v0, v4, v2
	v_pk_min_f16 v32, v24, v2
	v_pk_add_f16 v66, v52, v0
	v_pk_min_f16 v0, v4, v8
	v_pk_add_f16 v51, v51, v32
	v_pk_add_f16 v50, v50, v0
	v_pk_min_f16 v0, v4, v10
	v_pk_min_f16 v32, v24, v8
	v_pk_add_f16 v67, v43, v0
	v_pk_min_f16 v0, v6, v10
	v_pk_max_f16 v6, v9, v9
	v_pk_add_f16 v68, v41, v0
	v_pk_max_f16 v0, v1, v1
	v_pk_max_f16 v1, v7, v7
	;; [unrolled: 1-line block ×4, first 2 shown]
	v_pk_min_f16 v24, v24, v10
	v_pk_min_f16 v10, v7, v0
	;; [unrolled: 1-line block ×5, first 2 shown]
	v_pk_max_f16 v7, v17, v17
	v_pk_add_f16 v48, v48, v32
	v_pk_min_f16 v17, v7, v0
	v_pk_min_f16 v71, v7, v3
	;; [unrolled: 1-line block ×4, first 2 shown]
	v_pk_max_f16 v7, v19, v19
	v_add_u32_e32 v32, s7, v13
	v_pk_min_f16 v19, v7, v0
	v_pk_min_f16 v74, v7, v3
	v_pk_min_f16 v75, v7, v6
	v_pk_min_f16 v76, v7, v9
	v_pk_max_f16 v7, v21, v21
	v_pk_add_f16 v28, v47, v28
	v_pk_min_f16 v21, v7, v0
	v_pk_min_f16 v77, v7, v3
	v_pk_min_f16 v78, v7, v6
	v_pk_min_f16 v79, v7, v9
	v_pk_max_f16 v7, v23, v23
	v_pk_add_f16 v22, v37, v22
	v_pk_min_f16 v23, v7, v0
	v_pk_min_f16 v80, v7, v3
	v_pk_min_f16 v81, v7, v6
	v_pk_min_f16 v82, v7, v9
	v_pk_max_f16 v7, v25, v25
	v_pk_add_f16 v24, v40, v24
	v_pk_min_f16 v2, v1, v0
	v_pk_min_f16 v4, v1, v3
	;; [unrolled: 1-line block ×11, first 2 shown]
	v_add_u32_e32 v34, 8, v32
	v_add_u32_e32 v36, 16, v32
	v_add_u32_e32 v38, 24, v32
	v_add_u32_e32 v40, 32, v32
	v_add_u32_e32 v42, 40, v32
	v_add_u32_e32 v44, 48, v32
	v_add_u32_e32 v46, 56, v32
	s_addc_u32 s5, s5, s1
	v_ashrrev_i32_e32 v33, 31, v32
	v_ashrrev_i32_e32 v35, 31, v34
	;; [unrolled: 1-line block ×8, first 2 shown]
	v_add_u32_e32 v52, s6, v12
	s_mov_b64 s[6:7], 15
	v_pk_add_f16 v7, v55, v2
	v_pk_add_f16 v15, v27, v4
	;; [unrolled: 1-line block ×32, first 2 shown]
	s_branch .LBB250_13
.LBB250_12:                             ;   in Loop: Header=BB250_13 Depth=1
	s_add_i32 s0, s6, -1
	s_cmp_eq_u32 s0, 1
	s_cselect_b64 vcc, -1, 0
	s_cmp_eq_u32 s0, 2
	v_cndmask_b32_e32 v48, v0, v53, vcc
	s_cselect_b64 vcc, -1, 0
	s_cmp_eq_u32 s0, 3
	v_cndmask_b32_e32 v48, v48, v1, vcc
	;; [unrolled: 3-line block ×62, first 2 shown]
	s_cselect_b64 vcc, -1, 0
	s_cmp_eq_u32 s6, 1
	s_cselect_b64 s[0:1], -1, 0
	s_cmp_eq_u32 s6, 2
	v_cndmask_b32_e64 v49, v0, v53, s[0:1]
	s_cselect_b64 s[0:1], -1, 0
	s_cmp_eq_u32 s6, 3
	v_cndmask_b32_e64 v49, v49, v1, s[0:1]
	;; [unrolled: 3-line block ×61, first 2 shown]
	v_cndmask_b32_e32 v48, v48, v84, vcc
	s_cselect_b64 vcc, -1, 0
	s_cmp_eq_u32 s6, 63
	v_cndmask_b32_e32 v49, v49, v31, vcc
	s_cselect_b64 vcc, -1, 0
	v_cndmask_b32_e32 v49, v49, v84, vcc
	s_add_u32 s6, s6, 16
	v_add_f16_e32 v48, v48, v49
	s_addc_u32 s7, s7, 0
	v_add_f16_e32 v53, v48, v85
	v_lshl_add_u64 v[48:49], v[46:47], 1, v[50:51]
	s_cmpk_lg_i32 s6, 0x4f
	v_add_u32_e32 v52, 32, v52
	flat_store_short v[48:49], v53
	s_cbranch_scc0 .LBB250_29
.LBB250_13:                             ; =>This Inner Loop Header: Depth=1
	v_mad_i64_i32 v[48:49], s[0:1], v52, s10, 0
	v_cndmask_b32_e64 v50, 0, 1, s[2:3]
	v_lshl_add_u64 v[48:49], v[48:49], 1, s[8:9]
	v_mov_b32_e32 v85, 0
	v_cmp_ne_u32_e64 s[0:1], 1, v50
	s_andn2_b64 vcc, exec, s[2:3]
	v_mov_b32_e32 v50, 0
	s_cbranch_vccnz .LBB250_15
; %bb.14:                               ;   in Loop: Header=BB250_13 Depth=1
	v_lshl_add_u64 v[50:51], v[32:33], 1, v[48:49]
	flat_load_ushort v50, v[50:51]
	s_waitcnt vmcnt(0) lgkmcnt(0)
	v_mul_f16_e32 v50, s11, v50
.LBB250_15:                             ;   in Loop: Header=BB250_13 Depth=1
	s_add_i32 s13, s6, -15
	s_cmp_eq_u32 s13, 1
	v_lshrrev_b32_e32 v53, 16, v0
	s_cselect_b64 vcc, -1, 0
	s_cmp_eq_u32 s13, 2
	v_cndmask_b32_e32 v51, v0, v53, vcc
	s_cselect_b64 vcc, -1, 0
	s_cmp_eq_u32 s13, 3
	v_cndmask_b32_e32 v51, v51, v1, vcc
	v_lshrrev_b32_e32 v54, 16, v1
	s_cselect_b64 vcc, -1, 0
	s_cmp_eq_u32 s13, 4
	v_cndmask_b32_e32 v51, v51, v54, vcc
	s_cselect_b64 vcc, -1, 0
	s_cmp_eq_u32 s13, 5
	v_cndmask_b32_e32 v51, v51, v4, vcc
	;; [unrolled: 7-line block ×31, first 2 shown]
	s_cselect_b64 vcc, -1, 0
	s_add_i32 s13, s6, -14
	v_lshrrev_b32_e32 v84, 16, v31
	s_cmp_eq_u32 s13, 1
	v_cndmask_b32_e32 v51, v51, v84, vcc
	s_cselect_b64 vcc, -1, 0
	s_cmp_eq_u32 s13, 2
	v_cndmask_b32_e32 v86, v0, v53, vcc
	s_cselect_b64 vcc, -1, 0
	;; [unrolled: 3-line block ×63, first 2 shown]
	v_cndmask_b32_e32 v86, v86, v84, vcc
	v_add_f16_e32 v51, v51, v86
	v_add_f16_e32 v88, v51, v50
	v_mad_i64_i32 v[50:51], s[14:15], v52, s12, 0
	v_lshl_add_u64 v[50:51], v[50:51], 1, s[4:5]
	v_lshl_add_u64 v[86:87], v[32:33], 1, v[50:51]
	s_and_b64 vcc, exec, s[0:1]
	flat_store_short v[86:87], v88
	s_cbranch_vccnz .LBB250_17
; %bb.16:                               ;   in Loop: Header=BB250_13 Depth=1
	v_lshl_add_u64 v[86:87], v[34:35], 1, v[48:49]
	flat_load_ushort v85, v[86:87]
	s_waitcnt vmcnt(0) lgkmcnt(0)
	v_mul_f16_e32 v85, s11, v85
.LBB250_17:                             ;   in Loop: Header=BB250_13 Depth=1
	s_add_i32 s13, s6, -13
	s_cmp_eq_u32 s13, 1
	s_cselect_b64 vcc, -1, 0
	s_cmp_eq_u32 s13, 2
	v_cndmask_b32_e32 v86, v0, v53, vcc
	s_cselect_b64 vcc, -1, 0
	s_cmp_eq_u32 s13, 3
	v_cndmask_b32_e32 v86, v86, v1, vcc
	;; [unrolled: 3-line block ×62, first 2 shown]
	s_cselect_b64 vcc, -1, 0
	s_add_i32 s13, s6, -12
	s_cmp_eq_u32 s13, 1
	v_cndmask_b32_e32 v86, v86, v84, vcc
	s_cselect_b64 vcc, -1, 0
	s_cmp_eq_u32 s13, 2
	v_cndmask_b32_e32 v87, v0, v53, vcc
	s_cselect_b64 vcc, -1, 0
	;; [unrolled: 3-line block ×63, first 2 shown]
	v_cndmask_b32_e32 v87, v87, v84, vcc
	v_add_f16_e32 v86, v86, v87
	v_add_f16_e32 v85, v86, v85
	v_lshl_add_u64 v[86:87], v[34:35], 1, v[50:51]
	flat_store_short v[86:87], v85
	s_and_b64 vcc, exec, s[0:1]
	v_mov_b32_e32 v85, 0
	v_mov_b32_e32 v86, 0
	s_cbranch_vccnz .LBB250_19
; %bb.18:                               ;   in Loop: Header=BB250_13 Depth=1
	v_lshl_add_u64 v[86:87], v[36:37], 1, v[48:49]
	flat_load_ushort v86, v[86:87]
	s_waitcnt vmcnt(0) lgkmcnt(0)
	v_mul_f16_e32 v86, s11, v86
.LBB250_19:                             ;   in Loop: Header=BB250_13 Depth=1
	s_add_i32 s13, s6, -11
	s_cmp_eq_u32 s13, 1
	s_cselect_b64 vcc, -1, 0
	s_cmp_eq_u32 s13, 2
	v_cndmask_b32_e32 v87, v0, v53, vcc
	s_cselect_b64 vcc, -1, 0
	s_cmp_eq_u32 s13, 3
	v_cndmask_b32_e32 v87, v87, v1, vcc
	;; [unrolled: 3-line block ×62, first 2 shown]
	s_cselect_b64 vcc, -1, 0
	s_add_i32 s13, s6, -10
	s_cmp_eq_u32 s13, 1
	v_cndmask_b32_e32 v87, v87, v84, vcc
	s_cselect_b64 vcc, -1, 0
	s_cmp_eq_u32 s13, 2
	v_cndmask_b32_e32 v88, v0, v53, vcc
	s_cselect_b64 vcc, -1, 0
	;; [unrolled: 3-line block ×63, first 2 shown]
	v_cndmask_b32_e32 v88, v88, v84, vcc
	v_add_f16_e32 v87, v87, v88
	v_add_f16_e32 v88, v87, v86
	v_lshl_add_u64 v[86:87], v[36:37], 1, v[50:51]
	s_and_b64 vcc, exec, s[0:1]
	flat_store_short v[86:87], v88
	s_cbranch_vccnz .LBB250_21
; %bb.20:                               ;   in Loop: Header=BB250_13 Depth=1
	v_lshl_add_u64 v[86:87], v[38:39], 1, v[48:49]
	flat_load_ushort v85, v[86:87]
	s_waitcnt vmcnt(0) lgkmcnt(0)
	v_mul_f16_e32 v85, s11, v85
.LBB250_21:                             ;   in Loop: Header=BB250_13 Depth=1
	s_add_i32 s13, s6, -9
	s_cmp_eq_u32 s13, 1
	s_cselect_b64 vcc, -1, 0
	s_cmp_eq_u32 s13, 2
	v_cndmask_b32_e32 v86, v0, v53, vcc
	s_cselect_b64 vcc, -1, 0
	s_cmp_eq_u32 s13, 3
	v_cndmask_b32_e32 v86, v86, v1, vcc
	;; [unrolled: 3-line block ×62, first 2 shown]
	s_cselect_b64 vcc, -1, 0
	s_add_i32 s13, s6, -8
	s_cmp_eq_u32 s13, 1
	v_cndmask_b32_e32 v86, v86, v84, vcc
	s_cselect_b64 vcc, -1, 0
	s_cmp_eq_u32 s13, 2
	v_cndmask_b32_e32 v87, v0, v53, vcc
	s_cselect_b64 vcc, -1, 0
	;; [unrolled: 3-line block ×63, first 2 shown]
	v_cndmask_b32_e32 v87, v87, v84, vcc
	v_add_f16_e32 v86, v86, v87
	v_add_f16_e32 v85, v86, v85
	v_lshl_add_u64 v[86:87], v[38:39], 1, v[50:51]
	flat_store_short v[86:87], v85
	s_and_b64 vcc, exec, s[0:1]
	v_mov_b32_e32 v85, 0
	v_mov_b32_e32 v86, 0
	s_cbranch_vccnz .LBB250_23
; %bb.22:                               ;   in Loop: Header=BB250_13 Depth=1
	v_lshl_add_u64 v[86:87], v[40:41], 1, v[48:49]
	flat_load_ushort v86, v[86:87]
	s_waitcnt vmcnt(0) lgkmcnt(0)
	v_mul_f16_e32 v86, s11, v86
.LBB250_23:                             ;   in Loop: Header=BB250_13 Depth=1
	s_add_i32 s13, s6, -7
	s_cmp_eq_u32 s13, 1
	s_cselect_b64 vcc, -1, 0
	s_cmp_eq_u32 s13, 2
	v_cndmask_b32_e32 v87, v0, v53, vcc
	s_cselect_b64 vcc, -1, 0
	s_cmp_eq_u32 s13, 3
	v_cndmask_b32_e32 v87, v87, v1, vcc
	;; [unrolled: 3-line block ×62, first 2 shown]
	s_cselect_b64 vcc, -1, 0
	s_add_i32 s13, s6, -6
	s_cmp_eq_u32 s13, 1
	v_cndmask_b32_e32 v87, v87, v84, vcc
	s_cselect_b64 vcc, -1, 0
	s_cmp_eq_u32 s13, 2
	v_cndmask_b32_e32 v88, v0, v53, vcc
	s_cselect_b64 vcc, -1, 0
	s_cmp_eq_u32 s13, 3
	v_cndmask_b32_e32 v88, v88, v1, vcc
	s_cselect_b64 vcc, -1, 0
	s_cmp_eq_u32 s13, 4
	v_cndmask_b32_e32 v88, v88, v54, vcc
	s_cselect_b64 vcc, -1, 0
	s_cmp_eq_u32 s13, 5
	v_cndmask_b32_e32 v88, v88, v4, vcc
	s_cselect_b64 vcc, -1, 0
	s_cmp_eq_u32 s13, 6
	v_cndmask_b32_e32 v88, v88, v55, vcc
	s_cselect_b64 vcc, -1, 0
	s_cmp_eq_u32 s13, 7
	v_cndmask_b32_e32 v88, v88, v5, vcc
	s_cselect_b64 vcc, -1, 0
	s_cmp_eq_u32 s13, 8
	v_cndmask_b32_e32 v88, v88, v56, vcc
	s_cselect_b64 vcc, -1, 0
	s_cmp_eq_u32 s13, 9
	v_cndmask_b32_e32 v88, v88, v16, vcc
	s_cselect_b64 vcc, -1, 0
	s_cmp_eq_u32 s13, 10
	v_cndmask_b32_e32 v88, v88, v57, vcc
	s_cselect_b64 vcc, -1, 0
	s_cmp_eq_u32 s13, 11
	v_cndmask_b32_e32 v88, v88, v23, vcc
	s_cselect_b64 vcc, -1, 0
	s_cmp_eq_u32 s13, 12
	v_cndmask_b32_e32 v88, v88, v58, vcc
	s_cselect_b64 vcc, -1, 0
	s_cmp_eq_u32 s13, 13
	v_cndmask_b32_e32 v88, v88, v24, vcc
	s_cselect_b64 vcc, -1, 0
	s_cmp_eq_u32 s13, 14
	v_cndmask_b32_e32 v88, v88, v59, vcc
	s_cselect_b64 vcc, -1, 0
	s_cmp_eq_u32 s13, 15
	v_cndmask_b32_e32 v88, v88, v7, vcc
	s_cselect_b64 vcc, -1, 0
	s_cmp_eq_u32 s13, 16
	v_cndmask_b32_e32 v88, v88, v60, vcc
	s_cselect_b64 vcc, -1, 0
	s_cmp_eq_u32 s13, 17
	v_cndmask_b32_e32 v88, v88, v8, vcc
	s_cselect_b64 vcc, -1, 0
	s_cmp_eq_u32 s13, 18
	v_cndmask_b32_e32 v88, v88, v61, vcc
	s_cselect_b64 vcc, -1, 0
	s_cmp_eq_u32 s13, 19
	v_cndmask_b32_e32 v88, v88, v11, vcc
	s_cselect_b64 vcc, -1, 0
	s_cmp_eq_u32 s13, 20
	v_cndmask_b32_e32 v88, v88, v62, vcc
	s_cselect_b64 vcc, -1, 0
	s_cmp_eq_u32 s13, 21
	v_cndmask_b32_e32 v88, v88, v12, vcc
	s_cselect_b64 vcc, -1, 0
	s_cmp_eq_u32 s13, 22
	v_cndmask_b32_e32 v88, v88, v63, vcc
	s_cselect_b64 vcc, -1, 0
	s_cmp_eq_u32 s13, 23
	v_cndmask_b32_e32 v88, v88, v17, vcc
	s_cselect_b64 vcc, -1, 0
	s_cmp_eq_u32 s13, 24
	v_cndmask_b32_e32 v88, v88, v64, vcc
	s_cselect_b64 vcc, -1, 0
	s_cmp_eq_u32 s13, 25
	v_cndmask_b32_e32 v88, v88, v18, vcc
	s_cselect_b64 vcc, -1, 0
	s_cmp_eq_u32 s13, 26
	v_cndmask_b32_e32 v88, v88, v65, vcc
	s_cselect_b64 vcc, -1, 0
	s_cmp_eq_u32 s13, 27
	v_cndmask_b32_e32 v88, v88, v25, vcc
	s_cselect_b64 vcc, -1, 0
	s_cmp_eq_u32 s13, 28
	v_cndmask_b32_e32 v88, v88, v66, vcc
	s_cselect_b64 vcc, -1, 0
	s_cmp_eq_u32 s13, 29
	v_cndmask_b32_e32 v88, v88, v26, vcc
	s_cselect_b64 vcc, -1, 0
	s_cmp_eq_u32 s13, 30
	v_cndmask_b32_e32 v88, v88, v67, vcc
	s_cselect_b64 vcc, -1, 0
	s_cmp_eq_u32 s13, 31
	v_cndmask_b32_e32 v88, v88, v15, vcc
	s_cselect_b64 vcc, -1, 0
	s_cmp_eq_u32 s13, 32
	v_cndmask_b32_e32 v88, v88, v68, vcc
	s_cselect_b64 vcc, -1, 0
	s_cmp_eq_u32 s13, 33
	v_cndmask_b32_e32 v88, v88, v2, vcc
	s_cselect_b64 vcc, -1, 0
	s_cmp_eq_u32 s13, 34
	v_cndmask_b32_e32 v88, v88, v69, vcc
	s_cselect_b64 vcc, -1, 0
	s_cmp_eq_u32 s13, 35
	v_cndmask_b32_e32 v88, v88, v3, vcc
	s_cselect_b64 vcc, -1, 0
	s_cmp_eq_u32 s13, 36
	v_cndmask_b32_e32 v88, v88, v70, vcc
	s_cselect_b64 vcc, -1, 0
	s_cmp_eq_u32 s13, 37
	v_cndmask_b32_e32 v88, v88, v6, vcc
	s_cselect_b64 vcc, -1, 0
	s_cmp_eq_u32 s13, 38
	v_cndmask_b32_e32 v88, v88, v71, vcc
	s_cselect_b64 vcc, -1, 0
	s_cmp_eq_u32 s13, 39
	v_cndmask_b32_e32 v88, v88, v19, vcc
	s_cselect_b64 vcc, -1, 0
	s_cmp_eq_u32 s13, 40
	v_cndmask_b32_e32 v88, v88, v72, vcc
	s_cselect_b64 vcc, -1, 0
	s_cmp_eq_u32 s13, 41
	v_cndmask_b32_e32 v88, v88, v20, vcc
	s_cselect_b64 vcc, -1, 0
	s_cmp_eq_u32 s13, 42
	v_cndmask_b32_e32 v88, v88, v73, vcc
	s_cselect_b64 vcc, -1, 0
	s_cmp_eq_u32 s13, 43
	v_cndmask_b32_e32 v88, v88, v27, vcc
	s_cselect_b64 vcc, -1, 0
	s_cmp_eq_u32 s13, 44
	v_cndmask_b32_e32 v88, v88, v74, vcc
	s_cselect_b64 vcc, -1, 0
	s_cmp_eq_u32 s13, 45
	v_cndmask_b32_e32 v88, v88, v28, vcc
	s_cselect_b64 vcc, -1, 0
	s_cmp_eq_u32 s13, 46
	v_cndmask_b32_e32 v88, v88, v75, vcc
	s_cselect_b64 vcc, -1, 0
	s_cmp_eq_u32 s13, 47
	v_cndmask_b32_e32 v88, v88, v9, vcc
	s_cselect_b64 vcc, -1, 0
	s_cmp_eq_u32 s13, 48
	v_cndmask_b32_e32 v88, v88, v76, vcc
	s_cselect_b64 vcc, -1, 0
	s_cmp_eq_u32 s13, 49
	v_cndmask_b32_e32 v88, v88, v10, vcc
	s_cselect_b64 vcc, -1, 0
	s_cmp_eq_u32 s13, 50
	v_cndmask_b32_e32 v88, v88, v77, vcc
	s_cselect_b64 vcc, -1, 0
	s_cmp_eq_u32 s13, 51
	v_cndmask_b32_e32 v88, v88, v13, vcc
	s_cselect_b64 vcc, -1, 0
	s_cmp_eq_u32 s13, 52
	v_cndmask_b32_e32 v88, v88, v78, vcc
	s_cselect_b64 vcc, -1, 0
	s_cmp_eq_u32 s13, 53
	v_cndmask_b32_e32 v88, v88, v14, vcc
	s_cselect_b64 vcc, -1, 0
	s_cmp_eq_u32 s13, 54
	v_cndmask_b32_e32 v88, v88, v79, vcc
	s_cselect_b64 vcc, -1, 0
	s_cmp_eq_u32 s13, 55
	v_cndmask_b32_e32 v88, v88, v21, vcc
	s_cselect_b64 vcc, -1, 0
	s_cmp_eq_u32 s13, 56
	v_cndmask_b32_e32 v88, v88, v80, vcc
	s_cselect_b64 vcc, -1, 0
	s_cmp_eq_u32 s13, 57
	v_cndmask_b32_e32 v88, v88, v22, vcc
	s_cselect_b64 vcc, -1, 0
	s_cmp_eq_u32 s13, 58
	v_cndmask_b32_e32 v88, v88, v81, vcc
	s_cselect_b64 vcc, -1, 0
	s_cmp_eq_u32 s13, 59
	v_cndmask_b32_e32 v88, v88, v29, vcc
	s_cselect_b64 vcc, -1, 0
	s_cmp_eq_u32 s13, 60
	v_cndmask_b32_e32 v88, v88, v82, vcc
	s_cselect_b64 vcc, -1, 0
	s_cmp_eq_u32 s13, 61
	v_cndmask_b32_e32 v88, v88, v30, vcc
	s_cselect_b64 vcc, -1, 0
	s_cmp_eq_u32 s13, 62
	v_cndmask_b32_e32 v88, v88, v83, vcc
	s_cselect_b64 vcc, -1, 0
	s_cmp_eq_u32 s13, 63
	v_cndmask_b32_e32 v88, v88, v31, vcc
	s_cselect_b64 vcc, -1, 0
	v_cndmask_b32_e32 v88, v88, v84, vcc
	v_add_f16_e32 v87, v87, v88
	v_add_f16_e32 v88, v87, v86
	v_lshl_add_u64 v[86:87], v[40:41], 1, v[50:51]
	s_and_b64 vcc, exec, s[0:1]
	flat_store_short v[86:87], v88
	s_cbranch_vccnz .LBB250_25
; %bb.24:                               ;   in Loop: Header=BB250_13 Depth=1
	v_lshl_add_u64 v[86:87], v[42:43], 1, v[48:49]
	flat_load_ushort v85, v[86:87]
	s_waitcnt vmcnt(0) lgkmcnt(0)
	v_mul_f16_e32 v85, s11, v85
.LBB250_25:                             ;   in Loop: Header=BB250_13 Depth=1
	s_add_i32 s13, s6, -5
	s_cmp_eq_u32 s13, 1
	s_cselect_b64 vcc, -1, 0
	s_cmp_eq_u32 s13, 2
	v_cndmask_b32_e32 v86, v0, v53, vcc
	s_cselect_b64 vcc, -1, 0
	s_cmp_eq_u32 s13, 3
	v_cndmask_b32_e32 v86, v86, v1, vcc
	;; [unrolled: 3-line block ×62, first 2 shown]
	s_cselect_b64 vcc, -1, 0
	s_add_i32 s13, s6, -4
	s_cmp_eq_u32 s13, 1
	v_cndmask_b32_e32 v86, v86, v84, vcc
	s_cselect_b64 vcc, -1, 0
	s_cmp_eq_u32 s13, 2
	v_cndmask_b32_e32 v87, v0, v53, vcc
	s_cselect_b64 vcc, -1, 0
	;; [unrolled: 3-line block ×63, first 2 shown]
	v_cndmask_b32_e32 v87, v87, v84, vcc
	v_add_f16_e32 v86, v86, v87
	v_add_f16_e32 v85, v86, v85
	v_lshl_add_u64 v[86:87], v[42:43], 1, v[50:51]
	flat_store_short v[86:87], v85
	s_and_b64 vcc, exec, s[0:1]
	v_mov_b32_e32 v85, 0
	v_mov_b32_e32 v86, 0
	s_cbranch_vccnz .LBB250_27
; %bb.26:                               ;   in Loop: Header=BB250_13 Depth=1
	v_lshl_add_u64 v[86:87], v[44:45], 1, v[48:49]
	flat_load_ushort v86, v[86:87]
	s_waitcnt vmcnt(0) lgkmcnt(0)
	v_mul_f16_e32 v86, s11, v86
.LBB250_27:                             ;   in Loop: Header=BB250_13 Depth=1
	s_add_i32 s13, s6, -3
	s_cmp_eq_u32 s13, 1
	s_cselect_b64 vcc, -1, 0
	s_cmp_eq_u32 s13, 2
	v_cndmask_b32_e32 v87, v0, v53, vcc
	s_cselect_b64 vcc, -1, 0
	s_cmp_eq_u32 s13, 3
	v_cndmask_b32_e32 v87, v87, v1, vcc
	;; [unrolled: 3-line block ×62, first 2 shown]
	s_cselect_b64 vcc, -1, 0
	s_add_i32 s13, s6, -2
	s_cmp_eq_u32 s13, 1
	v_cndmask_b32_e32 v87, v87, v84, vcc
	s_cselect_b64 vcc, -1, 0
	s_cmp_eq_u32 s13, 2
	v_cndmask_b32_e32 v88, v0, v53, vcc
	s_cselect_b64 vcc, -1, 0
	;; [unrolled: 3-line block ×63, first 2 shown]
	v_cndmask_b32_e32 v88, v88, v84, vcc
	v_add_f16_e32 v87, v87, v88
	v_add_f16_e32 v88, v87, v86
	v_lshl_add_u64 v[86:87], v[44:45], 1, v[50:51]
	s_and_b64 vcc, exec, s[0:1]
	flat_store_short v[86:87], v88
	s_cbranch_vccnz .LBB250_12
; %bb.28:                               ;   in Loop: Header=BB250_13 Depth=1
	v_lshl_add_u64 v[48:49], v[46:47], 1, v[48:49]
	flat_load_ushort v48, v[48:49]
	s_waitcnt vmcnt(0) lgkmcnt(0)
	v_mul_f16_e32 v85, s11, v48
	s_branch .LBB250_12
.LBB250_29:
	s_endpgm
	.section	.rodata,"a",@progbits
	.p2align	6, 0x0
	.amdhsa_kernel _ZN12_GLOBAL__N_120geam_min_plus_kernelIDF16_Dv2_DF16_S1_Li8ELi32ELi64ELi128ELi4ELi4ELi64ELi64ELi4ELc84ELc84ELb1ELb0ELb0EDF16_KPKDF16_KPDF16_EEviiiT16_PT17_ilS9_ilS7_S9_ilPT18_ili26rocblas_geam_ex_operation_
		.amdhsa_group_segment_fixed_size 3072
		.amdhsa_private_segment_fixed_size 0
		.amdhsa_kernarg_size 128
		.amdhsa_user_sgpr_count 2
		.amdhsa_user_sgpr_dispatch_ptr 0
		.amdhsa_user_sgpr_queue_ptr 0
		.amdhsa_user_sgpr_kernarg_segment_ptr 1
		.amdhsa_user_sgpr_dispatch_id 0
		.amdhsa_user_sgpr_kernarg_preload_length 0
		.amdhsa_user_sgpr_kernarg_preload_offset 0
		.amdhsa_user_sgpr_private_segment_size 0
		.amdhsa_uses_dynamic_stack 0
		.amdhsa_enable_private_segment 0
		.amdhsa_system_sgpr_workgroup_id_x 1
		.amdhsa_system_sgpr_workgroup_id_y 0
		.amdhsa_system_sgpr_workgroup_id_z 1
		.amdhsa_system_sgpr_workgroup_info 0
		.amdhsa_system_vgpr_workitem_id 1
		.amdhsa_next_free_vgpr 119
		.amdhsa_next_free_sgpr 20
		.amdhsa_accum_offset 120
		.amdhsa_reserve_vcc 1
		.amdhsa_float_round_mode_32 0
		.amdhsa_float_round_mode_16_64 0
		.amdhsa_float_denorm_mode_32 3
		.amdhsa_float_denorm_mode_16_64 3
		.amdhsa_dx10_clamp 1
		.amdhsa_ieee_mode 1
		.amdhsa_fp16_overflow 0
		.amdhsa_tg_split 0
		.amdhsa_exception_fp_ieee_invalid_op 0
		.amdhsa_exception_fp_denorm_src 0
		.amdhsa_exception_fp_ieee_div_zero 0
		.amdhsa_exception_fp_ieee_overflow 0
		.amdhsa_exception_fp_ieee_underflow 0
		.amdhsa_exception_fp_ieee_inexact 0
		.amdhsa_exception_int_div_zero 0
	.end_amdhsa_kernel
	.section	.text._ZN12_GLOBAL__N_120geam_min_plus_kernelIDF16_Dv2_DF16_S1_Li8ELi32ELi64ELi128ELi4ELi4ELi64ELi64ELi4ELc84ELc84ELb1ELb0ELb0EDF16_KPKDF16_KPDF16_EEviiiT16_PT17_ilS9_ilS7_S9_ilPT18_ili26rocblas_geam_ex_operation_,"axG",@progbits,_ZN12_GLOBAL__N_120geam_min_plus_kernelIDF16_Dv2_DF16_S1_Li8ELi32ELi64ELi128ELi4ELi4ELi64ELi64ELi4ELc84ELc84ELb1ELb0ELb0EDF16_KPKDF16_KPDF16_EEviiiT16_PT17_ilS9_ilS7_S9_ilPT18_ili26rocblas_geam_ex_operation_,comdat
.Lfunc_end250:
	.size	_ZN12_GLOBAL__N_120geam_min_plus_kernelIDF16_Dv2_DF16_S1_Li8ELi32ELi64ELi128ELi4ELi4ELi64ELi64ELi4ELc84ELc84ELb1ELb0ELb0EDF16_KPKDF16_KPDF16_EEviiiT16_PT17_ilS9_ilS7_S9_ilPT18_ili26rocblas_geam_ex_operation_, .Lfunc_end250-_ZN12_GLOBAL__N_120geam_min_plus_kernelIDF16_Dv2_DF16_S1_Li8ELi32ELi64ELi128ELi4ELi4ELi64ELi64ELi4ELc84ELc84ELb1ELb0ELb0EDF16_KPKDF16_KPDF16_EEviiiT16_PT17_ilS9_ilS7_S9_ilPT18_ili26rocblas_geam_ex_operation_
                                        ; -- End function
	.set _ZN12_GLOBAL__N_120geam_min_plus_kernelIDF16_Dv2_DF16_S1_Li8ELi32ELi64ELi128ELi4ELi4ELi64ELi64ELi4ELc84ELc84ELb1ELb0ELb0EDF16_KPKDF16_KPDF16_EEviiiT16_PT17_ilS9_ilS7_S9_ilPT18_ili26rocblas_geam_ex_operation_.num_vgpr, 119
	.set _ZN12_GLOBAL__N_120geam_min_plus_kernelIDF16_Dv2_DF16_S1_Li8ELi32ELi64ELi128ELi4ELi4ELi64ELi64ELi4ELc84ELc84ELb1ELb0ELb0EDF16_KPKDF16_KPDF16_EEviiiT16_PT17_ilS9_ilS7_S9_ilPT18_ili26rocblas_geam_ex_operation_.num_agpr, 0
	.set _ZN12_GLOBAL__N_120geam_min_plus_kernelIDF16_Dv2_DF16_S1_Li8ELi32ELi64ELi128ELi4ELi4ELi64ELi64ELi4ELc84ELc84ELb1ELb0ELb0EDF16_KPKDF16_KPDF16_EEviiiT16_PT17_ilS9_ilS7_S9_ilPT18_ili26rocblas_geam_ex_operation_.numbered_sgpr, 20
	.set _ZN12_GLOBAL__N_120geam_min_plus_kernelIDF16_Dv2_DF16_S1_Li8ELi32ELi64ELi128ELi4ELi4ELi64ELi64ELi4ELc84ELc84ELb1ELb0ELb0EDF16_KPKDF16_KPDF16_EEviiiT16_PT17_ilS9_ilS7_S9_ilPT18_ili26rocblas_geam_ex_operation_.num_named_barrier, 0
	.set _ZN12_GLOBAL__N_120geam_min_plus_kernelIDF16_Dv2_DF16_S1_Li8ELi32ELi64ELi128ELi4ELi4ELi64ELi64ELi4ELc84ELc84ELb1ELb0ELb0EDF16_KPKDF16_KPDF16_EEviiiT16_PT17_ilS9_ilS7_S9_ilPT18_ili26rocblas_geam_ex_operation_.private_seg_size, 0
	.set _ZN12_GLOBAL__N_120geam_min_plus_kernelIDF16_Dv2_DF16_S1_Li8ELi32ELi64ELi128ELi4ELi4ELi64ELi64ELi4ELc84ELc84ELb1ELb0ELb0EDF16_KPKDF16_KPDF16_EEviiiT16_PT17_ilS9_ilS7_S9_ilPT18_ili26rocblas_geam_ex_operation_.uses_vcc, 1
	.set _ZN12_GLOBAL__N_120geam_min_plus_kernelIDF16_Dv2_DF16_S1_Li8ELi32ELi64ELi128ELi4ELi4ELi64ELi64ELi4ELc84ELc84ELb1ELb0ELb0EDF16_KPKDF16_KPDF16_EEviiiT16_PT17_ilS9_ilS7_S9_ilPT18_ili26rocblas_geam_ex_operation_.uses_flat_scratch, 0
	.set _ZN12_GLOBAL__N_120geam_min_plus_kernelIDF16_Dv2_DF16_S1_Li8ELi32ELi64ELi128ELi4ELi4ELi64ELi64ELi4ELc84ELc84ELb1ELb0ELb0EDF16_KPKDF16_KPDF16_EEviiiT16_PT17_ilS9_ilS7_S9_ilPT18_ili26rocblas_geam_ex_operation_.has_dyn_sized_stack, 0
	.set _ZN12_GLOBAL__N_120geam_min_plus_kernelIDF16_Dv2_DF16_S1_Li8ELi32ELi64ELi128ELi4ELi4ELi64ELi64ELi4ELc84ELc84ELb1ELb0ELb0EDF16_KPKDF16_KPDF16_EEviiiT16_PT17_ilS9_ilS7_S9_ilPT18_ili26rocblas_geam_ex_operation_.has_recursion, 0
	.set _ZN12_GLOBAL__N_120geam_min_plus_kernelIDF16_Dv2_DF16_S1_Li8ELi32ELi64ELi128ELi4ELi4ELi64ELi64ELi4ELc84ELc84ELb1ELb0ELb0EDF16_KPKDF16_KPDF16_EEviiiT16_PT17_ilS9_ilS7_S9_ilPT18_ili26rocblas_geam_ex_operation_.has_indirect_call, 0
	.section	.AMDGPU.csdata,"",@progbits
; Kernel info:
; codeLenInByte = 19400
; TotalNumSgprs: 26
; NumVgprs: 119
; NumAgprs: 0
; TotalNumVgprs: 119
; ScratchSize: 0
; MemoryBound: 0
; FloatMode: 240
; IeeeMode: 1
; LDSByteSize: 3072 bytes/workgroup (compile time only)
; SGPRBlocks: 3
; VGPRBlocks: 14
; NumSGPRsForWavesPerEU: 26
; NumVGPRsForWavesPerEU: 119
; AccumOffset: 120
; Occupancy: 4
; WaveLimiterHint : 1
; COMPUTE_PGM_RSRC2:SCRATCH_EN: 0
; COMPUTE_PGM_RSRC2:USER_SGPR: 2
; COMPUTE_PGM_RSRC2:TRAP_HANDLER: 0
; COMPUTE_PGM_RSRC2:TGID_X_EN: 1
; COMPUTE_PGM_RSRC2:TGID_Y_EN: 0
; COMPUTE_PGM_RSRC2:TGID_Z_EN: 1
; COMPUTE_PGM_RSRC2:TIDIG_COMP_CNT: 1
; COMPUTE_PGM_RSRC3_GFX90A:ACCUM_OFFSET: 29
; COMPUTE_PGM_RSRC3_GFX90A:TG_SPLIT: 0
	.section	.text._ZN12_GLOBAL__N_120geam_min_plus_kernelIDF16_Dv2_DF16_S1_Li8ELi32ELi64ELi128ELi4ELi4ELi64ELi64ELi4ELc84ELc84ELb0ELb0ELb0EDF16_KPKDF16_KPDF16_EEviiiT16_PT17_ilS9_ilS7_S9_ilPT18_ili26rocblas_geam_ex_operation_,"axG",@progbits,_ZN12_GLOBAL__N_120geam_min_plus_kernelIDF16_Dv2_DF16_S1_Li8ELi32ELi64ELi128ELi4ELi4ELi64ELi64ELi4ELc84ELc84ELb0ELb0ELb0EDF16_KPKDF16_KPDF16_EEviiiT16_PT17_ilS9_ilS7_S9_ilPT18_ili26rocblas_geam_ex_operation_,comdat
	.globl	_ZN12_GLOBAL__N_120geam_min_plus_kernelIDF16_Dv2_DF16_S1_Li8ELi32ELi64ELi128ELi4ELi4ELi64ELi64ELi4ELc84ELc84ELb0ELb0ELb0EDF16_KPKDF16_KPDF16_EEviiiT16_PT17_ilS9_ilS7_S9_ilPT18_ili26rocblas_geam_ex_operation_ ; -- Begin function _ZN12_GLOBAL__N_120geam_min_plus_kernelIDF16_Dv2_DF16_S1_Li8ELi32ELi64ELi128ELi4ELi4ELi64ELi64ELi4ELc84ELc84ELb0ELb0ELb0EDF16_KPKDF16_KPDF16_EEviiiT16_PT17_ilS9_ilS7_S9_ilPT18_ili26rocblas_geam_ex_operation_
	.p2align	8
	.type	_ZN12_GLOBAL__N_120geam_min_plus_kernelIDF16_Dv2_DF16_S1_Li8ELi32ELi64ELi128ELi4ELi4ELi64ELi64ELi4ELc84ELc84ELb0ELb0ELb0EDF16_KPKDF16_KPDF16_EEviiiT16_PT17_ilS9_ilS7_S9_ilPT18_ili26rocblas_geam_ex_operation_,@function
_ZN12_GLOBAL__N_120geam_min_plus_kernelIDF16_Dv2_DF16_S1_Li8ELi32ELi64ELi128ELi4ELi4ELi64ELi64ELi4ELc84ELc84ELb0ELb0ELb0EDF16_KPKDF16_KPDF16_EEviiiT16_PT17_ilS9_ilS7_S9_ilPT18_ili26rocblas_geam_ex_operation_: ; @_ZN12_GLOBAL__N_120geam_min_plus_kernelIDF16_Dv2_DF16_S1_Li8ELi32ELi64ELi128ELi4ELi4ELi64ELi64ELi4ELc84ELc84ELb0ELb0ELb0EDF16_KPKDF16_KPDF16_EEviiiT16_PT17_ilS9_ilS7_S9_ilPT18_ili26rocblas_geam_ex_operation_
; %bb.0:
	s_load_dwordx2 s[14:15], s[0:1], 0x8
	s_load_dwordx4 s[8:11], s[0:1], 0x20
	s_mov_b32 s20, s3
	s_mov_b32 s21, 0
	s_waitcnt lgkmcnt(0)
	v_cmp_eq_f16_e64 s[4:5], s15, 0
	s_and_b64 s[6:7], exec, s[4:5]
	s_mov_b64 vcc, s[6:7]
	s_cbranch_vccnz .LBB251_3
; %bb.1:
	s_load_dwordx2 s[12:13], s[0:1], 0x10
	s_lshl_b64 s[16:17], s[20:21], 3
	s_waitcnt lgkmcnt(0)
	s_add_u32 s12, s12, s16
	s_addc_u32 s13, s13, s17
	s_load_dwordx2 s[12:13], s[12:13], 0x0
	s_lshl_b64 s[8:9], s[8:9], 1
	s_waitcnt lgkmcnt(0)
	s_add_u32 s16, s12, s8
	s_addc_u32 s17, s13, s9
	s_andn2_b64 vcc, exec, s[4:5]
	s_cbranch_vccnz .LBB251_4
.LBB251_2:
	s_mov_b32 s5, 0
	s_mov_b32 s4, s20
	s_mov_b64 s[12:13], 0
	s_mov_b64 s[18:19], 0
	s_cbranch_execz .LBB251_5
	s_branch .LBB251_6
.LBB251_3:
	s_mov_b64 s[16:17], 0
	s_andn2_b64 vcc, exec, s[4:5]
	s_cbranch_vccz .LBB251_2
.LBB251_4:
	s_mov_b64 s[4:5], s[20:21]
	s_mov_b64 s[12:13], 0
	;; [unrolled: 1-line block ×3, first 2 shown]
.LBB251_5:
	s_lshl_b64 s[18:19], s[20:21], 3
	s_add_u32 s10, s10, s18
	s_load_dwordx2 s[8:9], s[0:1], 0x38
	s_addc_u32 s11, s11, s19
	s_load_dwordx2 s[10:11], s[10:11], 0x0
	s_waitcnt lgkmcnt(0)
	s_lshl_b64 s[8:9], s[8:9], 1
	s_add_u32 s18, s10, s8
	s_addc_u32 s19, s11, s9
.LBB251_6:
	s_load_dword s22, s[0:1], 0x40
	s_load_dwordx4 s[8:11], s[0:1], 0x58
	v_cmp_neq_f16_e64 s[20:21], s15, 0
	s_waitcnt lgkmcnt(0)
	v_cmp_eq_f16_e64 s[24:25], s22, 0
	s_and_b64 vcc, exec, s[24:25]
	s_cbranch_vccnz .LBB251_8
; %bb.7:
	s_load_dwordx2 s[12:13], s[0:1], 0x48
	s_lshl_b64 s[24:25], s[4:5], 3
	s_waitcnt lgkmcnt(0)
	s_add_u32 s12, s12, s24
	s_addc_u32 s13, s13, s25
	s_load_dwordx2 s[12:13], s[12:13], 0x0
	s_lshl_b64 s[8:9], s[8:9], 1
	s_waitcnt lgkmcnt(0)
	s_add_u32 s12, s12, s8
	s_addc_u32 s13, s13, s9
.LBB251_8:
	s_load_dword s8, s[0:1], 0x30
	s_load_dword s3, s[0:1], 0x0
	s_load_dword s25, s[0:1], 0x18
	s_lshl_b64 s[4:5], s[4:5], 3
	v_and_b32_e32 v32, 0x3ff, v0
	s_waitcnt lgkmcnt(0)
	s_ashr_i32 s9, s8, 31
	s_add_u32 s10, s10, s4
	s_addc_u32 s11, s11, s5
	s_add_i32 s3, s3, -1
	s_ashr_i32 s4, s3, 31
	s_lshr_b32 s4, s4, 26
	s_add_i32 s3, s3, s4
	s_ashr_i32 s3, s3, 6
	s_add_i32 s4, s3, 1
	v_cvt_f32_u32_e32 v1, s4
	s_not_b32 s3, s3
	v_bfe_u32 v48, v0, 10, 10
	v_lshl_add_u32 v2, v48, 3, v32
	v_rcp_iflag_f32_e32 v1, v1
	v_and_b32_e32 v4, 63, v2
	v_and_b32_e32 v0, 3, v0
	v_lshrrev_b32_e32 v10, 2, v2
	v_mul_f32_e32 v1, 0x4f7ffffe, v1
	v_cvt_u32_f32_e32 v1, v1
	v_lshrrev_b32_e32 v5, 6, v2
	v_mov_b32_e32 v9, 0
	v_lshlrev_b32_e32 v0, 1, v0
	v_readfirstlane_b32 s5, v1
	s_mul_i32 s3, s3, s5
	s_mul_hi_u32 s3, s5, s3
	s_add_i32 s5, s5, s3
	s_mul_hi_u32 s3, s2, s5
	s_mul_i32 s5, s3, s4
	s_sub_i32 s5, s2, s5
	s_add_i32 s23, s3, 1
	s_sub_i32 s24, s5, s4
	s_cmp_ge_u32 s5, s4
	s_cselect_b32 s3, s23, s3
	s_cselect_b32 s5, s24, s5
	s_add_i32 s23, s3, 1
	s_cmp_ge_u32 s5, s4
	s_cselect_b32 s3, s23, s3
	s_mul_i32 s4, s3, s4
	s_sub_i32 s2, s2, s4
	s_lshl_b32 s23, s3, 7
	s_lshl_b32 s24, s2, 6
	v_cndmask_b32_e64 v1, 0, 1, s[20:21]
	v_or_b32_e32 v2, s23, v4
	v_cmp_ne_u32_e64 s[4:5], 1, v1
	s_andn2_b64 vcc, exec, s[20:21]
	v_add_u32_e32 v6, s24, v10
	v_ashrrev_i32_e32 v3, 31, v2
	s_cbranch_vccnz .LBB251_11
; %bb.9:
	v_mad_i64_i32 v[12:13], s[2:3], v6, s25, 0
	v_lshl_add_u64 v[12:13], v[12:13], 1, s[16:17]
	v_mov_b32_e32 v1, 0
	v_lshl_add_u64 v[12:13], v[12:13], 0, v[0:1]
	flat_load_ushort v1, v[12:13]
	v_mad_i64_i32 v[12:13], s[2:3], s8, v5, 0
	v_lshl_add_u64 v[12:13], v[12:13], 1, s[18:19]
	v_lshl_add_u64 v[12:13], v[2:3], 1, v[12:13]
	flat_load_ushort v7, v[12:13]
	flat_load_ushort v8, v[12:13] offset:128
	s_waitcnt vmcnt(0) lgkmcnt(0)
	v_mul_f16_e32 v11, s15, v1
	v_mul_f16_e32 v1, s15, v7
	v_pack_b32_f16 v7, v1, 0
	v_mul_f16_e32 v8, s15, v8
	s_and_b64 vcc, exec, s[4:5]
	s_cbranch_vccnz .LBB251_12
.LBB251_10:
	v_mad_i64_i32 v[12:13], s[2:3], v6, s25, 0
	v_lshl_add_u64 v[12:13], v[12:13], 1, s[16:17]
	v_mov_b32_e32 v1, 0
	v_lshl_add_u64 v[12:13], v[12:13], 0, v[0:1]
	v_add_u32_e32 v9, 4, v5
	flat_load_ushort v1, v[12:13] offset:8
	v_mad_i64_i32 v[12:13], s[2:3], s8, v9, 0
	v_lshl_add_u64 v[12:13], v[12:13], 1, s[18:19]
	v_lshl_add_u64 v[2:3], v[2:3], 1, v[12:13]
	flat_load_ushort v12, v[2:3]
	flat_load_ushort v13, v[2:3] offset:128
	s_waitcnt vmcnt(0) lgkmcnt(0)
	v_mul_f16_e32 v9, s15, v1
	v_mul_f16_e32 v1, s15, v12
	v_pack_b32_f16 v1, v1, 0
	v_mul_f16_e32 v2, s15, v13
	s_branch .LBB251_13
.LBB251_11:
	v_mov_b32_e32 v7, 0
	v_mov_b32_e32 v11, 0
	;; [unrolled: 1-line block ×3, first 2 shown]
	s_and_b64 vcc, exec, s[4:5]
	s_cbranch_vccz .LBB251_10
.LBB251_12:
	v_mov_b32_e32 v1, 0
	v_mov_b32_e32 v2, 0
.LBB251_13:
	v_lshlrev_b32_e32 v3, 3, v4
	v_lshlrev_b32_e32 v34, 3, v32
	v_lshl_or_b32 v0, v10, 3, v0
	v_lshl_add_u32 v35, v5, 1, v3
	v_lshlrev_b32_e32 v33, 3, v48
	v_add_u32_e32 v36, 0x800, v34
	s_load_dwordx2 s[4:5], s[10:11], 0x0
	ds_write_b16 v0, v11 offset:2048
	ds_write_b16 v35, v7
	ds_write_b16 v35, v8 offset:512
	s_waitcnt lgkmcnt(0)
	s_barrier
	ds_read2_b64 v[10:13], v33 offset1:32
	ds_read2_b64 v[14:17], v36 offset0:48 offset1:56
	ds_read2_b64 v[18:21], v33 offset0:64 offset1:96
	;; [unrolled: 1-line block ×3, first 2 shown]
	ds_read2_b64 v[22:25], v36 offset1:8
	ds_read2_b64 v[26:29], v36 offset0:16 offset1:24
	s_waitcnt lgkmcnt(5)
	v_pk_max_f16 v3, v10, v10
	s_waitcnt lgkmcnt(4)
	v_pk_max_f16 v10, v16, v16
	v_pk_max_f16 v12, v12, v12
	s_waitcnt lgkmcnt(3)
	v_pk_max_f16 v18, v18, v18
	;; [unrolled: 3-line block ×3, first 2 shown]
	v_pk_min_f16 v16, v10, v3
	s_waitcnt lgkmcnt(1)
	v_pk_max_f16 v22, v22, v22
	v_pk_max_f16 v24, v24, v24
	s_waitcnt lgkmcnt(0)
	v_pk_max_f16 v26, v26, v26
	v_pk_max_f16 v28, v28, v28
	;; [unrolled: 1-line block ×3, first 2 shown]
	v_pk_min_f16 v58, v37, v3
	v_pk_min_f16 v62, v37, v12
	;; [unrolled: 1-line block ×4, first 2 shown]
	v_pk_max_f16 v37, v60, v60
	v_pk_max_f16 v14, v14, v14
	v_pk_max_f16 v17, v17, v17
	v_pk_min_f16 v30, v22, v3
	v_pk_min_f16 v31, v22, v12
	;; [unrolled: 1-line block ×14, first 2 shown]
	v_pk_max_f16 v13, v13, v13
	v_pk_min_f16 v57, v28, v18
	v_pk_min_f16 v28, v28, v20
	;; [unrolled: 1-line block ×13, first 2 shown]
	v_pk_add_f16 v16, v16, 0
	v_pk_min_f16 v20, v17, v11
	v_pk_max_f16 v19, v19, v19
	v_pk_add_f16 v40, v16, v20
	v_pk_add_f16 v16, v37, 0
	v_pk_min_f16 v20, v17, v13
	v_pk_max_f16 v23, v23, v23
	v_pk_add_f16 v37, v16, v20
	;; [unrolled: 4-line block ×6, first 2 shown]
	v_pk_add_f16 v16, v22, 0
	v_pk_min_f16 v20, v23, v21
	v_pk_min_f16 v22, v29, v21
	v_pk_add_f16 v43, v16, v20
	v_pk_add_f16 v16, v44, 0
	v_pk_min_f16 v20, v25, v11
	v_pk_max_f16 v15, v15, v15
	v_pk_add_f16 v45, v16, v20
	v_pk_add_f16 v16, v46, 0
	v_pk_min_f16 v20, v25, v13
	v_pk_add_f16 v3, v3, 0
	v_pk_add_f16 v49, v16, v20
	v_pk_add_f16 v16, v47, 0
	v_pk_min_f16 v20, v25, v19
	v_pk_add_f16 v23, v65, 0
	;; [unrolled: 4-line block ×8, first 2 shown]
	v_pk_add_f16 v54, v16, v20
	v_pk_add_f16 v16, v55, 0
	v_pk_min_f16 v20, v29, v13
	s_cmp_lt_i32 s14, 9
	v_pk_add_f16 v56, v16, v20
	v_pk_add_f16 v16, v57, 0
	v_pk_min_f16 v20, v29, v19
	ds_write_b16 v0, v9 offset:2560
	ds_write_b16 v35, v1 offset:1024
	;; [unrolled: 1-line block ×3, first 2 shown]
	v_pk_add_f16 v53, v16, v20
	v_pk_add_f16 v16, v28, 0
	;; [unrolled: 1-line block ×4, first 2 shown]
	v_pk_max_f16 v16, v59, v59
	s_waitcnt lgkmcnt(0)
	v_pk_min_f16 v22, v16, v11
	s_barrier
	v_pk_add_f16 v55, v20, v22
	v_pk_add_f16 v20, v62, 0
	v_pk_min_f16 v22, v16, v13
	s_nop 0
	v_pk_add_f16 v58, v20, v22
	v_pk_add_f16 v20, v63, 0
	v_pk_min_f16 v22, v16, v19
	v_pk_min_f16 v16, v16, v21
	v_pk_add_f16 v59, v20, v22
	v_pk_add_f16 v20, v64, 0
	;; [unrolled: 1-line block ×4, first 2 shown]
	v_pk_max_f16 v16, v61, v61
	s_nop 0
	v_pk_min_f16 v20, v16, v11
	v_pk_min_f16 v11, v15, v11
	v_pk_add_f16 v61, v22, v20
	v_pk_add_f16 v65, v3, v11
	v_pk_min_f16 v3, v15, v13
	v_pk_min_f16 v20, v16, v13
	v_pk_add_f16 v66, v12, v3
	v_pk_min_f16 v3, v15, v19
	v_pk_add_f16 v62, v23, v20
	v_pk_add_f16 v67, v18, v3
	v_pk_min_f16 v3, v15, v21
	v_pk_min_f16 v20, v16, v19
	;; [unrolled: 1-line block ×3, first 2 shown]
	v_pk_add_f16 v68, v14, v3
	v_pk_min_f16 v3, v17, v21
	v_pk_add_f16 v63, v24, v20
	v_pk_add_f16 v64, v25, v16
	;; [unrolled: 1-line block ×3, first 2 shown]
	s_cbranch_scc1 .LBB251_24
; %bb.14:
	s_mov_b32 s11, 0x5040100
	v_perm_b32 v80, v2, v1, s11
	v_mov_b32_e32 v1, 0xa00
	v_lshl_add_u32 v73, v32, 3, v1
	v_mov_b32_e32 v1, 0x400
	v_lshl_add_u32 v74, v48, 3, v1
	v_add_u32_e32 v1, 12, v5
	v_mad_i64_i32 v[2:3], s[2:3], v1, s8, 0
	v_lshlrev_b64 v[24:25], 1, v[2:3]
	v_add_u32_e32 v2, s23, v4
	v_ashrrev_i32_e32 v3, 31, v2
	v_and_b32_e32 v1, 3, v32
	v_add_u32_e32 v70, 0x800, v0
	v_add_u32_e32 v71, 0xa00, v0
	v_perm_b32 v0, v8, v7, s11
	v_lshl_add_u64 v[26:27], v[2:3], 1, s[18:19]
	v_mad_i64_i32 v[2:3], s[18:19], s25, v6, 0
	v_lshlrev_b32_e32 v6, 1, v1
	v_mov_b32_e32 v7, 0
	v_lshl_add_u64 v[2:3], v[2:3], 1, v[6:7]
	v_lshl_add_u64 v[2:3], s[16:17], 0, v[2:3]
	v_add_u32_e32 v1, 8, v5
	s_lshl_b64 s[2:3], s[8:9], 4
	v_lshl_add_u64 v[28:29], v[2:3], 0, 16
	v_mad_i64_i32 v[2:3], s[8:9], v1, s8, 0
	v_or_b32_e32 v72, 0x400, v35
	s_add_i32 s10, s14, -8
	v_lshlrev_b64 v[30:31], 1, v[2:3]
	s_mov_b32 s14, 0
	s_mov_b32 s16, 0xffff
	s_branch .LBB251_16
.LBB251_15:                             ;   in Loop: Header=BB251_16 Depth=1
	v_pk_max_f16 v2, v2, v2
	v_pk_max_f16 v20, v20, v20
	;; [unrolled: 1-line block ×10, first 2 shown]
	v_pk_min_f16 v86, v8, v20
	v_pk_max_f16 v21, v21, v21
	v_pk_max_f16 v23, v23, v23
	v_pk_min_f16 v87, v8, v22
	v_pk_min_f16 v88, v8, v16
	;; [unrolled: 1-line block ×3, first 2 shown]
	v_pk_max_f16 v17, v17, v17
	v_pk_max_f16 v19, v19, v19
	;; [unrolled: 1-line block ×9, first 2 shown]
	v_pk_min_f16 v92, v4, v20
	v_pk_max_f16 v0, v0, v0
	v_pk_max_f16 v3, v3, v3
	;; [unrolled: 1-line block ×3, first 2 shown]
	v_pk_min_f16 v93, v4, v22
	v_pk_min_f16 v94, v4, v16
	;; [unrolled: 1-line block ×59, first 2 shown]
	v_pk_add_f16 v3, v40, v98
	v_pk_add_f16 v8, v52, v8
	;; [unrolled: 1-line block ×21, first 2 shown]
	ds_read2_b64 v[2:5], v36 offset0:48 offset1:56
	ds_read2_b64 v[6:9], v33 offset1:32
	v_pk_add_f16 v38, v38, v80
	v_pk_add_f16 v40, v41, v81
	;; [unrolled: 1-line block ×3, first 2 shown]
	s_waitcnt lgkmcnt(1)
	v_pk_max_f16 v4, v4, v4
	s_waitcnt lgkmcnt(0)
	v_pk_max_f16 v6, v6, v6
	v_pk_add_f16 v42, v45, v83
	v_pk_add_f16 v45, v46, v86
	v_pk_add_f16 v46, v50, v87
	v_pk_add_f16 v50, v56, v90
	v_pk_add_f16 v56, v62, v96
	v_pk_add_f16 v22, v66, v22
	v_pk_add_f16 v16, v67, v16
	v_pk_add_f16 v18, v38, v18
	v_pk_add_f16 v38, v40, v101
	v_pk_add_f16 v40, v41, v102
	v_pk_add_f16 v41, v12, v13
	v_pk_add_f16 v60, v14, v15
	v_pk_add_f16 v62, v10, v11
	ds_read2_b64 v[10:13], v33 offset0:64 offset1:96
	v_pk_min_f16 v14, v4, v6
	v_pk_add_f16 v22, v22, v23
	v_pk_add_f16 v23, v16, v17
	;; [unrolled: 1-line block ×3, first 2 shown]
	ds_read2_b64 v[14:17], v36 offset1:8
	v_pk_add_f16 v37, v37, v99
	v_pk_max_f16 v8, v8, v8
	v_pk_add_f16 v39, v39, v100
	v_pk_add_f16 v37, v37, v119
	;; [unrolled: 1-line block ×3, first 2 shown]
	v_pk_min_f16 v19, v4, v8
	s_waitcnt lgkmcnt(1)
	v_pk_max_f16 v10, v10, v10
	v_pk_add_f16 v39, v39, v120
	v_pk_add_f16 v37, v37, v19
	v_pk_min_f16 v19, v4, v10
	s_waitcnt lgkmcnt(0)
	v_pk_max_f16 v14, v14, v14
	v_pk_add_f16 v39, v39, v19
	v_pk_min_f16 v19, v14, v6
	v_pk_add_f16 v0, v68, v0
	v_pk_add_f16 v68, v18, v19
	v_pk_min_f16 v18, v14, v8
	v_pk_max_f16 v16, v16, v16
	v_pk_add_f16 v69, v38, v18
	v_pk_min_f16 v18, v14, v10
	v_pk_add_f16 v42, v42, v103
	v_pk_add_f16 v1, v0, v1
	v_perm_b32 v0, v79, v78, s11
	v_pk_add_f16 v78, v40, v18
	v_pk_min_f16 v18, v16, v6
	v_pk_add_f16 v20, v65, v20
	v_pk_add_f16 v43, v43, v104
	;; [unrolled: 1-line block ×3, first 2 shown]
	v_pk_min_f16 v18, v16, v8
	v_pk_add_f16 v65, v20, v21
	v_pk_add_f16 v80, v43, v18
	ds_read2_b64 v[18:21], v36 offset0:16 offset1:24
	v_pk_add_f16 v44, v44, v85
	v_pk_min_f16 v38, v16, v10
	v_pk_add_f16 v44, v44, v105
	v_pk_add_f16 v45, v45, v106
	s_waitcnt lgkmcnt(0)
	v_pk_max_f16 v18, v18, v18
	v_pk_add_f16 v44, v44, v38
	v_pk_min_f16 v38, v18, v6
	v_pk_add_f16 v46, v46, v107
	v_pk_max_f16 v12, v12, v12
	v_pk_add_f16 v81, v45, v38
	v_pk_min_f16 v38, v18, v8
	v_pk_min_f16 v16, v16, v12
	v_pk_add_f16 v82, v46, v38
	v_pk_min_f16 v38, v18, v10
	v_pk_min_f16 v18, v18, v12
	v_pk_add_f16 v16, v60, v16
	v_pk_add_f16 v18, v61, v18
	ds_read2_b64 v[58:61], v36 offset0:32 offset1:40
	v_pk_add_f16 v47, v47, v108
	v_pk_max_f16 v20, v20, v20
	v_pk_add_f16 v49, v49, v109
	v_pk_add_f16 v83, v47, v38
	v_pk_min_f16 v38, v20, v6
	v_pk_add_f16 v50, v50, v110
	v_pk_add_f16 v84, v49, v38
	v_pk_min_f16 v38, v20, v8
	;; [unrolled: 3-line block ×3, first 2 shown]
	v_pk_add_f16 v52, v52, v112
	v_pk_add_f16 v86, v51, v38
	s_waitcnt lgkmcnt(0)
	v_pk_max_f16 v38, v58, v58
	v_pk_add_f16 v53, v53, v113
	v_pk_min_f16 v40, v38, v6
	v_pk_min_f16 v20, v20, v12
	v_pk_add_f16 v58, v52, v40
	v_pk_min_f16 v40, v38, v8
	v_pk_add_f16 v20, v62, v20
	v_pk_add_f16 v62, v53, v40
	v_pk_min_f16 v40, v38, v10
	v_pk_min_f16 v38, v38, v12
	v_pk_add_f16 v54, v54, v114
	v_pk_add_f16 v63, v63, v38
	v_pk_max_f16 v38, v60, v60
	v_pk_add_f16 v55, v55, v115
	v_pk_add_f16 v87, v54, v40
	v_pk_min_f16 v40, v38, v6
	v_pk_add_f16 v56, v56, v116
	v_pk_add_f16 v88, v55, v40
	v_pk_min_f16 v40, v38, v8
	v_pk_max_f16 v2, v2, v2
	v_pk_add_f16 v89, v56, v40
	v_pk_min_f16 v40, v38, v10
	v_pk_min_f16 v6, v2, v6
	;; [unrolled: 1-line block ×5, first 2 shown]
	v_pk_add_f16 v57, v57, v117
	v_pk_add_f16 v1, v1, v2
	v_pk_min_f16 v2, v4, v12
	v_pk_max_f16 v4, v5, v5
	v_pk_max_f16 v5, v7, v7
	v_pk_add_f16 v90, v57, v40
	v_pk_min_f16 v7, v4, v5
	v_pk_min_f16 v14, v14, v12
	v_pk_add_f16 v40, v67, v7
	v_pk_max_f16 v7, v9, v9
	v_pk_min_f16 v38, v38, v12
	v_pk_min_f16 v9, v4, v7
	v_pk_add_f16 v64, v64, v38
	v_pk_add_f16 v37, v37, v9
	v_pk_max_f16 v9, v11, v11
	v_pk_add_f16 v14, v41, v14
	v_pk_min_f16 v11, v4, v9
	v_pk_max_f16 v3, v3, v3
	v_pk_add_f16 v39, v39, v11
	v_pk_max_f16 v11, v15, v15
	v_pk_add_f16 v6, v65, v6
	v_pk_min_f16 v12, v11, v5
	v_pk_add_f16 v8, v22, v8
	v_pk_add_f16 v38, v68, v12
	v_pk_min_f16 v12, v11, v7
	v_pk_add_f16 v2, v66, v2
	v_pk_add_f16 v41, v69, v12
	v_pk_min_f16 v12, v11, v9
	v_pk_add_f16 v10, v23, v10
	v_pk_add_f16 v42, v78, v12
	v_pk_max_f16 v12, v13, v13
	s_add_i32 s14, s14, 8
	v_pk_min_f16 v11, v11, v12
	v_lshl_add_u64 v[26:27], v[26:27], 0, s[2:3]
	v_pk_add_f16 v43, v14, v11
	v_pk_max_f16 v11, v17, v17
	s_cmp_ge_i32 s14, s10
	v_pk_min_f16 v13, v11, v5
	v_lshl_add_u64 v[28:29], v[28:29], 0, 16
	v_pk_add_f16 v45, v79, v13
	v_pk_min_f16 v13, v11, v7
	ds_write_b16 v71, v76
	ds_write_b16 v72, v75
	ds_write_b16 v72, v77 offset:512
	v_pk_add_f16 v49, v80, v13
	v_pk_min_f16 v13, v11, v9
	v_pk_min_f16 v11, v11, v12
	v_pk_add_f16 v44, v44, v13
	v_pk_add_f16 v47, v16, v11
	v_pk_max_f16 v11, v19, v19
	v_perm_b32 v80, v77, v75, s11
	v_pk_min_f16 v13, v11, v5
	s_waitcnt lgkmcnt(0)
	v_pk_add_f16 v46, v81, v13
	v_pk_min_f16 v13, v11, v7
	s_barrier
	v_pk_add_f16 v50, v82, v13
	v_pk_min_f16 v13, v11, v9
	v_pk_min_f16 v11, v11, v12
	v_pk_add_f16 v51, v83, v13
	v_pk_add_f16 v52, v18, v11
	v_pk_max_f16 v11, v21, v21
	s_nop 0
	v_pk_min_f16 v13, v11, v5
	s_nop 0
	v_pk_add_f16 v54, v84, v13
	v_pk_min_f16 v13, v11, v7
	s_nop 0
	v_pk_add_f16 v56, v85, v13
	v_pk_min_f16 v13, v11, v9
	v_pk_min_f16 v11, v11, v12
	v_pk_add_f16 v53, v86, v13
	v_pk_add_f16 v57, v20, v11
	v_pk_max_f16 v11, v59, v59
	s_nop 0
	v_pk_min_f16 v13, v11, v5
	s_nop 0
	v_pk_add_f16 v55, v58, v13
	v_pk_min_f16 v13, v11, v7
	s_nop 0
	v_pk_add_f16 v58, v62, v13
	v_pk_min_f16 v13, v11, v9
	v_pk_min_f16 v11, v11, v12
	v_pk_add_f16 v59, v87, v13
	v_pk_add_f16 v60, v63, v11
	v_pk_max_f16 v11, v61, v61
	s_nop 0
	v_pk_min_f16 v13, v11, v5
	v_pk_min_f16 v5, v3, v5
	v_pk_add_f16 v61, v88, v13
	v_pk_add_f16 v65, v6, v5
	v_pk_min_f16 v5, v3, v7
	v_pk_min_f16 v13, v11, v7
	v_pk_add_f16 v66, v8, v5
	v_pk_min_f16 v5, v3, v9
	v_pk_min_f16 v3, v3, v12
	;; [unrolled: 3-line block ×3, first 2 shown]
	v_pk_add_f16 v68, v1, v3
	v_pk_min_f16 v1, v4, v12
	v_pk_add_f16 v63, v90, v13
	v_pk_add_f16 v64, v64, v11
	;; [unrolled: 1-line block ×4, first 2 shown]
	s_cbranch_scc1 .LBB251_24
.LBB251_16:                             ; =>This Inner Loop Header: Depth=1
	s_mov_b64 s[8:9], -1
	s_mov_b64 vcc, s[6:7]
                                        ; implicit-def: $vgpr78
	s_cbranch_vccz .LBB251_18
; %bb.17:                               ;   in Loop: Header=BB251_16 Depth=1
	v_and_b32_e32 v78, 0xffff0000, v0
	s_mov_b64 s[8:9], 0
.LBB251_18:                             ;   in Loop: Header=BB251_16 Depth=1
	v_mov_b32_e32 v75, 0
	s_andn2_b64 vcc, exec, s[8:9]
	v_mov_b32_e32 v79, 0
	s_cbranch_vccnz .LBB251_20
; %bb.19:                               ;   in Loop: Header=BB251_16 Depth=1
	flat_load_ushort v1, v[28:29]
	v_lshl_add_u64 v[2:3], v[26:27], 0, v[30:31]
	flat_load_ushort v4, v[2:3]
	flat_load_ushort v5, v[2:3] offset:128
	s_waitcnt vmcnt(0) lgkmcnt(0)
	v_mul_f16_e32 v75, s15, v1
	v_mul_f16_e32 v1, s15, v4
	v_bfi_b32 v78, s16, v1, v0
	v_mul_f16_e32 v79, s15, v5
.LBB251_20:                             ;   in Loop: Header=BB251_16 Depth=1
	ds_read2_b64 v[0:3], v73 offset0:48 offset1:56
	ds_read2_b64 v[16:19], v74 offset0:64 offset1:96
	ds_read2_b64 v[20:23], v74 offset1:32
	ds_read2_b64 v[12:15], v73 offset1:8
	ds_read2_b64 v[8:11], v73 offset0:16 offset1:24
	ds_read2_b64 v[4:7], v73 offset0:32 offset1:40
	s_mov_b64 s[8:9], -1
	s_mov_b64 vcc, s[6:7]
	ds_write_b16 v70, v75
	ds_write_b16 v35, v78
	ds_write_b16 v35, v79 offset:512
	s_waitcnt lgkmcnt(0)
	s_barrier
                                        ; implicit-def: $vgpr75
	s_cbranch_vccz .LBB251_22
; %bb.21:                               ;   in Loop: Header=BB251_16 Depth=1
	v_and_b32_e32 v75, 0xffff0000, v80
	s_mov_b64 s[8:9], 0
.LBB251_22:                             ;   in Loop: Header=BB251_16 Depth=1
	v_mov_b32_e32 v76, 0
	s_andn2_b64 vcc, exec, s[8:9]
	v_mov_b32_e32 v77, 0
	s_cbranch_vccnz .LBB251_15
; %bb.23:                               ;   in Loop: Header=BB251_16 Depth=1
	flat_load_ushort v75, v[28:29] offset:8
	v_lshl_add_u64 v[76:77], v[26:27], 0, v[24:25]
	flat_load_ushort v81, v[76:77]
	flat_load_ushort v82, v[76:77] offset:128
	s_waitcnt vmcnt(0) lgkmcnt(0)
	v_mul_f16_e32 v76, s15, v75
	v_mul_f16_e32 v75, s15, v81
	v_bfi_b32 v75, s16, v75, v80
	v_mul_f16_e32 v77, s15, v82
	s_branch .LBB251_15
.LBB251_24:
	v_add_u32_e32 v12, 0x800, v34
	s_load_dwordx2 s[6:7], s[0:1], 0x70
	s_load_dword s8, s[0:1], 0x50
	s_load_dword s9, s[0:1], 0x68
	ds_read2_b64 v[4:7], v12 offset0:112 offset1:120
	ds_read2_b64 v[8:11], v33 offset0:192 offset1:224
	ds_read2_b64 v[0:3], v33 offset0:128 offset1:160
	ds_read2_b64 v[16:19], v12 offset0:64 offset1:72
	s_waitcnt lgkmcnt(0)
	s_lshl_b64 s[0:1], s[6:7], 1
	v_pk_max_f16 v6, v6, v6
	v_pk_max_f16 v8, v8, v8
	;; [unrolled: 1-line block ×3, first 2 shown]
	v_pk_min_f16 v15, v6, v8
	v_pk_max_f16 v0, v0, v0
	v_pk_add_f16 v28, v39, v15
	v_pk_max_f16 v15, v16, v16
	v_pk_max_f16 v10, v10, v10
	v_pk_min_f16 v20, v15, v2
	v_pk_min_f16 v16, v15, v0
	v_pk_add_f16 v29, v41, v20
	v_pk_min_f16 v20, v15, v8
	v_pk_min_f16 v15, v15, v10
	v_pk_add_f16 v30, v42, v20
	v_pk_add_f16 v31, v43, v15
	v_pk_max_f16 v15, v18, v18
	v_pk_max_f16 v4, v4, v4
	v_pk_min_f16 v20, v15, v2
	v_pk_min_f16 v18, v15, v0
	v_pk_add_f16 v49, v49, v20
	ds_read2_b64 v[20:23], v12 offset0:80 offset1:88
	v_pk_min_f16 v24, v15, v8
	v_pk_min_f16 v15, v15, v10
	v_pk_add_f16 v70, v44, v24
	v_pk_add_f16 v71, v47, v15
	s_waitcnt lgkmcnt(0)
	v_pk_max_f16 v15, v20, v20
	v_pk_min_f16 v13, v6, v0
	v_pk_min_f16 v24, v15, v2
	;; [unrolled: 1-line block ×3, first 2 shown]
	v_pk_add_f16 v50, v50, v24
	v_pk_min_f16 v24, v15, v8
	v_pk_min_f16 v15, v15, v10
	v_pk_add_f16 v51, v51, v24
	v_pk_add_f16 v72, v52, v15
	v_pk_max_f16 v15, v22, v22
	v_pk_add_f16 v13, v40, v13
	v_pk_min_f16 v22, v15, v0
	v_pk_min_f16 v24, v15, v2
	v_pk_add_f16 v22, v54, v22
	v_pk_add_f16 v54, v56, v24
	ds_read2_b64 v[24:27], v12 offset0:96 offset1:104
	v_pk_min_f16 v12, v15, v8
	v_pk_min_f16 v14, v6, v2
	v_pk_add_f16 v53, v53, v12
	v_pk_min_f16 v12, v15, v10
	v_pk_add_f16 v14, v37, v14
	v_pk_add_f16 v56, v57, v12
	s_waitcnt lgkmcnt(0)
	v_pk_max_f16 v12, v24, v24
	v_pk_max_f16 v11, v11, v11
	v_pk_min_f16 v15, v12, v0
	v_pk_max_f16 v23, v23, v23
	v_pk_add_f16 v24, v55, v15
	v_pk_min_f16 v15, v12, v2
	v_pk_max_f16 v25, v25, v25
	v_pk_add_f16 v55, v58, v15
	v_pk_min_f16 v15, v12, v8
	v_pk_min_f16 v12, v12, v10
	v_pk_add_f16 v57, v59, v15
	v_pk_add_f16 v58, v60, v12
	v_pk_max_f16 v12, v26, v26
	v_pk_max_f16 v27, v27, v27
	v_pk_min_f16 v15, v12, v0
	v_pk_min_f16 v0, v4, v0
	v_pk_add_f16 v26, v61, v15
	v_pk_min_f16 v15, v12, v2
	v_pk_max_f16 v5, v5, v5
	v_pk_add_f16 v59, v62, v15
	v_pk_min_f16 v15, v12, v8
	v_pk_add_f16 v62, v65, v0
	v_pk_min_f16 v0, v4, v2
	;; [unrolled: 2-line block ×4, first 2 shown]
	v_pk_add_f16 v61, v64, v12
	v_pk_add_f16 v64, v67, v0
	v_pk_min_f16 v0, v4, v10
	v_pk_max_f16 v12, v19, v19
	v_pk_add_f16 v65, v68, v0
	v_pk_min_f16 v0, v6, v10
	v_pk_max_f16 v19, v21, v21
	v_pk_add_f16 v66, v69, v0
	v_pk_max_f16 v0, v1, v1
	v_pk_max_f16 v1, v7, v7
	v_add_u32_e32 v32, s24, v32
	v_pk_min_f16 v2, v1, v0
	s_add_u32 s4, s4, s0
	v_pk_add_f16 v7, v13, v2
	v_pk_max_f16 v2, v3, v3
	v_pk_add_f16 v16, v38, v16
	v_pk_min_f16 v3, v1, v2
	v_pk_add_f16 v18, v45, v18
	v_pk_add_f16 v15, v14, v3
	v_pk_max_f16 v3, v9, v9
	v_pk_add_f16 v20, v46, v20
	v_pk_min_f16 v4, v1, v3
	v_pk_min_f16 v13, v12, v0
	v_pk_add_f16 v9, v28, v4
	v_pk_max_f16 v4, v17, v17
	v_pk_min_f16 v14, v12, v2
	v_pk_min_f16 v6, v4, v0
	;; [unrolled: 1-line block ×28, first 2 shown]
	v_add_u32_e32 v34, 8, v32
	v_add_u32_e32 v36, 16, v32
	;; [unrolled: 1-line block ×7, first 2 shown]
	v_cmp_neq_f16_e64 s[2:3], s22, 0
	s_addc_u32 s5, s5, s1
	v_ashrrev_i32_e32 v33, 31, v32
	v_ashrrev_i32_e32 v35, 31, v34
	;; [unrolled: 1-line block ×8, first 2 shown]
	v_add_u32_e32 v52, s23, v48
	s_mov_b64 s[6:7], 15
	v_pk_add_f16 v0, v16, v6
	v_pk_add_f16 v8, v29, v8
	;; [unrolled: 1-line block ×29, first 2 shown]
	s_branch .LBB251_26
.LBB251_25:                             ;   in Loop: Header=BB251_26 Depth=1
	s_add_i32 s0, s6, -1
	s_cmp_eq_u32 s0, 1
	s_cselect_b64 vcc, -1, 0
	s_cmp_eq_u32 s0, 2
	v_cndmask_b32_e32 v48, v0, v53, vcc
	s_cselect_b64 vcc, -1, 0
	s_cmp_eq_u32 s0, 3
	v_cndmask_b32_e32 v48, v48, v1, vcc
	;; [unrolled: 3-line block ×62, first 2 shown]
	s_cselect_b64 vcc, -1, 0
	s_cmp_eq_u32 s6, 1
	s_cselect_b64 s[0:1], -1, 0
	s_cmp_eq_u32 s6, 2
	v_cndmask_b32_e64 v49, v0, v53, s[0:1]
	s_cselect_b64 s[0:1], -1, 0
	s_cmp_eq_u32 s6, 3
	v_cndmask_b32_e64 v49, v49, v1, s[0:1]
	;; [unrolled: 3-line block ×61, first 2 shown]
	v_cndmask_b32_e32 v48, v48, v84, vcc
	s_cselect_b64 vcc, -1, 0
	s_cmp_eq_u32 s6, 63
	v_cndmask_b32_e32 v49, v49, v31, vcc
	s_cselect_b64 vcc, -1, 0
	v_cndmask_b32_e32 v49, v49, v84, vcc
	s_add_u32 s6, s6, 16
	v_add_f16_e32 v48, v48, v49
	s_addc_u32 s7, s7, 0
	v_add_f16_e32 v53, v48, v85
	v_lshl_add_u64 v[48:49], v[46:47], 1, v[50:51]
	s_cmpk_lg_i32 s6, 0x4f
	v_add_u32_e32 v52, 32, v52
	flat_store_short v[48:49], v53
	s_cbranch_scc0 .LBB251_42
.LBB251_26:                             ; =>This Inner Loop Header: Depth=1
	v_mad_i64_i32 v[48:49], s[0:1], v52, s8, 0
	v_cndmask_b32_e64 v50, 0, 1, s[2:3]
	v_lshl_add_u64 v[48:49], v[48:49], 1, s[12:13]
	v_mov_b32_e32 v85, 0
	v_cmp_ne_u32_e64 s[0:1], 1, v50
	s_andn2_b64 vcc, exec, s[2:3]
	v_mov_b32_e32 v50, 0
	s_cbranch_vccnz .LBB251_28
; %bb.27:                               ;   in Loop: Header=BB251_26 Depth=1
	v_lshl_add_u64 v[50:51], v[32:33], 1, v[48:49]
	flat_load_ushort v50, v[50:51]
	s_waitcnt vmcnt(0) lgkmcnt(0)
	v_mul_f16_e32 v50, s22, v50
.LBB251_28:                             ;   in Loop: Header=BB251_26 Depth=1
	s_add_i32 s10, s6, -15
	s_cmp_eq_u32 s10, 1
	v_lshrrev_b32_e32 v53, 16, v0
	s_cselect_b64 vcc, -1, 0
	s_cmp_eq_u32 s10, 2
	v_cndmask_b32_e32 v51, v0, v53, vcc
	s_cselect_b64 vcc, -1, 0
	s_cmp_eq_u32 s10, 3
	v_cndmask_b32_e32 v51, v51, v1, vcc
	v_lshrrev_b32_e32 v54, 16, v1
	s_cselect_b64 vcc, -1, 0
	s_cmp_eq_u32 s10, 4
	v_cndmask_b32_e32 v51, v51, v54, vcc
	s_cselect_b64 vcc, -1, 0
	s_cmp_eq_u32 s10, 5
	v_cndmask_b32_e32 v51, v51, v4, vcc
	;; [unrolled: 7-line block ×31, first 2 shown]
	s_cselect_b64 vcc, -1, 0
	s_add_i32 s10, s6, -14
	v_lshrrev_b32_e32 v84, 16, v31
	s_cmp_eq_u32 s10, 1
	v_cndmask_b32_e32 v51, v51, v84, vcc
	s_cselect_b64 vcc, -1, 0
	s_cmp_eq_u32 s10, 2
	v_cndmask_b32_e32 v86, v0, v53, vcc
	s_cselect_b64 vcc, -1, 0
	;; [unrolled: 3-line block ×63, first 2 shown]
	v_cndmask_b32_e32 v86, v86, v84, vcc
	v_add_f16_e32 v51, v51, v86
	v_add_f16_e32 v88, v51, v50
	v_mad_i64_i32 v[50:51], s[10:11], v52, s9, 0
	v_lshl_add_u64 v[50:51], v[50:51], 1, s[4:5]
	v_lshl_add_u64 v[86:87], v[32:33], 1, v[50:51]
	s_and_b64 vcc, exec, s[0:1]
	flat_store_short v[86:87], v88
	s_cbranch_vccnz .LBB251_30
; %bb.29:                               ;   in Loop: Header=BB251_26 Depth=1
	v_lshl_add_u64 v[86:87], v[34:35], 1, v[48:49]
	flat_load_ushort v85, v[86:87]
	s_waitcnt vmcnt(0) lgkmcnt(0)
	v_mul_f16_e32 v85, s22, v85
.LBB251_30:                             ;   in Loop: Header=BB251_26 Depth=1
	s_add_i32 s10, s6, -13
	s_cmp_eq_u32 s10, 1
	s_cselect_b64 vcc, -1, 0
	s_cmp_eq_u32 s10, 2
	v_cndmask_b32_e32 v86, v0, v53, vcc
	s_cselect_b64 vcc, -1, 0
	s_cmp_eq_u32 s10, 3
	v_cndmask_b32_e32 v86, v86, v1, vcc
	;; [unrolled: 3-line block ×62, first 2 shown]
	s_cselect_b64 vcc, -1, 0
	s_add_i32 s10, s6, -12
	s_cmp_eq_u32 s10, 1
	v_cndmask_b32_e32 v86, v86, v84, vcc
	s_cselect_b64 vcc, -1, 0
	s_cmp_eq_u32 s10, 2
	v_cndmask_b32_e32 v87, v0, v53, vcc
	s_cselect_b64 vcc, -1, 0
	;; [unrolled: 3-line block ×63, first 2 shown]
	v_cndmask_b32_e32 v87, v87, v84, vcc
	v_add_f16_e32 v86, v86, v87
	v_add_f16_e32 v85, v86, v85
	v_lshl_add_u64 v[86:87], v[34:35], 1, v[50:51]
	flat_store_short v[86:87], v85
	s_and_b64 vcc, exec, s[0:1]
	v_mov_b32_e32 v85, 0
	v_mov_b32_e32 v86, 0
	s_cbranch_vccnz .LBB251_32
; %bb.31:                               ;   in Loop: Header=BB251_26 Depth=1
	v_lshl_add_u64 v[86:87], v[36:37], 1, v[48:49]
	flat_load_ushort v86, v[86:87]
	s_waitcnt vmcnt(0) lgkmcnt(0)
	v_mul_f16_e32 v86, s22, v86
.LBB251_32:                             ;   in Loop: Header=BB251_26 Depth=1
	s_add_i32 s10, s6, -11
	s_cmp_eq_u32 s10, 1
	s_cselect_b64 vcc, -1, 0
	s_cmp_eq_u32 s10, 2
	v_cndmask_b32_e32 v87, v0, v53, vcc
	s_cselect_b64 vcc, -1, 0
	s_cmp_eq_u32 s10, 3
	v_cndmask_b32_e32 v87, v87, v1, vcc
	;; [unrolled: 3-line block ×62, first 2 shown]
	s_cselect_b64 vcc, -1, 0
	s_add_i32 s10, s6, -10
	s_cmp_eq_u32 s10, 1
	v_cndmask_b32_e32 v87, v87, v84, vcc
	s_cselect_b64 vcc, -1, 0
	s_cmp_eq_u32 s10, 2
	v_cndmask_b32_e32 v88, v0, v53, vcc
	s_cselect_b64 vcc, -1, 0
	s_cmp_eq_u32 s10, 3
	v_cndmask_b32_e32 v88, v88, v1, vcc
	s_cselect_b64 vcc, -1, 0
	s_cmp_eq_u32 s10, 4
	v_cndmask_b32_e32 v88, v88, v54, vcc
	s_cselect_b64 vcc, -1, 0
	s_cmp_eq_u32 s10, 5
	v_cndmask_b32_e32 v88, v88, v4, vcc
	s_cselect_b64 vcc, -1, 0
	s_cmp_eq_u32 s10, 6
	v_cndmask_b32_e32 v88, v88, v55, vcc
	s_cselect_b64 vcc, -1, 0
	s_cmp_eq_u32 s10, 7
	v_cndmask_b32_e32 v88, v88, v5, vcc
	s_cselect_b64 vcc, -1, 0
	s_cmp_eq_u32 s10, 8
	v_cndmask_b32_e32 v88, v88, v56, vcc
	s_cselect_b64 vcc, -1, 0
	s_cmp_eq_u32 s10, 9
	v_cndmask_b32_e32 v88, v88, v16, vcc
	s_cselect_b64 vcc, -1, 0
	s_cmp_eq_u32 s10, 10
	v_cndmask_b32_e32 v88, v88, v57, vcc
	s_cselect_b64 vcc, -1, 0
	s_cmp_eq_u32 s10, 11
	v_cndmask_b32_e32 v88, v88, v23, vcc
	s_cselect_b64 vcc, -1, 0
	s_cmp_eq_u32 s10, 12
	v_cndmask_b32_e32 v88, v88, v58, vcc
	s_cselect_b64 vcc, -1, 0
	s_cmp_eq_u32 s10, 13
	v_cndmask_b32_e32 v88, v88, v24, vcc
	s_cselect_b64 vcc, -1, 0
	s_cmp_eq_u32 s10, 14
	v_cndmask_b32_e32 v88, v88, v59, vcc
	s_cselect_b64 vcc, -1, 0
	s_cmp_eq_u32 s10, 15
	v_cndmask_b32_e32 v88, v88, v7, vcc
	s_cselect_b64 vcc, -1, 0
	s_cmp_eq_u32 s10, 16
	v_cndmask_b32_e32 v88, v88, v60, vcc
	s_cselect_b64 vcc, -1, 0
	s_cmp_eq_u32 s10, 17
	v_cndmask_b32_e32 v88, v88, v8, vcc
	s_cselect_b64 vcc, -1, 0
	s_cmp_eq_u32 s10, 18
	v_cndmask_b32_e32 v88, v88, v61, vcc
	s_cselect_b64 vcc, -1, 0
	s_cmp_eq_u32 s10, 19
	v_cndmask_b32_e32 v88, v88, v11, vcc
	s_cselect_b64 vcc, -1, 0
	s_cmp_eq_u32 s10, 20
	v_cndmask_b32_e32 v88, v88, v62, vcc
	s_cselect_b64 vcc, -1, 0
	s_cmp_eq_u32 s10, 21
	v_cndmask_b32_e32 v88, v88, v12, vcc
	s_cselect_b64 vcc, -1, 0
	s_cmp_eq_u32 s10, 22
	v_cndmask_b32_e32 v88, v88, v63, vcc
	s_cselect_b64 vcc, -1, 0
	s_cmp_eq_u32 s10, 23
	v_cndmask_b32_e32 v88, v88, v17, vcc
	s_cselect_b64 vcc, -1, 0
	s_cmp_eq_u32 s10, 24
	v_cndmask_b32_e32 v88, v88, v64, vcc
	s_cselect_b64 vcc, -1, 0
	s_cmp_eq_u32 s10, 25
	v_cndmask_b32_e32 v88, v88, v18, vcc
	s_cselect_b64 vcc, -1, 0
	s_cmp_eq_u32 s10, 26
	v_cndmask_b32_e32 v88, v88, v65, vcc
	s_cselect_b64 vcc, -1, 0
	s_cmp_eq_u32 s10, 27
	v_cndmask_b32_e32 v88, v88, v25, vcc
	s_cselect_b64 vcc, -1, 0
	s_cmp_eq_u32 s10, 28
	v_cndmask_b32_e32 v88, v88, v66, vcc
	s_cselect_b64 vcc, -1, 0
	s_cmp_eq_u32 s10, 29
	v_cndmask_b32_e32 v88, v88, v26, vcc
	s_cselect_b64 vcc, -1, 0
	s_cmp_eq_u32 s10, 30
	v_cndmask_b32_e32 v88, v88, v67, vcc
	s_cselect_b64 vcc, -1, 0
	s_cmp_eq_u32 s10, 31
	v_cndmask_b32_e32 v88, v88, v15, vcc
	s_cselect_b64 vcc, -1, 0
	s_cmp_eq_u32 s10, 32
	v_cndmask_b32_e32 v88, v88, v68, vcc
	s_cselect_b64 vcc, -1, 0
	s_cmp_eq_u32 s10, 33
	v_cndmask_b32_e32 v88, v88, v2, vcc
	s_cselect_b64 vcc, -1, 0
	s_cmp_eq_u32 s10, 34
	v_cndmask_b32_e32 v88, v88, v69, vcc
	s_cselect_b64 vcc, -1, 0
	s_cmp_eq_u32 s10, 35
	v_cndmask_b32_e32 v88, v88, v3, vcc
	s_cselect_b64 vcc, -1, 0
	s_cmp_eq_u32 s10, 36
	v_cndmask_b32_e32 v88, v88, v70, vcc
	s_cselect_b64 vcc, -1, 0
	s_cmp_eq_u32 s10, 37
	v_cndmask_b32_e32 v88, v88, v6, vcc
	s_cselect_b64 vcc, -1, 0
	s_cmp_eq_u32 s10, 38
	v_cndmask_b32_e32 v88, v88, v71, vcc
	s_cselect_b64 vcc, -1, 0
	s_cmp_eq_u32 s10, 39
	v_cndmask_b32_e32 v88, v88, v19, vcc
	s_cselect_b64 vcc, -1, 0
	s_cmp_eq_u32 s10, 40
	v_cndmask_b32_e32 v88, v88, v72, vcc
	s_cselect_b64 vcc, -1, 0
	s_cmp_eq_u32 s10, 41
	v_cndmask_b32_e32 v88, v88, v20, vcc
	s_cselect_b64 vcc, -1, 0
	s_cmp_eq_u32 s10, 42
	v_cndmask_b32_e32 v88, v88, v73, vcc
	s_cselect_b64 vcc, -1, 0
	s_cmp_eq_u32 s10, 43
	v_cndmask_b32_e32 v88, v88, v27, vcc
	s_cselect_b64 vcc, -1, 0
	s_cmp_eq_u32 s10, 44
	v_cndmask_b32_e32 v88, v88, v74, vcc
	s_cselect_b64 vcc, -1, 0
	s_cmp_eq_u32 s10, 45
	v_cndmask_b32_e32 v88, v88, v28, vcc
	s_cselect_b64 vcc, -1, 0
	s_cmp_eq_u32 s10, 46
	v_cndmask_b32_e32 v88, v88, v75, vcc
	s_cselect_b64 vcc, -1, 0
	s_cmp_eq_u32 s10, 47
	v_cndmask_b32_e32 v88, v88, v9, vcc
	s_cselect_b64 vcc, -1, 0
	s_cmp_eq_u32 s10, 48
	v_cndmask_b32_e32 v88, v88, v76, vcc
	s_cselect_b64 vcc, -1, 0
	s_cmp_eq_u32 s10, 49
	v_cndmask_b32_e32 v88, v88, v10, vcc
	s_cselect_b64 vcc, -1, 0
	s_cmp_eq_u32 s10, 50
	v_cndmask_b32_e32 v88, v88, v77, vcc
	s_cselect_b64 vcc, -1, 0
	s_cmp_eq_u32 s10, 51
	v_cndmask_b32_e32 v88, v88, v13, vcc
	s_cselect_b64 vcc, -1, 0
	s_cmp_eq_u32 s10, 52
	v_cndmask_b32_e32 v88, v88, v78, vcc
	s_cselect_b64 vcc, -1, 0
	s_cmp_eq_u32 s10, 53
	v_cndmask_b32_e32 v88, v88, v14, vcc
	s_cselect_b64 vcc, -1, 0
	s_cmp_eq_u32 s10, 54
	v_cndmask_b32_e32 v88, v88, v79, vcc
	s_cselect_b64 vcc, -1, 0
	s_cmp_eq_u32 s10, 55
	v_cndmask_b32_e32 v88, v88, v21, vcc
	s_cselect_b64 vcc, -1, 0
	s_cmp_eq_u32 s10, 56
	v_cndmask_b32_e32 v88, v88, v80, vcc
	s_cselect_b64 vcc, -1, 0
	s_cmp_eq_u32 s10, 57
	v_cndmask_b32_e32 v88, v88, v22, vcc
	s_cselect_b64 vcc, -1, 0
	s_cmp_eq_u32 s10, 58
	v_cndmask_b32_e32 v88, v88, v81, vcc
	s_cselect_b64 vcc, -1, 0
	s_cmp_eq_u32 s10, 59
	v_cndmask_b32_e32 v88, v88, v29, vcc
	s_cselect_b64 vcc, -1, 0
	s_cmp_eq_u32 s10, 60
	v_cndmask_b32_e32 v88, v88, v82, vcc
	s_cselect_b64 vcc, -1, 0
	s_cmp_eq_u32 s10, 61
	v_cndmask_b32_e32 v88, v88, v30, vcc
	s_cselect_b64 vcc, -1, 0
	s_cmp_eq_u32 s10, 62
	v_cndmask_b32_e32 v88, v88, v83, vcc
	s_cselect_b64 vcc, -1, 0
	s_cmp_eq_u32 s10, 63
	v_cndmask_b32_e32 v88, v88, v31, vcc
	s_cselect_b64 vcc, -1, 0
	v_cndmask_b32_e32 v88, v88, v84, vcc
	v_add_f16_e32 v87, v87, v88
	v_add_f16_e32 v88, v87, v86
	v_lshl_add_u64 v[86:87], v[36:37], 1, v[50:51]
	s_and_b64 vcc, exec, s[0:1]
	flat_store_short v[86:87], v88
	s_cbranch_vccnz .LBB251_34
; %bb.33:                               ;   in Loop: Header=BB251_26 Depth=1
	v_lshl_add_u64 v[86:87], v[38:39], 1, v[48:49]
	flat_load_ushort v85, v[86:87]
	s_waitcnt vmcnt(0) lgkmcnt(0)
	v_mul_f16_e32 v85, s22, v85
.LBB251_34:                             ;   in Loop: Header=BB251_26 Depth=1
	s_add_i32 s10, s6, -9
	s_cmp_eq_u32 s10, 1
	s_cselect_b64 vcc, -1, 0
	s_cmp_eq_u32 s10, 2
	v_cndmask_b32_e32 v86, v0, v53, vcc
	s_cselect_b64 vcc, -1, 0
	s_cmp_eq_u32 s10, 3
	v_cndmask_b32_e32 v86, v86, v1, vcc
	;; [unrolled: 3-line block ×62, first 2 shown]
	s_cselect_b64 vcc, -1, 0
	s_add_i32 s10, s6, -8
	s_cmp_eq_u32 s10, 1
	v_cndmask_b32_e32 v86, v86, v84, vcc
	s_cselect_b64 vcc, -1, 0
	s_cmp_eq_u32 s10, 2
	v_cndmask_b32_e32 v87, v0, v53, vcc
	s_cselect_b64 vcc, -1, 0
	;; [unrolled: 3-line block ×63, first 2 shown]
	v_cndmask_b32_e32 v87, v87, v84, vcc
	v_add_f16_e32 v86, v86, v87
	v_add_f16_e32 v85, v86, v85
	v_lshl_add_u64 v[86:87], v[38:39], 1, v[50:51]
	flat_store_short v[86:87], v85
	s_and_b64 vcc, exec, s[0:1]
	v_mov_b32_e32 v85, 0
	v_mov_b32_e32 v86, 0
	s_cbranch_vccnz .LBB251_36
; %bb.35:                               ;   in Loop: Header=BB251_26 Depth=1
	v_lshl_add_u64 v[86:87], v[40:41], 1, v[48:49]
	flat_load_ushort v86, v[86:87]
	s_waitcnt vmcnt(0) lgkmcnt(0)
	v_mul_f16_e32 v86, s22, v86
.LBB251_36:                             ;   in Loop: Header=BB251_26 Depth=1
	s_add_i32 s10, s6, -7
	s_cmp_eq_u32 s10, 1
	s_cselect_b64 vcc, -1, 0
	s_cmp_eq_u32 s10, 2
	v_cndmask_b32_e32 v87, v0, v53, vcc
	s_cselect_b64 vcc, -1, 0
	s_cmp_eq_u32 s10, 3
	v_cndmask_b32_e32 v87, v87, v1, vcc
	;; [unrolled: 3-line block ×62, first 2 shown]
	s_cselect_b64 vcc, -1, 0
	s_add_i32 s10, s6, -6
	s_cmp_eq_u32 s10, 1
	v_cndmask_b32_e32 v87, v87, v84, vcc
	s_cselect_b64 vcc, -1, 0
	s_cmp_eq_u32 s10, 2
	v_cndmask_b32_e32 v88, v0, v53, vcc
	s_cselect_b64 vcc, -1, 0
	;; [unrolled: 3-line block ×63, first 2 shown]
	v_cndmask_b32_e32 v88, v88, v84, vcc
	v_add_f16_e32 v87, v87, v88
	v_add_f16_e32 v88, v87, v86
	v_lshl_add_u64 v[86:87], v[40:41], 1, v[50:51]
	s_and_b64 vcc, exec, s[0:1]
	flat_store_short v[86:87], v88
	s_cbranch_vccnz .LBB251_38
; %bb.37:                               ;   in Loop: Header=BB251_26 Depth=1
	v_lshl_add_u64 v[86:87], v[42:43], 1, v[48:49]
	flat_load_ushort v85, v[86:87]
	s_waitcnt vmcnt(0) lgkmcnt(0)
	v_mul_f16_e32 v85, s22, v85
.LBB251_38:                             ;   in Loop: Header=BB251_26 Depth=1
	s_add_i32 s10, s6, -5
	s_cmp_eq_u32 s10, 1
	s_cselect_b64 vcc, -1, 0
	s_cmp_eq_u32 s10, 2
	v_cndmask_b32_e32 v86, v0, v53, vcc
	s_cselect_b64 vcc, -1, 0
	s_cmp_eq_u32 s10, 3
	v_cndmask_b32_e32 v86, v86, v1, vcc
	;; [unrolled: 3-line block ×62, first 2 shown]
	s_cselect_b64 vcc, -1, 0
	s_add_i32 s10, s6, -4
	s_cmp_eq_u32 s10, 1
	v_cndmask_b32_e32 v86, v86, v84, vcc
	s_cselect_b64 vcc, -1, 0
	s_cmp_eq_u32 s10, 2
	v_cndmask_b32_e32 v87, v0, v53, vcc
	s_cselect_b64 vcc, -1, 0
	s_cmp_eq_u32 s10, 3
	v_cndmask_b32_e32 v87, v87, v1, vcc
	s_cselect_b64 vcc, -1, 0
	s_cmp_eq_u32 s10, 4
	v_cndmask_b32_e32 v87, v87, v54, vcc
	s_cselect_b64 vcc, -1, 0
	s_cmp_eq_u32 s10, 5
	v_cndmask_b32_e32 v87, v87, v4, vcc
	s_cselect_b64 vcc, -1, 0
	s_cmp_eq_u32 s10, 6
	v_cndmask_b32_e32 v87, v87, v55, vcc
	s_cselect_b64 vcc, -1, 0
	s_cmp_eq_u32 s10, 7
	v_cndmask_b32_e32 v87, v87, v5, vcc
	s_cselect_b64 vcc, -1, 0
	s_cmp_eq_u32 s10, 8
	v_cndmask_b32_e32 v87, v87, v56, vcc
	s_cselect_b64 vcc, -1, 0
	s_cmp_eq_u32 s10, 9
	v_cndmask_b32_e32 v87, v87, v16, vcc
	s_cselect_b64 vcc, -1, 0
	s_cmp_eq_u32 s10, 10
	v_cndmask_b32_e32 v87, v87, v57, vcc
	s_cselect_b64 vcc, -1, 0
	s_cmp_eq_u32 s10, 11
	v_cndmask_b32_e32 v87, v87, v23, vcc
	s_cselect_b64 vcc, -1, 0
	s_cmp_eq_u32 s10, 12
	v_cndmask_b32_e32 v87, v87, v58, vcc
	s_cselect_b64 vcc, -1, 0
	s_cmp_eq_u32 s10, 13
	v_cndmask_b32_e32 v87, v87, v24, vcc
	s_cselect_b64 vcc, -1, 0
	s_cmp_eq_u32 s10, 14
	v_cndmask_b32_e32 v87, v87, v59, vcc
	s_cselect_b64 vcc, -1, 0
	s_cmp_eq_u32 s10, 15
	v_cndmask_b32_e32 v87, v87, v7, vcc
	s_cselect_b64 vcc, -1, 0
	s_cmp_eq_u32 s10, 16
	v_cndmask_b32_e32 v87, v87, v60, vcc
	s_cselect_b64 vcc, -1, 0
	s_cmp_eq_u32 s10, 17
	v_cndmask_b32_e32 v87, v87, v8, vcc
	s_cselect_b64 vcc, -1, 0
	s_cmp_eq_u32 s10, 18
	v_cndmask_b32_e32 v87, v87, v61, vcc
	s_cselect_b64 vcc, -1, 0
	s_cmp_eq_u32 s10, 19
	v_cndmask_b32_e32 v87, v87, v11, vcc
	s_cselect_b64 vcc, -1, 0
	s_cmp_eq_u32 s10, 20
	v_cndmask_b32_e32 v87, v87, v62, vcc
	s_cselect_b64 vcc, -1, 0
	s_cmp_eq_u32 s10, 21
	v_cndmask_b32_e32 v87, v87, v12, vcc
	s_cselect_b64 vcc, -1, 0
	s_cmp_eq_u32 s10, 22
	v_cndmask_b32_e32 v87, v87, v63, vcc
	s_cselect_b64 vcc, -1, 0
	s_cmp_eq_u32 s10, 23
	v_cndmask_b32_e32 v87, v87, v17, vcc
	s_cselect_b64 vcc, -1, 0
	s_cmp_eq_u32 s10, 24
	v_cndmask_b32_e32 v87, v87, v64, vcc
	s_cselect_b64 vcc, -1, 0
	s_cmp_eq_u32 s10, 25
	v_cndmask_b32_e32 v87, v87, v18, vcc
	s_cselect_b64 vcc, -1, 0
	s_cmp_eq_u32 s10, 26
	v_cndmask_b32_e32 v87, v87, v65, vcc
	s_cselect_b64 vcc, -1, 0
	s_cmp_eq_u32 s10, 27
	v_cndmask_b32_e32 v87, v87, v25, vcc
	s_cselect_b64 vcc, -1, 0
	s_cmp_eq_u32 s10, 28
	v_cndmask_b32_e32 v87, v87, v66, vcc
	s_cselect_b64 vcc, -1, 0
	s_cmp_eq_u32 s10, 29
	v_cndmask_b32_e32 v87, v87, v26, vcc
	s_cselect_b64 vcc, -1, 0
	s_cmp_eq_u32 s10, 30
	v_cndmask_b32_e32 v87, v87, v67, vcc
	s_cselect_b64 vcc, -1, 0
	s_cmp_eq_u32 s10, 31
	v_cndmask_b32_e32 v87, v87, v15, vcc
	s_cselect_b64 vcc, -1, 0
	s_cmp_eq_u32 s10, 32
	v_cndmask_b32_e32 v87, v87, v68, vcc
	s_cselect_b64 vcc, -1, 0
	s_cmp_eq_u32 s10, 33
	v_cndmask_b32_e32 v87, v87, v2, vcc
	s_cselect_b64 vcc, -1, 0
	s_cmp_eq_u32 s10, 34
	v_cndmask_b32_e32 v87, v87, v69, vcc
	s_cselect_b64 vcc, -1, 0
	s_cmp_eq_u32 s10, 35
	v_cndmask_b32_e32 v87, v87, v3, vcc
	s_cselect_b64 vcc, -1, 0
	s_cmp_eq_u32 s10, 36
	v_cndmask_b32_e32 v87, v87, v70, vcc
	s_cselect_b64 vcc, -1, 0
	s_cmp_eq_u32 s10, 37
	v_cndmask_b32_e32 v87, v87, v6, vcc
	s_cselect_b64 vcc, -1, 0
	s_cmp_eq_u32 s10, 38
	v_cndmask_b32_e32 v87, v87, v71, vcc
	s_cselect_b64 vcc, -1, 0
	s_cmp_eq_u32 s10, 39
	v_cndmask_b32_e32 v87, v87, v19, vcc
	s_cselect_b64 vcc, -1, 0
	s_cmp_eq_u32 s10, 40
	v_cndmask_b32_e32 v87, v87, v72, vcc
	s_cselect_b64 vcc, -1, 0
	s_cmp_eq_u32 s10, 41
	v_cndmask_b32_e32 v87, v87, v20, vcc
	s_cselect_b64 vcc, -1, 0
	s_cmp_eq_u32 s10, 42
	v_cndmask_b32_e32 v87, v87, v73, vcc
	s_cselect_b64 vcc, -1, 0
	s_cmp_eq_u32 s10, 43
	v_cndmask_b32_e32 v87, v87, v27, vcc
	s_cselect_b64 vcc, -1, 0
	s_cmp_eq_u32 s10, 44
	v_cndmask_b32_e32 v87, v87, v74, vcc
	s_cselect_b64 vcc, -1, 0
	s_cmp_eq_u32 s10, 45
	v_cndmask_b32_e32 v87, v87, v28, vcc
	s_cselect_b64 vcc, -1, 0
	s_cmp_eq_u32 s10, 46
	v_cndmask_b32_e32 v87, v87, v75, vcc
	s_cselect_b64 vcc, -1, 0
	s_cmp_eq_u32 s10, 47
	v_cndmask_b32_e32 v87, v87, v9, vcc
	s_cselect_b64 vcc, -1, 0
	s_cmp_eq_u32 s10, 48
	v_cndmask_b32_e32 v87, v87, v76, vcc
	s_cselect_b64 vcc, -1, 0
	s_cmp_eq_u32 s10, 49
	v_cndmask_b32_e32 v87, v87, v10, vcc
	s_cselect_b64 vcc, -1, 0
	s_cmp_eq_u32 s10, 50
	v_cndmask_b32_e32 v87, v87, v77, vcc
	s_cselect_b64 vcc, -1, 0
	s_cmp_eq_u32 s10, 51
	v_cndmask_b32_e32 v87, v87, v13, vcc
	s_cselect_b64 vcc, -1, 0
	s_cmp_eq_u32 s10, 52
	v_cndmask_b32_e32 v87, v87, v78, vcc
	s_cselect_b64 vcc, -1, 0
	s_cmp_eq_u32 s10, 53
	v_cndmask_b32_e32 v87, v87, v14, vcc
	s_cselect_b64 vcc, -1, 0
	s_cmp_eq_u32 s10, 54
	v_cndmask_b32_e32 v87, v87, v79, vcc
	s_cselect_b64 vcc, -1, 0
	s_cmp_eq_u32 s10, 55
	v_cndmask_b32_e32 v87, v87, v21, vcc
	s_cselect_b64 vcc, -1, 0
	s_cmp_eq_u32 s10, 56
	v_cndmask_b32_e32 v87, v87, v80, vcc
	s_cselect_b64 vcc, -1, 0
	s_cmp_eq_u32 s10, 57
	v_cndmask_b32_e32 v87, v87, v22, vcc
	s_cselect_b64 vcc, -1, 0
	s_cmp_eq_u32 s10, 58
	v_cndmask_b32_e32 v87, v87, v81, vcc
	s_cselect_b64 vcc, -1, 0
	s_cmp_eq_u32 s10, 59
	v_cndmask_b32_e32 v87, v87, v29, vcc
	s_cselect_b64 vcc, -1, 0
	s_cmp_eq_u32 s10, 60
	v_cndmask_b32_e32 v87, v87, v82, vcc
	s_cselect_b64 vcc, -1, 0
	s_cmp_eq_u32 s10, 61
	v_cndmask_b32_e32 v87, v87, v30, vcc
	s_cselect_b64 vcc, -1, 0
	s_cmp_eq_u32 s10, 62
	v_cndmask_b32_e32 v87, v87, v83, vcc
	s_cselect_b64 vcc, -1, 0
	s_cmp_eq_u32 s10, 63
	v_cndmask_b32_e32 v87, v87, v31, vcc
	s_cselect_b64 vcc, -1, 0
	v_cndmask_b32_e32 v87, v87, v84, vcc
	v_add_f16_e32 v86, v86, v87
	v_add_f16_e32 v85, v86, v85
	v_lshl_add_u64 v[86:87], v[42:43], 1, v[50:51]
	flat_store_short v[86:87], v85
	s_and_b64 vcc, exec, s[0:1]
	v_mov_b32_e32 v85, 0
	v_mov_b32_e32 v86, 0
	s_cbranch_vccnz .LBB251_40
; %bb.39:                               ;   in Loop: Header=BB251_26 Depth=1
	v_lshl_add_u64 v[86:87], v[44:45], 1, v[48:49]
	flat_load_ushort v86, v[86:87]
	s_waitcnt vmcnt(0) lgkmcnt(0)
	v_mul_f16_e32 v86, s22, v86
.LBB251_40:                             ;   in Loop: Header=BB251_26 Depth=1
	s_add_i32 s10, s6, -3
	s_cmp_eq_u32 s10, 1
	s_cselect_b64 vcc, -1, 0
	s_cmp_eq_u32 s10, 2
	v_cndmask_b32_e32 v87, v0, v53, vcc
	s_cselect_b64 vcc, -1, 0
	s_cmp_eq_u32 s10, 3
	v_cndmask_b32_e32 v87, v87, v1, vcc
	;; [unrolled: 3-line block ×62, first 2 shown]
	s_cselect_b64 vcc, -1, 0
	s_add_i32 s10, s6, -2
	s_cmp_eq_u32 s10, 1
	v_cndmask_b32_e32 v87, v87, v84, vcc
	s_cselect_b64 vcc, -1, 0
	s_cmp_eq_u32 s10, 2
	v_cndmask_b32_e32 v88, v0, v53, vcc
	s_cselect_b64 vcc, -1, 0
	;; [unrolled: 3-line block ×63, first 2 shown]
	v_cndmask_b32_e32 v88, v88, v84, vcc
	v_add_f16_e32 v87, v87, v88
	v_add_f16_e32 v88, v87, v86
	v_lshl_add_u64 v[86:87], v[44:45], 1, v[50:51]
	s_and_b64 vcc, exec, s[0:1]
	flat_store_short v[86:87], v88
	s_cbranch_vccnz .LBB251_25
; %bb.41:                               ;   in Loop: Header=BB251_26 Depth=1
	v_lshl_add_u64 v[48:49], v[46:47], 1, v[48:49]
	flat_load_ushort v48, v[48:49]
	s_waitcnt vmcnt(0) lgkmcnt(0)
	v_mul_f16_e32 v85, s22, v48
	s_branch .LBB251_25
.LBB251_42:
	s_endpgm
	.section	.rodata,"a",@progbits
	.p2align	6, 0x0
	.amdhsa_kernel _ZN12_GLOBAL__N_120geam_min_plus_kernelIDF16_Dv2_DF16_S1_Li8ELi32ELi64ELi128ELi4ELi4ELi64ELi64ELi4ELc84ELc84ELb0ELb0ELb0EDF16_KPKDF16_KPDF16_EEviiiT16_PT17_ilS9_ilS7_S9_ilPT18_ili26rocblas_geam_ex_operation_
		.amdhsa_group_segment_fixed_size 3072
		.amdhsa_private_segment_fixed_size 0
		.amdhsa_kernarg_size 128
		.amdhsa_user_sgpr_count 2
		.amdhsa_user_sgpr_dispatch_ptr 0
		.amdhsa_user_sgpr_queue_ptr 0
		.amdhsa_user_sgpr_kernarg_segment_ptr 1
		.amdhsa_user_sgpr_dispatch_id 0
		.amdhsa_user_sgpr_kernarg_preload_length 0
		.amdhsa_user_sgpr_kernarg_preload_offset 0
		.amdhsa_user_sgpr_private_segment_size 0
		.amdhsa_uses_dynamic_stack 0
		.amdhsa_enable_private_segment 0
		.amdhsa_system_sgpr_workgroup_id_x 1
		.amdhsa_system_sgpr_workgroup_id_y 0
		.amdhsa_system_sgpr_workgroup_id_z 1
		.amdhsa_system_sgpr_workgroup_info 0
		.amdhsa_system_vgpr_workitem_id 1
		.amdhsa_next_free_vgpr 121
		.amdhsa_next_free_sgpr 26
		.amdhsa_accum_offset 124
		.amdhsa_reserve_vcc 1
		.amdhsa_float_round_mode_32 0
		.amdhsa_float_round_mode_16_64 0
		.amdhsa_float_denorm_mode_32 3
		.amdhsa_float_denorm_mode_16_64 3
		.amdhsa_dx10_clamp 1
		.amdhsa_ieee_mode 1
		.amdhsa_fp16_overflow 0
		.amdhsa_tg_split 0
		.amdhsa_exception_fp_ieee_invalid_op 0
		.amdhsa_exception_fp_denorm_src 0
		.amdhsa_exception_fp_ieee_div_zero 0
		.amdhsa_exception_fp_ieee_overflow 0
		.amdhsa_exception_fp_ieee_underflow 0
		.amdhsa_exception_fp_ieee_inexact 0
		.amdhsa_exception_int_div_zero 0
	.end_amdhsa_kernel
	.section	.text._ZN12_GLOBAL__N_120geam_min_plus_kernelIDF16_Dv2_DF16_S1_Li8ELi32ELi64ELi128ELi4ELi4ELi64ELi64ELi4ELc84ELc84ELb0ELb0ELb0EDF16_KPKDF16_KPDF16_EEviiiT16_PT17_ilS9_ilS7_S9_ilPT18_ili26rocblas_geam_ex_operation_,"axG",@progbits,_ZN12_GLOBAL__N_120geam_min_plus_kernelIDF16_Dv2_DF16_S1_Li8ELi32ELi64ELi128ELi4ELi4ELi64ELi64ELi4ELc84ELc84ELb0ELb0ELb0EDF16_KPKDF16_KPDF16_EEviiiT16_PT17_ilS9_ilS7_S9_ilPT18_ili26rocblas_geam_ex_operation_,comdat
.Lfunc_end251:
	.size	_ZN12_GLOBAL__N_120geam_min_plus_kernelIDF16_Dv2_DF16_S1_Li8ELi32ELi64ELi128ELi4ELi4ELi64ELi64ELi4ELc84ELc84ELb0ELb0ELb0EDF16_KPKDF16_KPDF16_EEviiiT16_PT17_ilS9_ilS7_S9_ilPT18_ili26rocblas_geam_ex_operation_, .Lfunc_end251-_ZN12_GLOBAL__N_120geam_min_plus_kernelIDF16_Dv2_DF16_S1_Li8ELi32ELi64ELi128ELi4ELi4ELi64ELi64ELi4ELc84ELc84ELb0ELb0ELb0EDF16_KPKDF16_KPDF16_EEviiiT16_PT17_ilS9_ilS7_S9_ilPT18_ili26rocblas_geam_ex_operation_
                                        ; -- End function
	.set _ZN12_GLOBAL__N_120geam_min_plus_kernelIDF16_Dv2_DF16_S1_Li8ELi32ELi64ELi128ELi4ELi4ELi64ELi64ELi4ELc84ELc84ELb0ELb0ELb0EDF16_KPKDF16_KPDF16_EEviiiT16_PT17_ilS9_ilS7_S9_ilPT18_ili26rocblas_geam_ex_operation_.num_vgpr, 121
	.set _ZN12_GLOBAL__N_120geam_min_plus_kernelIDF16_Dv2_DF16_S1_Li8ELi32ELi64ELi128ELi4ELi4ELi64ELi64ELi4ELc84ELc84ELb0ELb0ELb0EDF16_KPKDF16_KPDF16_EEviiiT16_PT17_ilS9_ilS7_S9_ilPT18_ili26rocblas_geam_ex_operation_.num_agpr, 0
	.set _ZN12_GLOBAL__N_120geam_min_plus_kernelIDF16_Dv2_DF16_S1_Li8ELi32ELi64ELi128ELi4ELi4ELi64ELi64ELi4ELc84ELc84ELb0ELb0ELb0EDF16_KPKDF16_KPDF16_EEviiiT16_PT17_ilS9_ilS7_S9_ilPT18_ili26rocblas_geam_ex_operation_.numbered_sgpr, 26
	.set _ZN12_GLOBAL__N_120geam_min_plus_kernelIDF16_Dv2_DF16_S1_Li8ELi32ELi64ELi128ELi4ELi4ELi64ELi64ELi4ELc84ELc84ELb0ELb0ELb0EDF16_KPKDF16_KPDF16_EEviiiT16_PT17_ilS9_ilS7_S9_ilPT18_ili26rocblas_geam_ex_operation_.num_named_barrier, 0
	.set _ZN12_GLOBAL__N_120geam_min_plus_kernelIDF16_Dv2_DF16_S1_Li8ELi32ELi64ELi128ELi4ELi4ELi64ELi64ELi4ELc84ELc84ELb0ELb0ELb0EDF16_KPKDF16_KPDF16_EEviiiT16_PT17_ilS9_ilS7_S9_ilPT18_ili26rocblas_geam_ex_operation_.private_seg_size, 0
	.set _ZN12_GLOBAL__N_120geam_min_plus_kernelIDF16_Dv2_DF16_S1_Li8ELi32ELi64ELi128ELi4ELi4ELi64ELi64ELi4ELc84ELc84ELb0ELb0ELb0EDF16_KPKDF16_KPDF16_EEviiiT16_PT17_ilS9_ilS7_S9_ilPT18_ili26rocblas_geam_ex_operation_.uses_vcc, 1
	.set _ZN12_GLOBAL__N_120geam_min_plus_kernelIDF16_Dv2_DF16_S1_Li8ELi32ELi64ELi128ELi4ELi4ELi64ELi64ELi4ELc84ELc84ELb0ELb0ELb0EDF16_KPKDF16_KPDF16_EEviiiT16_PT17_ilS9_ilS7_S9_ilPT18_ili26rocblas_geam_ex_operation_.uses_flat_scratch, 0
	.set _ZN12_GLOBAL__N_120geam_min_plus_kernelIDF16_Dv2_DF16_S1_Li8ELi32ELi64ELi128ELi4ELi4ELi64ELi64ELi4ELc84ELc84ELb0ELb0ELb0EDF16_KPKDF16_KPDF16_EEviiiT16_PT17_ilS9_ilS7_S9_ilPT18_ili26rocblas_geam_ex_operation_.has_dyn_sized_stack, 0
	.set _ZN12_GLOBAL__N_120geam_min_plus_kernelIDF16_Dv2_DF16_S1_Li8ELi32ELi64ELi128ELi4ELi4ELi64ELi64ELi4ELc84ELc84ELb0ELb0ELb0EDF16_KPKDF16_KPDF16_EEviiiT16_PT17_ilS9_ilS7_S9_ilPT18_ili26rocblas_geam_ex_operation_.has_recursion, 0
	.set _ZN12_GLOBAL__N_120geam_min_plus_kernelIDF16_Dv2_DF16_S1_Li8ELi32ELi64ELi128ELi4ELi4ELi64ELi64ELi4ELc84ELc84ELb0ELb0ELb0EDF16_KPKDF16_KPDF16_EEviiiT16_PT17_ilS9_ilS7_S9_ilPT18_ili26rocblas_geam_ex_operation_.has_indirect_call, 0
	.section	.AMDGPU.csdata,"",@progbits
; Kernel info:
; codeLenInByte = 19772
; TotalNumSgprs: 32
; NumVgprs: 121
; NumAgprs: 0
; TotalNumVgprs: 121
; ScratchSize: 0
; MemoryBound: 0
; FloatMode: 240
; IeeeMode: 1
; LDSByteSize: 3072 bytes/workgroup (compile time only)
; SGPRBlocks: 3
; VGPRBlocks: 15
; NumSGPRsForWavesPerEU: 32
; NumVGPRsForWavesPerEU: 121
; AccumOffset: 124
; Occupancy: 4
; WaveLimiterHint : 1
; COMPUTE_PGM_RSRC2:SCRATCH_EN: 0
; COMPUTE_PGM_RSRC2:USER_SGPR: 2
; COMPUTE_PGM_RSRC2:TRAP_HANDLER: 0
; COMPUTE_PGM_RSRC2:TGID_X_EN: 1
; COMPUTE_PGM_RSRC2:TGID_Y_EN: 0
; COMPUTE_PGM_RSRC2:TGID_Z_EN: 1
; COMPUTE_PGM_RSRC2:TIDIG_COMP_CNT: 1
; COMPUTE_PGM_RSRC3_GFX90A:ACCUM_OFFSET: 30
; COMPUTE_PGM_RSRC3_GFX90A:TG_SPLIT: 0
	.section	.text._ZN12_GLOBAL__N_120geam_min_plus_kernelIDF16_Dv2_DF16_S1_Li8ELi32ELi64ELi128ELi4ELi4ELi64ELi64ELi4ELc84ELc84ELb0ELb1ELb0EPKDF16_KS3_KPDF16_EEviiiT16_PT17_ilS9_ilS7_S9_ilPT18_ili26rocblas_geam_ex_operation_,"axG",@progbits,_ZN12_GLOBAL__N_120geam_min_plus_kernelIDF16_Dv2_DF16_S1_Li8ELi32ELi64ELi128ELi4ELi4ELi64ELi64ELi4ELc84ELc84ELb0ELb1ELb0EPKDF16_KS3_KPDF16_EEviiiT16_PT17_ilS9_ilS7_S9_ilPT18_ili26rocblas_geam_ex_operation_,comdat
	.globl	_ZN12_GLOBAL__N_120geam_min_plus_kernelIDF16_Dv2_DF16_S1_Li8ELi32ELi64ELi128ELi4ELi4ELi64ELi64ELi4ELc84ELc84ELb0ELb1ELb0EPKDF16_KS3_KPDF16_EEviiiT16_PT17_ilS9_ilS7_S9_ilPT18_ili26rocblas_geam_ex_operation_ ; -- Begin function _ZN12_GLOBAL__N_120geam_min_plus_kernelIDF16_Dv2_DF16_S1_Li8ELi32ELi64ELi128ELi4ELi4ELi64ELi64ELi4ELc84ELc84ELb0ELb1ELb0EPKDF16_KS3_KPDF16_EEviiiT16_PT17_ilS9_ilS7_S9_ilPT18_ili26rocblas_geam_ex_operation_
	.p2align	8
	.type	_ZN12_GLOBAL__N_120geam_min_plus_kernelIDF16_Dv2_DF16_S1_Li8ELi32ELi64ELi128ELi4ELi4ELi64ELi64ELi4ELc84ELc84ELb0ELb1ELb0EPKDF16_KS3_KPDF16_EEviiiT16_PT17_ilS9_ilS7_S9_ilPT18_ili26rocblas_geam_ex_operation_,@function
_ZN12_GLOBAL__N_120geam_min_plus_kernelIDF16_Dv2_DF16_S1_Li8ELi32ELi64ELi128ELi4ELi4ELi64ELi64ELi4ELc84ELc84ELb0ELb1ELb0EPKDF16_KS3_KPDF16_EEviiiT16_PT17_ilS9_ilS7_S9_ilPT18_ili26rocblas_geam_ex_operation_: ; @_ZN12_GLOBAL__N_120geam_min_plus_kernelIDF16_Dv2_DF16_S1_Li8ELi32ELi64ELi128ELi4ELi4ELi64ELi64ELi4ELc84ELc84ELb0ELb1ELb0EPKDF16_KS3_KPDF16_EEviiiT16_PT17_ilS9_ilS7_S9_ilPT18_ili26rocblas_geam_ex_operation_
; %bb.0:
	s_load_dwordx4 s[4:7], s[0:1], 0x10
	s_load_dwordx4 s[12:15], s[0:1], 0x28
	;; [unrolled: 1-line block ×3, first 2 shown]
	s_mov_b32 s18, s3
	s_mov_b32 s19, 0
	s_lshl_b64 s[16:17], s[18:19], 1
	s_waitcnt lgkmcnt(0)
	s_add_u32 s4, s4, s16
	s_addc_u32 s5, s5, s17
	v_mov_b32_e32 v1, 0
	global_load_ushort v32, v1, s[4:5]
	s_add_u32 s4, s10, s16
	s_addc_u32 s5, s11, s17
	global_load_ushort v44, v1, s[4:5]
	s_load_dwordx2 s[20:21], s[0:1], 0x50
	s_mov_b64 s[16:17], 0
	s_mov_b64 s[26:27], 0
	s_waitcnt vmcnt(1)
	v_cmp_eq_f16_e32 vcc, 0, v32
	v_cmp_neq_f16_e64 s[4:5], 0, v32
	s_cbranch_vccnz .LBB252_2
; %bb.1:
	s_lshl_b64 s[10:11], s[18:19], 3
	s_add_u32 s6, s6, s10
	s_addc_u32 s7, s7, s11
	s_load_dwordx2 s[6:7], s[6:7], 0x0
	s_lshl_b64 s[10:11], s[12:13], 1
	s_waitcnt lgkmcnt(0)
	s_add_u32 s26, s6, s10
	s_addc_u32 s27, s7, s11
.LBB252_2:
	s_andn2_b64 vcc, exec, s[4:5]
	s_cbranch_vccnz .LBB252_4
; %bb.3:
	s_lshl_b64 s[6:7], s[18:19], 3
	s_add_u32 s6, s14, s6
	s_addc_u32 s7, s15, s7
	s_load_dwordx2 s[6:7], s[6:7], 0x0
	s_lshl_b64 s[8:9], s[8:9], 1
	s_waitcnt lgkmcnt(0)
	s_add_u32 s16, s6, s8
	s_addc_u32 s17, s7, s9
.LBB252_4:
	s_load_dwordx4 s[8:11], s[0:1], 0x60
	s_waitcnt vmcnt(0)
	v_cmp_eq_f16_e32 vcc, 0, v44
	v_cmp_neq_f16_e64 s[12:13], 0, v44
	s_cbranch_vccnz .LBB252_6
; %bb.5:
	s_lshl_b64 s[6:7], s[18:19], 3
	s_waitcnt lgkmcnt(0)
	s_add_u32 s6, s20, s6
	s_addc_u32 s7, s21, s7
	s_load_dwordx2 s[6:7], s[6:7], 0x0
	s_lshl_b64 s[8:9], s[8:9], 1
	s_waitcnt lgkmcnt(0)
	s_add_u32 s24, s6, s8
	s_addc_u32 s25, s7, s9
	s_branch .LBB252_7
.LBB252_6:
	s_mov_b64 s[24:25], 0
.LBB252_7:
	s_waitcnt lgkmcnt(0)
	s_load_dwordx4 s[20:23], s[0:1], 0x0
	s_load_dword s34, s[0:1], 0x20
	s_lshl_b64 s[6:7], s[18:19], 3
	s_add_u32 s14, s10, s6
	s_addc_u32 s15, s11, s7
	s_waitcnt lgkmcnt(0)
	s_add_i32 s3, s20, -1
	s_ashr_i32 s6, s3, 31
	s_lshr_b32 s6, s6, 26
	s_add_i32 s3, s3, s6
	s_ashr_i32 s3, s3, 6
	s_add_i32 s9, s3, 1
	v_cvt_f32_u32_e32 v1, s9
	v_and_b32_e32 v30, 0x3ff, v0
	v_bfe_u32 v31, v0, 10, 10
	v_and_b32_e32 v33, 3, v0
	v_rcp_iflag_f32_e32 v1, v1
	s_not_b32 s3, s3
	v_lshl_add_u32 v2, v31, 3, v30
	v_lshrrev_b32_e32 v7, 2, v2
	v_mul_f32_e32 v0, 0x4f7ffffe, v1
	v_cvt_u32_f32_e32 v0, v0
	v_cmp_gt_i32_e64 s[6:7], s22, v33
	v_mov_b32_e32 v8, 0
	v_mov_b32_e32 v9, 0
	v_readfirstlane_b32 s8, v0
	s_mul_i32 s3, s3, s8
	s_mul_hi_u32 s3, s8, s3
	s_add_i32 s8, s8, s3
	s_mul_hi_u32 s3, s2, s8
	s_mul_i32 s8, s3, s9
	s_sub_i32 s8, s2, s8
	s_add_i32 s10, s3, 1
	s_sub_i32 s11, s8, s9
	s_cmp_ge_u32 s8, s9
	s_cselect_b32 s3, s10, s3
	s_cselect_b32 s8, s11, s8
	s_add_i32 s10, s3, 1
	s_cmp_ge_u32 s8, s9
	s_cselect_b32 s8, s10, s3
	s_mul_i32 s3, s8, s9
	s_sub_i32 s2, s2, s3
	s_lshl_b32 s28, s2, 6
	v_add_u32_e32 v4, s28, v7
	v_cmp_gt_i32_e32 vcc, s20, v4
	s_and_b64 s[2:3], s[6:7], vcc
	s_and_b64 s[6:7], s[4:5], s[2:3]
	v_lshlrev_b32_e32 v0, 1, v33
	s_and_saveexec_b64 s[2:3], s[6:7]
	s_cbranch_execz .LBB252_9
; %bb.8:
	v_mad_i64_i32 v[10:11], s[6:7], v4, s34, 0
	v_lshl_add_u64 v[10:11], v[10:11], 1, s[26:27]
	v_mov_b32_e32 v1, 0
	v_lshl_add_u64 v[10:11], v[10:11], 0, v[0:1]
	flat_load_ushort v1, v[10:11]
	s_waitcnt vmcnt(0) lgkmcnt(0)
	v_mul_f16_e32 v9, v32, v1
.LBB252_9:
	s_or_b64 exec, exec, s[2:3]
	s_load_dword s23, s[0:1], 0x38
	v_and_b32_e32 v10, 63, v2
	v_lshrrev_b32_e32 v34, 6, v2
	s_lshl_b32 s29, s8, 7
	s_add_i32 s30, s22, -1
	v_or_b32_e32 v24, s29, v10
	v_min_i32_e32 v1, s30, v34
	v_cmp_le_i32_e64 s[10:11], s22, v34
	s_waitcnt lgkmcnt(0)
	v_mad_i64_i32 v[2:3], s[2:3], s23, v1, 0
	v_cmp_le_i32_e64 s[6:7], s21, v24
	s_or_b64 s[2:3], s[6:7], s[10:11]
	s_xor_b64 s[18:19], s[4:5], -1
	v_lshl_add_u64 v[2:3], v[2:3], 1, s[16:17]
	s_nor_b64 s[8:9], s[2:3], s[18:19]
	v_ashrrev_i32_e32 v25, 31, v24
	s_and_saveexec_b64 s[2:3], s[8:9]
	s_cbranch_execz .LBB252_11
; %bb.10:
	v_lshl_add_u64 v[12:13], v[24:25], 1, v[2:3]
	flat_load_ushort v1, v[12:13]
	s_waitcnt vmcnt(0) lgkmcnt(0)
	v_mul_f16_e32 v8, v32, v1
.LBB252_11:
	s_or_b64 exec, exec, s[2:3]
	v_or_b32_e32 v1, 64, v24
	v_cmp_le_i32_e64 s[8:9], s21, v1
	s_or_b64 s[2:3], s[8:9], s[10:11]
	s_nor_b64 s[10:11], s[2:3], s[18:19]
	v_mov_b32_e32 v1, 0
	v_mov_b32_e32 v11, 0
	s_and_saveexec_b64 s[2:3], s[10:11]
	s_cbranch_execz .LBB252_13
; %bb.12:
	v_lshl_add_u64 v[2:3], v[24:25], 1, v[2:3]
	flat_load_ushort v2, v[2:3] offset:128
	s_waitcnt vmcnt(0) lgkmcnt(0)
	v_mul_f16_e32 v11, v32, v2
.LBB252_13:
	s_or_b64 exec, exec, s[2:3]
	v_or_b32_e32 v2, 4, v33
	v_cmp_gt_i32_e64 s[2:3], s22, v2
	s_and_b64 s[2:3], s[2:3], vcc
	s_and_b64 s[10:11], s[4:5], s[2:3]
	s_and_saveexec_b64 s[2:3], s[10:11]
	s_cbranch_execz .LBB252_15
; %bb.14:
	v_mad_i64_i32 v[2:3], s[10:11], v4, s34, 0
	v_lshl_add_u64 v[2:3], v[2:3], 1, s[26:27]
	v_mov_b32_e32 v1, 0
	v_lshl_add_u64 v[2:3], v[2:3], 0, v[0:1]
	flat_load_ushort v1, v[2:3] offset:8
	s_waitcnt vmcnt(0) lgkmcnt(0)
	v_mul_f16_e32 v1, v32, v1
.LBB252_15:
	s_or_b64 exec, exec, s[2:3]
	v_add_u32_e32 v2, 4, v34
	v_cmp_le_i32_e64 s[10:11], s22, v2
	v_min_i32_e32 v2, s30, v2
	v_mad_i64_i32 v[2:3], s[2:3], s23, v2, 0
	s_or_b64 s[2:3], s[6:7], s[10:11]
	v_lshl_add_u64 v[2:3], v[2:3], 1, s[16:17]
	s_nor_b64 s[36:37], s[2:3], s[18:19]
	v_mov_b32_e32 v5, 0
	v_mov_b32_e32 v6, 0
	s_and_saveexec_b64 s[2:3], s[36:37]
	s_cbranch_execz .LBB252_17
; %bb.16:
	v_lshl_add_u64 v[12:13], v[24:25], 1, v[2:3]
	flat_load_ushort v6, v[12:13]
	s_waitcnt vmcnt(0) lgkmcnt(0)
	v_mul_f16_e32 v6, v32, v6
.LBB252_17:
	s_or_b64 exec, exec, s[2:3]
	s_or_b64 s[2:3], s[8:9], s[10:11]
	s_nor_b64 s[10:11], s[2:3], s[18:19]
	s_and_saveexec_b64 s[2:3], s[10:11]
	s_cbranch_execz .LBB252_19
; %bb.18:
	v_lshl_add_u64 v[2:3], v[24:25], 1, v[2:3]
	flat_load_ushort v2, v[2:3] offset:128
	s_waitcnt vmcnt(0) lgkmcnt(0)
	v_mul_f16_e32 v5, v32, v2
.LBB252_19:
	s_or_b64 exec, exec, s[2:3]
	v_lshlrev_b32_e32 v2, 3, v10
	v_lshl_or_b32 v0, v7, 3, v0
	v_lshl_add_u32 v37, v34, 1, v2
	v_lshlrev_b32_e32 v36, 3, v30
	v_lshlrev_b32_e32 v35, 3, v31
	s_load_dwordx2 s[14:15], s[14:15], 0x0
	ds_write_b16 v0, v9 offset:2048
	ds_write_b16 v37, v8
	ds_write_b16 v37, v11 offset:512
	s_waitcnt lgkmcnt(0)
	s_barrier
	ds_read2_b64 v[8:11], v35 offset1:32
	v_add_u32_e32 v38, 0x800, v36
	ds_read2_b64 v[12:15], v38 offset0:48 offset1:56
	ds_read2_b64 v[16:19], v35 offset0:64 offset1:96
	ds_read2_b64 v[20:23], v38 offset1:8
	ds_read2_b64 v[26:29], v38 offset0:16 offset1:24
	ds_read2_b64 v[40:43], v38 offset0:32 offset1:40
	s_waitcnt lgkmcnt(5)
	v_pk_max_f16 v2, v8, v8
	s_waitcnt lgkmcnt(4)
	v_pk_max_f16 v3, v14, v14
	v_pk_max_f16 v8, v10, v10
	v_pk_min_f16 v7, v3, v2
	s_waitcnt lgkmcnt(3)
	v_pk_max_f16 v10, v16, v16
	s_waitcnt lgkmcnt(2)
	v_pk_max_f16 v14, v20, v20
	v_pk_max_f16 v18, v18, v18
	;; [unrolled: 1-line block ×3, first 2 shown]
	s_waitcnt lgkmcnt(1)
	v_pk_max_f16 v26, v26, v26
	v_pk_max_f16 v28, v28, v28
	s_waitcnt lgkmcnt(0)
	v_pk_max_f16 v40, v40, v40
	v_pk_max_f16 v9, v9, v9
	;; [unrolled: 1-line block ×5, first 2 shown]
	v_pk_min_f16 v16, v14, v2
	v_pk_min_f16 v20, v14, v8
	;; [unrolled: 1-line block ×17, first 2 shown]
	v_pk_max_f16 v11, v11, v11
	v_pk_min_f16 v62, v40, v8
	v_pk_min_f16 v63, v40, v10
	;; [unrolled: 1-line block ×14, first 2 shown]
	v_pk_add_f16 v7, v7, 0
	v_pk_min_f16 v18, v15, v9
	v_pk_max_f16 v17, v17, v17
	v_pk_add_f16 v69, v7, v18
	v_pk_add_f16 v7, v51, 0
	v_pk_min_f16 v18, v15, v11
	v_pk_max_f16 v21, v21, v21
	v_pk_add_f16 v61, v7, v18
	;; [unrolled: 4-line block ×5, first 2 shown]
	v_pk_add_f16 v7, v39, 0
	v_pk_min_f16 v16, v21, v17
	v_pk_add_f16 v18, v28, 0
	v_pk_add_f16 v60, v7, v16
	v_pk_add_f16 v7, v14, 0
	v_pk_min_f16 v14, v21, v19
	v_pk_add_f16 v20, v57, 0
	v_pk_add_f16 v52, v7, v14
	;; [unrolled: 4-line block ×6, first 2 shown]
	v_pk_max_f16 v14, v27, v27
	v_pk_add_f16 v7, v48, 0
	v_pk_min_f16 v16, v14, v9
	v_pk_min_f16 v40, v29, v9
	v_pk_add_f16 v74, v7, v16
	v_pk_add_f16 v7, v49, 0
	v_pk_min_f16 v16, v14, v11
	v_pk_add_f16 v27, v65, 0
	v_pk_add_f16 v66, v7, v16
	;; [unrolled: 1-line block ×3, first 2 shown]
	v_pk_min_f16 v16, v14, v17
	v_pk_min_f16 v14, v14, v19
	v_pk_add_f16 v58, v7, v16
	v_pk_add_f16 v7, v26, 0
	;; [unrolled: 1-line block ×7, first 2 shown]
	v_pk_min_f16 v7, v29, v11
	v_pk_add_f16 v26, v64, 0
	v_pk_add_f16 v65, v14, v7
	v_pk_min_f16 v7, v29, v17
	v_pk_add_f16 v22, v63, 0
	v_pk_add_f16 v57, v16, v7
	;; [unrolled: 3-line block ×3, first 2 shown]
	v_pk_max_f16 v7, v41, v41
	v_pk_add_f16 v10, v10, 0
	v_pk_min_f16 v14, v7, v9
	v_pk_add_f16 v12, v12, 0
	v_pk_add_f16 v72, v20, v14
	v_pk_min_f16 v14, v7, v11
	v_pk_add_f16 v28, v70, 0
	v_pk_add_f16 v64, v21, v14
	v_pk_min_f16 v14, v7, v17
	v_pk_min_f16 v7, v7, v19
	v_pk_add_f16 v56, v22, v14
	v_pk_add_f16 v48, v23, v7
	v_pk_max_f16 v7, v43, v43
	v_pk_add_f16 v3, v3, 0
	v_pk_min_f16 v14, v7, v9
	s_mov_b32 s31, 0
	v_pk_add_f16 v71, v26, v14
	v_pk_min_f16 v14, v7, v11
	s_cmp_lt_i32 s22, 9
	v_pk_add_f16 v63, v27, v14
	v_pk_min_f16 v14, v7, v17
	v_pk_min_f16 v7, v7, v19
	v_pk_add_f16 v55, v28, v14
	v_pk_add_f16 v47, v39, v7
	v_pk_max_f16 v7, v13, v13
	ds_write_b16 v0, v1 offset:2560
	ds_write_b16 v37, v6 offset:1024
	;; [unrolled: 1-line block ×3, first 2 shown]
	v_pk_min_f16 v9, v7, v9
	s_waitcnt lgkmcnt(0)
	v_pk_add_f16 v39, v2, v9
	v_pk_min_f16 v2, v7, v11
	s_barrier
	v_pk_add_f16 v62, v8, v2
	v_pk_min_f16 v2, v7, v17
	s_nop 0
	v_pk_add_f16 v54, v10, v2
	v_pk_min_f16 v2, v7, v19
	s_nop 0
	;; [unrolled: 3-line block ×3, first 2 shown]
	v_pk_add_f16 v45, v3, v2
	s_cbranch_scc1 .LBB252_34
; %bb.20:
	v_add_u32_e32 v40, 0x800, v0
	v_add_u32_e32 v41, 0xa00, v0
	v_mov_b32_e32 v0, 0xa00
	v_lshl_add_u32 v43, v30, 3, v0
	v_mov_b32_e32 v0, 0x400
	v_and_b32_e32 v2, 3, v30
	v_lshl_add_u32 v70, v31, 3, v0
	v_mad_i64_i32 v[0:1], s[2:3], s34, v4, 0
	v_lshlrev_b32_e32 v2, 1, v2
	v_mov_b32_e32 v3, 0
	v_lshl_add_u64 v[0:1], v[0:1], 1, v[2:3]
	v_lshl_add_u64 v[0:1], s[26:27], 0, v[0:1]
	v_add_u32_e32 v42, 0x400, v37
	s_add_i32 s33, s22, -8
	v_lshl_add_u64 v[26:27], v[0:1], 0, 24
	s_branch .LBB252_22
.LBB252_21:                             ;   in Loop: Header=BB252_22 Depth=1
	s_or_b64 exec, exec, s[2:3]
	v_pk_max_f16 v2, v2, v2
	v_pk_max_f16 v20, v20, v20
	;; [unrolled: 1-line block ×7, first 2 shown]
	v_pk_min_f16 v28, v2, v20
	v_pk_min_f16 v29, v2, v22
	v_pk_max_f16 v12, v12, v12
	v_pk_max_f16 v14, v14, v14
	;; [unrolled: 1-line block ×10, first 2 shown]
	v_pk_min_f16 v92, v4, v20
	v_pk_max_f16 v9, v9, v9
	v_pk_max_f16 v11, v11, v11
	v_pk_min_f16 v93, v4, v22
	v_pk_max_f16 v5, v5, v5
	v_pk_max_f16 v7, v7, v7
	v_pk_min_f16 v94, v4, v16
	v_pk_min_f16 v4, v4, v18
	v_pk_max_f16 v0, v0, v0
	v_pk_max_f16 v3, v3, v3
	;; [unrolled: 1-line block ×3, first 2 shown]
	v_pk_min_f16 v95, v6, v20
	v_pk_min_f16 v96, v6, v22
	;; [unrolled: 1-line block ×58, first 2 shown]
	v_pk_add_f16 v1, v69, v28
	v_pk_add_f16 v3, v61, v29
	v_pk_add_f16 v4, v48, v4
	v_pk_add_f16 v6, v47, v6
	v_pk_add_f16 v28, v53, v98
	v_pk_add_f16 v53, v68, v81
	v_pk_add_f16 v20, v39, v20
	v_pk_add_f16 v39, v46, v0
	v_pk_add_f16 v45, v45, v2
	v_pk_add_f16 v46, v1, v116
	v_pk_add_f16 v47, v3, v117
	v_pk_add_f16 v68, v4, v5
	v_pk_add_f16 v69, v6, v7
	ds_read2_b64 v[0:3], v38 offset0:48 offset1:56
	ds_read2_b64 v[4:7], v35 offset1:32
	v_pk_add_f16 v12, v52, v12
	v_pk_add_f16 v66, v66, v87
	;; [unrolled: 1-line block ×4, first 2 shown]
	s_waitcnt lgkmcnt(1)
	v_pk_max_f16 v2, v2, v2
	s_waitcnt lgkmcnt(0)
	v_pk_max_f16 v4, v4, v4
	v_pk_add_f16 v29, v76, v80
	v_pk_add_f16 v60, v60, v82
	;; [unrolled: 1-line block ×10, first 2 shown]
	ds_read2_b64 v[8:11], v35 offset0:64 offset1:96
	v_pk_min_f16 v12, v2, v4
	v_pk_add_f16 v18, v29, v18
	v_pk_add_f16 v29, v53, v99
	;; [unrolled: 1-line block ×6, first 2 shown]
	ds_read2_b64 v[12:15], v38 offset1:8
	v_pk_max_f16 v6, v6, v6
	v_pk_add_f16 v50, v73, v89
	v_pk_add_f16 v73, v16, v17
	v_pk_min_f16 v16, v2, v6
	s_waitcnt lgkmcnt(1)
	v_pk_max_f16 v8, v8, v8
	v_pk_add_f16 v28, v28, v118
	v_pk_add_f16 v47, v47, v16
	v_pk_min_f16 v16, v2, v8
	s_waitcnt lgkmcnt(0)
	v_pk_max_f16 v12, v12, v12
	v_pk_add_f16 v28, v28, v16
	v_pk_min_f16 v16, v12, v4
	v_pk_add_f16 v51, v74, v86
	v_pk_add_f16 v74, v18, v16
	v_pk_min_f16 v16, v12, v6
	v_pk_add_f16 v52, v75, v83
	v_pk_add_f16 v29, v29, v16
	v_pk_min_f16 v16, v12, v8
	v_pk_max_f16 v10, v10, v10
	v_pk_max_f16 v14, v14, v14
	v_pk_add_f16 v52, v52, v101
	v_pk_add_f16 v75, v53, v16
	v_pk_min_f16 v12, v12, v10
	v_pk_min_f16 v16, v14, v4
	v_pk_add_f16 v12, v54, v12
	v_pk_add_f16 v54, v52, v16
	v_pk_min_f16 v16, v14, v6
	v_pk_add_f16 v45, v45, v19
	v_pk_add_f16 v80, v60, v16
	ds_read2_b64 v[16:19], v38 offset0:16 offset1:24
	v_pk_add_f16 v59, v59, v85
	v_pk_add_f16 v48, v71, v95
	;; [unrolled: 1-line block ×4, first 2 shown]
	v_pk_min_f16 v20, v14, v8
	s_waitcnt lgkmcnt(0)
	v_pk_max_f16 v16, v16, v16
	v_pk_add_f16 v51, v51, v104
	v_pk_add_f16 v59, v59, v20
	v_pk_min_f16 v20, v16, v4
	v_pk_add_f16 v58, v58, v88
	v_pk_add_f16 v81, v51, v20
	v_pk_min_f16 v20, v16, v6
	;; [unrolled: 3-line block ×3, first 2 shown]
	v_pk_max_f16 v18, v18, v18
	v_pk_add_f16 v65, v65, v90
	v_pk_add_f16 v50, v50, v107
	;; [unrolled: 1-line block ×3, first 2 shown]
	v_pk_min_f16 v20, v18, v4
	v_pk_add_f16 v65, v65, v108
	v_pk_add_f16 v82, v50, v20
	v_pk_min_f16 v20, v18, v6
	v_pk_add_f16 v49, v72, v92
	v_pk_add_f16 v72, v22, v23
	;; [unrolled: 1-line block ×3, first 2 shown]
	ds_read2_b64 v[20:23], v38 offset0:32 offset1:40
	v_pk_add_f16 v57, v57, v91
	v_pk_min_f16 v50, v18, v8
	v_pk_add_f16 v57, v57, v109
	v_pk_add_f16 v64, v64, v93
	s_waitcnt lgkmcnt(0)
	v_pk_max_f16 v20, v20, v20
	v_pk_add_f16 v49, v49, v110
	v_pk_add_f16 v57, v57, v50
	v_pk_min_f16 v50, v20, v4
	v_pk_add_f16 v56, v56, v94
	v_pk_add_f16 v64, v64, v111
	;; [unrolled: 1-line block ×3, first 2 shown]
	v_pk_min_f16 v49, v20, v6
	v_pk_add_f16 v56, v56, v112
	v_pk_add_f16 v64, v64, v49
	v_pk_min_f16 v49, v20, v8
	v_pk_max_f16 v22, v22, v22
	v_pk_add_f16 v63, v63, v96
	v_pk_add_f16 v48, v48, v113
	;; [unrolled: 1-line block ×3, first 2 shown]
	v_pk_min_f16 v49, v22, v4
	v_pk_add_f16 v63, v63, v114
	v_pk_add_f16 v84, v48, v49
	v_pk_min_f16 v48, v22, v6
	v_pk_max_f16 v0, v0, v0
	v_pk_max_f16 v3, v3, v3
	;; [unrolled: 1-line block ×3, first 2 shown]
	v_pk_min_f16 v14, v14, v10
	v_pk_min_f16 v16, v16, v10
	v_pk_min_f16 v18, v18, v10
	v_pk_min_f16 v20, v20, v10
	v_pk_add_f16 v63, v63, v48
	v_pk_min_f16 v48, v22, v8
	v_pk_min_f16 v22, v22, v10
	;; [unrolled: 1-line block ×8, first 2 shown]
	v_pk_max_f16 v7, v7, v7
	v_pk_add_f16 v22, v69, v22
	v_pk_add_f16 v69, v46, v10
	v_pk_min_f16 v10, v3, v7
	v_pk_max_f16 v9, v9, v9
	v_pk_add_f16 v14, v61, v14
	v_pk_add_f16 v61, v47, v10
	v_pk_min_f16 v10, v3, v9
	v_pk_max_f16 v11, v11, v11
	v_pk_add_f16 v53, v28, v10
	v_pk_max_f16 v10, v13, v13
	v_pk_add_f16 v20, v68, v20
	v_pk_min_f16 v13, v10, v5
	v_pk_add_f16 v18, v67, v18
	v_pk_add_f16 v76, v74, v13
	v_pk_min_f16 v13, v10, v7
	v_pk_add_f16 v16, v66, v16
	v_pk_add_f16 v68, v29, v13
	v_pk_min_f16 v13, v10, v9
	v_pk_min_f16 v10, v10, v11
	v_pk_add_f16 v60, v75, v13
	v_pk_add_f16 v52, v12, v10
	v_pk_max_f16 v10, v15, v15
	v_pk_add_f16 v8, v73, v8
	v_pk_min_f16 v12, v10, v5
	v_pk_add_f16 v55, v55, v97
	v_pk_add_f16 v75, v54, v12
	v_pk_min_f16 v12, v10, v7
	v_pk_add_f16 v6, v72, v6
	v_pk_add_f16 v67, v80, v12
	v_pk_min_f16 v12, v10, v9
	v_pk_min_f16 v10, v10, v11
	v_pk_add_f16 v59, v59, v12
	v_pk_add_f16 v51, v14, v10
	v_pk_max_f16 v10, v17, v17
	v_pk_add_f16 v55, v55, v115
	v_pk_min_f16 v12, v10, v5
	v_pk_add_f16 v55, v55, v48
	v_pk_add_f16 v74, v81, v12
	v_pk_min_f16 v12, v10, v7
	v_pk_max_f16 v1, v1, v1
	v_pk_add_f16 v66, v62, v12
	v_pk_min_f16 v12, v10, v9
	v_pk_min_f16 v10, v10, v11
	v_pk_add_f16 v58, v58, v12
	v_pk_add_f16 v50, v16, v10
	v_pk_max_f16 v10, v19, v19
	v_pk_add_f16 v39, v39, v119
	v_pk_min_f16 v12, v10, v5
	v_pk_add_f16 v4, v71, v4
	v_pk_add_f16 v73, v82, v12
	v_pk_min_f16 v12, v10, v7
	v_pk_add_f16 v0, v39, v0
	v_pk_add_f16 v65, v65, v12
	v_pk_min_f16 v12, v10, v9
	v_pk_min_f16 v10, v10, v11
	v_pk_add_f16 v57, v57, v12
	v_pk_add_f16 v49, v18, v10
	v_pk_max_f16 v10, v21, v21
	v_pk_add_f16 v2, v45, v2
	v_pk_min_f16 v12, v10, v5
	s_add_i32 s31, s31, 8
	v_pk_add_f16 v72, v83, v12
	v_pk_min_f16 v12, v10, v7
	s_cmp_ge_i32 s31, s33
	v_pk_add_f16 v64, v64, v12
	v_pk_min_f16 v12, v10, v9
	v_pk_min_f16 v10, v10, v11
	v_pk_add_f16 v56, v56, v12
	v_pk_add_f16 v48, v20, v10
	v_pk_max_f16 v10, v23, v23
	v_lshl_add_u64 v[26:27], v[26:27], 0, 16
	v_pk_min_f16 v12, v10, v5
	v_pk_min_f16 v5, v1, v5
	v_pk_add_f16 v71, v84, v12
	v_pk_add_f16 v39, v4, v5
	v_pk_min_f16 v4, v1, v7
	v_pk_min_f16 v12, v10, v7
	v_pk_add_f16 v62, v6, v4
	v_pk_min_f16 v4, v1, v9
	v_pk_min_f16 v1, v1, v11
	;; [unrolled: 3-line block ×3, first 2 shown]
	v_pk_add_f16 v46, v0, v1
	v_pk_min_f16 v0, v3, v11
	v_pk_add_f16 v55, v55, v12
	v_pk_add_f16 v47, v22, v10
	;; [unrolled: 1-line block ×4, first 2 shown]
	ds_write_b16 v41, v78
	ds_write_b16 v42, v77
	ds_write_b16 v42, v79 offset:512
	s_waitcnt lgkmcnt(0)
	s_barrier
	s_cbranch_scc1 .LBB252_34
.LBB252_22:                             ; =>This Inner Loop Header: Depth=1
	v_add_u32_e32 v28, s31, v33
	v_add_u32_e32 v0, 8, v28
	v_cmp_gt_i32_e64 s[2:3], s22, v0
	s_and_b64 s[2:3], s[2:3], vcc
	s_and_b64 s[2:3], s[4:5], s[2:3]
	v_mov_b32_e32 v77, 0
	s_and_saveexec_b64 s[10:11], s[2:3]
	s_cbranch_execz .LBB252_24
; %bb.23:                               ;   in Loop: Header=BB252_22 Depth=1
	v_add_co_u32_e64 v0, s[2:3], -8, v26
	s_nop 1
	v_addc_co_u32_e64 v1, s[2:3], -1, v27, s[2:3]
	flat_load_ushort v0, v[0:1]
	s_waitcnt vmcnt(0) lgkmcnt(0)
	v_mul_f16_e32 v77, v32, v0
.LBB252_24:                             ;   in Loop: Header=BB252_22 Depth=1
	s_or_b64 exec, exec, s[10:11]
	v_add_u32_e32 v29, s31, v34
	v_add_u32_e32 v0, 8, v29
	v_cmp_le_i32_e64 s[10:11], s22, v0
	v_min_i32_e32 v0, s30, v0
	v_mad_i64_i32 v[0:1], s[2:3], v0, s23, 0
	v_lshl_add_u64 v[0:1], v[0:1], 1, s[16:17]
	s_or_b64 s[2:3], s[6:7], s[10:11]
	s_nor_b64 s[26:27], s[2:3], s[18:19]
	v_mov_b32_e32 v78, 0
	v_lshl_add_u64 v[0:1], v[24:25], 1, v[0:1]
	v_mov_b32_e32 v79, 0
	s_and_saveexec_b64 s[2:3], s[26:27]
	s_cbranch_execz .LBB252_26
; %bb.25:                               ;   in Loop: Header=BB252_22 Depth=1
	flat_load_ushort v2, v[0:1]
	s_waitcnt vmcnt(0) lgkmcnt(0)
	v_mul_f16_e32 v79, v32, v2
.LBB252_26:                             ;   in Loop: Header=BB252_22 Depth=1
	s_or_b64 exec, exec, s[2:3]
	s_or_b64 s[2:3], s[8:9], s[10:11]
	s_nor_b64 s[10:11], s[2:3], s[18:19]
	s_and_saveexec_b64 s[2:3], s[10:11]
	s_cbranch_execz .LBB252_28
; %bb.27:                               ;   in Loop: Header=BB252_22 Depth=1
	flat_load_ushort v0, v[0:1] offset:128
	s_waitcnt vmcnt(0) lgkmcnt(0)
	v_mul_f16_e32 v78, v32, v0
.LBB252_28:                             ;   in Loop: Header=BB252_22 Depth=1
	s_or_b64 exec, exec, s[2:3]
	ds_read2_b64 v[0:3], v43 offset0:48 offset1:56
	ds_read2_b64 v[16:19], v70 offset0:64 offset1:96
	ds_read2_b64 v[20:23], v70 offset1:32
	ds_read2_b64 v[12:15], v43 offset1:8
	ds_read2_b64 v[8:11], v43 offset0:16 offset1:24
	ds_read2_b64 v[4:7], v43 offset0:32 offset1:40
	v_add_u32_e32 v28, 12, v28
	v_cmp_gt_i32_e64 s[2:3], s22, v28
	s_and_b64 s[2:3], s[2:3], vcc
	ds_write_b16 v40, v77
	ds_write_b16 v37, v79
	ds_write_b16 v37, v78 offset:512
	s_and_b64 s[2:3], s[4:5], s[2:3]
	v_mov_b32_e32 v77, 0
	v_mov_b32_e32 v78, 0
	s_waitcnt lgkmcnt(0)
	s_barrier
	s_and_saveexec_b64 s[10:11], s[2:3]
	s_xor_b64 s[2:3], exec, s[10:11]
	s_cbranch_execz .LBB252_30
; %bb.29:                               ;   in Loop: Header=BB252_22 Depth=1
	flat_load_ushort v28, v[26:27]
	s_waitcnt vmcnt(0) lgkmcnt(0)
	v_mul_f16_e32 v78, v32, v28
.LBB252_30:                             ;   in Loop: Header=BB252_22 Depth=1
	s_or_b64 exec, exec, s[2:3]
	v_add_u32_e32 v28, 12, v29
	v_cmp_le_i32_e64 s[10:11], s22, v28
	v_min_i32_e32 v28, s30, v28
	v_mad_i64_i32 v[28:29], s[2:3], v28, s23, 0
	v_lshl_add_u64 v[28:29], v[28:29], 1, s[16:17]
	s_or_b64 s[2:3], s[6:7], s[10:11]
	s_nor_b64 s[26:27], s[2:3], s[18:19]
	v_lshl_add_u64 v[28:29], v[24:25], 1, v[28:29]
	s_and_saveexec_b64 s[2:3], s[26:27]
	s_cbranch_execz .LBB252_32
; %bb.31:                               ;   in Loop: Header=BB252_22 Depth=1
	flat_load_ushort v77, v[28:29]
	s_waitcnt vmcnt(0) lgkmcnt(0)
	v_mul_f16_e32 v77, v32, v77
.LBB252_32:                             ;   in Loop: Header=BB252_22 Depth=1
	s_or_b64 exec, exec, s[2:3]
	s_or_b64 s[2:3], s[8:9], s[10:11]
	s_nor_b64 s[10:11], s[2:3], s[18:19]
	v_mov_b32_e32 v79, 0
	s_and_saveexec_b64 s[2:3], s[10:11]
	s_cbranch_execz .LBB252_21
; %bb.33:                               ;   in Loop: Header=BB252_22 Depth=1
	flat_load_ushort v28, v[28:29] offset:128
	s_waitcnt vmcnt(0) lgkmcnt(0)
	v_mul_f16_e32 v79, v32, v28
	s_branch .LBB252_21
.LBB252_34:
	s_load_dwordx2 s[2:3], s[0:1], 0x78
	s_load_dword s31, s[0:1], 0x58
	s_load_dword s30, s[0:1], 0x70
	v_add_u32_e32 v8, 0x800, v36
	ds_read2_b64 v[0:3], v8 offset0:112 offset1:120
	ds_read2_b64 v[4:7], v35 offset0:192 offset1:224
	;; [unrolled: 1-line block ×6, first 2 shown]
	s_waitcnt lgkmcnt(0)
	s_lshl_b64 s[0:1], s[2:3], 1
	s_add_u32 s22, s14, s0
	v_add_u32_e32 v70, s29, v31
	s_addc_u32 s23, s15, s1
	v_mad_i64_i32 v[26:27], s[0:1], v70, s31, 0
	v_add_u32_e32 v24, s28, v30
	v_lshl_add_u64 v[42:43], v[26:27], 1, s[24:25]
	v_mad_i64_i32 v[26:27], s[0:1], v70, s30, 0
	v_cmp_gt_i32_e64 s[18:19], s21, v70
	v_lshl_add_u64 v[40:41], v[26:27], 1, s[22:23]
	v_cmp_gt_i32_e64 s[4:5], s20, v24
	v_cndmask_b32_e64 v26, 0, 1, s[12:13]
	s_and_b64 s[2:3], s[4:5], s[18:19]
	v_ashrrev_i32_e32 v25, 31, v24
	v_cmp_ne_u32_e64 s[0:1], 1, v26
	s_and_saveexec_b64 s[6:7], s[2:3]
	s_xor_b64 s[2:3], exec, s[6:7]
	s_cbranch_execz .LBB252_39
; %bb.35:
	s_and_b64 vcc, exec, s[0:1]
	s_cbranch_vccnz .LBB252_37
; %bb.36:
	v_lshl_add_u64 v[26:27], v[24:25], 1, v[42:43]
	flat_load_ushort v26, v[26:27]
	s_waitcnt vmcnt(0) lgkmcnt(0)
	v_mul_f16_e32 v26, v44, v26
	s_branch .LBB252_38
.LBB252_37:
	v_mov_b32_e32 v26, 0
.LBB252_38:
	v_pk_max_f16 v27, v20, v20
	v_pk_max_f16 v28, v16, v16
	v_pk_max_f16 v29, v17, v17
	v_pk_min_f16 v27, v28, v27
	v_pk_max_f16 v28, v21, v21
	v_pk_add_f16 v27, v76, v27
	v_pk_min_f16 v28, v29, v28
	s_nop 0
	v_pk_add_f16 v27, v27, v28
	s_nop 0
	v_add_f16_sdwa v27, v27, v27 dst_sel:DWORD dst_unused:UNUSED_PAD src0_sel:DWORD src1_sel:WORD_1
	v_add_f16_e32 v28, v27, v26
	v_lshl_add_u64 v[26:27], v[24:25], 1, v[40:41]
	flat_store_short v[26:27], v28
.LBB252_39:
	s_or_b64 exec, exec, s[2:3]
	v_add_u32_e32 v26, 8, v24
	v_cmp_gt_i32_e64 s[2:3], s20, v26
	s_and_b64 s[8:9], s[2:3], s[18:19]
	v_ashrrev_i32_e32 v27, 31, v26
	s_and_saveexec_b64 s[6:7], s[8:9]
	s_cbranch_execz .LBB252_44
; %bb.40:
	s_and_b64 vcc, exec, s[0:1]
	s_cbranch_vccnz .LBB252_42
; %bb.41:
	v_lshl_add_u64 v[28:29], v[26:27], 1, v[42:43]
	flat_load_ushort v28, v[28:29]
	s_waitcnt vmcnt(0) lgkmcnt(0)
	v_mul_f16_e32 v28, v44, v28
	s_branch .LBB252_43
.LBB252_42:
	v_mov_b32_e32 v28, 0
.LBB252_43:
	v_pk_max_f16 v29, v20, v20
	v_pk_max_f16 v30, v18, v18
	v_pk_max_f16 v31, v19, v19
	v_pk_min_f16 v29, v30, v29
	v_pk_max_f16 v30, v21, v21
	v_pk_add_f16 v29, v75, v29
	v_pk_min_f16 v30, v31, v30
	s_nop 0
	v_pk_add_f16 v29, v29, v30
	s_nop 0
	v_add_f16_sdwa v29, v29, v29 dst_sel:DWORD dst_unused:UNUSED_PAD src0_sel:DWORD src1_sel:WORD_1
	v_add_f16_e32 v30, v29, v28
	v_lshl_add_u64 v[28:29], v[26:27], 1, v[40:41]
	flat_store_short v[28:29], v30
.LBB252_44:
	s_or_b64 exec, exec, s[6:7]
	v_add_u32_e32 v28, 16, v24
	v_cmp_gt_i32_e64 s[6:7], s20, v28
	s_and_b64 s[10:11], s[6:7], s[18:19]
	v_ashrrev_i32_e32 v29, 31, v28
	s_and_saveexec_b64 s[8:9], s[10:11]
	;; [unrolled: 34-line block ×5, first 2 shown]
	s_cbranch_execz .LBB252_64
; %bb.60:
	s_and_b64 vcc, exec, s[0:1]
	s_cbranch_vccnz .LBB252_62
; %bb.61:
	v_lshl_add_u64 v[36:37], v[34:35], 1, v[42:43]
	flat_load_ushort v36, v[36:37]
	s_waitcnt vmcnt(0) lgkmcnt(0)
	v_mul_f16_e32 v36, v44, v36
	s_branch .LBB252_63
.LBB252_62:
	v_mov_b32_e32 v36, 0
.LBB252_63:
	v_pk_max_f16 v37, v20, v20
	v_pk_max_f16 v38, v10, v10
	s_nop 0
	v_pk_min_f16 v37, v38, v37
	v_pk_max_f16 v38, v21, v21
	v_pk_add_f16 v37, v71, v37
	v_pk_max_f16 v71, v11, v11
	s_nop 0
	v_pk_min_f16 v38, v71, v38
	s_nop 0
	v_pk_add_f16 v37, v37, v38
	s_nop 0
	v_add_f16_sdwa v37, v37, v37 dst_sel:DWORD dst_unused:UNUSED_PAD src0_sel:DWORD src1_sel:WORD_1
	v_add_f16_e32 v38, v37, v36
	v_lshl_add_u64 v[36:37], v[34:35], 1, v[40:41]
	flat_store_short v[36:37], v38
.LBB252_64:
	s_or_b64 exec, exec, s[14:15]
	v_add_u32_e32 v36, 48, v24
	v_cmp_gt_i32_e64 s[14:15], s20, v36
	s_and_b64 s[26:27], s[14:15], s[18:19]
	v_ashrrev_i32_e32 v37, 31, v36
	s_and_saveexec_b64 s[16:17], s[26:27]
	s_cbranch_execz .LBB252_69
; %bb.65:
	s_and_b64 vcc, exec, s[0:1]
	s_cbranch_vccnz .LBB252_67
; %bb.66:
	v_lshl_add_u64 v[72:73], v[36:37], 1, v[42:43]
	flat_load_ushort v38, v[72:73]
	s_waitcnt vmcnt(0) lgkmcnt(0)
	v_mul_f16_e32 v38, v44, v38
	s_branch .LBB252_68
.LBB252_67:
	v_mov_b32_e32 v38, 0
.LBB252_68:
	v_pk_max_f16 v71, v20, v20
	v_pk_max_f16 v72, v0, v0
	s_nop 0
	v_pk_min_f16 v71, v72, v71
	v_pk_max_f16 v72, v1, v1
	v_pk_add_f16 v39, v39, v71
	v_pk_max_f16 v71, v21, v21
	s_nop 0
	v_pk_min_f16 v71, v72, v71
	s_nop 0
	v_pk_add_f16 v39, v39, v71
	s_nop 0
	v_add_f16_sdwa v39, v39, v39 dst_sel:DWORD dst_unused:UNUSED_PAD src0_sel:DWORD src1_sel:WORD_1
	v_add_f16_e32 v71, v39, v38
	v_lshl_add_u64 v[38:39], v[36:37], 1, v[40:41]
	flat_store_short v[38:39], v71
.LBB252_69:
	s_or_b64 exec, exec, s[16:17]
	v_add_u32_e32 v38, 56, v24
	v_cmp_gt_i32_e64 s[16:17], s20, v38
	s_and_b64 s[26:27], s[16:17], s[18:19]
	v_ashrrev_i32_e32 v39, 31, v38
	s_and_saveexec_b64 s[18:19], s[26:27]
	s_cbranch_execz .LBB252_74
; %bb.70:
	s_and_b64 vcc, exec, s[0:1]
	s_cbranch_vccnz .LBB252_72
; %bb.71:
	v_lshl_add_u64 v[42:43], v[38:39], 1, v[42:43]
	flat_load_ushort v42, v[42:43]
	s_waitcnt vmcnt(0) lgkmcnt(0)
	v_mul_f16_e32 v42, v44, v42
	s_branch .LBB252_73
.LBB252_72:
	v_mov_b32_e32 v42, 0
.LBB252_73:
	v_pk_max_f16 v20, v20, v20
	v_pk_max_f16 v43, v2, v2
	;; [unrolled: 1-line block ×3, first 2 shown]
	v_pk_min_f16 v20, v43, v20
	v_pk_max_f16 v43, v3, v3
	v_pk_add_f16 v20, v69, v20
	v_pk_min_f16 v21, v43, v21
	s_nop 0
	v_pk_add_f16 v20, v20, v21
	s_nop 0
	v_add_f16_sdwa v20, v20, v20 dst_sel:DWORD dst_unused:UNUSED_PAD src0_sel:DWORD src1_sel:WORD_1
	v_add_f16_e32 v42, v20, v42
	v_lshl_add_u64 v[20:21], v[38:39], 1, v[40:41]
	flat_store_short v[20:21], v42
.LBB252_74:
	s_or_b64 exec, exec, s[18:19]
	v_add_u32_e32 v42, 32, v70
	v_mad_i64_i32 v[20:21], s[26:27], v42, s31, 0
	v_cmp_gt_i32_e64 s[18:19], s21, v42
	v_lshl_add_u64 v[40:41], v[20:21], 1, s[24:25]
	v_mad_i64_i32 v[20:21], s[26:27], v42, s30, 0
	v_lshl_add_u64 v[20:21], v[20:21], 1, s[22:23]
	s_and_b64 s[28:29], s[4:5], s[18:19]
	s_and_saveexec_b64 s[26:27], s[28:29]
	s_cbranch_execnz .LBB252_82
; %bb.75:
	s_or_b64 exec, exec, s[26:27]
	s_and_b64 s[28:29], s[2:3], s[18:19]
	s_and_saveexec_b64 s[26:27], s[28:29]
	s_cbranch_execnz .LBB252_86
.LBB252_76:
	s_or_b64 exec, exec, s[26:27]
	s_and_b64 s[28:29], s[6:7], s[18:19]
	s_and_saveexec_b64 s[26:27], s[28:29]
	s_cbranch_execnz .LBB252_90
.LBB252_77:
	s_or_b64 exec, exec, s[26:27]
	s_and_b64 s[28:29], s[8:9], s[18:19]
	s_and_saveexec_b64 s[26:27], s[28:29]
	s_cbranch_execnz .LBB252_94
.LBB252_78:
	s_or_b64 exec, exec, s[26:27]
	s_and_b64 s[28:29], s[10:11], s[18:19]
	s_and_saveexec_b64 s[26:27], s[28:29]
	s_cbranch_execnz .LBB252_98
.LBB252_79:
	s_or_b64 exec, exec, s[26:27]
	s_and_b64 s[28:29], s[12:13], s[18:19]
	s_and_saveexec_b64 s[26:27], s[28:29]
	s_cbranch_execnz .LBB252_102
.LBB252_80:
	s_or_b64 exec, exec, s[26:27]
	s_and_b64 s[28:29], s[14:15], s[18:19]
	s_and_saveexec_b64 s[26:27], s[28:29]
	s_cbranch_execnz .LBB252_106
.LBB252_81:
	s_or_b64 exec, exec, s[26:27]
	s_and_b64 s[26:27], s[16:17], s[18:19]
	s_and_saveexec_b64 s[18:19], s[26:27]
	s_cbranch_execnz .LBB252_110
	s_branch .LBB252_114
.LBB252_82:
	s_and_b64 vcc, exec, s[0:1]
	s_cbranch_vccnz .LBB252_84
; %bb.83:
	v_lshl_add_u64 v[42:43], v[24:25], 1, v[40:41]
	flat_load_ushort v42, v[42:43]
	s_waitcnt vmcnt(0) lgkmcnt(0)
	v_mul_f16_e32 v42, v44, v42
	s_branch .LBB252_85
.LBB252_84:
	v_mov_b32_e32 v42, 0
.LBB252_85:
	v_pk_max_f16 v43, v22, v22
	v_pk_max_f16 v69, v16, v16
	s_nop 0
	v_pk_min_f16 v43, v69, v43
	v_pk_max_f16 v69, v17, v17
	v_pk_add_f16 v43, v68, v43
	v_pk_max_f16 v68, v23, v23
	s_nop 0
	v_pk_min_f16 v68, v69, v68
	s_nop 0
	v_pk_add_f16 v43, v43, v68
	s_nop 0
	v_add_f16_sdwa v43, v43, v43 dst_sel:DWORD dst_unused:UNUSED_PAD src0_sel:DWORD src1_sel:WORD_1
	v_add_f16_e32 v68, v43, v42
	v_lshl_add_u64 v[42:43], v[24:25], 1, v[20:21]
	flat_store_short v[42:43], v68
	s_or_b64 exec, exec, s[26:27]
	s_and_b64 s[28:29], s[2:3], s[18:19]
	s_and_saveexec_b64 s[26:27], s[28:29]
	s_cbranch_execz .LBB252_76
.LBB252_86:
	s_and_b64 vcc, exec, s[0:1]
	s_cbranch_vccnz .LBB252_88
; %bb.87:
	v_lshl_add_u64 v[42:43], v[26:27], 1, v[40:41]
	flat_load_ushort v42, v[42:43]
	s_waitcnt vmcnt(0) lgkmcnt(0)
	v_mul_f16_e32 v42, v44, v42
	s_branch .LBB252_89
.LBB252_88:
	v_mov_b32_e32 v42, 0
.LBB252_89:
	v_pk_max_f16 v43, v22, v22
	v_pk_max_f16 v68, v18, v18
	s_nop 0
	v_pk_min_f16 v43, v68, v43
	v_pk_max_f16 v68, v19, v19
	v_pk_add_f16 v43, v67, v43
	v_pk_max_f16 v67, v23, v23
	s_nop 0
	v_pk_min_f16 v67, v68, v67
	s_nop 0
	v_pk_add_f16 v43, v43, v67
	s_nop 0
	v_add_f16_sdwa v43, v43, v43 dst_sel:DWORD dst_unused:UNUSED_PAD src0_sel:DWORD src1_sel:WORD_1
	v_add_f16_e32 v67, v43, v42
	v_lshl_add_u64 v[42:43], v[26:27], 1, v[20:21]
	flat_store_short v[42:43], v67
	s_or_b64 exec, exec, s[26:27]
	s_and_b64 s[28:29], s[6:7], s[18:19]
	s_and_saveexec_b64 s[26:27], s[28:29]
	s_cbranch_execz .LBB252_77
.LBB252_90:
	s_and_b64 vcc, exec, s[0:1]
	s_cbranch_vccnz .LBB252_92
; %bb.91:
	v_lshl_add_u64 v[42:43], v[28:29], 1, v[40:41]
	flat_load_ushort v42, v[42:43]
	s_waitcnt vmcnt(0) lgkmcnt(0)
	v_mul_f16_e32 v42, v44, v42
	s_branch .LBB252_93
.LBB252_92:
	v_mov_b32_e32 v42, 0
.LBB252_93:
	v_pk_max_f16 v43, v22, v22
	v_pk_max_f16 v67, v12, v12
	s_nop 0
	v_pk_min_f16 v43, v67, v43
	v_pk_max_f16 v67, v13, v13
	v_pk_add_f16 v43, v66, v43
	v_pk_max_f16 v66, v23, v23
	s_nop 0
	v_pk_min_f16 v66, v67, v66
	s_nop 0
	v_pk_add_f16 v43, v43, v66
	s_nop 0
	v_add_f16_sdwa v43, v43, v43 dst_sel:DWORD dst_unused:UNUSED_PAD src0_sel:DWORD src1_sel:WORD_1
	v_add_f16_e32 v66, v43, v42
	v_lshl_add_u64 v[42:43], v[28:29], 1, v[20:21]
	flat_store_short v[42:43], v66
	s_or_b64 exec, exec, s[26:27]
	s_and_b64 s[28:29], s[8:9], s[18:19]
	s_and_saveexec_b64 s[26:27], s[28:29]
	s_cbranch_execz .LBB252_78
.LBB252_94:
	s_and_b64 vcc, exec, s[0:1]
	s_cbranch_vccnz .LBB252_96
; %bb.95:
	v_lshl_add_u64 v[42:43], v[30:31], 1, v[40:41]
	flat_load_ushort v42, v[42:43]
	s_waitcnt vmcnt(0) lgkmcnt(0)
	v_mul_f16_e32 v42, v44, v42
	s_branch .LBB252_97
.LBB252_96:
	v_mov_b32_e32 v42, 0
.LBB252_97:
	v_pk_max_f16 v43, v22, v22
	v_pk_max_f16 v66, v14, v14
	s_nop 0
	v_pk_min_f16 v43, v66, v43
	v_pk_max_f16 v66, v15, v15
	v_pk_add_f16 v43, v65, v43
	v_pk_max_f16 v65, v23, v23
	s_nop 0
	v_pk_min_f16 v65, v66, v65
	s_nop 0
	v_pk_add_f16 v43, v43, v65
	s_nop 0
	v_add_f16_sdwa v43, v43, v43 dst_sel:DWORD dst_unused:UNUSED_PAD src0_sel:DWORD src1_sel:WORD_1
	v_add_f16_e32 v65, v43, v42
	v_lshl_add_u64 v[42:43], v[30:31], 1, v[20:21]
	flat_store_short v[42:43], v65
	s_or_b64 exec, exec, s[26:27]
	s_and_b64 s[28:29], s[10:11], s[18:19]
	s_and_saveexec_b64 s[26:27], s[28:29]
	s_cbranch_execz .LBB252_79
.LBB252_98:
	s_and_b64 vcc, exec, s[0:1]
	s_cbranch_vccnz .LBB252_100
; %bb.99:
	v_lshl_add_u64 v[42:43], v[32:33], 1, v[40:41]
	flat_load_ushort v42, v[42:43]
	s_waitcnt vmcnt(0) lgkmcnt(0)
	v_mul_f16_e32 v42, v44, v42
	s_branch .LBB252_101
.LBB252_100:
	v_mov_b32_e32 v42, 0
.LBB252_101:
	v_pk_max_f16 v43, v22, v22
	v_pk_max_f16 v65, v8, v8
	s_nop 0
	v_pk_min_f16 v43, v65, v43
	v_pk_max_f16 v65, v9, v9
	v_pk_add_f16 v43, v64, v43
	v_pk_max_f16 v64, v23, v23
	s_nop 0
	v_pk_min_f16 v64, v65, v64
	s_nop 0
	v_pk_add_f16 v43, v43, v64
	s_nop 0
	v_add_f16_sdwa v43, v43, v43 dst_sel:DWORD dst_unused:UNUSED_PAD src0_sel:DWORD src1_sel:WORD_1
	v_add_f16_e32 v64, v43, v42
	v_lshl_add_u64 v[42:43], v[32:33], 1, v[20:21]
	flat_store_short v[42:43], v64
	s_or_b64 exec, exec, s[26:27]
	s_and_b64 s[28:29], s[12:13], s[18:19]
	s_and_saveexec_b64 s[26:27], s[28:29]
	s_cbranch_execz .LBB252_80
.LBB252_102:
	s_and_b64 vcc, exec, s[0:1]
	s_cbranch_vccnz .LBB252_104
; %bb.103:
	v_lshl_add_u64 v[42:43], v[34:35], 1, v[40:41]
	flat_load_ushort v42, v[42:43]
	s_waitcnt vmcnt(0) lgkmcnt(0)
	v_mul_f16_e32 v42, v44, v42
	s_branch .LBB252_105
.LBB252_104:
	v_mov_b32_e32 v42, 0
.LBB252_105:
	v_pk_max_f16 v43, v22, v22
	v_pk_max_f16 v64, v10, v10
	s_nop 0
	v_pk_min_f16 v43, v64, v43
	v_pk_max_f16 v64, v11, v11
	v_pk_add_f16 v43, v63, v43
	v_pk_max_f16 v63, v23, v23
	s_nop 0
	v_pk_min_f16 v63, v64, v63
	s_nop 0
	v_pk_add_f16 v43, v43, v63
	s_nop 0
	v_add_f16_sdwa v43, v43, v43 dst_sel:DWORD dst_unused:UNUSED_PAD src0_sel:DWORD src1_sel:WORD_1
	v_add_f16_e32 v63, v43, v42
	v_lshl_add_u64 v[42:43], v[34:35], 1, v[20:21]
	flat_store_short v[42:43], v63
	s_or_b64 exec, exec, s[26:27]
	s_and_b64 s[28:29], s[14:15], s[18:19]
	s_and_saveexec_b64 s[26:27], s[28:29]
	s_cbranch_execz .LBB252_81
.LBB252_106:
	s_and_b64 vcc, exec, s[0:1]
	s_cbranch_vccnz .LBB252_108
; %bb.107:
	v_lshl_add_u64 v[42:43], v[36:37], 1, v[40:41]
	flat_load_ushort v42, v[42:43]
	s_waitcnt vmcnt(0) lgkmcnt(0)
	v_mul_f16_e32 v42, v44, v42
	s_branch .LBB252_109
.LBB252_108:
	v_mov_b32_e32 v42, 0
.LBB252_109:
	v_pk_max_f16 v43, v22, v22
	v_pk_max_f16 v63, v0, v0
	s_nop 0
	v_pk_min_f16 v43, v63, v43
	v_pk_max_f16 v63, v1, v1
	v_pk_add_f16 v43, v62, v43
	v_pk_max_f16 v62, v23, v23
	s_nop 0
	v_pk_min_f16 v62, v63, v62
	s_nop 0
	v_pk_add_f16 v43, v43, v62
	s_nop 0
	v_add_f16_sdwa v43, v43, v43 dst_sel:DWORD dst_unused:UNUSED_PAD src0_sel:DWORD src1_sel:WORD_1
	v_add_f16_e32 v62, v43, v42
	v_lshl_add_u64 v[42:43], v[36:37], 1, v[20:21]
	flat_store_short v[42:43], v62
	s_or_b64 exec, exec, s[26:27]
	s_and_b64 s[26:27], s[16:17], s[18:19]
	s_and_saveexec_b64 s[18:19], s[26:27]
	s_cbranch_execz .LBB252_114
.LBB252_110:
	s_and_b64 vcc, exec, s[0:1]
	s_cbranch_vccnz .LBB252_112
; %bb.111:
	v_lshl_add_u64 v[40:41], v[38:39], 1, v[40:41]
	flat_load_ushort v40, v[40:41]
	s_waitcnt vmcnt(0) lgkmcnt(0)
	v_mul_f16_e32 v40, v44, v40
	s_branch .LBB252_113
.LBB252_112:
	v_mov_b32_e32 v40, 0
.LBB252_113:
	v_pk_max_f16 v22, v22, v22
	v_pk_max_f16 v41, v2, v2
	;; [unrolled: 1-line block ×3, first 2 shown]
	v_pk_min_f16 v22, v41, v22
	v_pk_max_f16 v41, v3, v3
	v_pk_add_f16 v22, v61, v22
	v_pk_min_f16 v23, v41, v23
	v_lshl_add_u64 v[20:21], v[38:39], 1, v[20:21]
	v_pk_add_f16 v22, v22, v23
	s_nop 0
	v_add_f16_sdwa v22, v22, v22 dst_sel:DWORD dst_unused:UNUSED_PAD src0_sel:DWORD src1_sel:WORD_1
	v_add_f16_e32 v22, v22, v40
	flat_store_short v[20:21], v22
.LBB252_114:
	s_or_b64 exec, exec, s[18:19]
	v_add_u32_e32 v40, 64, v70
	v_mad_i64_i32 v[20:21], s[26:27], v40, s31, 0
	v_cmp_gt_i32_e64 s[18:19], s21, v40
	v_lshl_add_u64 v[22:23], v[20:21], 1, s[24:25]
	v_mad_i64_i32 v[20:21], s[26:27], v40, s30, 0
	v_lshl_add_u64 v[20:21], v[20:21], 1, s[22:23]
	s_and_b64 s[28:29], s[4:5], s[18:19]
	s_and_saveexec_b64 s[26:27], s[28:29]
	s_cbranch_execnz .LBB252_122
; %bb.115:
	s_or_b64 exec, exec, s[26:27]
	s_and_b64 s[28:29], s[2:3], s[18:19]
	s_and_saveexec_b64 s[26:27], s[28:29]
	s_cbranch_execnz .LBB252_126
.LBB252_116:
	s_or_b64 exec, exec, s[26:27]
	s_and_b64 s[28:29], s[6:7], s[18:19]
	s_and_saveexec_b64 s[26:27], s[28:29]
	s_cbranch_execnz .LBB252_130
.LBB252_117:
	s_or_b64 exec, exec, s[26:27]
	s_and_b64 s[28:29], s[8:9], s[18:19]
	s_and_saveexec_b64 s[26:27], s[28:29]
	s_cbranch_execnz .LBB252_134
.LBB252_118:
	s_or_b64 exec, exec, s[26:27]
	s_and_b64 s[28:29], s[10:11], s[18:19]
	s_and_saveexec_b64 s[26:27], s[28:29]
	s_cbranch_execnz .LBB252_138
.LBB252_119:
	s_or_b64 exec, exec, s[26:27]
	s_and_b64 s[28:29], s[12:13], s[18:19]
	s_and_saveexec_b64 s[26:27], s[28:29]
	s_cbranch_execnz .LBB252_142
.LBB252_120:
	s_or_b64 exec, exec, s[26:27]
	s_and_b64 s[28:29], s[14:15], s[18:19]
	s_and_saveexec_b64 s[26:27], s[28:29]
	s_cbranch_execnz .LBB252_146
.LBB252_121:
	s_or_b64 exec, exec, s[26:27]
	s_and_b64 s[26:27], s[16:17], s[18:19]
	s_and_saveexec_b64 s[18:19], s[26:27]
	s_cbranch_execnz .LBB252_150
	s_branch .LBB252_154
.LBB252_122:
	s_and_b64 vcc, exec, s[0:1]
	s_cbranch_vccnz .LBB252_124
; %bb.123:
	v_lshl_add_u64 v[40:41], v[24:25], 1, v[22:23]
	flat_load_ushort v40, v[40:41]
	s_waitcnt vmcnt(0) lgkmcnt(0)
	v_mul_f16_e32 v40, v44, v40
	s_branch .LBB252_125
.LBB252_124:
	v_mov_b32_e32 v40, 0
.LBB252_125:
	v_pk_max_f16 v41, v4, v4
	v_pk_max_f16 v42, v16, v16
	;; [unrolled: 1-line block ×3, first 2 shown]
	v_pk_min_f16 v41, v42, v41
	v_pk_max_f16 v42, v5, v5
	v_pk_add_f16 v41, v60, v41
	v_pk_min_f16 v42, v43, v42
	s_nop 0
	v_pk_add_f16 v41, v41, v42
	s_nop 0
	v_add_f16_sdwa v41, v41, v41 dst_sel:DWORD dst_unused:UNUSED_PAD src0_sel:DWORD src1_sel:WORD_1
	v_add_f16_e32 v42, v41, v40
	v_lshl_add_u64 v[40:41], v[24:25], 1, v[20:21]
	flat_store_short v[40:41], v42
	s_or_b64 exec, exec, s[26:27]
	s_and_b64 s[28:29], s[2:3], s[18:19]
	s_and_saveexec_b64 s[26:27], s[28:29]
	s_cbranch_execz .LBB252_116
.LBB252_126:
	s_and_b64 vcc, exec, s[0:1]
	s_cbranch_vccnz .LBB252_128
; %bb.127:
	v_lshl_add_u64 v[40:41], v[26:27], 1, v[22:23]
	flat_load_ushort v40, v[40:41]
	s_waitcnt vmcnt(0) lgkmcnt(0)
	v_mul_f16_e32 v40, v44, v40
	s_branch .LBB252_129
.LBB252_128:
	v_mov_b32_e32 v40, 0
.LBB252_129:
	v_pk_max_f16 v41, v4, v4
	v_pk_max_f16 v42, v18, v18
	v_pk_max_f16 v43, v19, v19
	v_pk_min_f16 v41, v42, v41
	v_pk_max_f16 v42, v5, v5
	v_pk_add_f16 v41, v59, v41
	v_pk_min_f16 v42, v43, v42
	s_nop 0
	v_pk_add_f16 v41, v41, v42
	s_nop 0
	v_add_f16_sdwa v41, v41, v41 dst_sel:DWORD dst_unused:UNUSED_PAD src0_sel:DWORD src1_sel:WORD_1
	v_add_f16_e32 v42, v41, v40
	v_lshl_add_u64 v[40:41], v[26:27], 1, v[20:21]
	flat_store_short v[40:41], v42
	s_or_b64 exec, exec, s[26:27]
	s_and_b64 s[28:29], s[6:7], s[18:19]
	s_and_saveexec_b64 s[26:27], s[28:29]
	s_cbranch_execz .LBB252_117
.LBB252_130:
	s_and_b64 vcc, exec, s[0:1]
	s_cbranch_vccnz .LBB252_132
; %bb.131:
	v_lshl_add_u64 v[40:41], v[28:29], 1, v[22:23]
	flat_load_ushort v40, v[40:41]
	s_waitcnt vmcnt(0) lgkmcnt(0)
	v_mul_f16_e32 v40, v44, v40
	s_branch .LBB252_133
.LBB252_132:
	v_mov_b32_e32 v40, 0
.LBB252_133:
	v_pk_max_f16 v41, v4, v4
	v_pk_max_f16 v42, v12, v12
	;; [unrolled: 1-line block ×3, first 2 shown]
	v_pk_min_f16 v41, v42, v41
	v_pk_max_f16 v42, v5, v5
	v_pk_add_f16 v41, v58, v41
	v_pk_min_f16 v42, v43, v42
	s_nop 0
	v_pk_add_f16 v41, v41, v42
	s_nop 0
	v_add_f16_sdwa v41, v41, v41 dst_sel:DWORD dst_unused:UNUSED_PAD src0_sel:DWORD src1_sel:WORD_1
	v_add_f16_e32 v42, v41, v40
	v_lshl_add_u64 v[40:41], v[28:29], 1, v[20:21]
	flat_store_short v[40:41], v42
	s_or_b64 exec, exec, s[26:27]
	s_and_b64 s[28:29], s[8:9], s[18:19]
	s_and_saveexec_b64 s[26:27], s[28:29]
	s_cbranch_execz .LBB252_118
.LBB252_134:
	s_and_b64 vcc, exec, s[0:1]
	s_cbranch_vccnz .LBB252_136
; %bb.135:
	v_lshl_add_u64 v[40:41], v[30:31], 1, v[22:23]
	flat_load_ushort v40, v[40:41]
	s_waitcnt vmcnt(0) lgkmcnt(0)
	v_mul_f16_e32 v40, v44, v40
	s_branch .LBB252_137
.LBB252_136:
	v_mov_b32_e32 v40, 0
.LBB252_137:
	v_pk_max_f16 v41, v4, v4
	v_pk_max_f16 v42, v14, v14
	;; [unrolled: 1-line block ×3, first 2 shown]
	v_pk_min_f16 v41, v42, v41
	v_pk_max_f16 v42, v5, v5
	v_pk_add_f16 v41, v57, v41
	v_pk_min_f16 v42, v43, v42
	s_nop 0
	v_pk_add_f16 v41, v41, v42
	s_nop 0
	v_add_f16_sdwa v41, v41, v41 dst_sel:DWORD dst_unused:UNUSED_PAD src0_sel:DWORD src1_sel:WORD_1
	v_add_f16_e32 v42, v41, v40
	v_lshl_add_u64 v[40:41], v[30:31], 1, v[20:21]
	flat_store_short v[40:41], v42
	s_or_b64 exec, exec, s[26:27]
	s_and_b64 s[28:29], s[10:11], s[18:19]
	s_and_saveexec_b64 s[26:27], s[28:29]
	s_cbranch_execz .LBB252_119
.LBB252_138:
	s_and_b64 vcc, exec, s[0:1]
	s_cbranch_vccnz .LBB252_140
; %bb.139:
	v_lshl_add_u64 v[40:41], v[32:33], 1, v[22:23]
	flat_load_ushort v40, v[40:41]
	s_waitcnt vmcnt(0) lgkmcnt(0)
	v_mul_f16_e32 v40, v44, v40
	s_branch .LBB252_141
.LBB252_140:
	v_mov_b32_e32 v40, 0
.LBB252_141:
	v_pk_max_f16 v41, v4, v4
	v_pk_max_f16 v42, v8, v8
	;; [unrolled: 1-line block ×3, first 2 shown]
	v_pk_min_f16 v41, v42, v41
	v_pk_max_f16 v42, v5, v5
	v_pk_add_f16 v41, v56, v41
	v_pk_min_f16 v42, v43, v42
	s_nop 0
	v_pk_add_f16 v41, v41, v42
	s_nop 0
	v_add_f16_sdwa v41, v41, v41 dst_sel:DWORD dst_unused:UNUSED_PAD src0_sel:DWORD src1_sel:WORD_1
	v_add_f16_e32 v42, v41, v40
	v_lshl_add_u64 v[40:41], v[32:33], 1, v[20:21]
	flat_store_short v[40:41], v42
	s_or_b64 exec, exec, s[26:27]
	s_and_b64 s[28:29], s[12:13], s[18:19]
	s_and_saveexec_b64 s[26:27], s[28:29]
	s_cbranch_execz .LBB252_120
.LBB252_142:
	s_and_b64 vcc, exec, s[0:1]
	s_cbranch_vccnz .LBB252_144
; %bb.143:
	v_lshl_add_u64 v[40:41], v[34:35], 1, v[22:23]
	flat_load_ushort v40, v[40:41]
	s_waitcnt vmcnt(0) lgkmcnt(0)
	v_mul_f16_e32 v40, v44, v40
	s_branch .LBB252_145
.LBB252_144:
	v_mov_b32_e32 v40, 0
.LBB252_145:
	v_pk_max_f16 v41, v4, v4
	v_pk_max_f16 v42, v10, v10
	;; [unrolled: 1-line block ×3, first 2 shown]
	v_pk_min_f16 v41, v42, v41
	v_pk_max_f16 v42, v5, v5
	v_pk_add_f16 v41, v55, v41
	v_pk_min_f16 v42, v43, v42
	s_nop 0
	v_pk_add_f16 v41, v41, v42
	s_nop 0
	v_add_f16_sdwa v41, v41, v41 dst_sel:DWORD dst_unused:UNUSED_PAD src0_sel:DWORD src1_sel:WORD_1
	v_add_f16_e32 v42, v41, v40
	v_lshl_add_u64 v[40:41], v[34:35], 1, v[20:21]
	flat_store_short v[40:41], v42
	s_or_b64 exec, exec, s[26:27]
	s_and_b64 s[28:29], s[14:15], s[18:19]
	s_and_saveexec_b64 s[26:27], s[28:29]
	s_cbranch_execz .LBB252_121
.LBB252_146:
	s_and_b64 vcc, exec, s[0:1]
	s_cbranch_vccnz .LBB252_148
; %bb.147:
	v_lshl_add_u64 v[40:41], v[36:37], 1, v[22:23]
	flat_load_ushort v40, v[40:41]
	s_waitcnt vmcnt(0) lgkmcnt(0)
	v_mul_f16_e32 v40, v44, v40
	s_branch .LBB252_149
.LBB252_148:
	v_mov_b32_e32 v40, 0
.LBB252_149:
	v_pk_max_f16 v41, v4, v4
	v_pk_max_f16 v42, v0, v0
	;; [unrolled: 1-line block ×3, first 2 shown]
	v_pk_min_f16 v41, v42, v41
	v_pk_max_f16 v42, v5, v5
	v_pk_add_f16 v41, v54, v41
	v_pk_min_f16 v42, v43, v42
	s_nop 0
	v_pk_add_f16 v41, v41, v42
	s_nop 0
	v_add_f16_sdwa v41, v41, v41 dst_sel:DWORD dst_unused:UNUSED_PAD src0_sel:DWORD src1_sel:WORD_1
	v_add_f16_e32 v42, v41, v40
	v_lshl_add_u64 v[40:41], v[36:37], 1, v[20:21]
	flat_store_short v[40:41], v42
	s_or_b64 exec, exec, s[26:27]
	s_and_b64 s[26:27], s[16:17], s[18:19]
	s_and_saveexec_b64 s[18:19], s[26:27]
	s_cbranch_execz .LBB252_154
.LBB252_150:
	s_and_b64 vcc, exec, s[0:1]
	s_cbranch_vccnz .LBB252_152
; %bb.151:
	v_lshl_add_u64 v[22:23], v[38:39], 1, v[22:23]
	flat_load_ushort v22, v[22:23]
	s_waitcnt vmcnt(0) lgkmcnt(0)
	v_mul_f16_e32 v22, v44, v22
	s_branch .LBB252_153
.LBB252_152:
	v_mov_b32_e32 v22, 0
.LBB252_153:
	v_pk_max_f16 v4, v4, v4
	v_pk_max_f16 v23, v2, v2
	;; [unrolled: 1-line block ×3, first 2 shown]
	v_pk_min_f16 v4, v23, v4
	v_pk_max_f16 v23, v3, v3
	v_pk_add_f16 v4, v53, v4
	v_pk_min_f16 v5, v23, v5
	s_nop 0
	v_pk_add_f16 v4, v4, v5
	s_nop 0
	v_add_f16_sdwa v4, v4, v4 dst_sel:DWORD dst_unused:UNUSED_PAD src0_sel:DWORD src1_sel:WORD_1
	v_add_f16_e32 v22, v4, v22
	v_lshl_add_u64 v[4:5], v[38:39], 1, v[20:21]
	flat_store_short v[4:5], v22
.LBB252_154:
	s_or_b64 exec, exec, s[18:19]
	v_add_u32_e32 v22, 0x60, v70
	v_cmp_gt_i32_e64 s[18:19], s21, v22
	v_mad_i64_i32 v[4:5], s[20:21], v22, s31, 0
	v_lshl_add_u64 v[20:21], v[4:5], 1, s[24:25]
	v_mad_i64_i32 v[4:5], s[20:21], v22, s30, 0
	v_lshl_add_u64 v[4:5], v[4:5], 1, s[22:23]
	s_and_b64 s[20:21], s[4:5], s[18:19]
	s_and_saveexec_b64 s[4:5], s[20:21]
	s_cbranch_execnz .LBB252_163
; %bb.155:
	s_or_b64 exec, exec, s[4:5]
	s_and_b64 s[4:5], s[2:3], s[18:19]
	s_and_saveexec_b64 s[2:3], s[4:5]
	s_cbranch_execnz .LBB252_167
.LBB252_156:
	s_or_b64 exec, exec, s[2:3]
	s_and_b64 s[4:5], s[6:7], s[18:19]
	s_and_saveexec_b64 s[2:3], s[4:5]
	s_cbranch_execnz .LBB252_171
.LBB252_157:
	s_or_b64 exec, exec, s[2:3]
	s_and_b64 s[4:5], s[8:9], s[18:19]
	s_and_saveexec_b64 s[2:3], s[4:5]
	s_cbranch_execnz .LBB252_175
.LBB252_158:
	s_or_b64 exec, exec, s[2:3]
	s_and_b64 s[4:5], s[10:11], s[18:19]
	s_and_saveexec_b64 s[2:3], s[4:5]
	s_cbranch_execnz .LBB252_179
.LBB252_159:
	s_or_b64 exec, exec, s[2:3]
	s_and_b64 s[4:5], s[12:13], s[18:19]
	s_and_saveexec_b64 s[2:3], s[4:5]
	s_cbranch_execnz .LBB252_183
.LBB252_160:
	s_or_b64 exec, exec, s[2:3]
	s_and_b64 s[4:5], s[14:15], s[18:19]
	s_and_saveexec_b64 s[2:3], s[4:5]
	s_cbranch_execnz .LBB252_187
.LBB252_161:
	s_or_b64 exec, exec, s[2:3]
	s_and_b64 s[2:3], s[16:17], s[18:19]
	s_and_saveexec_b64 s[4:5], s[2:3]
	s_cbranch_execnz .LBB252_191
.LBB252_162:
	s_endpgm
.LBB252_163:
	s_and_b64 vcc, exec, s[0:1]
	s_cbranch_vccnz .LBB252_165
; %bb.164:
	v_lshl_add_u64 v[22:23], v[24:25], 1, v[20:21]
	flat_load_ushort v22, v[22:23]
	s_waitcnt vmcnt(0) lgkmcnt(0)
	v_mul_f16_e32 v22, v44, v22
	s_branch .LBB252_166
.LBB252_165:
	v_mov_b32_e32 v22, 0
.LBB252_166:
	v_pk_max_f16 v23, v6, v6
	v_pk_max_f16 v16, v16, v16
	;; [unrolled: 1-line block ×3, first 2 shown]
	v_pk_min_f16 v16, v16, v23
	v_pk_max_f16 v23, v7, v7
	v_pk_add_f16 v16, v52, v16
	v_pk_min_f16 v17, v17, v23
	s_nop 0
	v_pk_add_f16 v16, v16, v17
	s_nop 0
	v_add_f16_sdwa v16, v16, v16 dst_sel:DWORD dst_unused:UNUSED_PAD src0_sel:DWORD src1_sel:WORD_1
	v_add_f16_e32 v22, v16, v22
	v_lshl_add_u64 v[16:17], v[24:25], 1, v[4:5]
	flat_store_short v[16:17], v22
	s_or_b64 exec, exec, s[4:5]
	s_and_b64 s[4:5], s[2:3], s[18:19]
	s_and_saveexec_b64 s[2:3], s[4:5]
	s_cbranch_execz .LBB252_156
.LBB252_167:
	s_and_b64 vcc, exec, s[0:1]
	s_cbranch_vccnz .LBB252_169
; %bb.168:
	v_lshl_add_u64 v[16:17], v[26:27], 1, v[20:21]
	flat_load_ushort v16, v[16:17]
	s_waitcnt vmcnt(0) lgkmcnt(0)
	v_mul_f16_e32 v16, v44, v16
	s_branch .LBB252_170
.LBB252_169:
	v_mov_b32_e32 v16, 0
.LBB252_170:
	v_pk_max_f16 v17, v6, v6
	v_pk_max_f16 v18, v18, v18
	;; [unrolled: 1-line block ×3, first 2 shown]
	v_pk_min_f16 v17, v18, v17
	v_pk_max_f16 v18, v7, v7
	v_pk_add_f16 v17, v51, v17
	v_pk_min_f16 v18, v19, v18
	s_nop 0
	v_pk_add_f16 v17, v17, v18
	s_nop 0
	v_add_f16_sdwa v17, v17, v17 dst_sel:DWORD dst_unused:UNUSED_PAD src0_sel:DWORD src1_sel:WORD_1
	v_add_f16_e32 v18, v17, v16
	v_lshl_add_u64 v[16:17], v[26:27], 1, v[4:5]
	flat_store_short v[16:17], v18
	s_or_b64 exec, exec, s[2:3]
	s_and_b64 s[4:5], s[6:7], s[18:19]
	s_and_saveexec_b64 s[2:3], s[4:5]
	s_cbranch_execz .LBB252_157
.LBB252_171:
	s_and_b64 vcc, exec, s[0:1]
	s_cbranch_vccnz .LBB252_173
; %bb.172:
	v_lshl_add_u64 v[16:17], v[28:29], 1, v[20:21]
	flat_load_ushort v16, v[16:17]
	s_waitcnt vmcnt(0) lgkmcnt(0)
	v_mul_f16_e32 v16, v44, v16
	s_branch .LBB252_174
.LBB252_173:
	v_mov_b32_e32 v16, 0
.LBB252_174:
	v_pk_max_f16 v17, v6, v6
	v_pk_max_f16 v12, v12, v12
	;; [unrolled: 1-line block ×3, first 2 shown]
	v_pk_min_f16 v12, v12, v17
	v_pk_max_f16 v17, v7, v7
	v_pk_add_f16 v12, v50, v12
	v_pk_min_f16 v13, v13, v17
	s_nop 0
	v_pk_add_f16 v12, v12, v13
	s_nop 0
	v_add_f16_sdwa v12, v12, v12 dst_sel:DWORD dst_unused:UNUSED_PAD src0_sel:DWORD src1_sel:WORD_1
	v_add_f16_e32 v16, v12, v16
	v_lshl_add_u64 v[12:13], v[28:29], 1, v[4:5]
	flat_store_short v[12:13], v16
	s_or_b64 exec, exec, s[2:3]
	s_and_b64 s[4:5], s[8:9], s[18:19]
	s_and_saveexec_b64 s[2:3], s[4:5]
	s_cbranch_execz .LBB252_158
.LBB252_175:
	s_and_b64 vcc, exec, s[0:1]
	s_cbranch_vccnz .LBB252_177
; %bb.176:
	v_lshl_add_u64 v[12:13], v[30:31], 1, v[20:21]
	flat_load_ushort v12, v[12:13]
	s_waitcnt vmcnt(0) lgkmcnt(0)
	v_mul_f16_e32 v12, v44, v12
	s_branch .LBB252_178
.LBB252_177:
	v_mov_b32_e32 v12, 0
.LBB252_178:
	v_pk_max_f16 v13, v6, v6
	v_pk_max_f16 v14, v14, v14
	v_pk_max_f16 v15, v15, v15
	v_pk_min_f16 v13, v14, v13
	v_pk_max_f16 v14, v7, v7
	v_pk_add_f16 v13, v49, v13
	v_pk_min_f16 v14, v15, v14
	s_nop 0
	v_pk_add_f16 v13, v13, v14
	s_nop 0
	v_add_f16_sdwa v13, v13, v13 dst_sel:DWORD dst_unused:UNUSED_PAD src0_sel:DWORD src1_sel:WORD_1
	v_add_f16_e32 v14, v13, v12
	v_lshl_add_u64 v[12:13], v[30:31], 1, v[4:5]
	flat_store_short v[12:13], v14
	s_or_b64 exec, exec, s[2:3]
	s_and_b64 s[4:5], s[10:11], s[18:19]
	s_and_saveexec_b64 s[2:3], s[4:5]
	s_cbranch_execz .LBB252_159
.LBB252_179:
	s_and_b64 vcc, exec, s[0:1]
	s_cbranch_vccnz .LBB252_181
; %bb.180:
	v_lshl_add_u64 v[12:13], v[32:33], 1, v[20:21]
	flat_load_ushort v12, v[12:13]
	s_waitcnt vmcnt(0) lgkmcnt(0)
	v_mul_f16_e32 v12, v44, v12
	s_branch .LBB252_182
.LBB252_181:
	v_mov_b32_e32 v12, 0
.LBB252_182:
	v_pk_max_f16 v13, v6, v6
	v_pk_max_f16 v8, v8, v8
	;; [unrolled: 1-line block ×3, first 2 shown]
	v_pk_min_f16 v8, v8, v13
	v_pk_max_f16 v13, v7, v7
	v_pk_add_f16 v8, v48, v8
	v_pk_min_f16 v9, v9, v13
	s_nop 0
	v_pk_add_f16 v8, v8, v9
	s_nop 0
	v_add_f16_sdwa v8, v8, v8 dst_sel:DWORD dst_unused:UNUSED_PAD src0_sel:DWORD src1_sel:WORD_1
	v_add_f16_e32 v12, v8, v12
	v_lshl_add_u64 v[8:9], v[32:33], 1, v[4:5]
	flat_store_short v[8:9], v12
	s_or_b64 exec, exec, s[2:3]
	s_and_b64 s[4:5], s[12:13], s[18:19]
	s_and_saveexec_b64 s[2:3], s[4:5]
	s_cbranch_execz .LBB252_160
.LBB252_183:
	s_and_b64 vcc, exec, s[0:1]
	s_cbranch_vccnz .LBB252_185
; %bb.184:
	v_lshl_add_u64 v[8:9], v[34:35], 1, v[20:21]
	flat_load_ushort v8, v[8:9]
	s_waitcnt vmcnt(0) lgkmcnt(0)
	v_mul_f16_e32 v8, v44, v8
	s_branch .LBB252_186
.LBB252_185:
	v_mov_b32_e32 v8, 0
.LBB252_186:
	v_pk_max_f16 v9, v6, v6
	v_pk_max_f16 v10, v10, v10
	;; [unrolled: 1-line block ×3, first 2 shown]
	v_pk_min_f16 v9, v10, v9
	v_pk_max_f16 v10, v7, v7
	v_pk_add_f16 v9, v47, v9
	v_pk_min_f16 v10, v11, v10
	s_nop 0
	v_pk_add_f16 v9, v9, v10
	s_nop 0
	v_add_f16_sdwa v9, v9, v9 dst_sel:DWORD dst_unused:UNUSED_PAD src0_sel:DWORD src1_sel:WORD_1
	v_add_f16_e32 v10, v9, v8
	v_lshl_add_u64 v[8:9], v[34:35], 1, v[4:5]
	flat_store_short v[8:9], v10
	s_or_b64 exec, exec, s[2:3]
	s_and_b64 s[4:5], s[14:15], s[18:19]
	s_and_saveexec_b64 s[2:3], s[4:5]
	s_cbranch_execz .LBB252_161
.LBB252_187:
	s_and_b64 vcc, exec, s[0:1]
	s_cbranch_vccnz .LBB252_189
; %bb.188:
	v_lshl_add_u64 v[8:9], v[36:37], 1, v[20:21]
	flat_load_ushort v8, v[8:9]
	s_waitcnt vmcnt(0) lgkmcnt(0)
	v_mul_f16_e32 v8, v44, v8
	s_branch .LBB252_190
.LBB252_189:
	v_mov_b32_e32 v8, 0
.LBB252_190:
	v_pk_max_f16 v9, v6, v6
	v_pk_max_f16 v0, v0, v0
	;; [unrolled: 1-line block ×3, first 2 shown]
	v_pk_min_f16 v0, v0, v9
	v_pk_max_f16 v9, v7, v7
	v_pk_add_f16 v0, v46, v0
	v_pk_min_f16 v1, v1, v9
	s_nop 0
	v_pk_add_f16 v0, v0, v1
	s_nop 0
	v_add_f16_sdwa v0, v0, v0 dst_sel:DWORD dst_unused:UNUSED_PAD src0_sel:DWORD src1_sel:WORD_1
	v_add_f16_e32 v8, v0, v8
	v_lshl_add_u64 v[0:1], v[36:37], 1, v[4:5]
	flat_store_short v[0:1], v8
	s_or_b64 exec, exec, s[2:3]
	s_and_b64 s[2:3], s[16:17], s[18:19]
	s_and_saveexec_b64 s[4:5], s[2:3]
	s_cbranch_execz .LBB252_162
.LBB252_191:
	s_and_b64 vcc, exec, s[0:1]
	s_cbranch_vccnz .LBB252_193
; %bb.192:
	v_lshl_add_u64 v[0:1], v[38:39], 1, v[20:21]
	flat_load_ushort v0, v[0:1]
	s_waitcnt vmcnt(0) lgkmcnt(0)
	v_mul_f16_e32 v0, v44, v0
	s_branch .LBB252_194
.LBB252_193:
	v_mov_b32_e32 v0, 0
.LBB252_194:
	v_pk_max_f16 v1, v6, v6
	v_pk_max_f16 v2, v2, v2
	;; [unrolled: 1-line block ×3, first 2 shown]
	v_pk_min_f16 v1, v2, v1
	v_pk_max_f16 v2, v7, v7
	v_pk_add_f16 v1, v45, v1
	v_pk_min_f16 v2, v3, v2
	s_nop 0
	v_pk_add_f16 v1, v1, v2
	s_nop 0
	v_add_f16_sdwa v1, v1, v1 dst_sel:DWORD dst_unused:UNUSED_PAD src0_sel:DWORD src1_sel:WORD_1
	v_add_f16_e32 v2, v1, v0
	v_lshl_add_u64 v[0:1], v[38:39], 1, v[4:5]
	flat_store_short v[0:1], v2
	s_endpgm
	.section	.rodata,"a",@progbits
	.p2align	6, 0x0
	.amdhsa_kernel _ZN12_GLOBAL__N_120geam_min_plus_kernelIDF16_Dv2_DF16_S1_Li8ELi32ELi64ELi128ELi4ELi4ELi64ELi64ELi4ELc84ELc84ELb0ELb1ELb0EPKDF16_KS3_KPDF16_EEviiiT16_PT17_ilS9_ilS7_S9_ilPT18_ili26rocblas_geam_ex_operation_
		.amdhsa_group_segment_fixed_size 3072
		.amdhsa_private_segment_fixed_size 0
		.amdhsa_kernarg_size 136
		.amdhsa_user_sgpr_count 2
		.amdhsa_user_sgpr_dispatch_ptr 0
		.amdhsa_user_sgpr_queue_ptr 0
		.amdhsa_user_sgpr_kernarg_segment_ptr 1
		.amdhsa_user_sgpr_dispatch_id 0
		.amdhsa_user_sgpr_kernarg_preload_length 0
		.amdhsa_user_sgpr_kernarg_preload_offset 0
		.amdhsa_user_sgpr_private_segment_size 0
		.amdhsa_uses_dynamic_stack 0
		.amdhsa_enable_private_segment 0
		.amdhsa_system_sgpr_workgroup_id_x 1
		.amdhsa_system_sgpr_workgroup_id_y 0
		.amdhsa_system_sgpr_workgroup_id_z 1
		.amdhsa_system_sgpr_workgroup_info 0
		.amdhsa_system_vgpr_workitem_id 1
		.amdhsa_next_free_vgpr 120
		.amdhsa_next_free_sgpr 38
		.amdhsa_accum_offset 120
		.amdhsa_reserve_vcc 1
		.amdhsa_float_round_mode_32 0
		.amdhsa_float_round_mode_16_64 0
		.amdhsa_float_denorm_mode_32 3
		.amdhsa_float_denorm_mode_16_64 3
		.amdhsa_dx10_clamp 1
		.amdhsa_ieee_mode 1
		.amdhsa_fp16_overflow 0
		.amdhsa_tg_split 0
		.amdhsa_exception_fp_ieee_invalid_op 0
		.amdhsa_exception_fp_denorm_src 0
		.amdhsa_exception_fp_ieee_div_zero 0
		.amdhsa_exception_fp_ieee_overflow 0
		.amdhsa_exception_fp_ieee_underflow 0
		.amdhsa_exception_fp_ieee_inexact 0
		.amdhsa_exception_int_div_zero 0
	.end_amdhsa_kernel
	.section	.text._ZN12_GLOBAL__N_120geam_min_plus_kernelIDF16_Dv2_DF16_S1_Li8ELi32ELi64ELi128ELi4ELi4ELi64ELi64ELi4ELc84ELc84ELb0ELb1ELb0EPKDF16_KS3_KPDF16_EEviiiT16_PT17_ilS9_ilS7_S9_ilPT18_ili26rocblas_geam_ex_operation_,"axG",@progbits,_ZN12_GLOBAL__N_120geam_min_plus_kernelIDF16_Dv2_DF16_S1_Li8ELi32ELi64ELi128ELi4ELi4ELi64ELi64ELi4ELc84ELc84ELb0ELb1ELb0EPKDF16_KS3_KPDF16_EEviiiT16_PT17_ilS9_ilS7_S9_ilPT18_ili26rocblas_geam_ex_operation_,comdat
.Lfunc_end252:
	.size	_ZN12_GLOBAL__N_120geam_min_plus_kernelIDF16_Dv2_DF16_S1_Li8ELi32ELi64ELi128ELi4ELi4ELi64ELi64ELi4ELc84ELc84ELb0ELb1ELb0EPKDF16_KS3_KPDF16_EEviiiT16_PT17_ilS9_ilS7_S9_ilPT18_ili26rocblas_geam_ex_operation_, .Lfunc_end252-_ZN12_GLOBAL__N_120geam_min_plus_kernelIDF16_Dv2_DF16_S1_Li8ELi32ELi64ELi128ELi4ELi4ELi64ELi64ELi4ELc84ELc84ELb0ELb1ELb0EPKDF16_KS3_KPDF16_EEviiiT16_PT17_ilS9_ilS7_S9_ilPT18_ili26rocblas_geam_ex_operation_
                                        ; -- End function
	.set _ZN12_GLOBAL__N_120geam_min_plus_kernelIDF16_Dv2_DF16_S1_Li8ELi32ELi64ELi128ELi4ELi4ELi64ELi64ELi4ELc84ELc84ELb0ELb1ELb0EPKDF16_KS3_KPDF16_EEviiiT16_PT17_ilS9_ilS7_S9_ilPT18_ili26rocblas_geam_ex_operation_.num_vgpr, 120
	.set _ZN12_GLOBAL__N_120geam_min_plus_kernelIDF16_Dv2_DF16_S1_Li8ELi32ELi64ELi128ELi4ELi4ELi64ELi64ELi4ELc84ELc84ELb0ELb1ELb0EPKDF16_KS3_KPDF16_EEviiiT16_PT17_ilS9_ilS7_S9_ilPT18_ili26rocblas_geam_ex_operation_.num_agpr, 0
	.set _ZN12_GLOBAL__N_120geam_min_plus_kernelIDF16_Dv2_DF16_S1_Li8ELi32ELi64ELi128ELi4ELi4ELi64ELi64ELi4ELc84ELc84ELb0ELb1ELb0EPKDF16_KS3_KPDF16_EEviiiT16_PT17_ilS9_ilS7_S9_ilPT18_ili26rocblas_geam_ex_operation_.numbered_sgpr, 38
	.set _ZN12_GLOBAL__N_120geam_min_plus_kernelIDF16_Dv2_DF16_S1_Li8ELi32ELi64ELi128ELi4ELi4ELi64ELi64ELi4ELc84ELc84ELb0ELb1ELb0EPKDF16_KS3_KPDF16_EEviiiT16_PT17_ilS9_ilS7_S9_ilPT18_ili26rocblas_geam_ex_operation_.num_named_barrier, 0
	.set _ZN12_GLOBAL__N_120geam_min_plus_kernelIDF16_Dv2_DF16_S1_Li8ELi32ELi64ELi128ELi4ELi4ELi64ELi64ELi4ELc84ELc84ELb0ELb1ELb0EPKDF16_KS3_KPDF16_EEviiiT16_PT17_ilS9_ilS7_S9_ilPT18_ili26rocblas_geam_ex_operation_.private_seg_size, 0
	.set _ZN12_GLOBAL__N_120geam_min_plus_kernelIDF16_Dv2_DF16_S1_Li8ELi32ELi64ELi128ELi4ELi4ELi64ELi64ELi4ELc84ELc84ELb0ELb1ELb0EPKDF16_KS3_KPDF16_EEviiiT16_PT17_ilS9_ilS7_S9_ilPT18_ili26rocblas_geam_ex_operation_.uses_vcc, 1
	.set _ZN12_GLOBAL__N_120geam_min_plus_kernelIDF16_Dv2_DF16_S1_Li8ELi32ELi64ELi128ELi4ELi4ELi64ELi64ELi4ELc84ELc84ELb0ELb1ELb0EPKDF16_KS3_KPDF16_EEviiiT16_PT17_ilS9_ilS7_S9_ilPT18_ili26rocblas_geam_ex_operation_.uses_flat_scratch, 0
	.set _ZN12_GLOBAL__N_120geam_min_plus_kernelIDF16_Dv2_DF16_S1_Li8ELi32ELi64ELi128ELi4ELi4ELi64ELi64ELi4ELc84ELc84ELb0ELb1ELb0EPKDF16_KS3_KPDF16_EEviiiT16_PT17_ilS9_ilS7_S9_ilPT18_ili26rocblas_geam_ex_operation_.has_dyn_sized_stack, 0
	.set _ZN12_GLOBAL__N_120geam_min_plus_kernelIDF16_Dv2_DF16_S1_Li8ELi32ELi64ELi128ELi4ELi4ELi64ELi64ELi4ELc84ELc84ELb0ELb1ELb0EPKDF16_KS3_KPDF16_EEviiiT16_PT17_ilS9_ilS7_S9_ilPT18_ili26rocblas_geam_ex_operation_.has_recursion, 0
	.set _ZN12_GLOBAL__N_120geam_min_plus_kernelIDF16_Dv2_DF16_S1_Li8ELi32ELi64ELi128ELi4ELi4ELi64ELi64ELi4ELc84ELc84ELb0ELb1ELb0EPKDF16_KS3_KPDF16_EEviiiT16_PT17_ilS9_ilS7_S9_ilPT18_ili26rocblas_geam_ex_operation_.has_indirect_call, 0
	.section	.AMDGPU.csdata,"",@progbits
; Kernel info:
; codeLenInByte = 11312
; TotalNumSgprs: 44
; NumVgprs: 120
; NumAgprs: 0
; TotalNumVgprs: 120
; ScratchSize: 0
; MemoryBound: 0
; FloatMode: 240
; IeeeMode: 1
; LDSByteSize: 3072 bytes/workgroup (compile time only)
; SGPRBlocks: 5
; VGPRBlocks: 14
; NumSGPRsForWavesPerEU: 44
; NumVGPRsForWavesPerEU: 120
; AccumOffset: 120
; Occupancy: 4
; WaveLimiterHint : 1
; COMPUTE_PGM_RSRC2:SCRATCH_EN: 0
; COMPUTE_PGM_RSRC2:USER_SGPR: 2
; COMPUTE_PGM_RSRC2:TRAP_HANDLER: 0
; COMPUTE_PGM_RSRC2:TGID_X_EN: 1
; COMPUTE_PGM_RSRC2:TGID_Y_EN: 0
; COMPUTE_PGM_RSRC2:TGID_Z_EN: 1
; COMPUTE_PGM_RSRC2:TIDIG_COMP_CNT: 1
; COMPUTE_PGM_RSRC3_GFX90A:ACCUM_OFFSET: 29
; COMPUTE_PGM_RSRC3_GFX90A:TG_SPLIT: 0
	.section	.text._ZN12_GLOBAL__N_120geam_min_plus_kernelIDF16_Dv2_DF16_S1_Li8ELi32ELi64ELi128ELi4ELi4ELi64ELi64ELi4ELc84ELc84ELb1ELb1ELb0EDF16_KPKDF16_KPDF16_EEviiiT16_PT17_ilS9_ilS7_S9_ilPT18_ili26rocblas_geam_ex_operation_,"axG",@progbits,_ZN12_GLOBAL__N_120geam_min_plus_kernelIDF16_Dv2_DF16_S1_Li8ELi32ELi64ELi128ELi4ELi4ELi64ELi64ELi4ELc84ELc84ELb1ELb1ELb0EDF16_KPKDF16_KPDF16_EEviiiT16_PT17_ilS9_ilS7_S9_ilPT18_ili26rocblas_geam_ex_operation_,comdat
	.globl	_ZN12_GLOBAL__N_120geam_min_plus_kernelIDF16_Dv2_DF16_S1_Li8ELi32ELi64ELi128ELi4ELi4ELi64ELi64ELi4ELc84ELc84ELb1ELb1ELb0EDF16_KPKDF16_KPDF16_EEviiiT16_PT17_ilS9_ilS7_S9_ilPT18_ili26rocblas_geam_ex_operation_ ; -- Begin function _ZN12_GLOBAL__N_120geam_min_plus_kernelIDF16_Dv2_DF16_S1_Li8ELi32ELi64ELi128ELi4ELi4ELi64ELi64ELi4ELc84ELc84ELb1ELb1ELb0EDF16_KPKDF16_KPDF16_EEviiiT16_PT17_ilS9_ilS7_S9_ilPT18_ili26rocblas_geam_ex_operation_
	.p2align	8
	.type	_ZN12_GLOBAL__N_120geam_min_plus_kernelIDF16_Dv2_DF16_S1_Li8ELi32ELi64ELi128ELi4ELi4ELi64ELi64ELi4ELc84ELc84ELb1ELb1ELb0EDF16_KPKDF16_KPDF16_EEviiiT16_PT17_ilS9_ilS7_S9_ilPT18_ili26rocblas_geam_ex_operation_,@function
_ZN12_GLOBAL__N_120geam_min_plus_kernelIDF16_Dv2_DF16_S1_Li8ELi32ELi64ELi128ELi4ELi4ELi64ELi64ELi4ELc84ELc84ELb1ELb1ELb0EDF16_KPKDF16_KPDF16_EEviiiT16_PT17_ilS9_ilS7_S9_ilPT18_ili26rocblas_geam_ex_operation_: ; @_ZN12_GLOBAL__N_120geam_min_plus_kernelIDF16_Dv2_DF16_S1_Li8ELi32ELi64ELi128ELi4ELi4ELi64ELi64ELi4ELc84ELc84ELb1ELb1ELb0EDF16_KPKDF16_KPDF16_EEviiiT16_PT17_ilS9_ilS7_S9_ilPT18_ili26rocblas_geam_ex_operation_
; %bb.0:
	s_load_dwordx4 s[20:23], s[0:1], 0x0
	s_load_dwordx4 s[4:7], s[0:1], 0x20
	s_mov_b32 s8, s3
	s_mov_b32 s9, 0
	s_waitcnt lgkmcnt(0)
	v_cmp_eq_f16_e64 s[10:11], s23, 0
	s_and_b64 vcc, exec, s[10:11]
	s_cbranch_vccnz .LBB253_3
; %bb.1:
	s_load_dwordx2 s[12:13], s[0:1], 0x10
	s_lshl_b64 s[14:15], s[8:9], 3
	s_waitcnt lgkmcnt(0)
	s_add_u32 s12, s12, s14
	s_addc_u32 s13, s13, s15
	s_load_dwordx2 s[12:13], s[12:13], 0x0
	s_lshl_b64 s[4:5], s[4:5], 1
	s_waitcnt lgkmcnt(0)
	s_add_u32 s14, s12, s4
	s_addc_u32 s15, s13, s5
	s_andn2_b64 vcc, exec, s[10:11]
	s_cbranch_vccnz .LBB253_4
.LBB253_2:
	s_mov_b32 s11, 0
	s_mov_b32 s10, s8
	s_mov_b64 s[24:25], 0
	s_mov_b64 s[12:13], 0
	s_cbranch_execz .LBB253_5
	s_branch .LBB253_6
.LBB253_3:
	s_mov_b64 s[14:15], 0
	s_andn2_b64 vcc, exec, s[10:11]
	s_cbranch_vccz .LBB253_2
.LBB253_4:
	s_mov_b64 s[10:11], s[8:9]
	s_mov_b64 s[24:25], 0
	;; [unrolled: 1-line block ×3, first 2 shown]
.LBB253_5:
	s_lshl_b64 s[8:9], s[8:9], 3
	s_add_u32 s6, s6, s8
	s_load_dwordx2 s[4:5], s[0:1], 0x38
	s_addc_u32 s7, s7, s9
	s_load_dwordx2 s[6:7], s[6:7], 0x0
	s_waitcnt lgkmcnt(0)
	s_lshl_b64 s[4:5], s[4:5], 1
	s_add_u32 s12, s6, s4
	s_addc_u32 s13, s7, s5
.LBB253_6:
	s_load_dword s28, s[0:1], 0x40
	s_load_dwordx4 s[4:7], s[0:1], 0x58
	s_waitcnt lgkmcnt(0)
	v_cmp_eq_f16_e64 s[16:17], s28, 0
	v_cmp_neq_f16_e64 s[8:9], s28, 0
	s_and_b64 vcc, exec, s[16:17]
	s_cbranch_vccnz .LBB253_8
; %bb.7:
	s_load_dwordx2 s[16:17], s[0:1], 0x48
	s_lshl_b64 s[18:19], s[10:11], 3
	s_waitcnt lgkmcnt(0)
	s_add_u32 s16, s16, s18
	s_addc_u32 s17, s17, s19
	s_load_dwordx2 s[16:17], s[16:17], 0x0
	s_lshl_b64 s[4:5], s[4:5], 1
	s_waitcnt lgkmcnt(0)
	s_add_u32 s24, s16, s4
	s_addc_u32 s25, s17, s5
.LBB253_8:
	s_lshl_b64 s[4:5], s[10:11], 3
	s_add_u32 s18, s6, s4
	s_addc_u32 s19, s7, s5
	s_add_i32 s3, s20, -1
	s_ashr_i32 s4, s3, 31
	s_lshr_b32 s4, s4, 26
	s_add_i32 s3, s3, s4
	s_ashr_i32 s3, s3, 6
	s_add_i32 s4, s3, 1
	v_cvt_f32_u32_e32 v1, s4
	s_not_b32 s3, s3
	v_and_b32_e32 v34, 0x3ff, v0
	v_bfe_u32 v35, v0, 10, 10
	v_rcp_iflag_f32_e32 v1, v1
	s_load_dword s23, s[0:1], 0x18
	v_and_b32_e32 v36, 3, v0
	v_lshl_add_u32 v0, v35, 3, v34
	v_mul_f32_e32 v1, 0x4f7ffffe, v1
	v_cvt_u32_f32_e32 v1, v1
	v_lshrrev_b32_e32 v7, 2, v0
	v_cmp_gt_i32_e32 vcc, s22, v36
	v_mov_b32_e32 v11, 0
	v_readfirstlane_b32 s5, v1
	s_mul_i32 s3, s3, s5
	s_mul_hi_u32 s3, s5, s3
	s_add_i32 s5, s5, s3
	s_mul_hi_u32 s3, s2, s5
	s_mul_i32 s5, s3, s4
	s_sub_i32 s5, s2, s5
	s_add_i32 s6, s3, 1
	s_sub_i32 s7, s5, s4
	s_cmp_ge_u32 s5, s4
	s_cselect_b32 s3, s6, s3
	s_cselect_b32 s5, s7, s5
	s_add_i32 s6, s3, 1
	s_cmp_ge_u32 s5, s4
	s_cselect_b32 s6, s6, s3
	s_mul_i32 s3, s6, s4
	s_sub_i32 s2, s2, s3
	s_lshl_b32 s26, s2, 6
	v_add_u32_e32 v6, s26, v7
	v_cmp_gt_i32_e64 s[2:3], s20, v6
	v_cmp_le_i32_e64 s[4:5], s20, v6
	s_and_b64 s[10:11], vcc, s[2:3]
	v_lshlrev_b32_e32 v2, 1, v36
	v_mov_b32_e32 v12, 0
	s_and_saveexec_b64 s[2:3], s[10:11]
	s_cbranch_execz .LBB253_10
; %bb.9:
	s_waitcnt lgkmcnt(0)
	v_mad_i64_i32 v[4:5], s[10:11], v6, s23, 0
	v_lshl_add_u64 v[4:5], v[4:5], 1, s[14:15]
	v_mov_b32_e32 v3, 0
	v_lshl_add_u64 v[4:5], v[4:5], 0, v[2:3]
	flat_load_ushort v12, v[4:5]
.LBB253_10:
	s_or_b64 exec, exec, s[2:3]
	s_load_dword s16, s[0:1], 0x30
	v_and_b32_e32 v8, 63, v0
	s_lshl_b32 s27, s6, 7
	v_lshrrev_b32_e32 v37, 6, v0
	v_or_b32_e32 v0, s27, v8
	v_cmp_le_i32_e64 s[6:7], s22, v37
	s_waitcnt lgkmcnt(0)
	v_mad_i64_i32 v[4:5], s[2:3], s16, v37, 0
	v_cmp_le_i32_e32 vcc, s21, v0
	s_ashr_i32 s17, s16, 31
	v_lshl_add_u64 v[4:5], v[4:5], 1, s[12:13]
	s_nor_b64 s[10:11], vcc, s[6:7]
	v_ashrrev_i32_e32 v1, 31, v0
	s_and_saveexec_b64 s[2:3], s[10:11]
	s_cbranch_execz .LBB253_12
; %bb.11:
	v_lshl_add_u64 v[10:11], v[0:1], 1, v[4:5]
	flat_load_ushort v11, v[10:11]
.LBB253_12:
	s_or_b64 exec, exec, s[2:3]
	v_or_b32_e32 v3, 64, v0
	v_cmp_le_i32_e64 s[2:3], s21, v3
	s_nor_b64 s[10:11], s[2:3], s[6:7]
	v_mov_b32_e32 v3, 0
	v_mov_b32_e32 v13, 0
	s_and_saveexec_b64 s[6:7], s[10:11]
	s_cbranch_execz .LBB253_14
; %bb.13:
	v_lshl_add_u64 v[4:5], v[0:1], 1, v[4:5]
	flat_load_ushort v13, v[4:5] offset:128
.LBB253_14:
	s_or_b64 exec, exec, s[6:7]
	v_or_b32_e32 v4, 4, v36
	v_cmp_gt_i32_e64 s[6:7], s22, v4
	s_xor_b64 s[10:11], s[4:5], -1
	s_and_b64 s[6:7], s[6:7], s[10:11]
	s_and_saveexec_b64 s[4:5], s[6:7]
	s_cbranch_execz .LBB253_16
; %bb.15:
	v_mad_i64_i32 v[4:5], s[6:7], v6, s23, 0
	v_lshl_add_u64 v[4:5], v[4:5], 1, s[14:15]
	v_mov_b32_e32 v3, 0
	v_lshl_add_u64 v[4:5], v[4:5], 0, v[2:3]
	flat_load_ushort v3, v[4:5] offset:8
.LBB253_16:
	s_or_b64 exec, exec, s[4:5]
	v_add_u32_e32 v9, 4, v37
	v_mad_u64_u32 v[4:5], s[6:7], s16, v9, 0
	v_mov_b32_e32 v10, v5
	s_waitcnt vmcnt(0) lgkmcnt(0)
	v_mad_u64_u32 v[14:15], s[6:7], s17, v9, v[10:11]
	v_cmp_le_i32_e64 s[4:5], s22, v9
	v_mov_b32_e32 v5, v14
	v_lshl_add_u64 v[4:5], v[4:5], 1, s[12:13]
	s_nor_b64 s[30:31], vcc, s[4:5]
	v_mov_b32_e32 v9, 0
	v_mov_b32_e32 v10, 0
	s_and_saveexec_b64 s[6:7], s[30:31]
	s_cbranch_execz .LBB253_18
; %bb.17:
	v_lshl_add_u64 v[14:15], v[0:1], 1, v[4:5]
	flat_load_ushort v10, v[14:15]
.LBB253_18:
	s_or_b64 exec, exec, s[6:7]
	s_nor_b64 s[6:7], s[2:3], s[4:5]
	s_and_saveexec_b64 s[4:5], s[6:7]
	s_cbranch_execz .LBB253_20
; %bb.19:
	v_lshl_add_u64 v[4:5], v[0:1], 1, v[4:5]
	flat_load_ushort v9, v[4:5] offset:128
.LBB253_20:
	s_or_b64 exec, exec, s[4:5]
	v_lshlrev_b32_e32 v4, 3, v8
	v_lshlrev_b32_e32 v39, 3, v34
	v_lshl_or_b32 v2, v7, 3, v2
	v_lshl_add_u32 v40, v37, 1, v4
	v_lshlrev_b32_e32 v38, 3, v35
	v_add_u32_e32 v41, 0x800, v39
	s_load_dwordx2 s[6:7], s[18:19], 0x0
	ds_write_b16 v2, v12 offset:2048
	ds_write_b16 v40, v11
	ds_write_b16 v40, v13 offset:512
	s_waitcnt lgkmcnt(0)
	s_barrier
	ds_read2_b64 v[12:15], v38 offset1:32
	ds_read2_b64 v[16:19], v41 offset0:48 offset1:56
	ds_read2_b64 v[20:23], v38 offset0:64 offset1:96
	ds_read2_b64 v[24:27], v41 offset1:8
	s_mov_b32 s18, 0
	s_waitcnt lgkmcnt(0)
	v_pk_max_f16 v4, v12, v12
	v_pk_max_f16 v5, v18, v18
	;; [unrolled: 1-line block ×5, first 2 shown]
	v_pk_min_f16 v28, v18, v12
	v_pk_max_f16 v8, v14, v14
	v_pk_add_f16 v32, v28, 0
	v_pk_min_f16 v28, v26, v4
	v_pk_min_f16 v42, v26, v12
	v_pk_add_f16 v33, v28, 0
	v_pk_min_f16 v28, v26, v8
	v_pk_add_f16 v47, v42, 0
	v_pk_add_f16 v46, v28, 0
	ds_read2_b64 v[28:31], v41 offset0:16 offset1:24
	v_pk_min_f16 v7, v5, v4
	v_pk_max_f16 v22, v22, v22
	v_pk_max_f16 v13, v13, v13
	;; [unrolled: 1-line block ×3, first 2 shown]
	s_waitcnt lgkmcnt(0)
	v_pk_max_f16 v28, v28, v28
	v_pk_max_f16 v30, v30, v30
	v_pk_min_f16 v42, v28, v4
	v_pk_min_f16 v50, v30, v12
	v_pk_add_f16 v48, v42, 0
	v_pk_min_f16 v42, v28, v8
	v_pk_add_f16 v56, v50, 0
	v_pk_add_f16 v49, v42, 0
	v_pk_min_f16 v42, v28, v12
	v_pk_max_f16 v19, v19, v19
	v_pk_add_f16 v53, v42, 0
	v_pk_min_f16 v42, v30, v4
	v_pk_add_f16 v7, v7, 0
	v_pk_add_f16 v54, v42, 0
	v_pk_min_f16 v42, v30, v8
	v_pk_min_f16 v11, v5, v8
	v_pk_add_f16 v55, v42, 0
	ds_read2_b64 v[42:45], v41 offset0:32 offset1:40
	v_pk_min_f16 v14, v5, v12
	v_pk_min_f16 v20, v18, v4
	;; [unrolled: 1-line block ×4, first 2 shown]
	s_waitcnt lgkmcnt(0)
	v_pk_max_f16 v42, v42, v42
	v_pk_max_f16 v44, v44, v44
	v_pk_min_f16 v50, v42, v4
	v_pk_min_f16 v26, v26, v22
	v_pk_add_f16 v61, v50, 0
	v_pk_min_f16 v50, v42, v8
	v_pk_min_f16 v28, v28, v22
	v_pk_add_f16 v62, v50, 0
	;; [unrolled: 3-line block ×3, first 2 shown]
	v_pk_min_f16 v50, v44, v4
	v_pk_max_f16 v15, v15, v15
	v_pk_add_f16 v70, v50, 0
	v_pk_min_f16 v50, v44, v8
	v_pk_min_f16 v42, v42, v22
	v_pk_add_f16 v77, v50, 0
	v_pk_min_f16 v50, v44, v12
	v_pk_min_f16 v44, v44, v22
	;; [unrolled: 1-line block ×8, first 2 shown]
	v_pk_add_f16 v11, v11, 0
	v_pk_max_f16 v21, v21, v21
	v_pk_add_f16 v68, v7, v22
	v_pk_min_f16 v7, v19, v15
	v_pk_add_f16 v14, v14, 0
	v_pk_max_f16 v25, v25, v25
	v_pk_add_f16 v60, v11, v7
	v_pk_min_f16 v7, v19, v21
	v_pk_add_f16 v20, v20, 0
	v_pk_add_f16 v52, v14, v7
	v_pk_min_f16 v7, v25, v13
	v_pk_add_f16 v24, v24, 0
	v_pk_add_f16 v76, v20, v7
	v_pk_min_f16 v7, v25, v15
	v_pk_max_f16 v23, v23, v23
	v_pk_add_f16 v67, v24, v7
	v_pk_min_f16 v7, v25, v21
	v_pk_add_f16 v18, v18, 0
	v_pk_max_f16 v27, v27, v27
	v_pk_add_f16 v59, v32, v7
	v_pk_min_f16 v7, v25, v23
	v_pk_add_f16 v26, v26, 0
	v_pk_add_f16 v51, v18, v7
	v_pk_min_f16 v7, v27, v13
	v_pk_add_f16 v78, v50, 0
	;; [unrolled: 3-line block ×5, first 2 shown]
	v_pk_add_f16 v50, v26, v7
	v_pk_max_f16 v7, v29, v29
	v_pk_add_f16 v44, v44, 0
	v_pk_min_f16 v11, v7, v13
	v_pk_add_f16 v4, v4, 0
	v_pk_add_f16 v74, v48, v11
	v_pk_min_f16 v11, v7, v15
	v_pk_add_f16 v8, v8, 0
	v_pk_add_f16 v65, v49, v11
	v_pk_min_f16 v11, v7, v21
	v_pk_min_f16 v7, v7, v23
	v_pk_add_f16 v57, v53, v11
	v_pk_add_f16 v49, v28, v7
	v_pk_max_f16 v7, v31, v31
	v_pk_add_f16 v12, v12, 0
	v_pk_min_f16 v11, v7, v13
	v_pk_add_f16 v16, v16, 0
	v_pk_add_f16 v73, v54, v11
	v_pk_min_f16 v11, v7, v15
	v_pk_add_f16 v5, v5, 0
	v_pk_add_f16 v64, v55, v11
	v_pk_min_f16 v11, v7, v21
	v_pk_min_f16 v7, v7, v23
	v_pk_add_f16 v56, v56, v11
	v_pk_add_f16 v48, v30, v7
	v_pk_max_f16 v7, v43, v43
	s_cmp_lt_i32 s22, 9
	v_pk_min_f16 v11, v7, v13
	ds_write_b16 v2, v3 offset:2560
	s_waitcnt vmcnt(0)
	ds_write_b16 v40, v10 offset:1024
	ds_write_b16 v40, v9 offset:1536
	v_pk_add_f16 v72, v61, v11
	v_pk_min_f16 v11, v7, v15
	s_waitcnt lgkmcnt(0)
	v_pk_add_f16 v63, v62, v11
	v_pk_min_f16 v11, v7, v21
	v_pk_min_f16 v7, v7, v23
	v_pk_add_f16 v55, v69, v11
	v_pk_add_f16 v47, v42, v7
	v_pk_max_f16 v7, v45, v45
	s_barrier
	v_pk_min_f16 v11, v7, v13
	s_nop 0
	v_pk_add_f16 v71, v70, v11
	v_pk_min_f16 v11, v7, v15
	s_nop 0
	v_pk_add_f16 v62, v77, v11
	v_pk_min_f16 v11, v7, v21
	v_pk_min_f16 v7, v7, v23
	v_pk_add_f16 v54, v78, v11
	v_pk_add_f16 v46, v44, v7
	v_pk_max_f16 v7, v17, v17
	s_nop 0
	v_pk_min_f16 v11, v7, v13
	s_nop 0
	v_pk_add_f16 v70, v4, v11
	v_pk_min_f16 v4, v7, v15
	s_nop 0
	v_pk_add_f16 v61, v8, v4
	;; [unrolled: 3-line block ×5, first 2 shown]
	s_cbranch_scc1 .LBB253_35
; %bb.21:
	v_add_u32_e32 v42, 0x800, v2
	v_add_u32_e32 v43, 0xa00, v2
	v_mov_b32_e32 v2, 0xa00
	v_lshl_add_u32 v77, v34, 3, v2
	v_mov_b32_e32 v2, 0x400
	v_lshl_add_u32 v78, v35, 3, v2
	v_add_u32_e32 v2, 8, v37
	v_mad_i64_i32 v[2:3], s[4:5], v2, s16, 0
	v_lshl_add_u64 v[26:27], v[0:1], 1, s[12:13]
	v_add_u32_e32 v0, 12, v37
	v_lshlrev_b64 v[24:25], 1, v[2:3]
	v_mad_i64_i32 v[0:1], s[4:5], v0, s16, 0
	v_and_b32_e32 v2, 3, v34
	v_lshlrev_b64 v[28:29], 1, v[0:1]
	v_mad_i64_i32 v[0:1], s[4:5], s23, v6, 0
	v_lshlrev_b32_e32 v2, 1, v2
	v_mov_b32_e32 v3, 0
	v_lshl_add_u64 v[0:1], v[0:1], 1, v[2:3]
	v_lshl_add_u64 v[0:1], s[14:15], 0, v[0:1]
	v_add_u32_e32 v69, 0x400, v40
	s_add_i32 s19, s22, -8
	s_lshl_b64 s[12:13], s[16:17], 4
	v_lshl_add_u64 v[30:31], v[0:1], 0, 24
	s_branch .LBB253_23
.LBB253_22:                             ;   in Loop: Header=BB253_23 Depth=1
	s_or_b64 exec, exec, s[4:5]
	v_pk_max_f16 v2, v2, v2
	v_pk_max_f16 v20, v20, v20
	;; [unrolled: 1-line block ×7, first 2 shown]
	v_pk_min_f16 v32, v2, v20
	v_pk_min_f16 v33, v2, v22
	v_pk_max_f16 v12, v12, v12
	v_pk_max_f16 v14, v14, v14
	;; [unrolled: 1-line block ×10, first 2 shown]
	v_pk_min_f16 v95, v4, v20
	v_pk_max_f16 v9, v9, v9
	v_pk_max_f16 v11, v11, v11
	v_pk_min_f16 v96, v4, v22
	v_pk_max_f16 v5, v5, v5
	v_pk_max_f16 v7, v7, v7
	v_pk_min_f16 v97, v4, v16
	v_pk_min_f16 v4, v4, v18
	v_pk_max_f16 v0, v0, v0
	v_pk_max_f16 v3, v3, v3
	;; [unrolled: 1-line block ×3, first 2 shown]
	v_pk_min_f16 v98, v6, v20
	v_pk_min_f16 v99, v6, v22
	;; [unrolled: 1-line block ×58, first 2 shown]
	v_pk_add_f16 v1, v68, v32
	v_pk_add_f16 v3, v60, v33
	;; [unrolled: 1-line block ×12, first 2 shown]
	ds_read2_b64 v[0:3], v41 offset0:48 offset1:56
	ds_read2_b64 v[4:7], v38 offset1:32
	v_pk_add_f16 v32, v52, v82
	v_pk_add_f16 v33, v76, v83
	;; [unrolled: 1-line block ×7, first 2 shown]
	s_waitcnt lgkmcnt(0)
	v_pk_max_f16 v2, v2, v2
	v_pk_max_f16 v4, v4, v4
	v_pk_add_f16 v60, v66, v87
	v_pk_add_f16 v14, v50, v14
	;; [unrolled: 1-line block ×8, first 2 shown]
	ds_read2_b64 v[8:11], v38 offset0:64 offset1:96
	v_pk_min_f16 v12, v2, v4
	v_pk_add_f16 v22, v61, v22
	v_pk_add_f16 v61, v14, v15
	;; [unrolled: 1-line block ×3, first 2 shown]
	ds_read2_b64 v[12:15], v41 offset1:8
	v_pk_max_f16 v6, v6, v6
	v_pk_add_f16 v49, v73, v92
	v_pk_add_f16 v73, v16, v17
	v_pk_min_f16 v16, v2, v6
	s_waitcnt lgkmcnt(0)
	v_pk_max_f16 v8, v8, v8
	v_pk_add_f16 v32, v32, v120
	v_pk_add_f16 v53, v53, v16
	v_pk_min_f16 v16, v2, v8
	v_pk_max_f16 v12, v12, v12
	v_pk_add_f16 v32, v32, v16
	v_pk_min_f16 v16, v12, v4
	v_pk_add_f16 v50, v74, v89
	v_pk_add_f16 v74, v18, v16
	v_pk_min_f16 v16, v12, v6
	v_pk_add_f16 v51, v75, v86
	v_pk_add_f16 v33, v33, v16
	v_pk_min_f16 v16, v12, v8
	v_pk_max_f16 v14, v14, v14
	v_pk_add_f16 v51, v51, v103
	v_pk_add_f16 v75, v52, v16
	v_pk_min_f16 v16, v14, v4
	v_pk_add_f16 v60, v60, v104
	v_pk_add_f16 v82, v51, v16
	v_pk_min_f16 v16, v14, v6
	v_pk_add_f16 v44, v44, v19
	v_pk_add_f16 v83, v60, v16
	ds_read2_b64 v[16:19], v41 offset0:16 offset1:24
	v_pk_add_f16 v58, v58, v88
	v_pk_add_f16 v47, v71, v98
	;; [unrolled: 1-line block ×4, first 2 shown]
	v_pk_max_f16 v10, v10, v10
	v_pk_min_f16 v20, v14, v8
	s_waitcnt lgkmcnt(0)
	v_pk_max_f16 v16, v16, v16
	v_pk_add_f16 v65, v65, v90
	v_pk_add_f16 v50, v50, v106
	;; [unrolled: 1-line block ×3, first 2 shown]
	v_pk_min_f16 v14, v14, v10
	v_pk_min_f16 v20, v16, v4
	v_pk_add_f16 v57, v57, v91
	v_pk_add_f16 v65, v65, v107
	v_pk_add_f16 v14, v61, v14
	v_pk_add_f16 v61, v50, v20
	v_pk_min_f16 v20, v16, v6
	v_pk_add_f16 v57, v57, v108
	v_pk_add_f16 v65, v65, v20
	v_pk_min_f16 v20, v16, v8
	v_pk_max_f16 v18, v18, v18
	v_pk_add_f16 v64, v64, v93
	v_pk_add_f16 v49, v49, v109
	;; [unrolled: 1-line block ×3, first 2 shown]
	v_pk_min_f16 v20, v18, v4
	v_pk_add_f16 v64, v64, v110
	v_pk_add_f16 v84, v49, v20
	v_pk_min_f16 v20, v18, v6
	v_pk_add_f16 v48, v72, v95
	v_pk_add_f16 v72, v22, v23
	;; [unrolled: 1-line block ×3, first 2 shown]
	ds_read2_b64 v[20:23], v41 offset0:32 offset1:40
	v_pk_add_f16 v56, v56, v94
	v_pk_min_f16 v49, v18, v8
	v_pk_add_f16 v56, v56, v111
	v_pk_add_f16 v63, v63, v96
	s_waitcnt lgkmcnt(0)
	v_pk_max_f16 v20, v20, v20
	v_pk_add_f16 v48, v48, v112
	v_pk_add_f16 v56, v56, v49
	v_pk_min_f16 v49, v20, v4
	v_pk_add_f16 v55, v55, v97
	v_pk_add_f16 v63, v63, v113
	;; [unrolled: 1-line block ×3, first 2 shown]
	v_pk_min_f16 v48, v20, v6
	v_pk_add_f16 v55, v55, v114
	v_pk_add_f16 v63, v63, v48
	v_pk_min_f16 v48, v20, v8
	v_pk_max_f16 v22, v22, v22
	v_pk_add_f16 v62, v62, v99
	v_pk_add_f16 v47, v47, v115
	;; [unrolled: 1-line block ×3, first 2 shown]
	v_pk_min_f16 v48, v22, v4
	v_pk_add_f16 v62, v62, v116
	v_pk_add_f16 v86, v47, v48
	v_pk_min_f16 v47, v22, v6
	v_pk_max_f16 v0, v0, v0
	v_pk_max_f16 v3, v3, v3
	v_pk_max_f16 v5, v5, v5
	v_pk_min_f16 v12, v12, v10
	v_pk_min_f16 v16, v16, v10
	v_pk_min_f16 v18, v18, v10
	v_pk_min_f16 v20, v20, v10
	v_pk_add_f16 v62, v62, v47
	v_pk_min_f16 v47, v22, v8
	v_pk_min_f16 v22, v22, v10
	;; [unrolled: 1-line block ×8, first 2 shown]
	v_pk_max_f16 v7, v7, v7
	v_pk_add_f16 v20, v68, v20
	v_pk_add_f16 v68, v46, v10
	v_pk_min_f16 v10, v3, v7
	v_pk_max_f16 v9, v9, v9
	v_pk_add_f16 v60, v53, v10
	v_pk_min_f16 v10, v3, v9
	v_pk_max_f16 v11, v11, v11
	v_pk_add_f16 v52, v32, v10
	v_pk_max_f16 v10, v13, v13
	v_pk_add_f16 v12, v59, v12
	v_pk_min_f16 v13, v10, v5
	v_pk_add_f16 v18, v67, v18
	v_pk_add_f16 v76, v74, v13
	v_pk_min_f16 v13, v10, v7
	v_pk_add_f16 v16, v66, v16
	v_pk_add_f16 v67, v33, v13
	v_pk_min_f16 v13, v10, v9
	v_pk_min_f16 v10, v10, v11
	v_pk_add_f16 v59, v75, v13
	v_pk_add_f16 v51, v12, v10
	v_pk_max_f16 v10, v15, v15
	v_pk_add_f16 v8, v73, v8
	v_pk_min_f16 v12, v10, v5
	v_pk_add_f16 v54, v54, v100
	v_pk_add_f16 v75, v82, v12
	v_pk_min_f16 v12, v10, v7
	v_pk_add_f16 v6, v72, v6
	v_pk_add_f16 v66, v83, v12
	v_pk_min_f16 v12, v10, v9
	v_pk_min_f16 v10, v10, v11
	v_pk_add_f16 v58, v58, v12
	v_pk_add_f16 v50, v14, v10
	v_pk_max_f16 v10, v17, v17
	v_pk_add_f16 v54, v54, v117
	v_pk_min_f16 v12, v10, v5
	v_pk_add_f16 v54, v54, v47
	v_pk_add_f16 v74, v61, v12
	v_pk_min_f16 v12, v10, v7
	v_pk_max_f16 v1, v1, v1
	v_pk_add_f16 v65, v65, v12
	v_pk_min_f16 v12, v10, v9
	v_pk_min_f16 v10, v10, v11
	v_pk_add_f16 v57, v57, v12
	v_pk_add_f16 v49, v16, v10
	v_pk_max_f16 v10, v19, v19
	v_pk_add_f16 v4, v71, v4
	v_pk_min_f16 v12, v10, v5
	v_pk_add_f16 v45, v45, v121
	v_pk_add_f16 v73, v84, v12
	v_pk_min_f16 v12, v10, v7
	v_pk_add_f16 v22, v70, v22
	v_pk_add_f16 v64, v64, v12
	v_pk_min_f16 v12, v10, v9
	v_pk_min_f16 v10, v10, v11
	v_pk_add_f16 v56, v56, v12
	v_pk_add_f16 v48, v18, v10
	v_pk_max_f16 v10, v21, v21
	v_pk_add_f16 v0, v45, v0
	v_pk_min_f16 v12, v10, v5
	v_pk_add_f16 v2, v44, v2
	v_pk_add_f16 v72, v85, v12
	v_pk_min_f16 v12, v10, v7
	s_add_i32 s18, s18, 8
	v_pk_add_f16 v63, v63, v12
	v_pk_min_f16 v12, v10, v9
	v_pk_min_f16 v10, v10, v11
	v_pk_add_f16 v55, v55, v12
	v_pk_add_f16 v47, v20, v10
	v_pk_max_f16 v10, v23, v23
	v_lshl_add_u64 v[26:27], v[26:27], 0, s[12:13]
	v_pk_min_f16 v12, v10, v5
	v_pk_min_f16 v5, v1, v5
	v_pk_add_f16 v71, v86, v12
	v_pk_add_f16 v70, v4, v5
	v_pk_min_f16 v4, v1, v7
	v_pk_min_f16 v12, v10, v7
	v_pk_add_f16 v61, v6, v4
	v_pk_min_f16 v4, v1, v9
	v_pk_min_f16 v1, v1, v11
	;; [unrolled: 3-line block ×3, first 2 shown]
	v_pk_add_f16 v45, v0, v1
	v_pk_min_f16 v0, v3, v11
	v_pk_add_f16 v54, v54, v12
	v_pk_add_f16 v46, v22, v10
	;; [unrolled: 1-line block ×4, first 2 shown]
	s_cmp_ge_i32 s18, s19
	v_lshl_add_u64 v[30:31], v[30:31], 0, 16
	s_waitcnt vmcnt(0)
	ds_write_b16 v43, v80
	ds_write_b16 v69, v79
	ds_write_b16 v69, v81 offset:512
	s_waitcnt lgkmcnt(0)
	s_barrier
	s_cbranch_scc1 .LBB253_35
.LBB253_23:                             ; =>This Inner Loop Header: Depth=1
	v_add_u32_e32 v32, s18, v36
	v_add_u32_e32 v0, 8, v32
	v_cmp_gt_i32_e64 s[4:5], s22, v0
	s_and_b64 s[4:5], s[4:5], s[10:11]
	v_mov_b32_e32 v79, 0
	s_and_saveexec_b64 s[14:15], s[4:5]
	s_cbranch_execz .LBB253_25
; %bb.24:                               ;   in Loop: Header=BB253_23 Depth=1
	v_add_co_u32_e64 v0, s[4:5], -8, v30
	s_nop 1
	v_addc_co_u32_e64 v1, s[4:5], -1, v31, s[4:5]
	flat_load_ushort v79, v[0:1]
.LBB253_25:                             ;   in Loop: Header=BB253_23 Depth=1
	s_or_b64 exec, exec, s[14:15]
	v_add_u32_e32 v33, s18, v37
	v_add_u32_e32 v0, 8, v33
	v_cmp_le_i32_e64 s[4:5], s22, v0
	s_nor_b64 s[16:17], vcc, s[4:5]
	v_mov_b32_e32 v80, 0
	v_lshl_add_u64 v[0:1], v[26:27], 0, v[24:25]
	v_mov_b32_e32 v81, 0
	s_and_saveexec_b64 s[14:15], s[16:17]
	s_cbranch_execz .LBB253_27
; %bb.26:                               ;   in Loop: Header=BB253_23 Depth=1
	flat_load_ushort v81, v[0:1]
.LBB253_27:                             ;   in Loop: Header=BB253_23 Depth=1
	s_or_b64 exec, exec, s[14:15]
	s_nor_b64 s[14:15], s[2:3], s[4:5]
	s_and_saveexec_b64 s[4:5], s[14:15]
	s_cbranch_execz .LBB253_29
; %bb.28:                               ;   in Loop: Header=BB253_23 Depth=1
	flat_load_ushort v80, v[0:1] offset:128
.LBB253_29:                             ;   in Loop: Header=BB253_23 Depth=1
	s_or_b64 exec, exec, s[4:5]
	ds_read2_b64 v[0:3], v77 offset0:48 offset1:56
	ds_read2_b64 v[16:19], v78 offset0:64 offset1:96
	ds_read2_b64 v[20:23], v78 offset1:32
	ds_read2_b64 v[12:15], v77 offset1:8
	ds_read2_b64 v[8:11], v77 offset0:16 offset1:24
	ds_read2_b64 v[4:7], v77 offset0:32 offset1:40
	v_add_u32_e32 v32, 12, v32
	v_cmp_gt_i32_e64 s[4:5], s22, v32
	s_waitcnt vmcnt(0) lgkmcnt(0)
	ds_write_b16 v42, v79
	ds_write_b16 v40, v81
	ds_write_b16 v40, v80 offset:512
	s_and_b64 s[4:5], s[4:5], s[10:11]
	v_mov_b32_e32 v79, 0
	v_mov_b32_e32 v80, 0
	s_waitcnt lgkmcnt(0)
	s_barrier
	s_and_saveexec_b64 s[14:15], s[4:5]
	s_xor_b64 s[4:5], exec, s[14:15]
	s_cbranch_execz .LBB253_31
; %bb.30:                               ;   in Loop: Header=BB253_23 Depth=1
	flat_load_ushort v80, v[30:31]
.LBB253_31:                             ;   in Loop: Header=BB253_23 Depth=1
	s_or_b64 exec, exec, s[4:5]
	v_add_u32_e32 v32, 12, v33
	v_cmp_le_i32_e64 s[4:5], s22, v32
	s_nor_b64 s[16:17], vcc, s[4:5]
	v_lshl_add_u64 v[32:33], v[26:27], 0, v[28:29]
	s_and_saveexec_b64 s[14:15], s[16:17]
	s_cbranch_execz .LBB253_33
; %bb.32:                               ;   in Loop: Header=BB253_23 Depth=1
	flat_load_ushort v79, v[32:33]
.LBB253_33:                             ;   in Loop: Header=BB253_23 Depth=1
	s_or_b64 exec, exec, s[14:15]
	s_nor_b64 s[14:15], s[2:3], s[4:5]
	v_mov_b32_e32 v81, 0
	s_and_saveexec_b64 s[4:5], s[14:15]
	s_cbranch_execz .LBB253_22
; %bb.34:                               ;   in Loop: Header=BB253_23 Depth=1
	flat_load_ushort v81, v[32:33] offset:128
	s_branch .LBB253_22
.LBB253_35:
	s_load_dwordx2 s[2:3], s[0:1], 0x70
	s_load_dword s30, s[0:1], 0x50
	s_load_dword s29, s[0:1], 0x68
	v_add_u32_e32 v8, 0x800, v39
	ds_read2_b64 v[0:3], v8 offset0:112 offset1:120
	ds_read2_b64 v[4:7], v38 offset0:192 offset1:224
	;; [unrolled: 1-line block ×6, first 2 shown]
	s_waitcnt lgkmcnt(0)
	s_lshl_b64 s[0:1], s[2:3], 1
	s_add_u32 s22, s6, s0
	v_add_u32_e32 v69, s27, v35
	s_addc_u32 s23, s7, s1
	v_mad_i64_i32 v[26:27], s[0:1], v69, s30, 0
	v_add_u32_e32 v24, s26, v34
	v_lshl_add_u64 v[42:43], v[26:27], 1, s[24:25]
	v_mad_i64_i32 v[26:27], s[0:1], v69, s29, 0
	v_cmp_gt_i32_e64 s[18:19], s21, v69
	v_lshl_add_u64 v[40:41], v[26:27], 1, s[22:23]
	v_cmp_gt_i32_e64 s[2:3], s20, v24
	v_cndmask_b32_e64 v26, 0, 1, s[8:9]
	s_and_b64 s[4:5], s[2:3], s[18:19]
	v_ashrrev_i32_e32 v25, 31, v24
	v_cmp_ne_u32_e64 s[0:1], 1, v26
	s_and_saveexec_b64 s[6:7], s[4:5]
	s_xor_b64 s[4:5], exec, s[6:7]
	s_cbranch_execz .LBB253_40
; %bb.36:
	s_and_b64 vcc, exec, s[0:1]
	s_cbranch_vccnz .LBB253_38
; %bb.37:
	v_lshl_add_u64 v[26:27], v[24:25], 1, v[42:43]
	flat_load_ushort v26, v[26:27]
	s_waitcnt vmcnt(0) lgkmcnt(0)
	v_mul_f16_e32 v26, s28, v26
	s_branch .LBB253_39
.LBB253_38:
	v_mov_b32_e32 v26, 0
.LBB253_39:
	v_pk_max_f16 v27, v20, v20
	v_pk_max_f16 v28, v16, v16
	v_pk_max_f16 v29, v17, v17
	v_pk_min_f16 v27, v28, v27
	v_pk_max_f16 v28, v21, v21
	v_pk_add_f16 v27, v76, v27
	v_pk_min_f16 v28, v29, v28
	s_nop 0
	v_pk_add_f16 v27, v27, v28
	s_nop 0
	v_add_f16_sdwa v27, v27, v27 dst_sel:DWORD dst_unused:UNUSED_PAD src0_sel:DWORD src1_sel:WORD_1
	v_add_f16_e32 v28, v27, v26
	v_lshl_add_u64 v[26:27], v[24:25], 1, v[40:41]
	flat_store_short v[26:27], v28
.LBB253_40:
	s_or_b64 exec, exec, s[4:5]
	v_add_u32_e32 v26, 8, v24
	v_cmp_gt_i32_e64 s[4:5], s20, v26
	s_and_b64 s[8:9], s[4:5], s[18:19]
	v_ashrrev_i32_e32 v27, 31, v26
	s_and_saveexec_b64 s[6:7], s[8:9]
	s_cbranch_execz .LBB253_45
; %bb.41:
	s_and_b64 vcc, exec, s[0:1]
	s_cbranch_vccnz .LBB253_43
; %bb.42:
	v_lshl_add_u64 v[28:29], v[26:27], 1, v[42:43]
	flat_load_ushort v28, v[28:29]
	s_waitcnt vmcnt(0) lgkmcnt(0)
	v_mul_f16_e32 v28, s28, v28
	s_branch .LBB253_44
.LBB253_43:
	v_mov_b32_e32 v28, 0
.LBB253_44:
	v_pk_max_f16 v29, v20, v20
	v_pk_max_f16 v30, v18, v18
	v_pk_max_f16 v31, v19, v19
	v_pk_min_f16 v29, v30, v29
	v_pk_max_f16 v30, v21, v21
	v_pk_add_f16 v29, v75, v29
	v_pk_min_f16 v30, v31, v30
	s_nop 0
	v_pk_add_f16 v29, v29, v30
	s_nop 0
	v_add_f16_sdwa v29, v29, v29 dst_sel:DWORD dst_unused:UNUSED_PAD src0_sel:DWORD src1_sel:WORD_1
	v_add_f16_e32 v30, v29, v28
	v_lshl_add_u64 v[28:29], v[26:27], 1, v[40:41]
	flat_store_short v[28:29], v30
.LBB253_45:
	s_or_b64 exec, exec, s[6:7]
	v_add_u32_e32 v28, 16, v24
	v_cmp_gt_i32_e64 s[6:7], s20, v28
	s_and_b64 s[10:11], s[6:7], s[18:19]
	v_ashrrev_i32_e32 v29, 31, v28
	s_and_saveexec_b64 s[8:9], s[10:11]
	;; [unrolled: 34-line block ×6, first 2 shown]
	s_cbranch_execz .LBB253_70
; %bb.66:
	s_and_b64 vcc, exec, s[0:1]
	s_cbranch_vccnz .LBB253_68
; %bb.67:
	v_lshl_add_u64 v[38:39], v[36:37], 1, v[42:43]
	flat_load_ushort v38, v[38:39]
	s_waitcnt vmcnt(0) lgkmcnt(0)
	v_mul_f16_e32 v38, s28, v38
	s_branch .LBB253_69
.LBB253_68:
	v_mov_b32_e32 v38, 0
.LBB253_69:
	v_pk_max_f16 v39, v20, v20
	v_pk_max_f16 v71, v0, v0
	s_nop 0
	v_pk_min_f16 v39, v71, v39
	v_pk_max_f16 v71, v1, v1
	v_pk_add_f16 v39, v70, v39
	v_pk_max_f16 v70, v21, v21
	s_nop 0
	v_pk_min_f16 v70, v71, v70
	s_nop 0
	v_pk_add_f16 v39, v39, v70
	s_nop 0
	v_add_f16_sdwa v39, v39, v39 dst_sel:DWORD dst_unused:UNUSED_PAD src0_sel:DWORD src1_sel:WORD_1
	v_add_f16_e32 v70, v39, v38
	v_lshl_add_u64 v[38:39], v[36:37], 1, v[40:41]
	flat_store_short v[38:39], v70
.LBB253_70:
	s_or_b64 exec, exec, s[16:17]
	v_add_u32_e32 v38, 56, v24
	v_cmp_gt_i32_e64 s[16:17], s20, v38
	s_and_b64 s[26:27], s[16:17], s[18:19]
	v_ashrrev_i32_e32 v39, 31, v38
	s_and_saveexec_b64 s[18:19], s[26:27]
	s_cbranch_execz .LBB253_75
; %bb.71:
	s_and_b64 vcc, exec, s[0:1]
	s_cbranch_vccnz .LBB253_73
; %bb.72:
	v_lshl_add_u64 v[42:43], v[38:39], 1, v[42:43]
	flat_load_ushort v42, v[42:43]
	s_waitcnt vmcnt(0) lgkmcnt(0)
	v_mul_f16_e32 v42, s28, v42
	s_branch .LBB253_74
.LBB253_73:
	v_mov_b32_e32 v42, 0
.LBB253_74:
	v_pk_max_f16 v20, v20, v20
	v_pk_max_f16 v43, v2, v2
	;; [unrolled: 1-line block ×3, first 2 shown]
	v_pk_min_f16 v20, v43, v20
	v_pk_max_f16 v43, v3, v3
	v_pk_add_f16 v20, v68, v20
	v_pk_min_f16 v21, v43, v21
	s_nop 0
	v_pk_add_f16 v20, v20, v21
	s_nop 0
	v_add_f16_sdwa v20, v20, v20 dst_sel:DWORD dst_unused:UNUSED_PAD src0_sel:DWORD src1_sel:WORD_1
	v_add_f16_e32 v42, v20, v42
	v_lshl_add_u64 v[20:21], v[38:39], 1, v[40:41]
	flat_store_short v[20:21], v42
.LBB253_75:
	s_or_b64 exec, exec, s[18:19]
	v_add_u32_e32 v42, 32, v69
	v_mad_i64_i32 v[20:21], s[26:27], v42, s30, 0
	v_cmp_gt_i32_e64 s[18:19], s21, v42
	v_lshl_add_u64 v[40:41], v[20:21], 1, s[24:25]
	v_mad_i64_i32 v[20:21], s[26:27], v42, s29, 0
	v_lshl_add_u64 v[20:21], v[20:21], 1, s[22:23]
	s_and_b64 s[34:35], s[2:3], s[18:19]
	s_and_saveexec_b64 s[26:27], s[34:35]
	s_cbranch_execnz .LBB253_83
; %bb.76:
	s_or_b64 exec, exec, s[26:27]
	s_and_b64 s[34:35], s[4:5], s[18:19]
	s_and_saveexec_b64 s[26:27], s[34:35]
	s_cbranch_execnz .LBB253_87
.LBB253_77:
	s_or_b64 exec, exec, s[26:27]
	s_and_b64 s[34:35], s[6:7], s[18:19]
	s_and_saveexec_b64 s[26:27], s[34:35]
	s_cbranch_execnz .LBB253_91
.LBB253_78:
	s_or_b64 exec, exec, s[26:27]
	s_and_b64 s[34:35], s[8:9], s[18:19]
	s_and_saveexec_b64 s[26:27], s[34:35]
	s_cbranch_execnz .LBB253_95
.LBB253_79:
	s_or_b64 exec, exec, s[26:27]
	s_and_b64 s[34:35], s[10:11], s[18:19]
	s_and_saveexec_b64 s[26:27], s[34:35]
	s_cbranch_execnz .LBB253_99
.LBB253_80:
	s_or_b64 exec, exec, s[26:27]
	s_and_b64 s[34:35], s[12:13], s[18:19]
	s_and_saveexec_b64 s[26:27], s[34:35]
	s_cbranch_execnz .LBB253_103
.LBB253_81:
	s_or_b64 exec, exec, s[26:27]
	s_and_b64 s[34:35], s[14:15], s[18:19]
	s_and_saveexec_b64 s[26:27], s[34:35]
	s_cbranch_execnz .LBB253_107
.LBB253_82:
	s_or_b64 exec, exec, s[26:27]
	s_and_b64 s[26:27], s[16:17], s[18:19]
	s_and_saveexec_b64 s[18:19], s[26:27]
	s_cbranch_execnz .LBB253_111
	s_branch .LBB253_115
.LBB253_83:
	s_and_b64 vcc, exec, s[0:1]
	s_cbranch_vccnz .LBB253_85
; %bb.84:
	v_lshl_add_u64 v[42:43], v[24:25], 1, v[40:41]
	flat_load_ushort v42, v[42:43]
	s_waitcnt vmcnt(0) lgkmcnt(0)
	v_mul_f16_e32 v42, s28, v42
	s_branch .LBB253_86
.LBB253_85:
	v_mov_b32_e32 v42, 0
.LBB253_86:
	v_pk_max_f16 v43, v22, v22
	v_pk_max_f16 v68, v16, v16
	s_nop 0
	v_pk_min_f16 v43, v68, v43
	v_pk_max_f16 v68, v17, v17
	v_pk_add_f16 v43, v67, v43
	v_pk_max_f16 v67, v23, v23
	s_nop 0
	v_pk_min_f16 v67, v68, v67
	s_nop 0
	v_pk_add_f16 v43, v43, v67
	s_nop 0
	v_add_f16_sdwa v43, v43, v43 dst_sel:DWORD dst_unused:UNUSED_PAD src0_sel:DWORD src1_sel:WORD_1
	v_add_f16_e32 v67, v43, v42
	v_lshl_add_u64 v[42:43], v[24:25], 1, v[20:21]
	flat_store_short v[42:43], v67
	s_or_b64 exec, exec, s[26:27]
	s_and_b64 s[34:35], s[4:5], s[18:19]
	s_and_saveexec_b64 s[26:27], s[34:35]
	s_cbranch_execz .LBB253_77
.LBB253_87:
	s_and_b64 vcc, exec, s[0:1]
	s_cbranch_vccnz .LBB253_89
; %bb.88:
	v_lshl_add_u64 v[42:43], v[26:27], 1, v[40:41]
	flat_load_ushort v42, v[42:43]
	s_waitcnt vmcnt(0) lgkmcnt(0)
	v_mul_f16_e32 v42, s28, v42
	s_branch .LBB253_90
.LBB253_89:
	v_mov_b32_e32 v42, 0
.LBB253_90:
	v_pk_max_f16 v43, v22, v22
	v_pk_max_f16 v67, v18, v18
	s_nop 0
	v_pk_min_f16 v43, v67, v43
	v_pk_max_f16 v67, v19, v19
	v_pk_add_f16 v43, v66, v43
	v_pk_max_f16 v66, v23, v23
	s_nop 0
	v_pk_min_f16 v66, v67, v66
	s_nop 0
	v_pk_add_f16 v43, v43, v66
	s_nop 0
	v_add_f16_sdwa v43, v43, v43 dst_sel:DWORD dst_unused:UNUSED_PAD src0_sel:DWORD src1_sel:WORD_1
	v_add_f16_e32 v66, v43, v42
	v_lshl_add_u64 v[42:43], v[26:27], 1, v[20:21]
	flat_store_short v[42:43], v66
	s_or_b64 exec, exec, s[26:27]
	s_and_b64 s[34:35], s[6:7], s[18:19]
	s_and_saveexec_b64 s[26:27], s[34:35]
	s_cbranch_execz .LBB253_78
.LBB253_91:
	s_and_b64 vcc, exec, s[0:1]
	s_cbranch_vccnz .LBB253_93
; %bb.92:
	v_lshl_add_u64 v[42:43], v[28:29], 1, v[40:41]
	flat_load_ushort v42, v[42:43]
	s_waitcnt vmcnt(0) lgkmcnt(0)
	v_mul_f16_e32 v42, s28, v42
	s_branch .LBB253_94
.LBB253_93:
	v_mov_b32_e32 v42, 0
.LBB253_94:
	v_pk_max_f16 v43, v22, v22
	v_pk_max_f16 v66, v12, v12
	s_nop 0
	v_pk_min_f16 v43, v66, v43
	v_pk_max_f16 v66, v13, v13
	v_pk_add_f16 v43, v65, v43
	v_pk_max_f16 v65, v23, v23
	s_nop 0
	v_pk_min_f16 v65, v66, v65
	s_nop 0
	v_pk_add_f16 v43, v43, v65
	s_nop 0
	v_add_f16_sdwa v43, v43, v43 dst_sel:DWORD dst_unused:UNUSED_PAD src0_sel:DWORD src1_sel:WORD_1
	v_add_f16_e32 v65, v43, v42
	v_lshl_add_u64 v[42:43], v[28:29], 1, v[20:21]
	flat_store_short v[42:43], v65
	s_or_b64 exec, exec, s[26:27]
	s_and_b64 s[34:35], s[8:9], s[18:19]
	s_and_saveexec_b64 s[26:27], s[34:35]
	s_cbranch_execz .LBB253_79
.LBB253_95:
	s_and_b64 vcc, exec, s[0:1]
	s_cbranch_vccnz .LBB253_97
; %bb.96:
	v_lshl_add_u64 v[42:43], v[30:31], 1, v[40:41]
	flat_load_ushort v42, v[42:43]
	s_waitcnt vmcnt(0) lgkmcnt(0)
	v_mul_f16_e32 v42, s28, v42
	s_branch .LBB253_98
.LBB253_97:
	v_mov_b32_e32 v42, 0
.LBB253_98:
	v_pk_max_f16 v43, v22, v22
	v_pk_max_f16 v65, v14, v14
	s_nop 0
	v_pk_min_f16 v43, v65, v43
	v_pk_max_f16 v65, v15, v15
	v_pk_add_f16 v43, v64, v43
	v_pk_max_f16 v64, v23, v23
	s_nop 0
	v_pk_min_f16 v64, v65, v64
	s_nop 0
	v_pk_add_f16 v43, v43, v64
	s_nop 0
	v_add_f16_sdwa v43, v43, v43 dst_sel:DWORD dst_unused:UNUSED_PAD src0_sel:DWORD src1_sel:WORD_1
	v_add_f16_e32 v64, v43, v42
	v_lshl_add_u64 v[42:43], v[30:31], 1, v[20:21]
	flat_store_short v[42:43], v64
	s_or_b64 exec, exec, s[26:27]
	s_and_b64 s[34:35], s[10:11], s[18:19]
	s_and_saveexec_b64 s[26:27], s[34:35]
	s_cbranch_execz .LBB253_80
.LBB253_99:
	s_and_b64 vcc, exec, s[0:1]
	s_cbranch_vccnz .LBB253_101
; %bb.100:
	v_lshl_add_u64 v[42:43], v[32:33], 1, v[40:41]
	flat_load_ushort v42, v[42:43]
	s_waitcnt vmcnt(0) lgkmcnt(0)
	v_mul_f16_e32 v42, s28, v42
	s_branch .LBB253_102
.LBB253_101:
	v_mov_b32_e32 v42, 0
.LBB253_102:
	v_pk_max_f16 v43, v22, v22
	v_pk_max_f16 v64, v8, v8
	s_nop 0
	v_pk_min_f16 v43, v64, v43
	v_pk_max_f16 v64, v9, v9
	v_pk_add_f16 v43, v63, v43
	v_pk_max_f16 v63, v23, v23
	s_nop 0
	v_pk_min_f16 v63, v64, v63
	s_nop 0
	v_pk_add_f16 v43, v43, v63
	s_nop 0
	v_add_f16_sdwa v43, v43, v43 dst_sel:DWORD dst_unused:UNUSED_PAD src0_sel:DWORD src1_sel:WORD_1
	v_add_f16_e32 v63, v43, v42
	v_lshl_add_u64 v[42:43], v[32:33], 1, v[20:21]
	flat_store_short v[42:43], v63
	s_or_b64 exec, exec, s[26:27]
	s_and_b64 s[34:35], s[12:13], s[18:19]
	s_and_saveexec_b64 s[26:27], s[34:35]
	s_cbranch_execz .LBB253_81
.LBB253_103:
	s_and_b64 vcc, exec, s[0:1]
	s_cbranch_vccnz .LBB253_105
; %bb.104:
	v_lshl_add_u64 v[42:43], v[34:35], 1, v[40:41]
	flat_load_ushort v42, v[42:43]
	s_waitcnt vmcnt(0) lgkmcnt(0)
	v_mul_f16_e32 v42, s28, v42
	s_branch .LBB253_106
.LBB253_105:
	v_mov_b32_e32 v42, 0
.LBB253_106:
	v_pk_max_f16 v43, v22, v22
	v_pk_max_f16 v63, v10, v10
	s_nop 0
	v_pk_min_f16 v43, v63, v43
	v_pk_max_f16 v63, v11, v11
	v_pk_add_f16 v43, v62, v43
	v_pk_max_f16 v62, v23, v23
	s_nop 0
	v_pk_min_f16 v62, v63, v62
	s_nop 0
	v_pk_add_f16 v43, v43, v62
	s_nop 0
	v_add_f16_sdwa v43, v43, v43 dst_sel:DWORD dst_unused:UNUSED_PAD src0_sel:DWORD src1_sel:WORD_1
	v_add_f16_e32 v62, v43, v42
	v_lshl_add_u64 v[42:43], v[34:35], 1, v[20:21]
	flat_store_short v[42:43], v62
	s_or_b64 exec, exec, s[26:27]
	s_and_b64 s[34:35], s[14:15], s[18:19]
	s_and_saveexec_b64 s[26:27], s[34:35]
	s_cbranch_execz .LBB253_82
.LBB253_107:
	s_and_b64 vcc, exec, s[0:1]
	s_cbranch_vccnz .LBB253_109
; %bb.108:
	v_lshl_add_u64 v[42:43], v[36:37], 1, v[40:41]
	flat_load_ushort v42, v[42:43]
	s_waitcnt vmcnt(0) lgkmcnt(0)
	v_mul_f16_e32 v42, s28, v42
	s_branch .LBB253_110
.LBB253_109:
	v_mov_b32_e32 v42, 0
.LBB253_110:
	v_pk_max_f16 v43, v22, v22
	v_pk_max_f16 v62, v0, v0
	s_nop 0
	v_pk_min_f16 v43, v62, v43
	v_pk_max_f16 v62, v1, v1
	v_pk_add_f16 v43, v61, v43
	v_pk_max_f16 v61, v23, v23
	s_nop 0
	v_pk_min_f16 v61, v62, v61
	s_nop 0
	v_pk_add_f16 v43, v43, v61
	s_nop 0
	v_add_f16_sdwa v43, v43, v43 dst_sel:DWORD dst_unused:UNUSED_PAD src0_sel:DWORD src1_sel:WORD_1
	v_add_f16_e32 v61, v43, v42
	v_lshl_add_u64 v[42:43], v[36:37], 1, v[20:21]
	flat_store_short v[42:43], v61
	s_or_b64 exec, exec, s[26:27]
	s_and_b64 s[26:27], s[16:17], s[18:19]
	s_and_saveexec_b64 s[18:19], s[26:27]
	s_cbranch_execz .LBB253_115
.LBB253_111:
	s_and_b64 vcc, exec, s[0:1]
	s_cbranch_vccnz .LBB253_113
; %bb.112:
	v_lshl_add_u64 v[40:41], v[38:39], 1, v[40:41]
	flat_load_ushort v40, v[40:41]
	s_waitcnt vmcnt(0) lgkmcnt(0)
	v_mul_f16_e32 v40, s28, v40
	s_branch .LBB253_114
.LBB253_113:
	v_mov_b32_e32 v40, 0
.LBB253_114:
	v_pk_max_f16 v22, v22, v22
	v_pk_max_f16 v41, v2, v2
	;; [unrolled: 1-line block ×3, first 2 shown]
	v_pk_min_f16 v22, v41, v22
	v_pk_max_f16 v41, v3, v3
	v_pk_add_f16 v22, v60, v22
	v_pk_min_f16 v23, v41, v23
	v_lshl_add_u64 v[20:21], v[38:39], 1, v[20:21]
	v_pk_add_f16 v22, v22, v23
	s_nop 0
	v_add_f16_sdwa v22, v22, v22 dst_sel:DWORD dst_unused:UNUSED_PAD src0_sel:DWORD src1_sel:WORD_1
	v_add_f16_e32 v22, v22, v40
	flat_store_short v[20:21], v22
.LBB253_115:
	s_or_b64 exec, exec, s[18:19]
	v_add_u32_e32 v40, 64, v69
	v_mad_i64_i32 v[20:21], s[26:27], v40, s30, 0
	v_cmp_gt_i32_e64 s[18:19], s21, v40
	v_lshl_add_u64 v[22:23], v[20:21], 1, s[24:25]
	v_mad_i64_i32 v[20:21], s[26:27], v40, s29, 0
	v_lshl_add_u64 v[20:21], v[20:21], 1, s[22:23]
	s_and_b64 s[34:35], s[2:3], s[18:19]
	s_and_saveexec_b64 s[26:27], s[34:35]
	s_cbranch_execnz .LBB253_123
; %bb.116:
	s_or_b64 exec, exec, s[26:27]
	s_and_b64 s[34:35], s[4:5], s[18:19]
	s_and_saveexec_b64 s[26:27], s[34:35]
	s_cbranch_execnz .LBB253_127
.LBB253_117:
	s_or_b64 exec, exec, s[26:27]
	s_and_b64 s[34:35], s[6:7], s[18:19]
	s_and_saveexec_b64 s[26:27], s[34:35]
	s_cbranch_execnz .LBB253_131
.LBB253_118:
	s_or_b64 exec, exec, s[26:27]
	s_and_b64 s[34:35], s[8:9], s[18:19]
	s_and_saveexec_b64 s[26:27], s[34:35]
	s_cbranch_execnz .LBB253_135
.LBB253_119:
	s_or_b64 exec, exec, s[26:27]
	s_and_b64 s[34:35], s[10:11], s[18:19]
	s_and_saveexec_b64 s[26:27], s[34:35]
	s_cbranch_execnz .LBB253_139
.LBB253_120:
	s_or_b64 exec, exec, s[26:27]
	s_and_b64 s[34:35], s[12:13], s[18:19]
	s_and_saveexec_b64 s[26:27], s[34:35]
	s_cbranch_execnz .LBB253_143
.LBB253_121:
	s_or_b64 exec, exec, s[26:27]
	s_and_b64 s[34:35], s[14:15], s[18:19]
	s_and_saveexec_b64 s[26:27], s[34:35]
	s_cbranch_execnz .LBB253_147
.LBB253_122:
	s_or_b64 exec, exec, s[26:27]
	s_and_b64 s[26:27], s[16:17], s[18:19]
	s_and_saveexec_b64 s[18:19], s[26:27]
	s_cbranch_execnz .LBB253_151
	s_branch .LBB253_155
.LBB253_123:
	s_and_b64 vcc, exec, s[0:1]
	s_cbranch_vccnz .LBB253_125
; %bb.124:
	v_lshl_add_u64 v[40:41], v[24:25], 1, v[22:23]
	flat_load_ushort v40, v[40:41]
	s_waitcnt vmcnt(0) lgkmcnt(0)
	v_mul_f16_e32 v40, s28, v40
	s_branch .LBB253_126
.LBB253_125:
	v_mov_b32_e32 v40, 0
.LBB253_126:
	v_pk_max_f16 v41, v4, v4
	v_pk_max_f16 v42, v16, v16
	;; [unrolled: 1-line block ×3, first 2 shown]
	v_pk_min_f16 v41, v42, v41
	v_pk_max_f16 v42, v5, v5
	v_pk_add_f16 v41, v59, v41
	v_pk_min_f16 v42, v43, v42
	s_nop 0
	v_pk_add_f16 v41, v41, v42
	s_nop 0
	v_add_f16_sdwa v41, v41, v41 dst_sel:DWORD dst_unused:UNUSED_PAD src0_sel:DWORD src1_sel:WORD_1
	v_add_f16_e32 v42, v41, v40
	v_lshl_add_u64 v[40:41], v[24:25], 1, v[20:21]
	flat_store_short v[40:41], v42
	s_or_b64 exec, exec, s[26:27]
	s_and_b64 s[34:35], s[4:5], s[18:19]
	s_and_saveexec_b64 s[26:27], s[34:35]
	s_cbranch_execz .LBB253_117
.LBB253_127:
	s_and_b64 vcc, exec, s[0:1]
	s_cbranch_vccnz .LBB253_129
; %bb.128:
	v_lshl_add_u64 v[40:41], v[26:27], 1, v[22:23]
	flat_load_ushort v40, v[40:41]
	s_waitcnt vmcnt(0) lgkmcnt(0)
	v_mul_f16_e32 v40, s28, v40
	s_branch .LBB253_130
.LBB253_129:
	v_mov_b32_e32 v40, 0
.LBB253_130:
	v_pk_max_f16 v41, v4, v4
	v_pk_max_f16 v42, v18, v18
	v_pk_max_f16 v43, v19, v19
	v_pk_min_f16 v41, v42, v41
	v_pk_max_f16 v42, v5, v5
	v_pk_add_f16 v41, v58, v41
	v_pk_min_f16 v42, v43, v42
	s_nop 0
	v_pk_add_f16 v41, v41, v42
	s_nop 0
	v_add_f16_sdwa v41, v41, v41 dst_sel:DWORD dst_unused:UNUSED_PAD src0_sel:DWORD src1_sel:WORD_1
	v_add_f16_e32 v42, v41, v40
	v_lshl_add_u64 v[40:41], v[26:27], 1, v[20:21]
	flat_store_short v[40:41], v42
	s_or_b64 exec, exec, s[26:27]
	s_and_b64 s[34:35], s[6:7], s[18:19]
	s_and_saveexec_b64 s[26:27], s[34:35]
	s_cbranch_execz .LBB253_118
.LBB253_131:
	s_and_b64 vcc, exec, s[0:1]
	s_cbranch_vccnz .LBB253_133
; %bb.132:
	v_lshl_add_u64 v[40:41], v[28:29], 1, v[22:23]
	flat_load_ushort v40, v[40:41]
	s_waitcnt vmcnt(0) lgkmcnt(0)
	v_mul_f16_e32 v40, s28, v40
	s_branch .LBB253_134
.LBB253_133:
	v_mov_b32_e32 v40, 0
.LBB253_134:
	v_pk_max_f16 v41, v4, v4
	v_pk_max_f16 v42, v12, v12
	;; [unrolled: 1-line block ×3, first 2 shown]
	v_pk_min_f16 v41, v42, v41
	v_pk_max_f16 v42, v5, v5
	v_pk_add_f16 v41, v57, v41
	v_pk_min_f16 v42, v43, v42
	s_nop 0
	v_pk_add_f16 v41, v41, v42
	s_nop 0
	v_add_f16_sdwa v41, v41, v41 dst_sel:DWORD dst_unused:UNUSED_PAD src0_sel:DWORD src1_sel:WORD_1
	v_add_f16_e32 v42, v41, v40
	v_lshl_add_u64 v[40:41], v[28:29], 1, v[20:21]
	flat_store_short v[40:41], v42
	s_or_b64 exec, exec, s[26:27]
	s_and_b64 s[34:35], s[8:9], s[18:19]
	s_and_saveexec_b64 s[26:27], s[34:35]
	s_cbranch_execz .LBB253_119
.LBB253_135:
	s_and_b64 vcc, exec, s[0:1]
	s_cbranch_vccnz .LBB253_137
; %bb.136:
	v_lshl_add_u64 v[40:41], v[30:31], 1, v[22:23]
	flat_load_ushort v40, v[40:41]
	s_waitcnt vmcnt(0) lgkmcnt(0)
	v_mul_f16_e32 v40, s28, v40
	s_branch .LBB253_138
.LBB253_137:
	v_mov_b32_e32 v40, 0
.LBB253_138:
	v_pk_max_f16 v41, v4, v4
	v_pk_max_f16 v42, v14, v14
	;; [unrolled: 1-line block ×3, first 2 shown]
	v_pk_min_f16 v41, v42, v41
	v_pk_max_f16 v42, v5, v5
	v_pk_add_f16 v41, v56, v41
	v_pk_min_f16 v42, v43, v42
	s_nop 0
	v_pk_add_f16 v41, v41, v42
	s_nop 0
	v_add_f16_sdwa v41, v41, v41 dst_sel:DWORD dst_unused:UNUSED_PAD src0_sel:DWORD src1_sel:WORD_1
	v_add_f16_e32 v42, v41, v40
	v_lshl_add_u64 v[40:41], v[30:31], 1, v[20:21]
	flat_store_short v[40:41], v42
	s_or_b64 exec, exec, s[26:27]
	s_and_b64 s[34:35], s[10:11], s[18:19]
	s_and_saveexec_b64 s[26:27], s[34:35]
	s_cbranch_execz .LBB253_120
.LBB253_139:
	s_and_b64 vcc, exec, s[0:1]
	s_cbranch_vccnz .LBB253_141
; %bb.140:
	v_lshl_add_u64 v[40:41], v[32:33], 1, v[22:23]
	flat_load_ushort v40, v[40:41]
	s_waitcnt vmcnt(0) lgkmcnt(0)
	v_mul_f16_e32 v40, s28, v40
	s_branch .LBB253_142
.LBB253_141:
	v_mov_b32_e32 v40, 0
.LBB253_142:
	v_pk_max_f16 v41, v4, v4
	v_pk_max_f16 v42, v8, v8
	;; [unrolled: 1-line block ×3, first 2 shown]
	v_pk_min_f16 v41, v42, v41
	v_pk_max_f16 v42, v5, v5
	v_pk_add_f16 v41, v55, v41
	v_pk_min_f16 v42, v43, v42
	s_nop 0
	v_pk_add_f16 v41, v41, v42
	s_nop 0
	v_add_f16_sdwa v41, v41, v41 dst_sel:DWORD dst_unused:UNUSED_PAD src0_sel:DWORD src1_sel:WORD_1
	v_add_f16_e32 v42, v41, v40
	v_lshl_add_u64 v[40:41], v[32:33], 1, v[20:21]
	flat_store_short v[40:41], v42
	s_or_b64 exec, exec, s[26:27]
	s_and_b64 s[34:35], s[12:13], s[18:19]
	s_and_saveexec_b64 s[26:27], s[34:35]
	s_cbranch_execz .LBB253_121
.LBB253_143:
	s_and_b64 vcc, exec, s[0:1]
	s_cbranch_vccnz .LBB253_145
; %bb.144:
	v_lshl_add_u64 v[40:41], v[34:35], 1, v[22:23]
	flat_load_ushort v40, v[40:41]
	s_waitcnt vmcnt(0) lgkmcnt(0)
	v_mul_f16_e32 v40, s28, v40
	s_branch .LBB253_146
.LBB253_145:
	v_mov_b32_e32 v40, 0
.LBB253_146:
	v_pk_max_f16 v41, v4, v4
	v_pk_max_f16 v42, v10, v10
	;; [unrolled: 1-line block ×3, first 2 shown]
	v_pk_min_f16 v41, v42, v41
	v_pk_max_f16 v42, v5, v5
	v_pk_add_f16 v41, v54, v41
	v_pk_min_f16 v42, v43, v42
	s_nop 0
	v_pk_add_f16 v41, v41, v42
	s_nop 0
	v_add_f16_sdwa v41, v41, v41 dst_sel:DWORD dst_unused:UNUSED_PAD src0_sel:DWORD src1_sel:WORD_1
	v_add_f16_e32 v42, v41, v40
	v_lshl_add_u64 v[40:41], v[34:35], 1, v[20:21]
	flat_store_short v[40:41], v42
	s_or_b64 exec, exec, s[26:27]
	s_and_b64 s[34:35], s[14:15], s[18:19]
	s_and_saveexec_b64 s[26:27], s[34:35]
	s_cbranch_execz .LBB253_122
.LBB253_147:
	s_and_b64 vcc, exec, s[0:1]
	s_cbranch_vccnz .LBB253_149
; %bb.148:
	v_lshl_add_u64 v[40:41], v[36:37], 1, v[22:23]
	flat_load_ushort v40, v[40:41]
	s_waitcnt vmcnt(0) lgkmcnt(0)
	v_mul_f16_e32 v40, s28, v40
	s_branch .LBB253_150
.LBB253_149:
	v_mov_b32_e32 v40, 0
.LBB253_150:
	v_pk_max_f16 v41, v4, v4
	v_pk_max_f16 v42, v0, v0
	;; [unrolled: 1-line block ×3, first 2 shown]
	v_pk_min_f16 v41, v42, v41
	v_pk_max_f16 v42, v5, v5
	v_pk_add_f16 v41, v53, v41
	v_pk_min_f16 v42, v43, v42
	s_nop 0
	v_pk_add_f16 v41, v41, v42
	s_nop 0
	v_add_f16_sdwa v41, v41, v41 dst_sel:DWORD dst_unused:UNUSED_PAD src0_sel:DWORD src1_sel:WORD_1
	v_add_f16_e32 v42, v41, v40
	v_lshl_add_u64 v[40:41], v[36:37], 1, v[20:21]
	flat_store_short v[40:41], v42
	s_or_b64 exec, exec, s[26:27]
	s_and_b64 s[26:27], s[16:17], s[18:19]
	s_and_saveexec_b64 s[18:19], s[26:27]
	s_cbranch_execz .LBB253_155
.LBB253_151:
	s_and_b64 vcc, exec, s[0:1]
	s_cbranch_vccnz .LBB253_153
; %bb.152:
	v_lshl_add_u64 v[22:23], v[38:39], 1, v[22:23]
	flat_load_ushort v22, v[22:23]
	s_waitcnt vmcnt(0) lgkmcnt(0)
	v_mul_f16_e32 v22, s28, v22
	s_branch .LBB253_154
.LBB253_153:
	v_mov_b32_e32 v22, 0
.LBB253_154:
	v_pk_max_f16 v4, v4, v4
	v_pk_max_f16 v23, v2, v2
	;; [unrolled: 1-line block ×3, first 2 shown]
	v_pk_min_f16 v4, v23, v4
	v_pk_max_f16 v23, v3, v3
	v_pk_add_f16 v4, v52, v4
	v_pk_min_f16 v5, v23, v5
	s_nop 0
	v_pk_add_f16 v4, v4, v5
	s_nop 0
	v_add_f16_sdwa v4, v4, v4 dst_sel:DWORD dst_unused:UNUSED_PAD src0_sel:DWORD src1_sel:WORD_1
	v_add_f16_e32 v22, v4, v22
	v_lshl_add_u64 v[4:5], v[38:39], 1, v[20:21]
	flat_store_short v[4:5], v22
.LBB253_155:
	s_or_b64 exec, exec, s[18:19]
	v_add_u32_e32 v22, 0x60, v69
	v_cmp_gt_i32_e64 s[18:19], s21, v22
	v_mad_i64_i32 v[4:5], s[20:21], v22, s30, 0
	v_lshl_add_u64 v[20:21], v[4:5], 1, s[24:25]
	v_mad_i64_i32 v[4:5], s[20:21], v22, s29, 0
	v_lshl_add_u64 v[4:5], v[4:5], 1, s[22:23]
	s_and_b64 s[20:21], s[2:3], s[18:19]
	s_and_saveexec_b64 s[2:3], s[20:21]
	s_cbranch_execnz .LBB253_164
; %bb.156:
	s_or_b64 exec, exec, s[2:3]
	s_and_b64 s[4:5], s[4:5], s[18:19]
	s_and_saveexec_b64 s[2:3], s[4:5]
	s_cbranch_execnz .LBB253_168
.LBB253_157:
	s_or_b64 exec, exec, s[2:3]
	s_and_b64 s[4:5], s[6:7], s[18:19]
	s_and_saveexec_b64 s[2:3], s[4:5]
	s_cbranch_execnz .LBB253_172
.LBB253_158:
	s_or_b64 exec, exec, s[2:3]
	s_and_b64 s[4:5], s[8:9], s[18:19]
	s_and_saveexec_b64 s[2:3], s[4:5]
	s_cbranch_execnz .LBB253_176
.LBB253_159:
	s_or_b64 exec, exec, s[2:3]
	s_and_b64 s[4:5], s[10:11], s[18:19]
	s_and_saveexec_b64 s[2:3], s[4:5]
	s_cbranch_execnz .LBB253_180
.LBB253_160:
	s_or_b64 exec, exec, s[2:3]
	s_and_b64 s[4:5], s[12:13], s[18:19]
	s_and_saveexec_b64 s[2:3], s[4:5]
	s_cbranch_execnz .LBB253_184
.LBB253_161:
	s_or_b64 exec, exec, s[2:3]
	s_and_b64 s[4:5], s[14:15], s[18:19]
	s_and_saveexec_b64 s[2:3], s[4:5]
	s_cbranch_execnz .LBB253_188
.LBB253_162:
	s_or_b64 exec, exec, s[2:3]
	s_and_b64 s[2:3], s[16:17], s[18:19]
	s_and_saveexec_b64 s[4:5], s[2:3]
	s_cbranch_execnz .LBB253_192
.LBB253_163:
	s_endpgm
.LBB253_164:
	s_and_b64 vcc, exec, s[0:1]
	s_cbranch_vccnz .LBB253_166
; %bb.165:
	v_lshl_add_u64 v[22:23], v[24:25], 1, v[20:21]
	flat_load_ushort v22, v[22:23]
	s_waitcnt vmcnt(0) lgkmcnt(0)
	v_mul_f16_e32 v22, s28, v22
	s_branch .LBB253_167
.LBB253_166:
	v_mov_b32_e32 v22, 0
.LBB253_167:
	v_pk_max_f16 v23, v6, v6
	v_pk_max_f16 v16, v16, v16
	;; [unrolled: 1-line block ×3, first 2 shown]
	v_pk_min_f16 v16, v16, v23
	v_pk_max_f16 v23, v7, v7
	v_pk_add_f16 v16, v51, v16
	v_pk_min_f16 v17, v17, v23
	s_nop 0
	v_pk_add_f16 v16, v16, v17
	s_nop 0
	v_add_f16_sdwa v16, v16, v16 dst_sel:DWORD dst_unused:UNUSED_PAD src0_sel:DWORD src1_sel:WORD_1
	v_add_f16_e32 v22, v16, v22
	v_lshl_add_u64 v[16:17], v[24:25], 1, v[4:5]
	flat_store_short v[16:17], v22
	s_or_b64 exec, exec, s[2:3]
	s_and_b64 s[4:5], s[4:5], s[18:19]
	s_and_saveexec_b64 s[2:3], s[4:5]
	s_cbranch_execz .LBB253_157
.LBB253_168:
	s_and_b64 vcc, exec, s[0:1]
	s_cbranch_vccnz .LBB253_170
; %bb.169:
	v_lshl_add_u64 v[16:17], v[26:27], 1, v[20:21]
	flat_load_ushort v16, v[16:17]
	s_waitcnt vmcnt(0) lgkmcnt(0)
	v_mul_f16_e32 v16, s28, v16
	s_branch .LBB253_171
.LBB253_170:
	v_mov_b32_e32 v16, 0
.LBB253_171:
	v_pk_max_f16 v17, v6, v6
	v_pk_max_f16 v18, v18, v18
	;; [unrolled: 1-line block ×3, first 2 shown]
	v_pk_min_f16 v17, v18, v17
	v_pk_max_f16 v18, v7, v7
	v_pk_add_f16 v17, v50, v17
	v_pk_min_f16 v18, v19, v18
	s_nop 0
	v_pk_add_f16 v17, v17, v18
	s_nop 0
	v_add_f16_sdwa v17, v17, v17 dst_sel:DWORD dst_unused:UNUSED_PAD src0_sel:DWORD src1_sel:WORD_1
	v_add_f16_e32 v18, v17, v16
	v_lshl_add_u64 v[16:17], v[26:27], 1, v[4:5]
	flat_store_short v[16:17], v18
	s_or_b64 exec, exec, s[2:3]
	s_and_b64 s[4:5], s[6:7], s[18:19]
	s_and_saveexec_b64 s[2:3], s[4:5]
	s_cbranch_execz .LBB253_158
.LBB253_172:
	s_and_b64 vcc, exec, s[0:1]
	s_cbranch_vccnz .LBB253_174
; %bb.173:
	v_lshl_add_u64 v[16:17], v[28:29], 1, v[20:21]
	flat_load_ushort v16, v[16:17]
	s_waitcnt vmcnt(0) lgkmcnt(0)
	v_mul_f16_e32 v16, s28, v16
	s_branch .LBB253_175
.LBB253_174:
	v_mov_b32_e32 v16, 0
.LBB253_175:
	v_pk_max_f16 v17, v6, v6
	v_pk_max_f16 v12, v12, v12
	;; [unrolled: 1-line block ×3, first 2 shown]
	v_pk_min_f16 v12, v12, v17
	v_pk_max_f16 v17, v7, v7
	v_pk_add_f16 v12, v49, v12
	v_pk_min_f16 v13, v13, v17
	s_nop 0
	v_pk_add_f16 v12, v12, v13
	s_nop 0
	v_add_f16_sdwa v12, v12, v12 dst_sel:DWORD dst_unused:UNUSED_PAD src0_sel:DWORD src1_sel:WORD_1
	v_add_f16_e32 v16, v12, v16
	v_lshl_add_u64 v[12:13], v[28:29], 1, v[4:5]
	flat_store_short v[12:13], v16
	s_or_b64 exec, exec, s[2:3]
	s_and_b64 s[4:5], s[8:9], s[18:19]
	s_and_saveexec_b64 s[2:3], s[4:5]
	s_cbranch_execz .LBB253_159
.LBB253_176:
	s_and_b64 vcc, exec, s[0:1]
	s_cbranch_vccnz .LBB253_178
; %bb.177:
	v_lshl_add_u64 v[12:13], v[30:31], 1, v[20:21]
	flat_load_ushort v12, v[12:13]
	s_waitcnt vmcnt(0) lgkmcnt(0)
	v_mul_f16_e32 v12, s28, v12
	s_branch .LBB253_179
.LBB253_178:
	v_mov_b32_e32 v12, 0
.LBB253_179:
	v_pk_max_f16 v13, v6, v6
	v_pk_max_f16 v14, v14, v14
	;; [unrolled: 1-line block ×3, first 2 shown]
	v_pk_min_f16 v13, v14, v13
	v_pk_max_f16 v14, v7, v7
	v_pk_add_f16 v13, v48, v13
	v_pk_min_f16 v14, v15, v14
	s_nop 0
	v_pk_add_f16 v13, v13, v14
	s_nop 0
	v_add_f16_sdwa v13, v13, v13 dst_sel:DWORD dst_unused:UNUSED_PAD src0_sel:DWORD src1_sel:WORD_1
	v_add_f16_e32 v14, v13, v12
	v_lshl_add_u64 v[12:13], v[30:31], 1, v[4:5]
	flat_store_short v[12:13], v14
	s_or_b64 exec, exec, s[2:3]
	s_and_b64 s[4:5], s[10:11], s[18:19]
	s_and_saveexec_b64 s[2:3], s[4:5]
	s_cbranch_execz .LBB253_160
.LBB253_180:
	s_and_b64 vcc, exec, s[0:1]
	s_cbranch_vccnz .LBB253_182
; %bb.181:
	v_lshl_add_u64 v[12:13], v[32:33], 1, v[20:21]
	flat_load_ushort v12, v[12:13]
	s_waitcnt vmcnt(0) lgkmcnt(0)
	v_mul_f16_e32 v12, s28, v12
	s_branch .LBB253_183
.LBB253_182:
	v_mov_b32_e32 v12, 0
.LBB253_183:
	v_pk_max_f16 v13, v6, v6
	v_pk_max_f16 v8, v8, v8
	;; [unrolled: 1-line block ×3, first 2 shown]
	v_pk_min_f16 v8, v8, v13
	v_pk_max_f16 v13, v7, v7
	v_pk_add_f16 v8, v47, v8
	v_pk_min_f16 v9, v9, v13
	s_nop 0
	v_pk_add_f16 v8, v8, v9
	s_nop 0
	v_add_f16_sdwa v8, v8, v8 dst_sel:DWORD dst_unused:UNUSED_PAD src0_sel:DWORD src1_sel:WORD_1
	v_add_f16_e32 v12, v8, v12
	v_lshl_add_u64 v[8:9], v[32:33], 1, v[4:5]
	flat_store_short v[8:9], v12
	s_or_b64 exec, exec, s[2:3]
	s_and_b64 s[4:5], s[12:13], s[18:19]
	s_and_saveexec_b64 s[2:3], s[4:5]
	s_cbranch_execz .LBB253_161
.LBB253_184:
	s_and_b64 vcc, exec, s[0:1]
	s_cbranch_vccnz .LBB253_186
; %bb.185:
	v_lshl_add_u64 v[8:9], v[34:35], 1, v[20:21]
	flat_load_ushort v8, v[8:9]
	s_waitcnt vmcnt(0) lgkmcnt(0)
	v_mul_f16_e32 v8, s28, v8
	s_branch .LBB253_187
.LBB253_186:
	v_mov_b32_e32 v8, 0
.LBB253_187:
	v_pk_max_f16 v9, v6, v6
	v_pk_max_f16 v10, v10, v10
	;; [unrolled: 1-line block ×3, first 2 shown]
	v_pk_min_f16 v9, v10, v9
	v_pk_max_f16 v10, v7, v7
	v_pk_add_f16 v9, v46, v9
	v_pk_min_f16 v10, v11, v10
	s_nop 0
	v_pk_add_f16 v9, v9, v10
	s_nop 0
	v_add_f16_sdwa v9, v9, v9 dst_sel:DWORD dst_unused:UNUSED_PAD src0_sel:DWORD src1_sel:WORD_1
	v_add_f16_e32 v10, v9, v8
	v_lshl_add_u64 v[8:9], v[34:35], 1, v[4:5]
	flat_store_short v[8:9], v10
	s_or_b64 exec, exec, s[2:3]
	s_and_b64 s[4:5], s[14:15], s[18:19]
	s_and_saveexec_b64 s[2:3], s[4:5]
	s_cbranch_execz .LBB253_162
.LBB253_188:
	s_and_b64 vcc, exec, s[0:1]
	s_cbranch_vccnz .LBB253_190
; %bb.189:
	v_lshl_add_u64 v[8:9], v[36:37], 1, v[20:21]
	flat_load_ushort v8, v[8:9]
	s_waitcnt vmcnt(0) lgkmcnt(0)
	v_mul_f16_e32 v8, s28, v8
	s_branch .LBB253_191
.LBB253_190:
	v_mov_b32_e32 v8, 0
.LBB253_191:
	v_pk_max_f16 v9, v6, v6
	v_pk_max_f16 v0, v0, v0
	;; [unrolled: 1-line block ×3, first 2 shown]
	v_pk_min_f16 v0, v0, v9
	v_pk_max_f16 v9, v7, v7
	v_pk_add_f16 v0, v45, v0
	v_pk_min_f16 v1, v1, v9
	s_nop 0
	v_pk_add_f16 v0, v0, v1
	s_nop 0
	v_add_f16_sdwa v0, v0, v0 dst_sel:DWORD dst_unused:UNUSED_PAD src0_sel:DWORD src1_sel:WORD_1
	v_add_f16_e32 v8, v0, v8
	v_lshl_add_u64 v[0:1], v[36:37], 1, v[4:5]
	flat_store_short v[0:1], v8
	s_or_b64 exec, exec, s[2:3]
	s_and_b64 s[2:3], s[16:17], s[18:19]
	s_and_saveexec_b64 s[4:5], s[2:3]
	s_cbranch_execz .LBB253_163
.LBB253_192:
	s_and_b64 vcc, exec, s[0:1]
	s_cbranch_vccnz .LBB253_194
; %bb.193:
	v_lshl_add_u64 v[0:1], v[38:39], 1, v[20:21]
	flat_load_ushort v0, v[0:1]
	s_waitcnt vmcnt(0) lgkmcnt(0)
	v_mul_f16_e32 v0, s28, v0
	s_branch .LBB253_195
.LBB253_194:
	v_mov_b32_e32 v0, 0
.LBB253_195:
	v_pk_max_f16 v1, v6, v6
	v_pk_max_f16 v2, v2, v2
	;; [unrolled: 1-line block ×3, first 2 shown]
	v_pk_min_f16 v1, v2, v1
	v_pk_max_f16 v2, v7, v7
	v_pk_add_f16 v1, v44, v1
	v_pk_min_f16 v2, v3, v2
	s_nop 0
	v_pk_add_f16 v1, v1, v2
	s_nop 0
	v_add_f16_sdwa v1, v1, v1 dst_sel:DWORD dst_unused:UNUSED_PAD src0_sel:DWORD src1_sel:WORD_1
	v_add_f16_e32 v2, v1, v0
	v_lshl_add_u64 v[0:1], v[38:39], 1, v[4:5]
	flat_store_short v[0:1], v2
	s_endpgm
	.section	.rodata,"a",@progbits
	.p2align	6, 0x0
	.amdhsa_kernel _ZN12_GLOBAL__N_120geam_min_plus_kernelIDF16_Dv2_DF16_S1_Li8ELi32ELi64ELi128ELi4ELi4ELi64ELi64ELi4ELc84ELc84ELb1ELb1ELb0EDF16_KPKDF16_KPDF16_EEviiiT16_PT17_ilS9_ilS7_S9_ilPT18_ili26rocblas_geam_ex_operation_
		.amdhsa_group_segment_fixed_size 3072
		.amdhsa_private_segment_fixed_size 0
		.amdhsa_kernarg_size 128
		.amdhsa_user_sgpr_count 2
		.amdhsa_user_sgpr_dispatch_ptr 0
		.amdhsa_user_sgpr_queue_ptr 0
		.amdhsa_user_sgpr_kernarg_segment_ptr 1
		.amdhsa_user_sgpr_dispatch_id 0
		.amdhsa_user_sgpr_kernarg_preload_length 0
		.amdhsa_user_sgpr_kernarg_preload_offset 0
		.amdhsa_user_sgpr_private_segment_size 0
		.amdhsa_uses_dynamic_stack 0
		.amdhsa_enable_private_segment 0
		.amdhsa_system_sgpr_workgroup_id_x 1
		.amdhsa_system_sgpr_workgroup_id_y 0
		.amdhsa_system_sgpr_workgroup_id_z 1
		.amdhsa_system_sgpr_workgroup_info 0
		.amdhsa_system_vgpr_workitem_id 1
		.amdhsa_next_free_vgpr 122
		.amdhsa_next_free_sgpr 36
		.amdhsa_accum_offset 124
		.amdhsa_reserve_vcc 1
		.amdhsa_float_round_mode_32 0
		.amdhsa_float_round_mode_16_64 0
		.amdhsa_float_denorm_mode_32 3
		.amdhsa_float_denorm_mode_16_64 3
		.amdhsa_dx10_clamp 1
		.amdhsa_ieee_mode 1
		.amdhsa_fp16_overflow 0
		.amdhsa_tg_split 0
		.amdhsa_exception_fp_ieee_invalid_op 0
		.amdhsa_exception_fp_denorm_src 0
		.amdhsa_exception_fp_ieee_div_zero 0
		.amdhsa_exception_fp_ieee_overflow 0
		.amdhsa_exception_fp_ieee_underflow 0
		.amdhsa_exception_fp_ieee_inexact 0
		.amdhsa_exception_int_div_zero 0
	.end_amdhsa_kernel
	.section	.text._ZN12_GLOBAL__N_120geam_min_plus_kernelIDF16_Dv2_DF16_S1_Li8ELi32ELi64ELi128ELi4ELi4ELi64ELi64ELi4ELc84ELc84ELb1ELb1ELb0EDF16_KPKDF16_KPDF16_EEviiiT16_PT17_ilS9_ilS7_S9_ilPT18_ili26rocblas_geam_ex_operation_,"axG",@progbits,_ZN12_GLOBAL__N_120geam_min_plus_kernelIDF16_Dv2_DF16_S1_Li8ELi32ELi64ELi128ELi4ELi4ELi64ELi64ELi4ELc84ELc84ELb1ELb1ELb0EDF16_KPKDF16_KPDF16_EEviiiT16_PT17_ilS9_ilS7_S9_ilPT18_ili26rocblas_geam_ex_operation_,comdat
.Lfunc_end253:
	.size	_ZN12_GLOBAL__N_120geam_min_plus_kernelIDF16_Dv2_DF16_S1_Li8ELi32ELi64ELi128ELi4ELi4ELi64ELi64ELi4ELc84ELc84ELb1ELb1ELb0EDF16_KPKDF16_KPDF16_EEviiiT16_PT17_ilS9_ilS7_S9_ilPT18_ili26rocblas_geam_ex_operation_, .Lfunc_end253-_ZN12_GLOBAL__N_120geam_min_plus_kernelIDF16_Dv2_DF16_S1_Li8ELi32ELi64ELi128ELi4ELi4ELi64ELi64ELi4ELc84ELc84ELb1ELb1ELb0EDF16_KPKDF16_KPDF16_EEviiiT16_PT17_ilS9_ilS7_S9_ilPT18_ili26rocblas_geam_ex_operation_
                                        ; -- End function
	.set _ZN12_GLOBAL__N_120geam_min_plus_kernelIDF16_Dv2_DF16_S1_Li8ELi32ELi64ELi128ELi4ELi4ELi64ELi64ELi4ELc84ELc84ELb1ELb1ELb0EDF16_KPKDF16_KPDF16_EEviiiT16_PT17_ilS9_ilS7_S9_ilPT18_ili26rocblas_geam_ex_operation_.num_vgpr, 122
	.set _ZN12_GLOBAL__N_120geam_min_plus_kernelIDF16_Dv2_DF16_S1_Li8ELi32ELi64ELi128ELi4ELi4ELi64ELi64ELi4ELc84ELc84ELb1ELb1ELb0EDF16_KPKDF16_KPDF16_EEviiiT16_PT17_ilS9_ilS7_S9_ilPT18_ili26rocblas_geam_ex_operation_.num_agpr, 0
	.set _ZN12_GLOBAL__N_120geam_min_plus_kernelIDF16_Dv2_DF16_S1_Li8ELi32ELi64ELi128ELi4ELi4ELi64ELi64ELi4ELc84ELc84ELb1ELb1ELb0EDF16_KPKDF16_KPDF16_EEviiiT16_PT17_ilS9_ilS7_S9_ilPT18_ili26rocblas_geam_ex_operation_.numbered_sgpr, 36
	.set _ZN12_GLOBAL__N_120geam_min_plus_kernelIDF16_Dv2_DF16_S1_Li8ELi32ELi64ELi128ELi4ELi4ELi64ELi64ELi4ELc84ELc84ELb1ELb1ELb0EDF16_KPKDF16_KPDF16_EEviiiT16_PT17_ilS9_ilS7_S9_ilPT18_ili26rocblas_geam_ex_operation_.num_named_barrier, 0
	.set _ZN12_GLOBAL__N_120geam_min_plus_kernelIDF16_Dv2_DF16_S1_Li8ELi32ELi64ELi128ELi4ELi4ELi64ELi64ELi4ELc84ELc84ELb1ELb1ELb0EDF16_KPKDF16_KPDF16_EEviiiT16_PT17_ilS9_ilS7_S9_ilPT18_ili26rocblas_geam_ex_operation_.private_seg_size, 0
	.set _ZN12_GLOBAL__N_120geam_min_plus_kernelIDF16_Dv2_DF16_S1_Li8ELi32ELi64ELi128ELi4ELi4ELi64ELi64ELi4ELc84ELc84ELb1ELb1ELb0EDF16_KPKDF16_KPDF16_EEviiiT16_PT17_ilS9_ilS7_S9_ilPT18_ili26rocblas_geam_ex_operation_.uses_vcc, 1
	.set _ZN12_GLOBAL__N_120geam_min_plus_kernelIDF16_Dv2_DF16_S1_Li8ELi32ELi64ELi128ELi4ELi4ELi64ELi64ELi4ELc84ELc84ELb1ELb1ELb0EDF16_KPKDF16_KPDF16_EEviiiT16_PT17_ilS9_ilS7_S9_ilPT18_ili26rocblas_geam_ex_operation_.uses_flat_scratch, 0
	.set _ZN12_GLOBAL__N_120geam_min_plus_kernelIDF16_Dv2_DF16_S1_Li8ELi32ELi64ELi128ELi4ELi4ELi64ELi64ELi4ELc84ELc84ELb1ELb1ELb0EDF16_KPKDF16_KPDF16_EEviiiT16_PT17_ilS9_ilS7_S9_ilPT18_ili26rocblas_geam_ex_operation_.has_dyn_sized_stack, 0
	.set _ZN12_GLOBAL__N_120geam_min_plus_kernelIDF16_Dv2_DF16_S1_Li8ELi32ELi64ELi128ELi4ELi4ELi64ELi64ELi4ELc84ELc84ELb1ELb1ELb0EDF16_KPKDF16_KPDF16_EEviiiT16_PT17_ilS9_ilS7_S9_ilPT18_ili26rocblas_geam_ex_operation_.has_recursion, 0
	.set _ZN12_GLOBAL__N_120geam_min_plus_kernelIDF16_Dv2_DF16_S1_Li8ELi32ELi64ELi128ELi4ELi4ELi64ELi64ELi4ELc84ELc84ELb1ELb1ELb0EDF16_KPKDF16_KPDF16_EEviiiT16_PT17_ilS9_ilS7_S9_ilPT18_ili26rocblas_geam_ex_operation_.has_indirect_call, 0
	.section	.AMDGPU.csdata,"",@progbits
; Kernel info:
; codeLenInByte = 11212
; TotalNumSgprs: 42
; NumVgprs: 122
; NumAgprs: 0
; TotalNumVgprs: 122
; ScratchSize: 0
; MemoryBound: 0
; FloatMode: 240
; IeeeMode: 1
; LDSByteSize: 3072 bytes/workgroup (compile time only)
; SGPRBlocks: 5
; VGPRBlocks: 15
; NumSGPRsForWavesPerEU: 42
; NumVGPRsForWavesPerEU: 122
; AccumOffset: 124
; Occupancy: 4
; WaveLimiterHint : 1
; COMPUTE_PGM_RSRC2:SCRATCH_EN: 0
; COMPUTE_PGM_RSRC2:USER_SGPR: 2
; COMPUTE_PGM_RSRC2:TRAP_HANDLER: 0
; COMPUTE_PGM_RSRC2:TGID_X_EN: 1
; COMPUTE_PGM_RSRC2:TGID_Y_EN: 0
; COMPUTE_PGM_RSRC2:TGID_Z_EN: 1
; COMPUTE_PGM_RSRC2:TIDIG_COMP_CNT: 1
; COMPUTE_PGM_RSRC3_GFX90A:ACCUM_OFFSET: 30
; COMPUTE_PGM_RSRC3_GFX90A:TG_SPLIT: 0
	.section	.text._ZN12_GLOBAL__N_120geam_min_plus_kernelIDF16_Dv2_DF16_S1_Li8ELi32ELi64ELi128ELi4ELi4ELi64ELi64ELi4ELc84ELc84ELb0ELb1ELb0EDF16_KPKDF16_KPDF16_EEviiiT16_PT17_ilS9_ilS7_S9_ilPT18_ili26rocblas_geam_ex_operation_,"axG",@progbits,_ZN12_GLOBAL__N_120geam_min_plus_kernelIDF16_Dv2_DF16_S1_Li8ELi32ELi64ELi128ELi4ELi4ELi64ELi64ELi4ELc84ELc84ELb0ELb1ELb0EDF16_KPKDF16_KPDF16_EEviiiT16_PT17_ilS9_ilS7_S9_ilPT18_ili26rocblas_geam_ex_operation_,comdat
	.globl	_ZN12_GLOBAL__N_120geam_min_plus_kernelIDF16_Dv2_DF16_S1_Li8ELi32ELi64ELi128ELi4ELi4ELi64ELi64ELi4ELc84ELc84ELb0ELb1ELb0EDF16_KPKDF16_KPDF16_EEviiiT16_PT17_ilS9_ilS7_S9_ilPT18_ili26rocblas_geam_ex_operation_ ; -- Begin function _ZN12_GLOBAL__N_120geam_min_plus_kernelIDF16_Dv2_DF16_S1_Li8ELi32ELi64ELi128ELi4ELi4ELi64ELi64ELi4ELc84ELc84ELb0ELb1ELb0EDF16_KPKDF16_KPDF16_EEviiiT16_PT17_ilS9_ilS7_S9_ilPT18_ili26rocblas_geam_ex_operation_
	.p2align	8
	.type	_ZN12_GLOBAL__N_120geam_min_plus_kernelIDF16_Dv2_DF16_S1_Li8ELi32ELi64ELi128ELi4ELi4ELi64ELi64ELi4ELc84ELc84ELb0ELb1ELb0EDF16_KPKDF16_KPDF16_EEviiiT16_PT17_ilS9_ilS7_S9_ilPT18_ili26rocblas_geam_ex_operation_,@function
_ZN12_GLOBAL__N_120geam_min_plus_kernelIDF16_Dv2_DF16_S1_Li8ELi32ELi64ELi128ELi4ELi4ELi64ELi64ELi4ELc84ELc84ELb0ELb1ELb0EDF16_KPKDF16_KPDF16_EEviiiT16_PT17_ilS9_ilS7_S9_ilPT18_ili26rocblas_geam_ex_operation_: ; @_ZN12_GLOBAL__N_120geam_min_plus_kernelIDF16_Dv2_DF16_S1_Li8ELi32ELi64ELi128ELi4ELi4ELi64ELi64ELi4ELc84ELc84ELb0ELb1ELb0EDF16_KPKDF16_KPDF16_EEviiiT16_PT17_ilS9_ilS7_S9_ilPT18_ili26rocblas_geam_ex_operation_
; %bb.0:
	s_load_dwordx4 s[20:23], s[0:1], 0x0
	s_load_dwordx4 s[4:7], s[0:1], 0x20
	s_mov_b32 s8, s3
	s_mov_b32 s9, 0
	s_waitcnt lgkmcnt(0)
	v_cmp_eq_f16_e64 s[12:13], s23, 0
	v_cmp_neq_f16_e64 s[10:11], s23, 0
	s_and_b64 vcc, exec, s[12:13]
	s_cbranch_vccnz .LBB254_3
; %bb.1:
	s_load_dwordx2 s[14:15], s[0:1], 0x10
	s_lshl_b64 s[16:17], s[8:9], 3
	s_waitcnt lgkmcnt(0)
	s_add_u32 s14, s14, s16
	s_addc_u32 s15, s15, s17
	s_load_dwordx2 s[14:15], s[14:15], 0x0
	s_lshl_b64 s[4:5], s[4:5], 1
	s_waitcnt lgkmcnt(0)
	s_add_u32 s18, s14, s4
	s_addc_u32 s19, s15, s5
	s_andn2_b64 vcc, exec, s[12:13]
	s_cbranch_vccnz .LBB254_4
.LBB254_2:
	s_mov_b32 s15, 0
	s_mov_b32 s14, s8
	s_mov_b64 s[24:25], 0
	s_mov_b64 s[12:13], 0
	s_cbranch_execz .LBB254_5
	s_branch .LBB254_6
.LBB254_3:
	s_mov_b64 s[18:19], 0
	s_andn2_b64 vcc, exec, s[12:13]
	s_cbranch_vccz .LBB254_2
.LBB254_4:
	s_mov_b64 s[14:15], s[8:9]
	s_mov_b64 s[24:25], 0
	;; [unrolled: 1-line block ×3, first 2 shown]
.LBB254_5:
	s_lshl_b64 s[8:9], s[8:9], 3
	s_add_u32 s6, s6, s8
	s_load_dwordx2 s[4:5], s[0:1], 0x38
	s_addc_u32 s7, s7, s9
	s_load_dwordx2 s[6:7], s[6:7], 0x0
	s_waitcnt lgkmcnt(0)
	s_lshl_b64 s[4:5], s[4:5], 1
	s_add_u32 s12, s6, s4
	s_addc_u32 s13, s7, s5
.LBB254_6:
	s_load_dword s28, s[0:1], 0x40
	s_load_dwordx4 s[4:7], s[0:1], 0x58
	s_waitcnt lgkmcnt(0)
	v_cmp_eq_f16_e64 s[16:17], s28, 0
	v_cmp_neq_f16_e64 s[8:9], s28, 0
	s_and_b64 vcc, exec, s[16:17]
	s_cbranch_vccnz .LBB254_8
; %bb.7:
	s_load_dwordx2 s[16:17], s[0:1], 0x48
	s_lshl_b64 s[24:25], s[14:15], 3
	s_waitcnt lgkmcnt(0)
	s_add_u32 s16, s16, s24
	s_addc_u32 s17, s17, s25
	s_load_dwordx2 s[16:17], s[16:17], 0x0
	s_lshl_b64 s[4:5], s[4:5], 1
	s_waitcnt lgkmcnt(0)
	s_add_u32 s24, s16, s4
	s_addc_u32 s25, s17, s5
.LBB254_8:
	s_lshl_b64 s[4:5], s[14:15], 3
	s_add_u32 s14, s6, s4
	s_addc_u32 s15, s7, s5
	s_add_i32 s3, s20, -1
	s_ashr_i32 s4, s3, 31
	s_lshr_b32 s4, s4, 26
	s_add_i32 s3, s3, s4
	s_ashr_i32 s3, s3, 6
	s_add_i32 s5, s3, 1
	v_cvt_f32_u32_e32 v1, s5
	s_not_b32 s3, s3
	v_and_b32_e32 v30, 0x3ff, v0
	v_bfe_u32 v31, v0, 10, 10
	v_rcp_iflag_f32_e32 v1, v1
	v_lshl_add_u32 v2, v31, 3, v30
	s_load_dword s34, s[0:1], 0x18
	v_lshrrev_b32_e32 v7, 2, v2
	v_mul_f32_e32 v1, 0x4f7ffffe, v1
	v_cvt_u32_f32_e32 v1, v1
	v_and_b32_e32 v32, 3, v0
	v_mov_b32_e32 v8, 0
	v_lshlrev_b32_e32 v0, 1, v32
	v_readfirstlane_b32 s4, v1
	s_mul_i32 s3, s3, s4
	s_mul_hi_u32 s3, s4, s3
	s_add_i32 s4, s4, s3
	s_mul_hi_u32 s3, s2, s4
	s_mul_i32 s4, s3, s5
	s_sub_i32 s4, s2, s4
	s_add_i32 s6, s3, 1
	s_sub_i32 s7, s4, s5
	s_cmp_ge_u32 s4, s5
	s_cselect_b32 s3, s6, s3
	s_cselect_b32 s4, s7, s4
	s_add_i32 s6, s3, 1
	s_cmp_ge_u32 s4, s5
	s_cselect_b32 s4, s6, s3
	s_mul_i32 s3, s4, s5
	s_sub_i32 s2, s2, s3
	s_lshl_b32 s29, s2, 6
	v_add_u32_e32 v4, s29, v7
	v_cmp_gt_i32_e64 s[2:3], s22, v32
	v_cmp_gt_i32_e32 vcc, s20, v4
	s_and_b64 s[2:3], s[2:3], vcc
	s_and_b64 s[6:7], s[10:11], s[2:3]
	v_mov_b32_e32 v9, 0
	s_and_saveexec_b64 s[2:3], s[6:7]
	s_cbranch_execz .LBB254_10
; %bb.9:
	s_waitcnt lgkmcnt(0)
	v_mad_i64_i32 v[10:11], s[6:7], v4, s34, 0
	v_lshl_add_u64 v[10:11], v[10:11], 1, s[18:19]
	v_mov_b32_e32 v1, 0
	v_lshl_add_u64 v[10:11], v[10:11], 0, v[0:1]
	flat_load_ushort v1, v[10:11]
	s_waitcnt vmcnt(0) lgkmcnt(0)
	v_mul_f16_e32 v9, s23, v1
.LBB254_10:
	s_or_b64 exec, exec, s[2:3]
	s_load_dword s31, s[0:1], 0x30
	v_lshrrev_b32_e32 v33, 6, v2
	s_add_i32 s33, s22, -1
	v_and_b32_e32 v10, 63, v2
	s_lshl_b32 s30, s4, 7
	v_min_i32_e32 v1, s33, v33
	v_or_b32_e32 v24, s30, v10
	s_waitcnt lgkmcnt(0)
	v_mad_i64_i32 v[2:3], s[2:3], s31, v1, 0
	v_cmp_le_i32_e64 s[6:7], s22, v33
	v_cmp_le_i32_e64 s[2:3], s21, v24
	s_or_b64 s[4:5], s[2:3], s[6:7]
	s_xor_b64 s[16:17], s[10:11], -1
	v_lshl_add_u64 v[2:3], v[2:3], 1, s[12:13]
	s_nor_b64 s[26:27], s[4:5], s[16:17]
	v_ashrrev_i32_e32 v25, 31, v24
	s_and_saveexec_b64 s[4:5], s[26:27]
	s_cbranch_execz .LBB254_12
; %bb.11:
	v_lshl_add_u64 v[12:13], v[24:25], 1, v[2:3]
	flat_load_ushort v1, v[12:13]
	s_waitcnt vmcnt(0) lgkmcnt(0)
	v_mul_f16_e32 v8, s23, v1
.LBB254_12:
	s_or_b64 exec, exec, s[4:5]
	v_or_b32_e32 v1, 64, v24
	v_cmp_le_i32_e64 s[4:5], s21, v1
	s_or_b64 s[6:7], s[4:5], s[6:7]
	s_nor_b64 s[26:27], s[6:7], s[16:17]
	v_mov_b32_e32 v1, 0
	v_mov_b32_e32 v11, 0
	s_and_saveexec_b64 s[6:7], s[26:27]
	s_cbranch_execz .LBB254_14
; %bb.13:
	v_lshl_add_u64 v[2:3], v[24:25], 1, v[2:3]
	flat_load_ushort v2, v[2:3] offset:128
	s_waitcnt vmcnt(0) lgkmcnt(0)
	v_mul_f16_e32 v11, s23, v2
.LBB254_14:
	s_or_b64 exec, exec, s[6:7]
	v_or_b32_e32 v2, 4, v32
	v_cmp_gt_i32_e64 s[6:7], s22, v2
	s_and_b64 s[6:7], s[6:7], vcc
	s_and_b64 s[26:27], s[10:11], s[6:7]
	s_and_saveexec_b64 s[6:7], s[26:27]
	s_cbranch_execz .LBB254_16
; %bb.15:
	v_mad_i64_i32 v[2:3], s[26:27], v4, s34, 0
	v_lshl_add_u64 v[2:3], v[2:3], 1, s[18:19]
	v_mov_b32_e32 v1, 0
	v_lshl_add_u64 v[2:3], v[2:3], 0, v[0:1]
	flat_load_ushort v1, v[2:3] offset:8
	s_waitcnt vmcnt(0) lgkmcnt(0)
	v_mul_f16_e32 v1, s23, v1
.LBB254_16:
	s_or_b64 exec, exec, s[6:7]
	v_add_u32_e32 v2, 4, v33
	v_cmp_le_i32_e64 s[6:7], s22, v2
	v_min_i32_e32 v2, s33, v2
	v_mad_i64_i32 v[2:3], s[26:27], s31, v2, 0
	s_or_b64 s[26:27], s[2:3], s[6:7]
	v_lshl_add_u64 v[2:3], v[2:3], 1, s[12:13]
	s_nor_b64 s[36:37], s[26:27], s[16:17]
	v_mov_b32_e32 v5, 0
	v_mov_b32_e32 v6, 0
	s_and_saveexec_b64 s[26:27], s[36:37]
	s_cbranch_execz .LBB254_18
; %bb.17:
	v_lshl_add_u64 v[12:13], v[24:25], 1, v[2:3]
	flat_load_ushort v6, v[12:13]
	s_waitcnt vmcnt(0) lgkmcnt(0)
	v_mul_f16_e32 v6, s23, v6
.LBB254_18:
	s_or_b64 exec, exec, s[26:27]
	s_or_b64 s[6:7], s[4:5], s[6:7]
	s_nor_b64 s[26:27], s[6:7], s[16:17]
	s_and_saveexec_b64 s[6:7], s[26:27]
	s_cbranch_execz .LBB254_20
; %bb.19:
	v_lshl_add_u64 v[2:3], v[24:25], 1, v[2:3]
	flat_load_ushort v2, v[2:3] offset:128
	s_waitcnt vmcnt(0) lgkmcnt(0)
	v_mul_f16_e32 v5, s23, v2
.LBB254_20:
	s_or_b64 exec, exec, s[6:7]
	v_lshlrev_b32_e32 v2, 3, v10
	v_lshl_or_b32 v0, v7, 3, v0
	v_lshl_add_u32 v36, v33, 1, v2
	v_lshlrev_b32_e32 v35, 3, v30
	v_lshlrev_b32_e32 v34, 3, v31
	s_load_dwordx2 s[14:15], s[14:15], 0x0
	ds_write_b16 v0, v9 offset:2048
	ds_write_b16 v36, v8
	ds_write_b16 v36, v11 offset:512
	s_waitcnt lgkmcnt(0)
	s_barrier
	ds_read2_b64 v[8:11], v34 offset1:32
	v_add_u32_e32 v37, 0x800, v35
	ds_read2_b64 v[12:15], v37 offset0:48 offset1:56
	ds_read2_b64 v[16:19], v34 offset0:64 offset1:96
	ds_read2_b64 v[20:23], v37 offset1:8
	ds_read2_b64 v[26:29], v37 offset0:16 offset1:24
	ds_read2_b64 v[38:41], v37 offset0:32 offset1:40
	s_waitcnt lgkmcnt(5)
	v_pk_max_f16 v2, v8, v8
	s_waitcnt lgkmcnt(4)
	v_pk_max_f16 v3, v14, v14
	v_pk_max_f16 v8, v10, v10
	v_pk_min_f16 v7, v3, v2
	s_waitcnt lgkmcnt(3)
	v_pk_max_f16 v10, v16, v16
	s_waitcnt lgkmcnt(2)
	v_pk_max_f16 v14, v20, v20
	v_pk_max_f16 v18, v18, v18
	;; [unrolled: 1-line block ×3, first 2 shown]
	s_waitcnt lgkmcnt(1)
	v_pk_max_f16 v26, v26, v26
	v_pk_max_f16 v28, v28, v28
	s_waitcnt lgkmcnt(0)
	v_pk_max_f16 v38, v38, v38
	v_pk_max_f16 v9, v9, v9
	;; [unrolled: 1-line block ×5, first 2 shown]
	v_pk_min_f16 v16, v14, v2
	v_pk_min_f16 v20, v14, v8
	;; [unrolled: 1-line block ×17, first 2 shown]
	v_pk_max_f16 v11, v11, v11
	v_pk_min_f16 v61, v38, v8
	v_pk_min_f16 v62, v38, v10
	;; [unrolled: 1-line block ×14, first 2 shown]
	v_pk_add_f16 v7, v7, 0
	v_pk_min_f16 v18, v15, v9
	v_pk_max_f16 v17, v17, v17
	v_pk_add_f16 v68, v7, v18
	v_pk_add_f16 v7, v49, 0
	v_pk_min_f16 v18, v15, v11
	v_pk_max_f16 v21, v21, v21
	v_pk_add_f16 v60, v7, v18
	;; [unrolled: 4-line block ×5, first 2 shown]
	v_pk_add_f16 v7, v42, 0
	v_pk_min_f16 v16, v21, v17
	v_pk_add_f16 v18, v28, 0
	v_pk_add_f16 v59, v7, v16
	v_pk_add_f16 v7, v14, 0
	v_pk_min_f16 v14, v21, v19
	v_pk_add_f16 v20, v56, 0
	v_pk_add_f16 v51, v7, v14
	;; [unrolled: 4-line block ×6, first 2 shown]
	v_pk_max_f16 v14, v27, v27
	v_pk_add_f16 v7, v46, 0
	v_pk_min_f16 v16, v14, v9
	v_pk_add_f16 v38, v40, 0
	v_pk_add_f16 v72, v7, v16
	;; [unrolled: 1-line block ×3, first 2 shown]
	v_pk_min_f16 v16, v14, v11
	v_pk_min_f16 v40, v29, v9
	v_pk_add_f16 v65, v7, v16
	v_pk_add_f16 v7, v48, 0
	v_pk_min_f16 v16, v14, v17
	v_pk_min_f16 v14, v14, v19
	v_pk_add_f16 v57, v7, v16
	v_pk_add_f16 v7, v26, 0
	;; [unrolled: 1-line block ×7, first 2 shown]
	v_pk_min_f16 v7, v29, v11
	v_pk_add_f16 v27, v64, 0
	v_pk_add_f16 v64, v14, v7
	v_pk_min_f16 v7, v29, v17
	v_pk_add_f16 v26, v63, 0
	v_pk_add_f16 v56, v16, v7
	;; [unrolled: 3-line block ×3, first 2 shown]
	v_pk_max_f16 v7, v39, v39
	v_pk_add_f16 v10, v10, 0
	v_pk_min_f16 v14, v7, v9
	v_pk_add_f16 v12, v12, 0
	v_pk_add_f16 v70, v20, v14
	v_pk_min_f16 v14, v7, v11
	v_pk_add_f16 v28, v69, 0
	v_pk_add_f16 v63, v21, v14
	v_pk_min_f16 v14, v7, v17
	v_pk_min_f16 v7, v7, v19
	v_pk_add_f16 v55, v22, v14
	v_pk_add_f16 v47, v23, v7
	v_pk_max_f16 v7, v41, v41
	v_pk_add_f16 v3, v3, 0
	v_pk_min_f16 v14, v7, v9
	s_mov_b32 s26, 0
	v_pk_add_f16 v39, v26, v14
	v_pk_min_f16 v14, v7, v11
	s_cmp_lt_i32 s22, 9
	v_pk_add_f16 v62, v27, v14
	v_pk_min_f16 v14, v7, v17
	v_pk_min_f16 v7, v7, v19
	v_pk_add_f16 v54, v28, v14
	v_pk_add_f16 v46, v38, v7
	v_pk_max_f16 v7, v13, v13
	ds_write_b16 v0, v1 offset:2560
	ds_write_b16 v36, v6 offset:1024
	;; [unrolled: 1-line block ×3, first 2 shown]
	v_pk_min_f16 v9, v7, v9
	s_waitcnt lgkmcnt(0)
	v_pk_add_f16 v38, v2, v9
	v_pk_min_f16 v2, v7, v11
	s_barrier
	v_pk_add_f16 v61, v8, v2
	v_pk_min_f16 v2, v7, v17
	s_nop 0
	v_pk_add_f16 v53, v10, v2
	v_pk_min_f16 v2, v7, v19
	s_nop 0
	;; [unrolled: 3-line block ×3, first 2 shown]
	v_pk_add_f16 v44, v3, v2
	s_cbranch_scc1 .LBB254_35
; %bb.21:
	v_add_u32_e32 v40, 0x800, v0
	v_add_u32_e32 v41, 0xa00, v0
	v_mov_b32_e32 v0, 0xa00
	v_lshl_add_u32 v43, v30, 3, v0
	v_mov_b32_e32 v0, 0x400
	v_and_b32_e32 v2, 3, v30
	v_lshl_add_u32 v69, v31, 3, v0
	v_mad_i64_i32 v[0:1], s[6:7], s34, v4, 0
	v_lshlrev_b32_e32 v2, 1, v2
	v_mov_b32_e32 v3, 0
	v_lshl_add_u64 v[0:1], v[0:1], 1, v[2:3]
	v_lshl_add_u64 v[0:1], s[18:19], 0, v[0:1]
	v_add_u32_e32 v42, 0x400, v36
	s_add_i32 s27, s22, -8
	v_lshl_add_u64 v[26:27], v[0:1], 0, 24
	s_branch .LBB254_23
.LBB254_22:                             ;   in Loop: Header=BB254_23 Depth=1
	s_or_b64 exec, exec, s[6:7]
	v_pk_max_f16 v2, v2, v2
	v_pk_max_f16 v20, v20, v20
	;; [unrolled: 1-line block ×24, first 2 shown]
	v_pk_min_f16 v88, v4, v20
	v_pk_min_f16 v89, v4, v22
	;; [unrolled: 1-line block ×64, first 2 shown]
	v_pk_add_f16 v1, v68, v94
	v_pk_add_f16 v3, v60, v95
	;; [unrolled: 1-line block ×13, first 2 shown]
	ds_read2_b64 v[0:3], v37 offset0:48 offset1:56
	ds_read2_b64 v[4:7], v34 offset1:32
	v_pk_add_f16 v12, v51, v12
	v_pk_add_f16 v65, v65, v83
	;; [unrolled: 1-line block ×4, first 2 shown]
	s_waitcnt lgkmcnt(1)
	v_pk_max_f16 v2, v2, v2
	s_waitcnt lgkmcnt(0)
	v_pk_max_f16 v4, v4, v4
	v_pk_add_f16 v28, v74, v28
	v_pk_add_f16 v59, v59, v78
	v_pk_add_f16 v14, v50, v14
	v_pk_add_f16 v47, v62, v92
	v_pk_add_f16 v22, v61, v22
	v_pk_add_f16 v16, v53, v16
	v_pk_add_f16 v53, v12, v13
	v_pk_add_f16 v61, v65, v103
	v_pk_add_f16 v62, v8, v9
	v_pk_add_f16 v65, v10, v11
	ds_read2_b64 v[8:11], v34 offset0:64 offset1:96
	v_pk_min_f16 v12, v2, v4
	v_pk_add_f16 v18, v28, v18
	v_pk_add_f16 v28, v29, v97
	;; [unrolled: 1-line block ×6, first 2 shown]
	ds_read2_b64 v[12:15], v37 offset1:8
	v_pk_max_f16 v6, v6, v6
	v_pk_add_f16 v52, v52, v96
	v_pk_add_f16 v49, v71, v85
	v_pk_add_f16 v71, v16, v17
	v_pk_min_f16 v16, v2, v6
	s_waitcnt lgkmcnt(1)
	v_pk_max_f16 v8, v8, v8
	v_pk_add_f16 v52, v52, v116
	v_pk_add_f16 v46, v46, v16
	v_pk_min_f16 v16, v2, v8
	s_waitcnt lgkmcnt(0)
	v_pk_max_f16 v12, v12, v12
	v_pk_add_f16 v52, v52, v16
	v_pk_min_f16 v16, v12, v4
	v_pk_add_f16 v50, v72, v82
	v_pk_add_f16 v72, v18, v16
	v_pk_min_f16 v16, v12, v6
	v_pk_add_f16 v51, v73, v79
	v_pk_add_f16 v28, v28, v16
	v_pk_min_f16 v16, v12, v8
	v_pk_max_f16 v10, v10, v10
	v_pk_max_f16 v14, v14, v14
	v_pk_add_f16 v51, v51, v99
	v_pk_add_f16 v29, v29, v16
	v_pk_min_f16 v12, v12, v10
	v_pk_min_f16 v16, v14, v4
	v_pk_add_f16 v12, v53, v12
	v_pk_add_f16 v53, v51, v16
	v_pk_min_f16 v16, v14, v6
	v_pk_add_f16 v44, v44, v19
	v_pk_add_f16 v78, v59, v16
	ds_read2_b64 v[16:19], v37 offset0:16 offset1:24
	v_pk_add_f16 v58, v58, v81
	v_pk_add_f16 v68, v20, v21
	;; [unrolled: 1-line block ×3, first 2 shown]
	v_pk_min_f16 v20, v14, v8
	s_waitcnt lgkmcnt(0)
	v_pk_max_f16 v16, v16, v16
	v_pk_add_f16 v50, v50, v102
	v_pk_add_f16 v58, v58, v20
	v_pk_min_f16 v20, v16, v4
	v_pk_add_f16 v57, v57, v84
	v_pk_add_f16 v79, v50, v20
	v_pk_min_f16 v20, v16, v6
	;; [unrolled: 3-line block ×3, first 2 shown]
	v_pk_max_f16 v18, v18, v18
	v_pk_add_f16 v64, v64, v86
	v_pk_add_f16 v49, v49, v105
	;; [unrolled: 1-line block ×3, first 2 shown]
	v_pk_min_f16 v16, v16, v10
	v_pk_min_f16 v20, v18, v4
	v_pk_add_f16 v64, v64, v106
	v_pk_add_f16 v16, v62, v16
	;; [unrolled: 1-line block ×3, first 2 shown]
	v_pk_min_f16 v20, v18, v6
	v_pk_add_f16 v48, v70, v88
	v_pk_add_f16 v70, v22, v23
	;; [unrolled: 1-line block ×3, first 2 shown]
	ds_read2_b64 v[20:23], v37 offset0:32 offset1:40
	v_pk_add_f16 v56, v56, v87
	v_pk_min_f16 v49, v18, v8
	v_pk_add_f16 v56, v56, v107
	v_pk_add_f16 v63, v63, v89
	s_waitcnt lgkmcnt(0)
	v_pk_max_f16 v20, v20, v20
	v_pk_add_f16 v48, v48, v108
	v_pk_add_f16 v56, v56, v49
	v_pk_min_f16 v49, v20, v4
	v_pk_add_f16 v55, v55, v90
	v_pk_add_f16 v63, v63, v109
	;; [unrolled: 1-line block ×3, first 2 shown]
	v_pk_min_f16 v48, v20, v6
	v_pk_add_f16 v39, v39, v91
	v_pk_add_f16 v55, v55, v110
	;; [unrolled: 1-line block ×3, first 2 shown]
	v_pk_min_f16 v48, v20, v8
	v_pk_max_f16 v22, v22, v22
	v_pk_add_f16 v39, v39, v111
	v_pk_add_f16 v55, v55, v48
	v_pk_min_f16 v48, v22, v4
	v_pk_add_f16 v47, v47, v112
	v_pk_add_f16 v39, v39, v48
	v_pk_min_f16 v48, v22, v6
	v_pk_max_f16 v0, v0, v0
	v_pk_max_f16 v3, v3, v3
	;; [unrolled: 1-line block ×3, first 2 shown]
	v_pk_min_f16 v14, v14, v10
	v_pk_min_f16 v18, v18, v10
	;; [unrolled: 1-line block ×3, first 2 shown]
	v_pk_add_f16 v81, v47, v48
	v_pk_min_f16 v47, v22, v8
	v_pk_min_f16 v22, v22, v10
	;; [unrolled: 1-line block ×8, first 2 shown]
	v_pk_max_f16 v7, v7, v7
	v_pk_add_f16 v4, v68, v4
	v_pk_add_f16 v68, v45, v10
	v_pk_min_f16 v10, v3, v7
	v_pk_max_f16 v9, v9, v9
	v_pk_add_f16 v14, v60, v14
	v_pk_add_f16 v60, v46, v10
	v_pk_min_f16 v10, v3, v9
	v_pk_max_f16 v11, v11, v11
	v_pk_add_f16 v52, v52, v10
	v_pk_max_f16 v10, v13, v13
	v_pk_add_f16 v22, v67, v22
	v_pk_min_f16 v13, v10, v5
	v_pk_add_f16 v20, v66, v20
	v_pk_add_f16 v74, v72, v13
	v_pk_min_f16 v13, v10, v7
	v_pk_add_f16 v18, v65, v18
	v_pk_add_f16 v67, v28, v13
	v_pk_min_f16 v13, v10, v9
	v_pk_min_f16 v10, v10, v11
	v_pk_add_f16 v8, v71, v8
	v_pk_add_f16 v51, v12, v10
	v_pk_max_f16 v10, v15, v15
	v_pk_add_f16 v54, v54, v93
	v_pk_min_f16 v12, v10, v5
	v_pk_add_f16 v6, v70, v6
	v_pk_add_f16 v73, v53, v12
	v_pk_min_f16 v12, v10, v7
	v_pk_add_f16 v54, v54, v113
	v_pk_add_f16 v66, v78, v12
	v_pk_min_f16 v12, v10, v9
	v_pk_min_f16 v10, v10, v11
	v_pk_add_f16 v58, v58, v12
	v_pk_add_f16 v50, v14, v10
	v_pk_max_f16 v10, v17, v17
	v_pk_add_f16 v54, v54, v47
	v_pk_min_f16 v12, v10, v5
	v_pk_max_f16 v1, v1, v1
	v_pk_add_f16 v72, v79, v12
	v_pk_min_f16 v12, v10, v7
	v_pk_add_f16 v38, v38, v117
	v_pk_add_f16 v65, v61, v12
	v_pk_min_f16 v12, v10, v9
	v_pk_min_f16 v10, v10, v11
	v_pk_add_f16 v57, v57, v12
	v_pk_add_f16 v49, v16, v10
	v_pk_max_f16 v10, v19, v19
	v_pk_add_f16 v0, v38, v0
	v_pk_min_f16 v12, v10, v5
	v_pk_add_f16 v2, v44, v2
	v_pk_add_f16 v71, v62, v12
	v_pk_min_f16 v12, v10, v7
	s_add_i32 s26, s26, 8
	v_pk_add_f16 v64, v64, v12
	v_pk_min_f16 v12, v10, v9
	v_pk_min_f16 v10, v10, v11
	v_pk_add_f16 v56, v56, v12
	v_pk_add_f16 v48, v18, v10
	v_pk_max_f16 v10, v21, v21
	v_pk_add_f16 v59, v29, v13
	v_pk_min_f16 v12, v10, v5
	s_cmp_ge_i32 s26, s27
	v_pk_add_f16 v70, v80, v12
	v_pk_min_f16 v12, v10, v7
	v_lshl_add_u64 v[26:27], v[26:27], 0, 16
	v_pk_add_f16 v63, v63, v12
	v_pk_min_f16 v12, v10, v9
	v_pk_min_f16 v10, v10, v11
	v_pk_add_f16 v55, v55, v12
	v_pk_add_f16 v47, v20, v10
	v_pk_max_f16 v10, v23, v23
	ds_write_b16 v41, v76
	ds_write_b16 v42, v75
	ds_write_b16 v42, v77 offset:512
	v_pk_min_f16 v12, v10, v5
	v_pk_min_f16 v5, v1, v5
	v_pk_add_f16 v39, v39, v12
	v_pk_add_f16 v38, v4, v5
	v_pk_min_f16 v4, v1, v7
	v_pk_min_f16 v12, v10, v7
	v_pk_add_f16 v61, v6, v4
	v_pk_min_f16 v4, v1, v9
	v_pk_min_f16 v1, v1, v11
	;; [unrolled: 3-line block ×3, first 2 shown]
	v_pk_add_f16 v45, v0, v1
	v_pk_min_f16 v0, v3, v11
	v_pk_add_f16 v54, v54, v12
	v_pk_add_f16 v46, v22, v10
	;; [unrolled: 1-line block ×4, first 2 shown]
	s_waitcnt lgkmcnt(0)
	s_barrier
	s_cbranch_scc1 .LBB254_35
.LBB254_23:                             ; =>This Inner Loop Header: Depth=1
	v_add_u32_e32 v28, s26, v32
	v_add_u32_e32 v0, 8, v28
	v_cmp_gt_i32_e64 s[6:7], s22, v0
	s_and_b64 s[6:7], s[6:7], vcc
	s_and_b64 s[6:7], s[10:11], s[6:7]
	v_mov_b32_e32 v75, 0
	s_and_saveexec_b64 s[18:19], s[6:7]
	s_cbranch_execz .LBB254_25
; %bb.24:                               ;   in Loop: Header=BB254_23 Depth=1
	v_add_co_u32_e64 v0, s[6:7], -8, v26
	s_nop 1
	v_addc_co_u32_e64 v1, s[6:7], -1, v27, s[6:7]
	flat_load_ushort v0, v[0:1]
	s_waitcnt vmcnt(0) lgkmcnt(0)
	v_mul_f16_e32 v75, s23, v0
.LBB254_25:                             ;   in Loop: Header=BB254_23 Depth=1
	s_or_b64 exec, exec, s[18:19]
	v_add_u32_e32 v29, s26, v33
	v_add_u32_e32 v0, 8, v29
	v_cmp_le_i32_e64 s[6:7], s22, v0
	v_min_i32_e32 v0, s33, v0
	v_mad_i64_i32 v[0:1], s[18:19], v0, s31, 0
	v_lshl_add_u64 v[0:1], v[0:1], 1, s[12:13]
	s_or_b64 s[18:19], s[2:3], s[6:7]
	s_nor_b64 s[34:35], s[18:19], s[16:17]
	v_mov_b32_e32 v76, 0
	v_lshl_add_u64 v[0:1], v[24:25], 1, v[0:1]
	v_mov_b32_e32 v77, 0
	s_and_saveexec_b64 s[18:19], s[34:35]
	s_cbranch_execz .LBB254_27
; %bb.26:                               ;   in Loop: Header=BB254_23 Depth=1
	flat_load_ushort v2, v[0:1]
	s_waitcnt vmcnt(0) lgkmcnt(0)
	v_mul_f16_e32 v77, s23, v2
.LBB254_27:                             ;   in Loop: Header=BB254_23 Depth=1
	s_or_b64 exec, exec, s[18:19]
	s_or_b64 s[6:7], s[4:5], s[6:7]
	s_nor_b64 s[18:19], s[6:7], s[16:17]
	s_and_saveexec_b64 s[6:7], s[18:19]
	s_cbranch_execz .LBB254_29
; %bb.28:                               ;   in Loop: Header=BB254_23 Depth=1
	flat_load_ushort v0, v[0:1] offset:128
	s_waitcnt vmcnt(0) lgkmcnt(0)
	v_mul_f16_e32 v76, s23, v0
.LBB254_29:                             ;   in Loop: Header=BB254_23 Depth=1
	s_or_b64 exec, exec, s[6:7]
	ds_read2_b64 v[0:3], v43 offset0:48 offset1:56
	ds_read2_b64 v[16:19], v69 offset0:64 offset1:96
	ds_read2_b64 v[20:23], v69 offset1:32
	ds_read2_b64 v[12:15], v43 offset1:8
	ds_read2_b64 v[8:11], v43 offset0:16 offset1:24
	ds_read2_b64 v[4:7], v43 offset0:32 offset1:40
	v_add_u32_e32 v28, 12, v28
	v_cmp_gt_i32_e64 s[6:7], s22, v28
	s_and_b64 s[6:7], s[6:7], vcc
	ds_write_b16 v40, v75
	ds_write_b16 v36, v77
	ds_write_b16 v36, v76 offset:512
	s_and_b64 s[6:7], s[10:11], s[6:7]
	v_mov_b32_e32 v75, 0
	v_mov_b32_e32 v76, 0
	s_waitcnt lgkmcnt(0)
	s_barrier
	s_and_saveexec_b64 s[18:19], s[6:7]
	s_xor_b64 s[6:7], exec, s[18:19]
	s_cbranch_execz .LBB254_31
; %bb.30:                               ;   in Loop: Header=BB254_23 Depth=1
	flat_load_ushort v28, v[26:27]
	s_waitcnt vmcnt(0) lgkmcnt(0)
	v_mul_f16_e32 v76, s23, v28
.LBB254_31:                             ;   in Loop: Header=BB254_23 Depth=1
	s_or_b64 exec, exec, s[6:7]
	v_add_u32_e32 v28, 12, v29
	v_cmp_le_i32_e64 s[6:7], s22, v28
	v_min_i32_e32 v28, s33, v28
	v_mad_i64_i32 v[28:29], s[18:19], v28, s31, 0
	v_lshl_add_u64 v[28:29], v[28:29], 1, s[12:13]
	s_or_b64 s[18:19], s[2:3], s[6:7]
	s_nor_b64 s[34:35], s[18:19], s[16:17]
	v_lshl_add_u64 v[28:29], v[24:25], 1, v[28:29]
	s_and_saveexec_b64 s[18:19], s[34:35]
	s_cbranch_execz .LBB254_33
; %bb.32:                               ;   in Loop: Header=BB254_23 Depth=1
	flat_load_ushort v75, v[28:29]
	s_waitcnt vmcnt(0) lgkmcnt(0)
	v_mul_f16_e32 v75, s23, v75
.LBB254_33:                             ;   in Loop: Header=BB254_23 Depth=1
	s_or_b64 exec, exec, s[18:19]
	s_or_b64 s[6:7], s[4:5], s[6:7]
	s_nor_b64 s[18:19], s[6:7], s[16:17]
	v_mov_b32_e32 v77, 0
	s_and_saveexec_b64 s[6:7], s[18:19]
	s_cbranch_execz .LBB254_22
; %bb.34:                               ;   in Loop: Header=BB254_23 Depth=1
	flat_load_ushort v28, v[28:29] offset:128
	s_waitcnt vmcnt(0) lgkmcnt(0)
	v_mul_f16_e32 v77, s23, v28
	s_branch .LBB254_22
.LBB254_35:
	s_load_dwordx2 s[2:3], s[0:1], 0x70
	s_load_dword s33, s[0:1], 0x50
	s_load_dword s31, s[0:1], 0x68
	v_add_u32_e32 v8, 0x800, v35
	ds_read2_b64 v[0:3], v8 offset0:112 offset1:120
	ds_read2_b64 v[4:7], v34 offset0:192 offset1:224
	;; [unrolled: 1-line block ×6, first 2 shown]
	s_waitcnt lgkmcnt(0)
	s_lshl_b64 s[0:1], s[2:3], 1
	s_add_u32 s22, s14, s0
	v_add_u32_e32 v69, s30, v31
	s_addc_u32 s23, s15, s1
	v_mad_i64_i32 v[26:27], s[0:1], v69, s33, 0
	v_add_u32_e32 v24, s29, v30
	v_lshl_add_u64 v[42:43], v[26:27], 1, s[24:25]
	v_mad_i64_i32 v[26:27], s[0:1], v69, s31, 0
	v_cmp_gt_i32_e64 s[18:19], s21, v69
	v_lshl_add_u64 v[40:41], v[26:27], 1, s[22:23]
	v_cmp_gt_i32_e64 s[2:3], s20, v24
	v_cndmask_b32_e64 v26, 0, 1, s[8:9]
	s_and_b64 s[4:5], s[2:3], s[18:19]
	v_ashrrev_i32_e32 v25, 31, v24
	v_cmp_ne_u32_e64 s[0:1], 1, v26
	s_and_saveexec_b64 s[6:7], s[4:5]
	s_xor_b64 s[4:5], exec, s[6:7]
	s_cbranch_execz .LBB254_40
; %bb.36:
	s_and_b64 vcc, exec, s[0:1]
	s_cbranch_vccnz .LBB254_38
; %bb.37:
	v_lshl_add_u64 v[26:27], v[24:25], 1, v[42:43]
	flat_load_ushort v26, v[26:27]
	s_waitcnt vmcnt(0) lgkmcnt(0)
	v_mul_f16_e32 v26, s28, v26
	s_branch .LBB254_39
.LBB254_38:
	v_mov_b32_e32 v26, 0
.LBB254_39:
	v_pk_max_f16 v27, v20, v20
	v_pk_max_f16 v28, v16, v16
	v_pk_max_f16 v29, v17, v17
	v_pk_min_f16 v27, v28, v27
	v_pk_max_f16 v28, v21, v21
	v_pk_add_f16 v27, v74, v27
	v_pk_min_f16 v28, v29, v28
	s_nop 0
	v_pk_add_f16 v27, v27, v28
	s_nop 0
	v_add_f16_sdwa v27, v27, v27 dst_sel:DWORD dst_unused:UNUSED_PAD src0_sel:DWORD src1_sel:WORD_1
	v_add_f16_e32 v28, v27, v26
	v_lshl_add_u64 v[26:27], v[24:25], 1, v[40:41]
	flat_store_short v[26:27], v28
.LBB254_40:
	s_or_b64 exec, exec, s[4:5]
	v_add_u32_e32 v26, 8, v24
	v_cmp_gt_i32_e64 s[4:5], s20, v26
	s_and_b64 s[8:9], s[4:5], s[18:19]
	v_ashrrev_i32_e32 v27, 31, v26
	s_and_saveexec_b64 s[6:7], s[8:9]
	s_cbranch_execz .LBB254_45
; %bb.41:
	s_and_b64 vcc, exec, s[0:1]
	s_cbranch_vccnz .LBB254_43
; %bb.42:
	v_lshl_add_u64 v[28:29], v[26:27], 1, v[42:43]
	flat_load_ushort v28, v[28:29]
	s_waitcnt vmcnt(0) lgkmcnt(0)
	v_mul_f16_e32 v28, s28, v28
	s_branch .LBB254_44
.LBB254_43:
	v_mov_b32_e32 v28, 0
.LBB254_44:
	v_pk_max_f16 v29, v20, v20
	v_pk_max_f16 v30, v18, v18
	v_pk_max_f16 v31, v19, v19
	v_pk_min_f16 v29, v30, v29
	v_pk_max_f16 v30, v21, v21
	v_pk_add_f16 v29, v73, v29
	v_pk_min_f16 v30, v31, v30
	s_nop 0
	v_pk_add_f16 v29, v29, v30
	s_nop 0
	v_add_f16_sdwa v29, v29, v29 dst_sel:DWORD dst_unused:UNUSED_PAD src0_sel:DWORD src1_sel:WORD_1
	v_add_f16_e32 v30, v29, v28
	v_lshl_add_u64 v[28:29], v[26:27], 1, v[40:41]
	flat_store_short v[28:29], v30
.LBB254_45:
	s_or_b64 exec, exec, s[6:7]
	v_add_u32_e32 v28, 16, v24
	v_cmp_gt_i32_e64 s[6:7], s20, v28
	s_and_b64 s[10:11], s[6:7], s[18:19]
	v_ashrrev_i32_e32 v29, 31, v28
	s_and_saveexec_b64 s[8:9], s[10:11]
	s_cbranch_execz .LBB254_50
; %bb.46:
	s_and_b64 vcc, exec, s[0:1]
	s_cbranch_vccnz .LBB254_48
; %bb.47:
	v_lshl_add_u64 v[30:31], v[28:29], 1, v[42:43]
	flat_load_ushort v30, v[30:31]
	s_waitcnt vmcnt(0) lgkmcnt(0)
	v_mul_f16_e32 v30, s28, v30
	s_branch .LBB254_49
.LBB254_48:
	v_mov_b32_e32 v30, 0
.LBB254_49:
	v_pk_max_f16 v31, v20, v20
	v_pk_max_f16 v32, v12, v12
	v_pk_max_f16 v33, v13, v13
	v_pk_min_f16 v31, v32, v31
	v_pk_max_f16 v32, v21, v21
	v_pk_add_f16 v31, v72, v31
	v_pk_min_f16 v32, v33, v32
	s_nop 0
	v_pk_add_f16 v31, v31, v32
	s_nop 0
	v_add_f16_sdwa v31, v31, v31 dst_sel:DWORD dst_unused:UNUSED_PAD src0_sel:DWORD src1_sel:WORD_1
	v_add_f16_e32 v32, v31, v30
	v_lshl_add_u64 v[30:31], v[28:29], 1, v[40:41]
	flat_store_short v[30:31], v32
.LBB254_50:
	s_or_b64 exec, exec, s[8:9]
	v_add_u32_e32 v30, 24, v24
	v_cmp_gt_i32_e64 s[8:9], s20, v30
	s_and_b64 s[12:13], s[8:9], s[18:19]
	v_ashrrev_i32_e32 v31, 31, v30
	s_and_saveexec_b64 s[10:11], s[12:13]
	s_cbranch_execz .LBB254_55
; %bb.51:
	s_and_b64 vcc, exec, s[0:1]
	s_cbranch_vccnz .LBB254_53
; %bb.52:
	v_lshl_add_u64 v[32:33], v[30:31], 1, v[42:43]
	flat_load_ushort v32, v[32:33]
	s_waitcnt vmcnt(0) lgkmcnt(0)
	v_mul_f16_e32 v32, s28, v32
	s_branch .LBB254_54
.LBB254_53:
	v_mov_b32_e32 v32, 0
.LBB254_54:
	v_pk_max_f16 v33, v20, v20
	v_pk_max_f16 v34, v14, v14
	v_pk_max_f16 v35, v15, v15
	v_pk_min_f16 v33, v34, v33
	v_pk_max_f16 v34, v21, v21
	v_pk_add_f16 v33, v71, v33
	v_pk_min_f16 v34, v35, v34
	s_nop 0
	v_pk_add_f16 v33, v33, v34
	s_nop 0
	v_add_f16_sdwa v33, v33, v33 dst_sel:DWORD dst_unused:UNUSED_PAD src0_sel:DWORD src1_sel:WORD_1
	v_add_f16_e32 v34, v33, v32
	v_lshl_add_u64 v[32:33], v[30:31], 1, v[40:41]
	flat_store_short v[32:33], v34
.LBB254_55:
	s_or_b64 exec, exec, s[10:11]
	v_add_u32_e32 v32, 32, v24
	v_cmp_gt_i32_e64 s[10:11], s20, v32
	s_and_b64 s[14:15], s[10:11], s[18:19]
	v_ashrrev_i32_e32 v33, 31, v32
	s_and_saveexec_b64 s[12:13], s[14:15]
	s_cbranch_execz .LBB254_60
; %bb.56:
	s_and_b64 vcc, exec, s[0:1]
	s_cbranch_vccnz .LBB254_58
; %bb.57:
	v_lshl_add_u64 v[34:35], v[32:33], 1, v[42:43]
	flat_load_ushort v34, v[34:35]
	s_waitcnt vmcnt(0) lgkmcnt(0)
	v_mul_f16_e32 v34, s28, v34
	s_branch .LBB254_59
.LBB254_58:
	v_mov_b32_e32 v34, 0
.LBB254_59:
	v_pk_max_f16 v35, v20, v20
	v_pk_max_f16 v36, v8, v8
	v_pk_max_f16 v37, v9, v9
	v_pk_min_f16 v35, v36, v35
	v_pk_max_f16 v36, v21, v21
	v_pk_add_f16 v35, v70, v35
	v_pk_min_f16 v36, v37, v36
	s_nop 0
	v_pk_add_f16 v35, v35, v36
	s_nop 0
	v_add_f16_sdwa v35, v35, v35 dst_sel:DWORD dst_unused:UNUSED_PAD src0_sel:DWORD src1_sel:WORD_1
	v_add_f16_e32 v36, v35, v34
	v_lshl_add_u64 v[34:35], v[32:33], 1, v[40:41]
	flat_store_short v[34:35], v36
.LBB254_60:
	s_or_b64 exec, exec, s[12:13]
	v_add_u32_e32 v34, 40, v24
	v_cmp_gt_i32_e64 s[12:13], s20, v34
	s_and_b64 s[16:17], s[12:13], s[18:19]
	v_ashrrev_i32_e32 v35, 31, v34
	s_and_saveexec_b64 s[14:15], s[16:17]
	s_cbranch_execz .LBB254_65
; %bb.61:
	s_and_b64 vcc, exec, s[0:1]
	s_cbranch_vccnz .LBB254_63
; %bb.62:
	v_lshl_add_u64 v[36:37], v[34:35], 1, v[42:43]
	flat_load_ushort v36, v[36:37]
	s_waitcnt vmcnt(0) lgkmcnt(0)
	v_mul_f16_e32 v36, s28, v36
	s_branch .LBB254_64
.LBB254_63:
	v_mov_b32_e32 v36, 0
.LBB254_64:
	v_pk_max_f16 v37, v20, v20
	v_pk_max_f16 v70, v10, v10
	s_nop 0
	v_pk_min_f16 v37, v70, v37
	v_pk_max_f16 v70, v11, v11
	v_pk_add_f16 v37, v39, v37
	v_pk_max_f16 v39, v21, v21
	s_nop 0
	v_pk_min_f16 v39, v70, v39
	s_nop 0
	v_pk_add_f16 v37, v37, v39
	s_nop 0
	v_add_f16_sdwa v37, v37, v37 dst_sel:DWORD dst_unused:UNUSED_PAD src0_sel:DWORD src1_sel:WORD_1
	v_add_f16_e32 v39, v37, v36
	v_lshl_add_u64 v[36:37], v[34:35], 1, v[40:41]
	flat_store_short v[36:37], v39
.LBB254_65:
	s_or_b64 exec, exec, s[14:15]
	v_add_u32_e32 v36, 48, v24
	v_cmp_gt_i32_e64 s[14:15], s20, v36
	s_and_b64 s[26:27], s[14:15], s[18:19]
	v_ashrrev_i32_e32 v37, 31, v36
	s_and_saveexec_b64 s[16:17], s[26:27]
	s_cbranch_execz .LBB254_70
; %bb.66:
	s_and_b64 vcc, exec, s[0:1]
	s_cbranch_vccnz .LBB254_68
; %bb.67:
	v_lshl_add_u64 v[70:71], v[36:37], 1, v[42:43]
	flat_load_ushort v39, v[70:71]
	s_waitcnt vmcnt(0) lgkmcnt(0)
	v_mul_f16_e32 v39, s28, v39
	s_branch .LBB254_69
.LBB254_68:
	v_mov_b32_e32 v39, 0
.LBB254_69:
	v_pk_max_f16 v70, v20, v20
	v_pk_max_f16 v71, v0, v0
	s_nop 0
	v_pk_min_f16 v70, v71, v70
	v_pk_max_f16 v71, v1, v1
	v_pk_add_f16 v38, v38, v70
	v_pk_max_f16 v70, v21, v21
	s_nop 0
	v_pk_min_f16 v70, v71, v70
	s_nop 0
	v_pk_add_f16 v38, v38, v70
	s_nop 0
	v_add_f16_sdwa v38, v38, v38 dst_sel:DWORD dst_unused:UNUSED_PAD src0_sel:DWORD src1_sel:WORD_1
	v_add_f16_e32 v70, v38, v39
	v_lshl_add_u64 v[38:39], v[36:37], 1, v[40:41]
	flat_store_short v[38:39], v70
.LBB254_70:
	s_or_b64 exec, exec, s[16:17]
	v_add_u32_e32 v38, 56, v24
	v_cmp_gt_i32_e64 s[16:17], s20, v38
	s_and_b64 s[26:27], s[16:17], s[18:19]
	v_ashrrev_i32_e32 v39, 31, v38
	s_and_saveexec_b64 s[18:19], s[26:27]
	s_cbranch_execz .LBB254_75
; %bb.71:
	s_and_b64 vcc, exec, s[0:1]
	s_cbranch_vccnz .LBB254_73
; %bb.72:
	v_lshl_add_u64 v[42:43], v[38:39], 1, v[42:43]
	flat_load_ushort v42, v[42:43]
	s_waitcnt vmcnt(0) lgkmcnt(0)
	v_mul_f16_e32 v42, s28, v42
	s_branch .LBB254_74
.LBB254_73:
	v_mov_b32_e32 v42, 0
.LBB254_74:
	v_pk_max_f16 v20, v20, v20
	v_pk_max_f16 v43, v2, v2
	;; [unrolled: 1-line block ×3, first 2 shown]
	v_pk_min_f16 v20, v43, v20
	v_pk_max_f16 v43, v3, v3
	v_pk_add_f16 v20, v68, v20
	v_pk_min_f16 v21, v43, v21
	s_nop 0
	v_pk_add_f16 v20, v20, v21
	s_nop 0
	v_add_f16_sdwa v20, v20, v20 dst_sel:DWORD dst_unused:UNUSED_PAD src0_sel:DWORD src1_sel:WORD_1
	v_add_f16_e32 v42, v20, v42
	v_lshl_add_u64 v[20:21], v[38:39], 1, v[40:41]
	flat_store_short v[20:21], v42
.LBB254_75:
	s_or_b64 exec, exec, s[18:19]
	v_add_u32_e32 v42, 32, v69
	v_mad_i64_i32 v[20:21], s[26:27], v42, s33, 0
	v_cmp_gt_i32_e64 s[18:19], s21, v42
	v_lshl_add_u64 v[40:41], v[20:21], 1, s[24:25]
	v_mad_i64_i32 v[20:21], s[26:27], v42, s31, 0
	v_lshl_add_u64 v[20:21], v[20:21], 1, s[22:23]
	s_and_b64 s[34:35], s[2:3], s[18:19]
	s_and_saveexec_b64 s[26:27], s[34:35]
	s_cbranch_execnz .LBB254_83
; %bb.76:
	s_or_b64 exec, exec, s[26:27]
	s_and_b64 s[34:35], s[4:5], s[18:19]
	s_and_saveexec_b64 s[26:27], s[34:35]
	s_cbranch_execnz .LBB254_87
.LBB254_77:
	s_or_b64 exec, exec, s[26:27]
	s_and_b64 s[34:35], s[6:7], s[18:19]
	s_and_saveexec_b64 s[26:27], s[34:35]
	s_cbranch_execnz .LBB254_91
.LBB254_78:
	s_or_b64 exec, exec, s[26:27]
	s_and_b64 s[34:35], s[8:9], s[18:19]
	s_and_saveexec_b64 s[26:27], s[34:35]
	s_cbranch_execnz .LBB254_95
.LBB254_79:
	s_or_b64 exec, exec, s[26:27]
	s_and_b64 s[34:35], s[10:11], s[18:19]
	s_and_saveexec_b64 s[26:27], s[34:35]
	s_cbranch_execnz .LBB254_99
.LBB254_80:
	s_or_b64 exec, exec, s[26:27]
	s_and_b64 s[34:35], s[12:13], s[18:19]
	s_and_saveexec_b64 s[26:27], s[34:35]
	s_cbranch_execnz .LBB254_103
.LBB254_81:
	s_or_b64 exec, exec, s[26:27]
	s_and_b64 s[34:35], s[14:15], s[18:19]
	s_and_saveexec_b64 s[26:27], s[34:35]
	s_cbranch_execnz .LBB254_107
.LBB254_82:
	s_or_b64 exec, exec, s[26:27]
	s_and_b64 s[26:27], s[16:17], s[18:19]
	s_and_saveexec_b64 s[18:19], s[26:27]
	s_cbranch_execnz .LBB254_111
	s_branch .LBB254_115
.LBB254_83:
	s_and_b64 vcc, exec, s[0:1]
	s_cbranch_vccnz .LBB254_85
; %bb.84:
	v_lshl_add_u64 v[42:43], v[24:25], 1, v[40:41]
	flat_load_ushort v42, v[42:43]
	s_waitcnt vmcnt(0) lgkmcnt(0)
	v_mul_f16_e32 v42, s28, v42
	s_branch .LBB254_86
.LBB254_85:
	v_mov_b32_e32 v42, 0
.LBB254_86:
	v_pk_max_f16 v43, v22, v22
	v_pk_max_f16 v68, v16, v16
	s_nop 0
	v_pk_min_f16 v43, v68, v43
	v_pk_max_f16 v68, v17, v17
	v_pk_add_f16 v43, v67, v43
	v_pk_max_f16 v67, v23, v23
	s_nop 0
	v_pk_min_f16 v67, v68, v67
	s_nop 0
	v_pk_add_f16 v43, v43, v67
	s_nop 0
	v_add_f16_sdwa v43, v43, v43 dst_sel:DWORD dst_unused:UNUSED_PAD src0_sel:DWORD src1_sel:WORD_1
	v_add_f16_e32 v67, v43, v42
	v_lshl_add_u64 v[42:43], v[24:25], 1, v[20:21]
	flat_store_short v[42:43], v67
	s_or_b64 exec, exec, s[26:27]
	s_and_b64 s[34:35], s[4:5], s[18:19]
	s_and_saveexec_b64 s[26:27], s[34:35]
	s_cbranch_execz .LBB254_77
.LBB254_87:
	s_and_b64 vcc, exec, s[0:1]
	s_cbranch_vccnz .LBB254_89
; %bb.88:
	v_lshl_add_u64 v[42:43], v[26:27], 1, v[40:41]
	flat_load_ushort v42, v[42:43]
	s_waitcnt vmcnt(0) lgkmcnt(0)
	v_mul_f16_e32 v42, s28, v42
	s_branch .LBB254_90
.LBB254_89:
	v_mov_b32_e32 v42, 0
.LBB254_90:
	v_pk_max_f16 v43, v22, v22
	v_pk_max_f16 v67, v18, v18
	s_nop 0
	v_pk_min_f16 v43, v67, v43
	v_pk_max_f16 v67, v19, v19
	v_pk_add_f16 v43, v66, v43
	v_pk_max_f16 v66, v23, v23
	s_nop 0
	v_pk_min_f16 v66, v67, v66
	s_nop 0
	v_pk_add_f16 v43, v43, v66
	s_nop 0
	v_add_f16_sdwa v43, v43, v43 dst_sel:DWORD dst_unused:UNUSED_PAD src0_sel:DWORD src1_sel:WORD_1
	v_add_f16_e32 v66, v43, v42
	v_lshl_add_u64 v[42:43], v[26:27], 1, v[20:21]
	flat_store_short v[42:43], v66
	s_or_b64 exec, exec, s[26:27]
	s_and_b64 s[34:35], s[6:7], s[18:19]
	s_and_saveexec_b64 s[26:27], s[34:35]
	s_cbranch_execz .LBB254_78
.LBB254_91:
	s_and_b64 vcc, exec, s[0:1]
	s_cbranch_vccnz .LBB254_93
; %bb.92:
	v_lshl_add_u64 v[42:43], v[28:29], 1, v[40:41]
	flat_load_ushort v42, v[42:43]
	s_waitcnt vmcnt(0) lgkmcnt(0)
	v_mul_f16_e32 v42, s28, v42
	s_branch .LBB254_94
.LBB254_93:
	v_mov_b32_e32 v42, 0
.LBB254_94:
	v_pk_max_f16 v43, v22, v22
	v_pk_max_f16 v66, v12, v12
	s_nop 0
	v_pk_min_f16 v43, v66, v43
	v_pk_max_f16 v66, v13, v13
	v_pk_add_f16 v43, v65, v43
	v_pk_max_f16 v65, v23, v23
	s_nop 0
	v_pk_min_f16 v65, v66, v65
	s_nop 0
	v_pk_add_f16 v43, v43, v65
	s_nop 0
	v_add_f16_sdwa v43, v43, v43 dst_sel:DWORD dst_unused:UNUSED_PAD src0_sel:DWORD src1_sel:WORD_1
	v_add_f16_e32 v65, v43, v42
	v_lshl_add_u64 v[42:43], v[28:29], 1, v[20:21]
	flat_store_short v[42:43], v65
	s_or_b64 exec, exec, s[26:27]
	s_and_b64 s[34:35], s[8:9], s[18:19]
	s_and_saveexec_b64 s[26:27], s[34:35]
	s_cbranch_execz .LBB254_79
.LBB254_95:
	s_and_b64 vcc, exec, s[0:1]
	s_cbranch_vccnz .LBB254_97
; %bb.96:
	v_lshl_add_u64 v[42:43], v[30:31], 1, v[40:41]
	flat_load_ushort v42, v[42:43]
	s_waitcnt vmcnt(0) lgkmcnt(0)
	v_mul_f16_e32 v42, s28, v42
	s_branch .LBB254_98
.LBB254_97:
	v_mov_b32_e32 v42, 0
.LBB254_98:
	v_pk_max_f16 v43, v22, v22
	v_pk_max_f16 v65, v14, v14
	s_nop 0
	v_pk_min_f16 v43, v65, v43
	v_pk_max_f16 v65, v15, v15
	v_pk_add_f16 v43, v64, v43
	v_pk_max_f16 v64, v23, v23
	s_nop 0
	v_pk_min_f16 v64, v65, v64
	s_nop 0
	v_pk_add_f16 v43, v43, v64
	s_nop 0
	v_add_f16_sdwa v43, v43, v43 dst_sel:DWORD dst_unused:UNUSED_PAD src0_sel:DWORD src1_sel:WORD_1
	v_add_f16_e32 v64, v43, v42
	v_lshl_add_u64 v[42:43], v[30:31], 1, v[20:21]
	flat_store_short v[42:43], v64
	s_or_b64 exec, exec, s[26:27]
	s_and_b64 s[34:35], s[10:11], s[18:19]
	s_and_saveexec_b64 s[26:27], s[34:35]
	s_cbranch_execz .LBB254_80
.LBB254_99:
	s_and_b64 vcc, exec, s[0:1]
	s_cbranch_vccnz .LBB254_101
; %bb.100:
	v_lshl_add_u64 v[42:43], v[32:33], 1, v[40:41]
	flat_load_ushort v42, v[42:43]
	s_waitcnt vmcnt(0) lgkmcnt(0)
	v_mul_f16_e32 v42, s28, v42
	s_branch .LBB254_102
.LBB254_101:
	v_mov_b32_e32 v42, 0
.LBB254_102:
	v_pk_max_f16 v43, v22, v22
	v_pk_max_f16 v64, v8, v8
	s_nop 0
	v_pk_min_f16 v43, v64, v43
	v_pk_max_f16 v64, v9, v9
	v_pk_add_f16 v43, v63, v43
	v_pk_max_f16 v63, v23, v23
	s_nop 0
	v_pk_min_f16 v63, v64, v63
	s_nop 0
	v_pk_add_f16 v43, v43, v63
	s_nop 0
	v_add_f16_sdwa v43, v43, v43 dst_sel:DWORD dst_unused:UNUSED_PAD src0_sel:DWORD src1_sel:WORD_1
	v_add_f16_e32 v63, v43, v42
	v_lshl_add_u64 v[42:43], v[32:33], 1, v[20:21]
	flat_store_short v[42:43], v63
	s_or_b64 exec, exec, s[26:27]
	s_and_b64 s[34:35], s[12:13], s[18:19]
	s_and_saveexec_b64 s[26:27], s[34:35]
	s_cbranch_execz .LBB254_81
.LBB254_103:
	s_and_b64 vcc, exec, s[0:1]
	s_cbranch_vccnz .LBB254_105
; %bb.104:
	v_lshl_add_u64 v[42:43], v[34:35], 1, v[40:41]
	flat_load_ushort v42, v[42:43]
	s_waitcnt vmcnt(0) lgkmcnt(0)
	v_mul_f16_e32 v42, s28, v42
	s_branch .LBB254_106
.LBB254_105:
	v_mov_b32_e32 v42, 0
.LBB254_106:
	v_pk_max_f16 v43, v22, v22
	v_pk_max_f16 v63, v10, v10
	s_nop 0
	v_pk_min_f16 v43, v63, v43
	v_pk_max_f16 v63, v11, v11
	v_pk_add_f16 v43, v62, v43
	v_pk_max_f16 v62, v23, v23
	s_nop 0
	v_pk_min_f16 v62, v63, v62
	s_nop 0
	v_pk_add_f16 v43, v43, v62
	s_nop 0
	v_add_f16_sdwa v43, v43, v43 dst_sel:DWORD dst_unused:UNUSED_PAD src0_sel:DWORD src1_sel:WORD_1
	v_add_f16_e32 v62, v43, v42
	v_lshl_add_u64 v[42:43], v[34:35], 1, v[20:21]
	flat_store_short v[42:43], v62
	s_or_b64 exec, exec, s[26:27]
	s_and_b64 s[34:35], s[14:15], s[18:19]
	s_and_saveexec_b64 s[26:27], s[34:35]
	s_cbranch_execz .LBB254_82
.LBB254_107:
	s_and_b64 vcc, exec, s[0:1]
	s_cbranch_vccnz .LBB254_109
; %bb.108:
	v_lshl_add_u64 v[42:43], v[36:37], 1, v[40:41]
	flat_load_ushort v42, v[42:43]
	s_waitcnt vmcnt(0) lgkmcnt(0)
	v_mul_f16_e32 v42, s28, v42
	s_branch .LBB254_110
.LBB254_109:
	v_mov_b32_e32 v42, 0
.LBB254_110:
	v_pk_max_f16 v43, v22, v22
	v_pk_max_f16 v62, v0, v0
	s_nop 0
	v_pk_min_f16 v43, v62, v43
	v_pk_max_f16 v62, v1, v1
	v_pk_add_f16 v43, v61, v43
	v_pk_max_f16 v61, v23, v23
	s_nop 0
	v_pk_min_f16 v61, v62, v61
	s_nop 0
	v_pk_add_f16 v43, v43, v61
	s_nop 0
	v_add_f16_sdwa v43, v43, v43 dst_sel:DWORD dst_unused:UNUSED_PAD src0_sel:DWORD src1_sel:WORD_1
	v_add_f16_e32 v61, v43, v42
	v_lshl_add_u64 v[42:43], v[36:37], 1, v[20:21]
	flat_store_short v[42:43], v61
	s_or_b64 exec, exec, s[26:27]
	s_and_b64 s[26:27], s[16:17], s[18:19]
	s_and_saveexec_b64 s[18:19], s[26:27]
	s_cbranch_execz .LBB254_115
.LBB254_111:
	s_and_b64 vcc, exec, s[0:1]
	s_cbranch_vccnz .LBB254_113
; %bb.112:
	v_lshl_add_u64 v[40:41], v[38:39], 1, v[40:41]
	flat_load_ushort v40, v[40:41]
	s_waitcnt vmcnt(0) lgkmcnt(0)
	v_mul_f16_e32 v40, s28, v40
	s_branch .LBB254_114
.LBB254_113:
	v_mov_b32_e32 v40, 0
.LBB254_114:
	v_pk_max_f16 v22, v22, v22
	v_pk_max_f16 v41, v2, v2
	v_pk_max_f16 v23, v23, v23
	v_pk_min_f16 v22, v41, v22
	v_pk_max_f16 v41, v3, v3
	v_pk_add_f16 v22, v60, v22
	v_pk_min_f16 v23, v41, v23
	v_lshl_add_u64 v[20:21], v[38:39], 1, v[20:21]
	v_pk_add_f16 v22, v22, v23
	s_nop 0
	v_add_f16_sdwa v22, v22, v22 dst_sel:DWORD dst_unused:UNUSED_PAD src0_sel:DWORD src1_sel:WORD_1
	v_add_f16_e32 v22, v22, v40
	flat_store_short v[20:21], v22
.LBB254_115:
	s_or_b64 exec, exec, s[18:19]
	v_add_u32_e32 v40, 64, v69
	v_mad_i64_i32 v[20:21], s[26:27], v40, s33, 0
	v_cmp_gt_i32_e64 s[18:19], s21, v40
	v_lshl_add_u64 v[22:23], v[20:21], 1, s[24:25]
	v_mad_i64_i32 v[20:21], s[26:27], v40, s31, 0
	v_lshl_add_u64 v[20:21], v[20:21], 1, s[22:23]
	s_and_b64 s[34:35], s[2:3], s[18:19]
	s_and_saveexec_b64 s[26:27], s[34:35]
	s_cbranch_execnz .LBB254_123
; %bb.116:
	s_or_b64 exec, exec, s[26:27]
	s_and_b64 s[34:35], s[4:5], s[18:19]
	s_and_saveexec_b64 s[26:27], s[34:35]
	s_cbranch_execnz .LBB254_127
.LBB254_117:
	s_or_b64 exec, exec, s[26:27]
	s_and_b64 s[34:35], s[6:7], s[18:19]
	s_and_saveexec_b64 s[26:27], s[34:35]
	s_cbranch_execnz .LBB254_131
.LBB254_118:
	s_or_b64 exec, exec, s[26:27]
	s_and_b64 s[34:35], s[8:9], s[18:19]
	s_and_saveexec_b64 s[26:27], s[34:35]
	s_cbranch_execnz .LBB254_135
.LBB254_119:
	s_or_b64 exec, exec, s[26:27]
	s_and_b64 s[34:35], s[10:11], s[18:19]
	s_and_saveexec_b64 s[26:27], s[34:35]
	s_cbranch_execnz .LBB254_139
.LBB254_120:
	s_or_b64 exec, exec, s[26:27]
	s_and_b64 s[34:35], s[12:13], s[18:19]
	s_and_saveexec_b64 s[26:27], s[34:35]
	s_cbranch_execnz .LBB254_143
.LBB254_121:
	s_or_b64 exec, exec, s[26:27]
	s_and_b64 s[34:35], s[14:15], s[18:19]
	s_and_saveexec_b64 s[26:27], s[34:35]
	s_cbranch_execnz .LBB254_147
.LBB254_122:
	s_or_b64 exec, exec, s[26:27]
	s_and_b64 s[26:27], s[16:17], s[18:19]
	s_and_saveexec_b64 s[18:19], s[26:27]
	s_cbranch_execnz .LBB254_151
	s_branch .LBB254_155
.LBB254_123:
	s_and_b64 vcc, exec, s[0:1]
	s_cbranch_vccnz .LBB254_125
; %bb.124:
	v_lshl_add_u64 v[40:41], v[24:25], 1, v[22:23]
	flat_load_ushort v40, v[40:41]
	s_waitcnt vmcnt(0) lgkmcnt(0)
	v_mul_f16_e32 v40, s28, v40
	s_branch .LBB254_126
.LBB254_125:
	v_mov_b32_e32 v40, 0
.LBB254_126:
	v_pk_max_f16 v41, v4, v4
	v_pk_max_f16 v42, v16, v16
	;; [unrolled: 1-line block ×3, first 2 shown]
	v_pk_min_f16 v41, v42, v41
	v_pk_max_f16 v42, v5, v5
	v_pk_add_f16 v41, v59, v41
	v_pk_min_f16 v42, v43, v42
	s_nop 0
	v_pk_add_f16 v41, v41, v42
	s_nop 0
	v_add_f16_sdwa v41, v41, v41 dst_sel:DWORD dst_unused:UNUSED_PAD src0_sel:DWORD src1_sel:WORD_1
	v_add_f16_e32 v42, v41, v40
	v_lshl_add_u64 v[40:41], v[24:25], 1, v[20:21]
	flat_store_short v[40:41], v42
	s_or_b64 exec, exec, s[26:27]
	s_and_b64 s[34:35], s[4:5], s[18:19]
	s_and_saveexec_b64 s[26:27], s[34:35]
	s_cbranch_execz .LBB254_117
.LBB254_127:
	s_and_b64 vcc, exec, s[0:1]
	s_cbranch_vccnz .LBB254_129
; %bb.128:
	v_lshl_add_u64 v[40:41], v[26:27], 1, v[22:23]
	flat_load_ushort v40, v[40:41]
	s_waitcnt vmcnt(0) lgkmcnt(0)
	v_mul_f16_e32 v40, s28, v40
	s_branch .LBB254_130
.LBB254_129:
	v_mov_b32_e32 v40, 0
.LBB254_130:
	v_pk_max_f16 v41, v4, v4
	v_pk_max_f16 v42, v18, v18
	;; [unrolled: 1-line block ×3, first 2 shown]
	v_pk_min_f16 v41, v42, v41
	v_pk_max_f16 v42, v5, v5
	v_pk_add_f16 v41, v58, v41
	v_pk_min_f16 v42, v43, v42
	s_nop 0
	v_pk_add_f16 v41, v41, v42
	s_nop 0
	v_add_f16_sdwa v41, v41, v41 dst_sel:DWORD dst_unused:UNUSED_PAD src0_sel:DWORD src1_sel:WORD_1
	v_add_f16_e32 v42, v41, v40
	v_lshl_add_u64 v[40:41], v[26:27], 1, v[20:21]
	flat_store_short v[40:41], v42
	s_or_b64 exec, exec, s[26:27]
	s_and_b64 s[34:35], s[6:7], s[18:19]
	s_and_saveexec_b64 s[26:27], s[34:35]
	s_cbranch_execz .LBB254_118
.LBB254_131:
	s_and_b64 vcc, exec, s[0:1]
	s_cbranch_vccnz .LBB254_133
; %bb.132:
	v_lshl_add_u64 v[40:41], v[28:29], 1, v[22:23]
	flat_load_ushort v40, v[40:41]
	s_waitcnt vmcnt(0) lgkmcnt(0)
	v_mul_f16_e32 v40, s28, v40
	s_branch .LBB254_134
.LBB254_133:
	v_mov_b32_e32 v40, 0
.LBB254_134:
	v_pk_max_f16 v41, v4, v4
	v_pk_max_f16 v42, v12, v12
	;; [unrolled: 1-line block ×3, first 2 shown]
	v_pk_min_f16 v41, v42, v41
	v_pk_max_f16 v42, v5, v5
	v_pk_add_f16 v41, v57, v41
	v_pk_min_f16 v42, v43, v42
	s_nop 0
	v_pk_add_f16 v41, v41, v42
	s_nop 0
	v_add_f16_sdwa v41, v41, v41 dst_sel:DWORD dst_unused:UNUSED_PAD src0_sel:DWORD src1_sel:WORD_1
	v_add_f16_e32 v42, v41, v40
	v_lshl_add_u64 v[40:41], v[28:29], 1, v[20:21]
	flat_store_short v[40:41], v42
	s_or_b64 exec, exec, s[26:27]
	s_and_b64 s[34:35], s[8:9], s[18:19]
	s_and_saveexec_b64 s[26:27], s[34:35]
	s_cbranch_execz .LBB254_119
.LBB254_135:
	s_and_b64 vcc, exec, s[0:1]
	s_cbranch_vccnz .LBB254_137
; %bb.136:
	v_lshl_add_u64 v[40:41], v[30:31], 1, v[22:23]
	flat_load_ushort v40, v[40:41]
	s_waitcnt vmcnt(0) lgkmcnt(0)
	v_mul_f16_e32 v40, s28, v40
	s_branch .LBB254_138
.LBB254_137:
	v_mov_b32_e32 v40, 0
.LBB254_138:
	v_pk_max_f16 v41, v4, v4
	v_pk_max_f16 v42, v14, v14
	;; [unrolled: 1-line block ×3, first 2 shown]
	v_pk_min_f16 v41, v42, v41
	v_pk_max_f16 v42, v5, v5
	v_pk_add_f16 v41, v56, v41
	v_pk_min_f16 v42, v43, v42
	s_nop 0
	v_pk_add_f16 v41, v41, v42
	s_nop 0
	v_add_f16_sdwa v41, v41, v41 dst_sel:DWORD dst_unused:UNUSED_PAD src0_sel:DWORD src1_sel:WORD_1
	v_add_f16_e32 v42, v41, v40
	v_lshl_add_u64 v[40:41], v[30:31], 1, v[20:21]
	flat_store_short v[40:41], v42
	s_or_b64 exec, exec, s[26:27]
	s_and_b64 s[34:35], s[10:11], s[18:19]
	s_and_saveexec_b64 s[26:27], s[34:35]
	s_cbranch_execz .LBB254_120
.LBB254_139:
	s_and_b64 vcc, exec, s[0:1]
	s_cbranch_vccnz .LBB254_141
; %bb.140:
	v_lshl_add_u64 v[40:41], v[32:33], 1, v[22:23]
	flat_load_ushort v40, v[40:41]
	s_waitcnt vmcnt(0) lgkmcnt(0)
	v_mul_f16_e32 v40, s28, v40
	s_branch .LBB254_142
.LBB254_141:
	v_mov_b32_e32 v40, 0
.LBB254_142:
	v_pk_max_f16 v41, v4, v4
	v_pk_max_f16 v42, v8, v8
	;; [unrolled: 1-line block ×3, first 2 shown]
	v_pk_min_f16 v41, v42, v41
	v_pk_max_f16 v42, v5, v5
	v_pk_add_f16 v41, v55, v41
	v_pk_min_f16 v42, v43, v42
	s_nop 0
	v_pk_add_f16 v41, v41, v42
	s_nop 0
	v_add_f16_sdwa v41, v41, v41 dst_sel:DWORD dst_unused:UNUSED_PAD src0_sel:DWORD src1_sel:WORD_1
	v_add_f16_e32 v42, v41, v40
	v_lshl_add_u64 v[40:41], v[32:33], 1, v[20:21]
	flat_store_short v[40:41], v42
	s_or_b64 exec, exec, s[26:27]
	s_and_b64 s[34:35], s[12:13], s[18:19]
	s_and_saveexec_b64 s[26:27], s[34:35]
	s_cbranch_execz .LBB254_121
.LBB254_143:
	s_and_b64 vcc, exec, s[0:1]
	s_cbranch_vccnz .LBB254_145
; %bb.144:
	v_lshl_add_u64 v[40:41], v[34:35], 1, v[22:23]
	flat_load_ushort v40, v[40:41]
	s_waitcnt vmcnt(0) lgkmcnt(0)
	v_mul_f16_e32 v40, s28, v40
	s_branch .LBB254_146
.LBB254_145:
	v_mov_b32_e32 v40, 0
.LBB254_146:
	v_pk_max_f16 v41, v4, v4
	v_pk_max_f16 v42, v10, v10
	v_pk_max_f16 v43, v11, v11
	v_pk_min_f16 v41, v42, v41
	v_pk_max_f16 v42, v5, v5
	v_pk_add_f16 v41, v54, v41
	v_pk_min_f16 v42, v43, v42
	s_nop 0
	v_pk_add_f16 v41, v41, v42
	s_nop 0
	v_add_f16_sdwa v41, v41, v41 dst_sel:DWORD dst_unused:UNUSED_PAD src0_sel:DWORD src1_sel:WORD_1
	v_add_f16_e32 v42, v41, v40
	v_lshl_add_u64 v[40:41], v[34:35], 1, v[20:21]
	flat_store_short v[40:41], v42
	s_or_b64 exec, exec, s[26:27]
	s_and_b64 s[34:35], s[14:15], s[18:19]
	s_and_saveexec_b64 s[26:27], s[34:35]
	s_cbranch_execz .LBB254_122
.LBB254_147:
	s_and_b64 vcc, exec, s[0:1]
	s_cbranch_vccnz .LBB254_149
; %bb.148:
	v_lshl_add_u64 v[40:41], v[36:37], 1, v[22:23]
	flat_load_ushort v40, v[40:41]
	s_waitcnt vmcnt(0) lgkmcnt(0)
	v_mul_f16_e32 v40, s28, v40
	s_branch .LBB254_150
.LBB254_149:
	v_mov_b32_e32 v40, 0
.LBB254_150:
	v_pk_max_f16 v41, v4, v4
	v_pk_max_f16 v42, v0, v0
	v_pk_max_f16 v43, v1, v1
	v_pk_min_f16 v41, v42, v41
	v_pk_max_f16 v42, v5, v5
	v_pk_add_f16 v41, v53, v41
	v_pk_min_f16 v42, v43, v42
	s_nop 0
	v_pk_add_f16 v41, v41, v42
	s_nop 0
	v_add_f16_sdwa v41, v41, v41 dst_sel:DWORD dst_unused:UNUSED_PAD src0_sel:DWORD src1_sel:WORD_1
	v_add_f16_e32 v42, v41, v40
	v_lshl_add_u64 v[40:41], v[36:37], 1, v[20:21]
	flat_store_short v[40:41], v42
	s_or_b64 exec, exec, s[26:27]
	s_and_b64 s[26:27], s[16:17], s[18:19]
	s_and_saveexec_b64 s[18:19], s[26:27]
	s_cbranch_execz .LBB254_155
.LBB254_151:
	s_and_b64 vcc, exec, s[0:1]
	s_cbranch_vccnz .LBB254_153
; %bb.152:
	v_lshl_add_u64 v[22:23], v[38:39], 1, v[22:23]
	flat_load_ushort v22, v[22:23]
	s_waitcnt vmcnt(0) lgkmcnt(0)
	v_mul_f16_e32 v22, s28, v22
	s_branch .LBB254_154
.LBB254_153:
	v_mov_b32_e32 v22, 0
.LBB254_154:
	v_pk_max_f16 v4, v4, v4
	v_pk_max_f16 v23, v2, v2
	;; [unrolled: 1-line block ×3, first 2 shown]
	v_pk_min_f16 v4, v23, v4
	v_pk_max_f16 v23, v3, v3
	v_pk_add_f16 v4, v52, v4
	v_pk_min_f16 v5, v23, v5
	s_nop 0
	v_pk_add_f16 v4, v4, v5
	s_nop 0
	v_add_f16_sdwa v4, v4, v4 dst_sel:DWORD dst_unused:UNUSED_PAD src0_sel:DWORD src1_sel:WORD_1
	v_add_f16_e32 v22, v4, v22
	v_lshl_add_u64 v[4:5], v[38:39], 1, v[20:21]
	flat_store_short v[4:5], v22
.LBB254_155:
	s_or_b64 exec, exec, s[18:19]
	v_add_u32_e32 v22, 0x60, v69
	v_cmp_gt_i32_e64 s[18:19], s21, v22
	v_mad_i64_i32 v[4:5], s[20:21], v22, s33, 0
	v_lshl_add_u64 v[20:21], v[4:5], 1, s[24:25]
	v_mad_i64_i32 v[4:5], s[20:21], v22, s31, 0
	v_lshl_add_u64 v[4:5], v[4:5], 1, s[22:23]
	s_and_b64 s[20:21], s[2:3], s[18:19]
	s_and_saveexec_b64 s[2:3], s[20:21]
	s_cbranch_execnz .LBB254_164
; %bb.156:
	s_or_b64 exec, exec, s[2:3]
	s_and_b64 s[4:5], s[4:5], s[18:19]
	s_and_saveexec_b64 s[2:3], s[4:5]
	s_cbranch_execnz .LBB254_168
.LBB254_157:
	s_or_b64 exec, exec, s[2:3]
	s_and_b64 s[4:5], s[6:7], s[18:19]
	s_and_saveexec_b64 s[2:3], s[4:5]
	s_cbranch_execnz .LBB254_172
.LBB254_158:
	s_or_b64 exec, exec, s[2:3]
	s_and_b64 s[4:5], s[8:9], s[18:19]
	s_and_saveexec_b64 s[2:3], s[4:5]
	s_cbranch_execnz .LBB254_176
.LBB254_159:
	s_or_b64 exec, exec, s[2:3]
	s_and_b64 s[4:5], s[10:11], s[18:19]
	s_and_saveexec_b64 s[2:3], s[4:5]
	s_cbranch_execnz .LBB254_180
.LBB254_160:
	s_or_b64 exec, exec, s[2:3]
	s_and_b64 s[4:5], s[12:13], s[18:19]
	s_and_saveexec_b64 s[2:3], s[4:5]
	s_cbranch_execnz .LBB254_184
.LBB254_161:
	s_or_b64 exec, exec, s[2:3]
	s_and_b64 s[4:5], s[14:15], s[18:19]
	s_and_saveexec_b64 s[2:3], s[4:5]
	s_cbranch_execnz .LBB254_188
.LBB254_162:
	s_or_b64 exec, exec, s[2:3]
	s_and_b64 s[2:3], s[16:17], s[18:19]
	s_and_saveexec_b64 s[4:5], s[2:3]
	s_cbranch_execnz .LBB254_192
.LBB254_163:
	s_endpgm
.LBB254_164:
	s_and_b64 vcc, exec, s[0:1]
	s_cbranch_vccnz .LBB254_166
; %bb.165:
	v_lshl_add_u64 v[22:23], v[24:25], 1, v[20:21]
	flat_load_ushort v22, v[22:23]
	s_waitcnt vmcnt(0) lgkmcnt(0)
	v_mul_f16_e32 v22, s28, v22
	s_branch .LBB254_167
.LBB254_166:
	v_mov_b32_e32 v22, 0
.LBB254_167:
	v_pk_max_f16 v23, v6, v6
	v_pk_max_f16 v16, v16, v16
	;; [unrolled: 1-line block ×3, first 2 shown]
	v_pk_min_f16 v16, v16, v23
	v_pk_max_f16 v23, v7, v7
	v_pk_add_f16 v16, v51, v16
	v_pk_min_f16 v17, v17, v23
	s_nop 0
	v_pk_add_f16 v16, v16, v17
	s_nop 0
	v_add_f16_sdwa v16, v16, v16 dst_sel:DWORD dst_unused:UNUSED_PAD src0_sel:DWORD src1_sel:WORD_1
	v_add_f16_e32 v22, v16, v22
	v_lshl_add_u64 v[16:17], v[24:25], 1, v[4:5]
	flat_store_short v[16:17], v22
	s_or_b64 exec, exec, s[2:3]
	s_and_b64 s[4:5], s[4:5], s[18:19]
	s_and_saveexec_b64 s[2:3], s[4:5]
	s_cbranch_execz .LBB254_157
.LBB254_168:
	s_and_b64 vcc, exec, s[0:1]
	s_cbranch_vccnz .LBB254_170
; %bb.169:
	v_lshl_add_u64 v[16:17], v[26:27], 1, v[20:21]
	flat_load_ushort v16, v[16:17]
	s_waitcnt vmcnt(0) lgkmcnt(0)
	v_mul_f16_e32 v16, s28, v16
	s_branch .LBB254_171
.LBB254_170:
	v_mov_b32_e32 v16, 0
.LBB254_171:
	v_pk_max_f16 v17, v6, v6
	v_pk_max_f16 v18, v18, v18
	;; [unrolled: 1-line block ×3, first 2 shown]
	v_pk_min_f16 v17, v18, v17
	v_pk_max_f16 v18, v7, v7
	v_pk_add_f16 v17, v50, v17
	v_pk_min_f16 v18, v19, v18
	s_nop 0
	v_pk_add_f16 v17, v17, v18
	s_nop 0
	v_add_f16_sdwa v17, v17, v17 dst_sel:DWORD dst_unused:UNUSED_PAD src0_sel:DWORD src1_sel:WORD_1
	v_add_f16_e32 v18, v17, v16
	v_lshl_add_u64 v[16:17], v[26:27], 1, v[4:5]
	flat_store_short v[16:17], v18
	s_or_b64 exec, exec, s[2:3]
	s_and_b64 s[4:5], s[6:7], s[18:19]
	s_and_saveexec_b64 s[2:3], s[4:5]
	s_cbranch_execz .LBB254_158
.LBB254_172:
	s_and_b64 vcc, exec, s[0:1]
	s_cbranch_vccnz .LBB254_174
; %bb.173:
	v_lshl_add_u64 v[16:17], v[28:29], 1, v[20:21]
	flat_load_ushort v16, v[16:17]
	s_waitcnt vmcnt(0) lgkmcnt(0)
	v_mul_f16_e32 v16, s28, v16
	s_branch .LBB254_175
.LBB254_174:
	v_mov_b32_e32 v16, 0
.LBB254_175:
	v_pk_max_f16 v17, v6, v6
	v_pk_max_f16 v12, v12, v12
	;; [unrolled: 1-line block ×3, first 2 shown]
	v_pk_min_f16 v12, v12, v17
	v_pk_max_f16 v17, v7, v7
	v_pk_add_f16 v12, v49, v12
	v_pk_min_f16 v13, v13, v17
	s_nop 0
	v_pk_add_f16 v12, v12, v13
	s_nop 0
	v_add_f16_sdwa v12, v12, v12 dst_sel:DWORD dst_unused:UNUSED_PAD src0_sel:DWORD src1_sel:WORD_1
	v_add_f16_e32 v16, v12, v16
	v_lshl_add_u64 v[12:13], v[28:29], 1, v[4:5]
	flat_store_short v[12:13], v16
	s_or_b64 exec, exec, s[2:3]
	s_and_b64 s[4:5], s[8:9], s[18:19]
	s_and_saveexec_b64 s[2:3], s[4:5]
	s_cbranch_execz .LBB254_159
.LBB254_176:
	s_and_b64 vcc, exec, s[0:1]
	s_cbranch_vccnz .LBB254_178
; %bb.177:
	v_lshl_add_u64 v[12:13], v[30:31], 1, v[20:21]
	flat_load_ushort v12, v[12:13]
	s_waitcnt vmcnt(0) lgkmcnt(0)
	v_mul_f16_e32 v12, s28, v12
	s_branch .LBB254_179
.LBB254_178:
	v_mov_b32_e32 v12, 0
.LBB254_179:
	v_pk_max_f16 v13, v6, v6
	v_pk_max_f16 v14, v14, v14
	;; [unrolled: 1-line block ×3, first 2 shown]
	v_pk_min_f16 v13, v14, v13
	v_pk_max_f16 v14, v7, v7
	v_pk_add_f16 v13, v48, v13
	v_pk_min_f16 v14, v15, v14
	s_nop 0
	v_pk_add_f16 v13, v13, v14
	s_nop 0
	v_add_f16_sdwa v13, v13, v13 dst_sel:DWORD dst_unused:UNUSED_PAD src0_sel:DWORD src1_sel:WORD_1
	v_add_f16_e32 v14, v13, v12
	v_lshl_add_u64 v[12:13], v[30:31], 1, v[4:5]
	flat_store_short v[12:13], v14
	s_or_b64 exec, exec, s[2:3]
	s_and_b64 s[4:5], s[10:11], s[18:19]
	s_and_saveexec_b64 s[2:3], s[4:5]
	s_cbranch_execz .LBB254_160
.LBB254_180:
	s_and_b64 vcc, exec, s[0:1]
	s_cbranch_vccnz .LBB254_182
; %bb.181:
	v_lshl_add_u64 v[12:13], v[32:33], 1, v[20:21]
	flat_load_ushort v12, v[12:13]
	s_waitcnt vmcnt(0) lgkmcnt(0)
	v_mul_f16_e32 v12, s28, v12
	s_branch .LBB254_183
.LBB254_182:
	v_mov_b32_e32 v12, 0
.LBB254_183:
	v_pk_max_f16 v13, v6, v6
	v_pk_max_f16 v8, v8, v8
	;; [unrolled: 1-line block ×3, first 2 shown]
	v_pk_min_f16 v8, v8, v13
	v_pk_max_f16 v13, v7, v7
	v_pk_add_f16 v8, v47, v8
	v_pk_min_f16 v9, v9, v13
	s_nop 0
	v_pk_add_f16 v8, v8, v9
	s_nop 0
	v_add_f16_sdwa v8, v8, v8 dst_sel:DWORD dst_unused:UNUSED_PAD src0_sel:DWORD src1_sel:WORD_1
	v_add_f16_e32 v12, v8, v12
	v_lshl_add_u64 v[8:9], v[32:33], 1, v[4:5]
	flat_store_short v[8:9], v12
	s_or_b64 exec, exec, s[2:3]
	s_and_b64 s[4:5], s[12:13], s[18:19]
	s_and_saveexec_b64 s[2:3], s[4:5]
	s_cbranch_execz .LBB254_161
.LBB254_184:
	s_and_b64 vcc, exec, s[0:1]
	s_cbranch_vccnz .LBB254_186
; %bb.185:
	v_lshl_add_u64 v[8:9], v[34:35], 1, v[20:21]
	flat_load_ushort v8, v[8:9]
	s_waitcnt vmcnt(0) lgkmcnt(0)
	v_mul_f16_e32 v8, s28, v8
	s_branch .LBB254_187
.LBB254_186:
	v_mov_b32_e32 v8, 0
.LBB254_187:
	v_pk_max_f16 v9, v6, v6
	v_pk_max_f16 v10, v10, v10
	;; [unrolled: 1-line block ×3, first 2 shown]
	v_pk_min_f16 v9, v10, v9
	v_pk_max_f16 v10, v7, v7
	v_pk_add_f16 v9, v46, v9
	v_pk_min_f16 v10, v11, v10
	s_nop 0
	v_pk_add_f16 v9, v9, v10
	s_nop 0
	v_add_f16_sdwa v9, v9, v9 dst_sel:DWORD dst_unused:UNUSED_PAD src0_sel:DWORD src1_sel:WORD_1
	v_add_f16_e32 v10, v9, v8
	v_lshl_add_u64 v[8:9], v[34:35], 1, v[4:5]
	flat_store_short v[8:9], v10
	s_or_b64 exec, exec, s[2:3]
	s_and_b64 s[4:5], s[14:15], s[18:19]
	s_and_saveexec_b64 s[2:3], s[4:5]
	s_cbranch_execz .LBB254_162
.LBB254_188:
	s_and_b64 vcc, exec, s[0:1]
	s_cbranch_vccnz .LBB254_190
; %bb.189:
	v_lshl_add_u64 v[8:9], v[36:37], 1, v[20:21]
	flat_load_ushort v8, v[8:9]
	s_waitcnt vmcnt(0) lgkmcnt(0)
	v_mul_f16_e32 v8, s28, v8
	s_branch .LBB254_191
.LBB254_190:
	v_mov_b32_e32 v8, 0
.LBB254_191:
	v_pk_max_f16 v9, v6, v6
	v_pk_max_f16 v0, v0, v0
	;; [unrolled: 1-line block ×3, first 2 shown]
	v_pk_min_f16 v0, v0, v9
	v_pk_max_f16 v9, v7, v7
	v_pk_add_f16 v0, v45, v0
	v_pk_min_f16 v1, v1, v9
	s_nop 0
	v_pk_add_f16 v0, v0, v1
	s_nop 0
	v_add_f16_sdwa v0, v0, v0 dst_sel:DWORD dst_unused:UNUSED_PAD src0_sel:DWORD src1_sel:WORD_1
	v_add_f16_e32 v8, v0, v8
	v_lshl_add_u64 v[0:1], v[36:37], 1, v[4:5]
	flat_store_short v[0:1], v8
	s_or_b64 exec, exec, s[2:3]
	s_and_b64 s[2:3], s[16:17], s[18:19]
	s_and_saveexec_b64 s[4:5], s[2:3]
	s_cbranch_execz .LBB254_163
.LBB254_192:
	s_and_b64 vcc, exec, s[0:1]
	s_cbranch_vccnz .LBB254_194
; %bb.193:
	v_lshl_add_u64 v[0:1], v[38:39], 1, v[20:21]
	flat_load_ushort v0, v[0:1]
	s_waitcnt vmcnt(0) lgkmcnt(0)
	v_mul_f16_e32 v0, s28, v0
	s_branch .LBB254_195
.LBB254_194:
	v_mov_b32_e32 v0, 0
.LBB254_195:
	v_pk_max_f16 v1, v6, v6
	v_pk_max_f16 v2, v2, v2
	;; [unrolled: 1-line block ×3, first 2 shown]
	v_pk_min_f16 v1, v2, v1
	v_pk_max_f16 v2, v7, v7
	v_pk_add_f16 v1, v44, v1
	v_pk_min_f16 v2, v3, v2
	s_nop 0
	v_pk_add_f16 v1, v1, v2
	s_nop 0
	v_add_f16_sdwa v1, v1, v1 dst_sel:DWORD dst_unused:UNUSED_PAD src0_sel:DWORD src1_sel:WORD_1
	v_add_f16_e32 v2, v1, v0
	v_lshl_add_u64 v[0:1], v[38:39], 1, v[4:5]
	flat_store_short v[0:1], v2
	s_endpgm
	.section	.rodata,"a",@progbits
	.p2align	6, 0x0
	.amdhsa_kernel _ZN12_GLOBAL__N_120geam_min_plus_kernelIDF16_Dv2_DF16_S1_Li8ELi32ELi64ELi128ELi4ELi4ELi64ELi64ELi4ELc84ELc84ELb0ELb1ELb0EDF16_KPKDF16_KPDF16_EEviiiT16_PT17_ilS9_ilS7_S9_ilPT18_ili26rocblas_geam_ex_operation_
		.amdhsa_group_segment_fixed_size 3072
		.amdhsa_private_segment_fixed_size 0
		.amdhsa_kernarg_size 128
		.amdhsa_user_sgpr_count 2
		.amdhsa_user_sgpr_dispatch_ptr 0
		.amdhsa_user_sgpr_queue_ptr 0
		.amdhsa_user_sgpr_kernarg_segment_ptr 1
		.amdhsa_user_sgpr_dispatch_id 0
		.amdhsa_user_sgpr_kernarg_preload_length 0
		.amdhsa_user_sgpr_kernarg_preload_offset 0
		.amdhsa_user_sgpr_private_segment_size 0
		.amdhsa_uses_dynamic_stack 0
		.amdhsa_enable_private_segment 0
		.amdhsa_system_sgpr_workgroup_id_x 1
		.amdhsa_system_sgpr_workgroup_id_y 0
		.amdhsa_system_sgpr_workgroup_id_z 1
		.amdhsa_system_sgpr_workgroup_info 0
		.amdhsa_system_vgpr_workitem_id 1
		.amdhsa_next_free_vgpr 118
		.amdhsa_next_free_sgpr 38
		.amdhsa_accum_offset 120
		.amdhsa_reserve_vcc 1
		.amdhsa_float_round_mode_32 0
		.amdhsa_float_round_mode_16_64 0
		.amdhsa_float_denorm_mode_32 3
		.amdhsa_float_denorm_mode_16_64 3
		.amdhsa_dx10_clamp 1
		.amdhsa_ieee_mode 1
		.amdhsa_fp16_overflow 0
		.amdhsa_tg_split 0
		.amdhsa_exception_fp_ieee_invalid_op 0
		.amdhsa_exception_fp_denorm_src 0
		.amdhsa_exception_fp_ieee_div_zero 0
		.amdhsa_exception_fp_ieee_overflow 0
		.amdhsa_exception_fp_ieee_underflow 0
		.amdhsa_exception_fp_ieee_inexact 0
		.amdhsa_exception_int_div_zero 0
	.end_amdhsa_kernel
	.section	.text._ZN12_GLOBAL__N_120geam_min_plus_kernelIDF16_Dv2_DF16_S1_Li8ELi32ELi64ELi128ELi4ELi4ELi64ELi64ELi4ELc84ELc84ELb0ELb1ELb0EDF16_KPKDF16_KPDF16_EEviiiT16_PT17_ilS9_ilS7_S9_ilPT18_ili26rocblas_geam_ex_operation_,"axG",@progbits,_ZN12_GLOBAL__N_120geam_min_plus_kernelIDF16_Dv2_DF16_S1_Li8ELi32ELi64ELi128ELi4ELi4ELi64ELi64ELi4ELc84ELc84ELb0ELb1ELb0EDF16_KPKDF16_KPDF16_EEviiiT16_PT17_ilS9_ilS7_S9_ilPT18_ili26rocblas_geam_ex_operation_,comdat
.Lfunc_end254:
	.size	_ZN12_GLOBAL__N_120geam_min_plus_kernelIDF16_Dv2_DF16_S1_Li8ELi32ELi64ELi128ELi4ELi4ELi64ELi64ELi4ELc84ELc84ELb0ELb1ELb0EDF16_KPKDF16_KPDF16_EEviiiT16_PT17_ilS9_ilS7_S9_ilPT18_ili26rocblas_geam_ex_operation_, .Lfunc_end254-_ZN12_GLOBAL__N_120geam_min_plus_kernelIDF16_Dv2_DF16_S1_Li8ELi32ELi64ELi128ELi4ELi4ELi64ELi64ELi4ELc84ELc84ELb0ELb1ELb0EDF16_KPKDF16_KPDF16_EEviiiT16_PT17_ilS9_ilS7_S9_ilPT18_ili26rocblas_geam_ex_operation_
                                        ; -- End function
	.set _ZN12_GLOBAL__N_120geam_min_plus_kernelIDF16_Dv2_DF16_S1_Li8ELi32ELi64ELi128ELi4ELi4ELi64ELi64ELi4ELc84ELc84ELb0ELb1ELb0EDF16_KPKDF16_KPDF16_EEviiiT16_PT17_ilS9_ilS7_S9_ilPT18_ili26rocblas_geam_ex_operation_.num_vgpr, 118
	.set _ZN12_GLOBAL__N_120geam_min_plus_kernelIDF16_Dv2_DF16_S1_Li8ELi32ELi64ELi128ELi4ELi4ELi64ELi64ELi4ELc84ELc84ELb0ELb1ELb0EDF16_KPKDF16_KPDF16_EEviiiT16_PT17_ilS9_ilS7_S9_ilPT18_ili26rocblas_geam_ex_operation_.num_agpr, 0
	.set _ZN12_GLOBAL__N_120geam_min_plus_kernelIDF16_Dv2_DF16_S1_Li8ELi32ELi64ELi128ELi4ELi4ELi64ELi64ELi4ELc84ELc84ELb0ELb1ELb0EDF16_KPKDF16_KPDF16_EEviiiT16_PT17_ilS9_ilS7_S9_ilPT18_ili26rocblas_geam_ex_operation_.numbered_sgpr, 38
	.set _ZN12_GLOBAL__N_120geam_min_plus_kernelIDF16_Dv2_DF16_S1_Li8ELi32ELi64ELi128ELi4ELi4ELi64ELi64ELi4ELc84ELc84ELb0ELb1ELb0EDF16_KPKDF16_KPDF16_EEviiiT16_PT17_ilS9_ilS7_S9_ilPT18_ili26rocblas_geam_ex_operation_.num_named_barrier, 0
	.set _ZN12_GLOBAL__N_120geam_min_plus_kernelIDF16_Dv2_DF16_S1_Li8ELi32ELi64ELi128ELi4ELi4ELi64ELi64ELi4ELc84ELc84ELb0ELb1ELb0EDF16_KPKDF16_KPDF16_EEviiiT16_PT17_ilS9_ilS7_S9_ilPT18_ili26rocblas_geam_ex_operation_.private_seg_size, 0
	.set _ZN12_GLOBAL__N_120geam_min_plus_kernelIDF16_Dv2_DF16_S1_Li8ELi32ELi64ELi128ELi4ELi4ELi64ELi64ELi4ELc84ELc84ELb0ELb1ELb0EDF16_KPKDF16_KPDF16_EEviiiT16_PT17_ilS9_ilS7_S9_ilPT18_ili26rocblas_geam_ex_operation_.uses_vcc, 1
	.set _ZN12_GLOBAL__N_120geam_min_plus_kernelIDF16_Dv2_DF16_S1_Li8ELi32ELi64ELi128ELi4ELi4ELi64ELi64ELi4ELc84ELc84ELb0ELb1ELb0EDF16_KPKDF16_KPDF16_EEviiiT16_PT17_ilS9_ilS7_S9_ilPT18_ili26rocblas_geam_ex_operation_.uses_flat_scratch, 0
	.set _ZN12_GLOBAL__N_120geam_min_plus_kernelIDF16_Dv2_DF16_S1_Li8ELi32ELi64ELi128ELi4ELi4ELi64ELi64ELi4ELc84ELc84ELb0ELb1ELb0EDF16_KPKDF16_KPDF16_EEviiiT16_PT17_ilS9_ilS7_S9_ilPT18_ili26rocblas_geam_ex_operation_.has_dyn_sized_stack, 0
	.set _ZN12_GLOBAL__N_120geam_min_plus_kernelIDF16_Dv2_DF16_S1_Li8ELi32ELi64ELi128ELi4ELi4ELi64ELi64ELi4ELc84ELc84ELb0ELb1ELb0EDF16_KPKDF16_KPDF16_EEviiiT16_PT17_ilS9_ilS7_S9_ilPT18_ili26rocblas_geam_ex_operation_.has_recursion, 0
	.set _ZN12_GLOBAL__N_120geam_min_plus_kernelIDF16_Dv2_DF16_S1_Li8ELi32ELi64ELi128ELi4ELi4ELi64ELi64ELi4ELc84ELc84ELb0ELb1ELb0EDF16_KPKDF16_KPDF16_EEviiiT16_PT17_ilS9_ilS7_S9_ilPT18_ili26rocblas_geam_ex_operation_.has_indirect_call, 0
	.section	.AMDGPU.csdata,"",@progbits
; Kernel info:
; codeLenInByte = 11324
; TotalNumSgprs: 44
; NumVgprs: 118
; NumAgprs: 0
; TotalNumVgprs: 118
; ScratchSize: 0
; MemoryBound: 0
; FloatMode: 240
; IeeeMode: 1
; LDSByteSize: 3072 bytes/workgroup (compile time only)
; SGPRBlocks: 5
; VGPRBlocks: 14
; NumSGPRsForWavesPerEU: 44
; NumVGPRsForWavesPerEU: 118
; AccumOffset: 120
; Occupancy: 4
; WaveLimiterHint : 1
; COMPUTE_PGM_RSRC2:SCRATCH_EN: 0
; COMPUTE_PGM_RSRC2:USER_SGPR: 2
; COMPUTE_PGM_RSRC2:TRAP_HANDLER: 0
; COMPUTE_PGM_RSRC2:TGID_X_EN: 1
; COMPUTE_PGM_RSRC2:TGID_Y_EN: 0
; COMPUTE_PGM_RSRC2:TGID_Z_EN: 1
; COMPUTE_PGM_RSRC2:TIDIG_COMP_CNT: 1
; COMPUTE_PGM_RSRC3_GFX90A:ACCUM_OFFSET: 29
; COMPUTE_PGM_RSRC3_GFX90A:TG_SPLIT: 0
	.section	.text._ZN12_GLOBAL__N_120geam_ex_scale_kernelILi32ELi32EDF16_DF16_PKDF16_PDF16_EEviiT2_T3_lilT4_lil,"axG",@progbits,_ZN12_GLOBAL__N_120geam_ex_scale_kernelILi32ELi32EDF16_DF16_PKDF16_PDF16_EEviiT2_T3_lilT4_lil,comdat
	.globl	_ZN12_GLOBAL__N_120geam_ex_scale_kernelILi32ELi32EDF16_DF16_PKDF16_PDF16_EEviiT2_T3_lilT4_lil ; -- Begin function _ZN12_GLOBAL__N_120geam_ex_scale_kernelILi32ELi32EDF16_DF16_PKDF16_PDF16_EEviiT2_T3_lilT4_lil
	.p2align	8
	.type	_ZN12_GLOBAL__N_120geam_ex_scale_kernelILi32ELi32EDF16_DF16_PKDF16_PDF16_EEviiT2_T3_lilT4_lil,@function
_ZN12_GLOBAL__N_120geam_ex_scale_kernelILi32ELi32EDF16_DF16_PKDF16_PDF16_EEviiT2_T3_lilT4_lil: ; @_ZN12_GLOBAL__N_120geam_ex_scale_kernelILi32ELi32EDF16_DF16_PKDF16_PDF16_EEviiT2_T3_lilT4_lil
; %bb.0:
	s_load_dwordx4 s[8:11], s[0:1], 0x0
	s_load_dwordx4 s[4:7], s[0:1], 0x28
	s_load_dwordx2 s[12:13], s[0:1], 0x38
	s_waitcnt lgkmcnt(0)
	v_cmp_eq_f16_e64 s[16:17], s10, 0
	s_and_b64 vcc, exec, s[16:17]
	s_cbranch_vccnz .LBB255_2
; %bb.1:
	s_load_dwordx4 s[20:23], s[0:1], 0x10
	s_mul_i32 s5, s5, s3
	s_mul_hi_u32 s11, s4, s3
	s_add_i32 s5, s11, s5
	s_mul_i32 s4, s4, s3
	s_lshl_b64 s[4:5], s[4:5], 1
	s_waitcnt lgkmcnt(0)
	s_add_u32 s11, s20, s4
	s_addc_u32 s15, s21, s5
	s_lshl_b64 s[4:5], s[22:23], 1
	s_add_u32 s14, s11, s4
	s_addc_u32 s15, s15, s5
	s_branch .LBB255_3
.LBB255_2:
	s_mov_b64 s[14:15], 0
.LBB255_3:
	s_add_i32 s4, s8, -1
	s_ashr_i32 s5, s4, 31
	s_lshr_b32 s5, s5, 27
	s_add_i32 s4, s4, s5
	s_ashr_i32 s4, s4, 5
	s_add_i32 s5, s4, 1
	v_cvt_f32_u32_e32 v1, s5
	s_not_b32 s4, s4
	v_and_b32_e32 v2, 0x3ff, v0
	v_bfe_u32 v0, v0, 10, 10
	v_rcp_iflag_f32_e32 v1, v1
	s_nop 0
	v_mul_f32_e32 v1, 0x4f7ffffe, v1
	v_cvt_u32_f32_e32 v1, v1
	s_nop 0
	v_readfirstlane_b32 s11, v1
	s_mul_i32 s4, s4, s11
	s_mul_hi_u32 s4, s11, s4
	s_add_i32 s11, s11, s4
	s_mul_hi_u32 s4, s2, s11
	s_mul_i32 s11, s4, s5
	s_sub_i32 s11, s2, s11
	s_add_i32 s18, s4, 1
	s_sub_i32 s19, s11, s5
	s_cmp_ge_u32 s11, s5
	s_cselect_b32 s4, s18, s4
	s_cselect_b32 s11, s19, s11
	s_add_i32 s18, s4, 1
	s_cmp_ge_u32 s11, s5
	s_cselect_b32 s4, s18, s4
	s_mul_i32 s5, s4, s5
	s_sub_i32 s2, s2, s5
	v_lshl_add_u32 v4, s4, 5, v0
	v_lshl_add_u32 v0, s2, 5, v2
	v_cmp_gt_u32_e32 vcc, s8, v0
	v_cmp_gt_u32_e64 s[4:5], s9, v4
	s_and_b64 s[4:5], vcc, s[4:5]
	s_and_saveexec_b64 s[8:9], s[4:5]
	s_cbranch_execz .LBB255_9
; %bb.4:
	s_andn2_b64 vcc, exec, s[16:17]
	v_mov_b32_e32 v1, 0
	s_cbranch_vccnz .LBB255_6
; %bb.5:
	v_mov_b32_e32 v3, 0
	v_mov_b32_e32 v2, v0
	s_cbranch_execz .LBB255_7
	s_branch .LBB255_8
.LBB255_6:
	v_mov_b64_e32 v[2:3], v[0:1]
.LBB255_7:
	s_load_dword s2, s[0:1], 0x20
	s_waitcnt lgkmcnt(0)
	v_mad_u64_u32 v[6:7], s[4:5], v4, s2, 0
	s_ashr_i32 s8, s2, 31
	v_mov_b32_e32 v8, v7
	v_mad_u64_u32 v[8:9], s[4:5], v4, s8, v[8:9]
	v_mov_b32_e32 v7, v8
	v_lshl_add_u64 v[6:7], v[6:7], 1, s[14:15]
	v_lshl_add_u64 v[0:1], v[0:1], 1, v[6:7]
	global_load_ushort v0, v[0:1], off
	s_waitcnt vmcnt(0)
	v_mul_f16_e32 v1, s10, v0
.LBB255_8:
	s_load_dwordx2 s[4:5], s[0:1], 0x48
	s_load_dword s2, s[0:1], 0x40
	s_waitcnt lgkmcnt(0)
	s_mul_i32 s1, s5, s3
	s_mul_hi_u32 s5, s4, s3
	s_mul_i32 s0, s4, s3
	s_add_i32 s1, s5, s1
	s_lshl_b64 s[0:1], s[0:1], 1
	s_add_u32 s3, s6, s0
	s_addc_u32 s4, s7, s1
	s_lshl_b64 s[0:1], s[12:13], 1
	s_add_u32 s0, s3, s0
	s_addc_u32 s1, s4, s1
	s_ashr_i32 s4, s2, 31
	v_mad_u64_u32 v[6:7], s[2:3], v4, s2, 0
	v_mov_b32_e32 v0, v7
	v_mad_u64_u32 v[4:5], s[2:3], v4, s4, v[0:1]
	v_mov_b32_e32 v7, v4
	v_lshl_add_u64 v[4:5], v[6:7], 1, s[0:1]
	v_lshl_add_u64 v[2:3], v[2:3], 1, v[4:5]
	global_store_short v[2:3], v1, off
.LBB255_9:
	s_endpgm
	.section	.rodata,"a",@progbits
	.p2align	6, 0x0
	.amdhsa_kernel _ZN12_GLOBAL__N_120geam_ex_scale_kernelILi32ELi32EDF16_DF16_PKDF16_PDF16_EEviiT2_T3_lilT4_lil
		.amdhsa_group_segment_fixed_size 0
		.amdhsa_private_segment_fixed_size 0
		.amdhsa_kernarg_size 80
		.amdhsa_user_sgpr_count 2
		.amdhsa_user_sgpr_dispatch_ptr 0
		.amdhsa_user_sgpr_queue_ptr 0
		.amdhsa_user_sgpr_kernarg_segment_ptr 1
		.amdhsa_user_sgpr_dispatch_id 0
		.amdhsa_user_sgpr_kernarg_preload_length 0
		.amdhsa_user_sgpr_kernarg_preload_offset 0
		.amdhsa_user_sgpr_private_segment_size 0
		.amdhsa_uses_dynamic_stack 0
		.amdhsa_enable_private_segment 0
		.amdhsa_system_sgpr_workgroup_id_x 1
		.amdhsa_system_sgpr_workgroup_id_y 0
		.amdhsa_system_sgpr_workgroup_id_z 1
		.amdhsa_system_sgpr_workgroup_info 0
		.amdhsa_system_vgpr_workitem_id 1
		.amdhsa_next_free_vgpr 10
		.amdhsa_next_free_sgpr 24
		.amdhsa_accum_offset 12
		.amdhsa_reserve_vcc 1
		.amdhsa_float_round_mode_32 0
		.amdhsa_float_round_mode_16_64 0
		.amdhsa_float_denorm_mode_32 3
		.amdhsa_float_denorm_mode_16_64 3
		.amdhsa_dx10_clamp 1
		.amdhsa_ieee_mode 1
		.amdhsa_fp16_overflow 0
		.amdhsa_tg_split 0
		.amdhsa_exception_fp_ieee_invalid_op 0
		.amdhsa_exception_fp_denorm_src 0
		.amdhsa_exception_fp_ieee_div_zero 0
		.amdhsa_exception_fp_ieee_overflow 0
		.amdhsa_exception_fp_ieee_underflow 0
		.amdhsa_exception_fp_ieee_inexact 0
		.amdhsa_exception_int_div_zero 0
	.end_amdhsa_kernel
	.section	.text._ZN12_GLOBAL__N_120geam_ex_scale_kernelILi32ELi32EDF16_DF16_PKDF16_PDF16_EEviiT2_T3_lilT4_lil,"axG",@progbits,_ZN12_GLOBAL__N_120geam_ex_scale_kernelILi32ELi32EDF16_DF16_PKDF16_PDF16_EEviiT2_T3_lilT4_lil,comdat
.Lfunc_end255:
	.size	_ZN12_GLOBAL__N_120geam_ex_scale_kernelILi32ELi32EDF16_DF16_PKDF16_PDF16_EEviiT2_T3_lilT4_lil, .Lfunc_end255-_ZN12_GLOBAL__N_120geam_ex_scale_kernelILi32ELi32EDF16_DF16_PKDF16_PDF16_EEviiT2_T3_lilT4_lil
                                        ; -- End function
	.set _ZN12_GLOBAL__N_120geam_ex_scale_kernelILi32ELi32EDF16_DF16_PKDF16_PDF16_EEviiT2_T3_lilT4_lil.num_vgpr, 10
	.set _ZN12_GLOBAL__N_120geam_ex_scale_kernelILi32ELi32EDF16_DF16_PKDF16_PDF16_EEviiT2_T3_lilT4_lil.num_agpr, 0
	.set _ZN12_GLOBAL__N_120geam_ex_scale_kernelILi32ELi32EDF16_DF16_PKDF16_PDF16_EEviiT2_T3_lilT4_lil.numbered_sgpr, 24
	.set _ZN12_GLOBAL__N_120geam_ex_scale_kernelILi32ELi32EDF16_DF16_PKDF16_PDF16_EEviiT2_T3_lilT4_lil.num_named_barrier, 0
	.set _ZN12_GLOBAL__N_120geam_ex_scale_kernelILi32ELi32EDF16_DF16_PKDF16_PDF16_EEviiT2_T3_lilT4_lil.private_seg_size, 0
	.set _ZN12_GLOBAL__N_120geam_ex_scale_kernelILi32ELi32EDF16_DF16_PKDF16_PDF16_EEviiT2_T3_lilT4_lil.uses_vcc, 1
	.set _ZN12_GLOBAL__N_120geam_ex_scale_kernelILi32ELi32EDF16_DF16_PKDF16_PDF16_EEviiT2_T3_lilT4_lil.uses_flat_scratch, 0
	.set _ZN12_GLOBAL__N_120geam_ex_scale_kernelILi32ELi32EDF16_DF16_PKDF16_PDF16_EEviiT2_T3_lilT4_lil.has_dyn_sized_stack, 0
	.set _ZN12_GLOBAL__N_120geam_ex_scale_kernelILi32ELi32EDF16_DF16_PKDF16_PDF16_EEviiT2_T3_lilT4_lil.has_recursion, 0
	.set _ZN12_GLOBAL__N_120geam_ex_scale_kernelILi32ELi32EDF16_DF16_PKDF16_PDF16_EEviiT2_T3_lilT4_lil.has_indirect_call, 0
	.section	.AMDGPU.csdata,"",@progbits
; Kernel info:
; codeLenInByte = 504
; TotalNumSgprs: 30
; NumVgprs: 10
; NumAgprs: 0
; TotalNumVgprs: 10
; ScratchSize: 0
; MemoryBound: 0
; FloatMode: 240
; IeeeMode: 1
; LDSByteSize: 0 bytes/workgroup (compile time only)
; SGPRBlocks: 3
; VGPRBlocks: 1
; NumSGPRsForWavesPerEU: 30
; NumVGPRsForWavesPerEU: 10
; AccumOffset: 12
; Occupancy: 8
; WaveLimiterHint : 0
; COMPUTE_PGM_RSRC2:SCRATCH_EN: 0
; COMPUTE_PGM_RSRC2:USER_SGPR: 2
; COMPUTE_PGM_RSRC2:TRAP_HANDLER: 0
; COMPUTE_PGM_RSRC2:TGID_X_EN: 1
; COMPUTE_PGM_RSRC2:TGID_Y_EN: 0
; COMPUTE_PGM_RSRC2:TGID_Z_EN: 1
; COMPUTE_PGM_RSRC2:TIDIG_COMP_CNT: 1
; COMPUTE_PGM_RSRC3_GFX90A:ACCUM_OFFSET: 2
; COMPUTE_PGM_RSRC3_GFX90A:TG_SPLIT: 0
	.section	.text._ZN12_GLOBAL__N_120geam_ex_scale_kernelILi32ELi32EDF16_PKDF16_S2_PDF16_EEviiT2_T3_lilT4_lil,"axG",@progbits,_ZN12_GLOBAL__N_120geam_ex_scale_kernelILi32ELi32EDF16_PKDF16_S2_PDF16_EEviiT2_T3_lilT4_lil,comdat
	.globl	_ZN12_GLOBAL__N_120geam_ex_scale_kernelILi32ELi32EDF16_PKDF16_S2_PDF16_EEviiT2_T3_lilT4_lil ; -- Begin function _ZN12_GLOBAL__N_120geam_ex_scale_kernelILi32ELi32EDF16_PKDF16_S2_PDF16_EEviiT2_T3_lilT4_lil
	.p2align	8
	.type	_ZN12_GLOBAL__N_120geam_ex_scale_kernelILi32ELi32EDF16_PKDF16_S2_PDF16_EEviiT2_T3_lilT4_lil,@function
_ZN12_GLOBAL__N_120geam_ex_scale_kernelILi32ELi32EDF16_PKDF16_S2_PDF16_EEviiT2_T3_lilT4_lil: ; @_ZN12_GLOBAL__N_120geam_ex_scale_kernelILi32ELi32EDF16_PKDF16_S2_PDF16_EEviiT2_T3_lilT4_lil
; %bb.0:
	s_load_dwordx4 s[4:7], s[0:1], 0x8
	s_load_dwordx4 s[8:11], s[0:1], 0x28
	v_mov_b32_e32 v1, 0
	s_load_dwordx2 s[12:13], s[0:1], 0x38
	s_waitcnt lgkmcnt(0)
	global_load_ushort v4, v1, s[4:5]
	s_waitcnt vmcnt(0)
	v_cmp_eq_f16_e64 s[4:5], 0, v4
	s_and_b64 vcc, exec, s[4:5]
	s_cbranch_vccnz .LBB256_2
; %bb.1:
	s_load_dwordx2 s[14:15], s[0:1], 0x18
	s_mul_i32 s9, s9, s3
	s_mul_hi_u32 s16, s8, s3
	s_add_i32 s9, s16, s9
	s_mul_i32 s8, s8, s3
	s_lshl_b64 s[8:9], s[8:9], 1
	s_add_u32 s8, s6, s8
	s_addc_u32 s9, s7, s9
	s_waitcnt lgkmcnt(0)
	s_lshl_b64 s[6:7], s[14:15], 1
	s_add_u32 s8, s8, s6
	s_addc_u32 s9, s9, s7
	s_branch .LBB256_3
.LBB256_2:
	s_mov_b64 s[8:9], 0
.LBB256_3:
	s_load_dwordx2 s[6:7], s[0:1], 0x0
	v_and_b32_e32 v2, 0x3ff, v0
	v_bfe_u32 v0, v0, 10, 10
	s_waitcnt lgkmcnt(0)
	s_add_i32 s14, s6, -1
	s_ashr_i32 s15, s14, 31
	s_lshr_b32 s15, s15, 27
	s_add_i32 s14, s14, s15
	s_ashr_i32 s14, s14, 5
	s_add_i32 s15, s14, 1
	v_cvt_f32_u32_e32 v1, s15
	s_not_b32 s14, s14
	v_rcp_iflag_f32_e32 v1, v1
	s_nop 0
	v_mul_f32_e32 v1, 0x4f7ffffe, v1
	v_cvt_u32_f32_e32 v1, v1
	s_nop 0
	v_readfirstlane_b32 s16, v1
	s_mul_i32 s14, s14, s16
	s_mul_hi_u32 s14, s16, s14
	s_add_i32 s16, s16, s14
	s_mul_hi_u32 s14, s2, s16
	s_mul_i32 s16, s14, s15
	s_sub_i32 s16, s2, s16
	s_add_i32 s17, s14, 1
	s_sub_i32 s18, s16, s15
	s_cmp_ge_u32 s16, s15
	s_cselect_b32 s14, s17, s14
	s_cselect_b32 s16, s18, s16
	s_add_i32 s17, s14, 1
	s_cmp_ge_u32 s16, s15
	s_cselect_b32 s14, s17, s14
	s_mul_i32 s15, s14, s15
	s_sub_i32 s2, s2, s15
	v_lshl_add_u32 v5, s14, 5, v0
	v_lshl_add_u32 v0, s2, 5, v2
	v_cmp_gt_u32_e32 vcc, s6, v0
	v_cmp_gt_u32_e64 s[6:7], s7, v5
	s_and_b64 s[6:7], vcc, s[6:7]
	s_and_saveexec_b64 s[14:15], s[6:7]
	s_cbranch_execz .LBB256_9
; %bb.4:
	s_andn2_b64 vcc, exec, s[4:5]
	v_mov_b32_e32 v1, 0
	s_cbranch_vccnz .LBB256_6
; %bb.5:
	v_mov_b32_e32 v3, 0
	v_mov_b32_e32 v2, v0
	s_cbranch_execz .LBB256_7
	s_branch .LBB256_8
.LBB256_6:
	v_mov_b64_e32 v[2:3], v[0:1]
.LBB256_7:
	s_load_dword s2, s[0:1], 0x20
	s_waitcnt lgkmcnt(0)
	v_mad_u64_u32 v[6:7], s[4:5], v5, s2, 0
	s_ashr_i32 s6, s2, 31
	v_mov_b32_e32 v8, v7
	v_mad_u64_u32 v[8:9], s[4:5], v5, s6, v[8:9]
	v_mov_b32_e32 v7, v8
	v_lshl_add_u64 v[6:7], v[6:7], 1, s[8:9]
	v_lshl_add_u64 v[0:1], v[0:1], 1, v[6:7]
	global_load_ushort v0, v[0:1], off
	s_waitcnt vmcnt(0)
	v_mul_f16_e32 v1, v4, v0
.LBB256_8:
	s_load_dwordx2 s[4:5], s[0:1], 0x48
	s_load_dword s2, s[0:1], 0x40
	s_waitcnt lgkmcnt(0)
	s_mul_i32 s1, s5, s3
	s_mul_hi_u32 s5, s4, s3
	s_mul_i32 s0, s4, s3
	s_add_i32 s1, s5, s1
	s_lshl_b64 s[0:1], s[0:1], 1
	s_add_u32 s3, s10, s0
	s_addc_u32 s4, s11, s1
	s_lshl_b64 s[0:1], s[12:13], 1
	s_add_u32 s0, s3, s0
	s_addc_u32 s1, s4, s1
	s_ashr_i32 s4, s2, 31
	v_mad_u64_u32 v[6:7], s[2:3], v5, s2, 0
	v_mov_b32_e32 v0, v7
	v_mad_u64_u32 v[4:5], s[2:3], v5, s4, v[0:1]
	v_mov_b32_e32 v7, v4
	v_lshl_add_u64 v[4:5], v[6:7], 1, s[0:1]
	v_lshl_add_u64 v[2:3], v[2:3], 1, v[4:5]
	global_store_short v[2:3], v1, off
.LBB256_9:
	s_endpgm
	.section	.rodata,"a",@progbits
	.p2align	6, 0x0
	.amdhsa_kernel _ZN12_GLOBAL__N_120geam_ex_scale_kernelILi32ELi32EDF16_PKDF16_S2_PDF16_EEviiT2_T3_lilT4_lil
		.amdhsa_group_segment_fixed_size 0
		.amdhsa_private_segment_fixed_size 0
		.amdhsa_kernarg_size 80
		.amdhsa_user_sgpr_count 2
		.amdhsa_user_sgpr_dispatch_ptr 0
		.amdhsa_user_sgpr_queue_ptr 0
		.amdhsa_user_sgpr_kernarg_segment_ptr 1
		.amdhsa_user_sgpr_dispatch_id 0
		.amdhsa_user_sgpr_kernarg_preload_length 0
		.amdhsa_user_sgpr_kernarg_preload_offset 0
		.amdhsa_user_sgpr_private_segment_size 0
		.amdhsa_uses_dynamic_stack 0
		.amdhsa_enable_private_segment 0
		.amdhsa_system_sgpr_workgroup_id_x 1
		.amdhsa_system_sgpr_workgroup_id_y 0
		.amdhsa_system_sgpr_workgroup_id_z 1
		.amdhsa_system_sgpr_workgroup_info 0
		.amdhsa_system_vgpr_workitem_id 1
		.amdhsa_next_free_vgpr 10
		.amdhsa_next_free_sgpr 19
		.amdhsa_accum_offset 12
		.amdhsa_reserve_vcc 1
		.amdhsa_float_round_mode_32 0
		.amdhsa_float_round_mode_16_64 0
		.amdhsa_float_denorm_mode_32 3
		.amdhsa_float_denorm_mode_16_64 3
		.amdhsa_dx10_clamp 1
		.amdhsa_ieee_mode 1
		.amdhsa_fp16_overflow 0
		.amdhsa_tg_split 0
		.amdhsa_exception_fp_ieee_invalid_op 0
		.amdhsa_exception_fp_denorm_src 0
		.amdhsa_exception_fp_ieee_div_zero 0
		.amdhsa_exception_fp_ieee_overflow 0
		.amdhsa_exception_fp_ieee_underflow 0
		.amdhsa_exception_fp_ieee_inexact 0
		.amdhsa_exception_int_div_zero 0
	.end_amdhsa_kernel
	.section	.text._ZN12_GLOBAL__N_120geam_ex_scale_kernelILi32ELi32EDF16_PKDF16_S2_PDF16_EEviiT2_T3_lilT4_lil,"axG",@progbits,_ZN12_GLOBAL__N_120geam_ex_scale_kernelILi32ELi32EDF16_PKDF16_S2_PDF16_EEviiT2_T3_lilT4_lil,comdat
.Lfunc_end256:
	.size	_ZN12_GLOBAL__N_120geam_ex_scale_kernelILi32ELi32EDF16_PKDF16_S2_PDF16_EEviiT2_T3_lilT4_lil, .Lfunc_end256-_ZN12_GLOBAL__N_120geam_ex_scale_kernelILi32ELi32EDF16_PKDF16_S2_PDF16_EEviiT2_T3_lilT4_lil
                                        ; -- End function
	.set _ZN12_GLOBAL__N_120geam_ex_scale_kernelILi32ELi32EDF16_PKDF16_S2_PDF16_EEviiT2_T3_lilT4_lil.num_vgpr, 10
	.set _ZN12_GLOBAL__N_120geam_ex_scale_kernelILi32ELi32EDF16_PKDF16_S2_PDF16_EEviiT2_T3_lilT4_lil.num_agpr, 0
	.set _ZN12_GLOBAL__N_120geam_ex_scale_kernelILi32ELi32EDF16_PKDF16_S2_PDF16_EEviiT2_T3_lilT4_lil.numbered_sgpr, 19
	.set _ZN12_GLOBAL__N_120geam_ex_scale_kernelILi32ELi32EDF16_PKDF16_S2_PDF16_EEviiT2_T3_lilT4_lil.num_named_barrier, 0
	.set _ZN12_GLOBAL__N_120geam_ex_scale_kernelILi32ELi32EDF16_PKDF16_S2_PDF16_EEviiT2_T3_lilT4_lil.private_seg_size, 0
	.set _ZN12_GLOBAL__N_120geam_ex_scale_kernelILi32ELi32EDF16_PKDF16_S2_PDF16_EEviiT2_T3_lilT4_lil.uses_vcc, 1
	.set _ZN12_GLOBAL__N_120geam_ex_scale_kernelILi32ELi32EDF16_PKDF16_S2_PDF16_EEviiT2_T3_lilT4_lil.uses_flat_scratch, 0
	.set _ZN12_GLOBAL__N_120geam_ex_scale_kernelILi32ELi32EDF16_PKDF16_S2_PDF16_EEviiT2_T3_lilT4_lil.has_dyn_sized_stack, 0
	.set _ZN12_GLOBAL__N_120geam_ex_scale_kernelILi32ELi32EDF16_PKDF16_S2_PDF16_EEviiT2_T3_lilT4_lil.has_recursion, 0
	.set _ZN12_GLOBAL__N_120geam_ex_scale_kernelILi32ELi32EDF16_PKDF16_S2_PDF16_EEviiT2_T3_lilT4_lil.has_indirect_call, 0
	.section	.AMDGPU.csdata,"",@progbits
; Kernel info:
; codeLenInByte = 532
; TotalNumSgprs: 25
; NumVgprs: 10
; NumAgprs: 0
; TotalNumVgprs: 10
; ScratchSize: 0
; MemoryBound: 0
; FloatMode: 240
; IeeeMode: 1
; LDSByteSize: 0 bytes/workgroup (compile time only)
; SGPRBlocks: 3
; VGPRBlocks: 1
; NumSGPRsForWavesPerEU: 25
; NumVGPRsForWavesPerEU: 10
; AccumOffset: 12
; Occupancy: 8
; WaveLimiterHint : 0
; COMPUTE_PGM_RSRC2:SCRATCH_EN: 0
; COMPUTE_PGM_RSRC2:USER_SGPR: 2
; COMPUTE_PGM_RSRC2:TRAP_HANDLER: 0
; COMPUTE_PGM_RSRC2:TGID_X_EN: 1
; COMPUTE_PGM_RSRC2:TGID_Y_EN: 0
; COMPUTE_PGM_RSRC2:TGID_Z_EN: 1
; COMPUTE_PGM_RSRC2:TIDIG_COMP_CNT: 1
; COMPUTE_PGM_RSRC3_GFX90A:ACCUM_OFFSET: 2
; COMPUTE_PGM_RSRC3_GFX90A:TG_SPLIT: 0
	.section	.text._ZN12_GLOBAL__N_120geam_ex_round_kernelILi32ELi32EDF16_DF16_PKDF16_PDF16_EEviiT2_T3_lilT4_lil,"axG",@progbits,_ZN12_GLOBAL__N_120geam_ex_round_kernelILi32ELi32EDF16_DF16_PKDF16_PDF16_EEviiT2_T3_lilT4_lil,comdat
	.globl	_ZN12_GLOBAL__N_120geam_ex_round_kernelILi32ELi32EDF16_DF16_PKDF16_PDF16_EEviiT2_T3_lilT4_lil ; -- Begin function _ZN12_GLOBAL__N_120geam_ex_round_kernelILi32ELi32EDF16_DF16_PKDF16_PDF16_EEviiT2_T3_lilT4_lil
	.p2align	8
	.type	_ZN12_GLOBAL__N_120geam_ex_round_kernelILi32ELi32EDF16_DF16_PKDF16_PDF16_EEviiT2_T3_lilT4_lil,@function
_ZN12_GLOBAL__N_120geam_ex_round_kernelILi32ELi32EDF16_DF16_PKDF16_PDF16_EEviiT2_T3_lilT4_lil: ; @_ZN12_GLOBAL__N_120geam_ex_round_kernelILi32ELi32EDF16_DF16_PKDF16_PDF16_EEviiT2_T3_lilT4_lil
; %bb.0:
	s_load_dwordx4 s[8:11], s[0:1], 0x0
	s_load_dwordx4 s[4:7], s[0:1], 0x28
	s_load_dwordx2 s[12:13], s[0:1], 0x38
	s_waitcnt lgkmcnt(0)
	v_cmp_eq_f16_e64 s[16:17], s10, 0
	s_and_b64 vcc, exec, s[16:17]
	s_cbranch_vccnz .LBB257_2
; %bb.1:
	s_load_dwordx4 s[20:23], s[0:1], 0x10
	s_mul_i32 s5, s5, s3
	s_mul_hi_u32 s11, s4, s3
	s_add_i32 s5, s11, s5
	s_mul_i32 s4, s4, s3
	s_lshl_b64 s[4:5], s[4:5], 1
	s_waitcnt lgkmcnt(0)
	s_add_u32 s11, s20, s4
	s_addc_u32 s15, s21, s5
	s_lshl_b64 s[4:5], s[22:23], 1
	s_add_u32 s14, s11, s4
	s_addc_u32 s15, s15, s5
	s_branch .LBB257_3
.LBB257_2:
	s_mov_b64 s[14:15], 0
.LBB257_3:
	s_add_i32 s4, s8, -1
	s_ashr_i32 s5, s4, 31
	s_lshr_b32 s5, s5, 27
	s_add_i32 s4, s4, s5
	s_ashr_i32 s4, s4, 5
	s_add_i32 s5, s4, 1
	v_cvt_f32_u32_e32 v1, s5
	s_not_b32 s4, s4
	v_and_b32_e32 v3, 0x3ff, v0
	v_bfe_u32 v0, v0, 10, 10
	v_rcp_iflag_f32_e32 v1, v1
	s_nop 0
	v_mul_f32_e32 v1, 0x4f7ffffe, v1
	v_cvt_u32_f32_e32 v1, v1
	s_nop 0
	v_readfirstlane_b32 s11, v1
	s_mul_i32 s4, s4, s11
	s_mul_hi_u32 s4, s11, s4
	s_add_i32 s11, s11, s4
	s_mul_hi_u32 s4, s2, s11
	s_mul_i32 s11, s4, s5
	s_sub_i32 s11, s2, s11
	s_add_i32 s18, s4, 1
	s_sub_i32 s19, s11, s5
	s_cmp_ge_u32 s11, s5
	s_cselect_b32 s4, s18, s4
	s_cselect_b32 s11, s19, s11
	s_add_i32 s18, s4, 1
	s_cmp_ge_u32 s11, s5
	s_cselect_b32 s4, s18, s4
	s_mul_i32 s5, s4, s5
	s_sub_i32 s2, s2, s5
	v_lshl_add_u32 v2, s4, 5, v0
	v_lshl_add_u32 v0, s2, 5, v3
	v_cmp_gt_u32_e32 vcc, s8, v0
	v_cmp_gt_u32_e64 s[4:5], s9, v2
	s_and_b64 s[4:5], vcc, s[4:5]
	s_and_saveexec_b64 s[8:9], s[4:5]
	s_cbranch_execz .LBB257_9
; %bb.4:
	s_andn2_b64 vcc, exec, s[16:17]
	v_mov_b32_e32 v1, 0
	s_cbranch_vccnz .LBB257_6
; %bb.5:
	v_mov_b32_e32 v5, 0
	v_mov_b32_e32 v4, v0
	s_cbranch_execz .LBB257_7
	s_branch .LBB257_8
.LBB257_6:
	v_mov_b64_e32 v[4:5], v[0:1]
.LBB257_7:
	s_load_dword s2, s[0:1], 0x20
	s_waitcnt lgkmcnt(0)
	v_mad_u64_u32 v[6:7], s[4:5], v2, s2, 0
	s_ashr_i32 s8, s2, 31
	v_mov_b32_e32 v8, v7
	v_mad_u64_u32 v[8:9], s[4:5], v2, s8, v[8:9]
	v_mov_b32_e32 v7, v8
	v_lshl_add_u64 v[6:7], v[6:7], 1, s[14:15]
	v_lshl_add_u64 v[0:1], v[0:1], 1, v[6:7]
	global_load_ushort v0, v[0:1], off
	s_waitcnt vmcnt(0)
	v_mul_f16_e32 v1, s10, v0
.LBB257_8:
	s_load_dwordx2 s[4:5], s[0:1], 0x48
	s_load_dword s2, s[0:1], 0x40
	v_cmp_nlt_f16_e32 vcc, 0, v1
	s_waitcnt lgkmcnt(0)
	s_mul_i32 s1, s5, s3
	s_mul_hi_u32 s5, s4, s3
	s_mul_i32 s0, s4, s3
	s_add_i32 s1, s5, s1
	s_lshl_b64 s[0:1], s[0:1], 1
	s_add_u32 s3, s6, s0
	s_addc_u32 s4, s7, s1
	s_lshl_b64 s[0:1], s[12:13], 1
	s_add_u32 s0, s3, s0
	s_addc_u32 s1, s4, s1
	s_ashr_i32 s4, s2, 31
	v_mad_u64_u32 v[6:7], s[2:3], v2, s2, 0
	v_mov_b32_e32 v0, v7
	v_mad_u64_u32 v[2:3], s[2:3], v2, s4, v[0:1]
	v_mov_b32_e32 v7, v2
	v_lshl_add_u64 v[2:3], v[6:7], 1, s[0:1]
	v_lshl_add_u64 v[2:3], v[4:5], 1, v[2:3]
	v_cndmask_b32_e32 v0, 0, v1, vcc
	global_store_short v[2:3], v0, off
.LBB257_9:
	s_endpgm
	.section	.rodata,"a",@progbits
	.p2align	6, 0x0
	.amdhsa_kernel _ZN12_GLOBAL__N_120geam_ex_round_kernelILi32ELi32EDF16_DF16_PKDF16_PDF16_EEviiT2_T3_lilT4_lil
		.amdhsa_group_segment_fixed_size 0
		.amdhsa_private_segment_fixed_size 0
		.amdhsa_kernarg_size 80
		.amdhsa_user_sgpr_count 2
		.amdhsa_user_sgpr_dispatch_ptr 0
		.amdhsa_user_sgpr_queue_ptr 0
		.amdhsa_user_sgpr_kernarg_segment_ptr 1
		.amdhsa_user_sgpr_dispatch_id 0
		.amdhsa_user_sgpr_kernarg_preload_length 0
		.amdhsa_user_sgpr_kernarg_preload_offset 0
		.amdhsa_user_sgpr_private_segment_size 0
		.amdhsa_uses_dynamic_stack 0
		.amdhsa_enable_private_segment 0
		.amdhsa_system_sgpr_workgroup_id_x 1
		.amdhsa_system_sgpr_workgroup_id_y 0
		.amdhsa_system_sgpr_workgroup_id_z 1
		.amdhsa_system_sgpr_workgroup_info 0
		.amdhsa_system_vgpr_workitem_id 1
		.amdhsa_next_free_vgpr 10
		.amdhsa_next_free_sgpr 24
		.amdhsa_accum_offset 12
		.amdhsa_reserve_vcc 1
		.amdhsa_float_round_mode_32 0
		.amdhsa_float_round_mode_16_64 0
		.amdhsa_float_denorm_mode_32 3
		.amdhsa_float_denorm_mode_16_64 3
		.amdhsa_dx10_clamp 1
		.amdhsa_ieee_mode 1
		.amdhsa_fp16_overflow 0
		.amdhsa_tg_split 0
		.amdhsa_exception_fp_ieee_invalid_op 0
		.amdhsa_exception_fp_denorm_src 0
		.amdhsa_exception_fp_ieee_div_zero 0
		.amdhsa_exception_fp_ieee_overflow 0
		.amdhsa_exception_fp_ieee_underflow 0
		.amdhsa_exception_fp_ieee_inexact 0
		.amdhsa_exception_int_div_zero 0
	.end_amdhsa_kernel
	.section	.text._ZN12_GLOBAL__N_120geam_ex_round_kernelILi32ELi32EDF16_DF16_PKDF16_PDF16_EEviiT2_T3_lilT4_lil,"axG",@progbits,_ZN12_GLOBAL__N_120geam_ex_round_kernelILi32ELi32EDF16_DF16_PKDF16_PDF16_EEviiT2_T3_lilT4_lil,comdat
.Lfunc_end257:
	.size	_ZN12_GLOBAL__N_120geam_ex_round_kernelILi32ELi32EDF16_DF16_PKDF16_PDF16_EEviiT2_T3_lilT4_lil, .Lfunc_end257-_ZN12_GLOBAL__N_120geam_ex_round_kernelILi32ELi32EDF16_DF16_PKDF16_PDF16_EEviiT2_T3_lilT4_lil
                                        ; -- End function
	.set _ZN12_GLOBAL__N_120geam_ex_round_kernelILi32ELi32EDF16_DF16_PKDF16_PDF16_EEviiT2_T3_lilT4_lil.num_vgpr, 10
	.set _ZN12_GLOBAL__N_120geam_ex_round_kernelILi32ELi32EDF16_DF16_PKDF16_PDF16_EEviiT2_T3_lilT4_lil.num_agpr, 0
	.set _ZN12_GLOBAL__N_120geam_ex_round_kernelILi32ELi32EDF16_DF16_PKDF16_PDF16_EEviiT2_T3_lilT4_lil.numbered_sgpr, 24
	.set _ZN12_GLOBAL__N_120geam_ex_round_kernelILi32ELi32EDF16_DF16_PKDF16_PDF16_EEviiT2_T3_lilT4_lil.num_named_barrier, 0
	.set _ZN12_GLOBAL__N_120geam_ex_round_kernelILi32ELi32EDF16_DF16_PKDF16_PDF16_EEviiT2_T3_lilT4_lil.private_seg_size, 0
	.set _ZN12_GLOBAL__N_120geam_ex_round_kernelILi32ELi32EDF16_DF16_PKDF16_PDF16_EEviiT2_T3_lilT4_lil.uses_vcc, 1
	.set _ZN12_GLOBAL__N_120geam_ex_round_kernelILi32ELi32EDF16_DF16_PKDF16_PDF16_EEviiT2_T3_lilT4_lil.uses_flat_scratch, 0
	.set _ZN12_GLOBAL__N_120geam_ex_round_kernelILi32ELi32EDF16_DF16_PKDF16_PDF16_EEviiT2_T3_lilT4_lil.has_dyn_sized_stack, 0
	.set _ZN12_GLOBAL__N_120geam_ex_round_kernelILi32ELi32EDF16_DF16_PKDF16_PDF16_EEviiT2_T3_lilT4_lil.has_recursion, 0
	.set _ZN12_GLOBAL__N_120geam_ex_round_kernelILi32ELi32EDF16_DF16_PKDF16_PDF16_EEviiT2_T3_lilT4_lil.has_indirect_call, 0
	.section	.AMDGPU.csdata,"",@progbits
; Kernel info:
; codeLenInByte = 512
; TotalNumSgprs: 30
; NumVgprs: 10
; NumAgprs: 0
; TotalNumVgprs: 10
; ScratchSize: 0
; MemoryBound: 0
; FloatMode: 240
; IeeeMode: 1
; LDSByteSize: 0 bytes/workgroup (compile time only)
; SGPRBlocks: 3
; VGPRBlocks: 1
; NumSGPRsForWavesPerEU: 30
; NumVGPRsForWavesPerEU: 10
; AccumOffset: 12
; Occupancy: 8
; WaveLimiterHint : 0
; COMPUTE_PGM_RSRC2:SCRATCH_EN: 0
; COMPUTE_PGM_RSRC2:USER_SGPR: 2
; COMPUTE_PGM_RSRC2:TRAP_HANDLER: 0
; COMPUTE_PGM_RSRC2:TGID_X_EN: 1
; COMPUTE_PGM_RSRC2:TGID_Y_EN: 0
; COMPUTE_PGM_RSRC2:TGID_Z_EN: 1
; COMPUTE_PGM_RSRC2:TIDIG_COMP_CNT: 1
; COMPUTE_PGM_RSRC3_GFX90A:ACCUM_OFFSET: 2
; COMPUTE_PGM_RSRC3_GFX90A:TG_SPLIT: 0
	.section	.text._ZN12_GLOBAL__N_120geam_min_plus_kernelIDF16_Dv2_DF16_S1_Li32ELi8ELi256ELi64ELi4ELi64ELi4ELi4ELi64ELc78ELc78ELb0ELb0ELb1EPKDF16_S2_DF16_EEviiiT16_PT17_ilS6_ilS4_S6_ilPT18_ili26rocblas_geam_ex_operation_,"axG",@progbits,_ZN12_GLOBAL__N_120geam_min_plus_kernelIDF16_Dv2_DF16_S1_Li32ELi8ELi256ELi64ELi4ELi64ELi4ELi4ELi64ELc78ELc78ELb0ELb0ELb1EPKDF16_S2_DF16_EEviiiT16_PT17_ilS6_ilS4_S6_ilPT18_ili26rocblas_geam_ex_operation_,comdat
	.globl	_ZN12_GLOBAL__N_120geam_min_plus_kernelIDF16_Dv2_DF16_S1_Li32ELi8ELi256ELi64ELi4ELi64ELi4ELi4ELi64ELc78ELc78ELb0ELb0ELb1EPKDF16_S2_DF16_EEviiiT16_PT17_ilS6_ilS4_S6_ilPT18_ili26rocblas_geam_ex_operation_ ; -- Begin function _ZN12_GLOBAL__N_120geam_min_plus_kernelIDF16_Dv2_DF16_S1_Li32ELi8ELi256ELi64ELi4ELi64ELi4ELi4ELi64ELc78ELc78ELb0ELb0ELb1EPKDF16_S2_DF16_EEviiiT16_PT17_ilS6_ilS4_S6_ilPT18_ili26rocblas_geam_ex_operation_
	.p2align	8
	.type	_ZN12_GLOBAL__N_120geam_min_plus_kernelIDF16_Dv2_DF16_S1_Li32ELi8ELi256ELi64ELi4ELi64ELi4ELi4ELi64ELc78ELc78ELb0ELb0ELb1EPKDF16_S2_DF16_EEviiiT16_PT17_ilS6_ilS4_S6_ilPT18_ili26rocblas_geam_ex_operation_,@function
_ZN12_GLOBAL__N_120geam_min_plus_kernelIDF16_Dv2_DF16_S1_Li32ELi8ELi256ELi64ELi4ELi64ELi4ELi4ELi64ELc78ELc78ELb0ELb0ELb1EPKDF16_S2_DF16_EEviiiT16_PT17_ilS6_ilS4_S6_ilPT18_ili26rocblas_geam_ex_operation_: ; @_ZN12_GLOBAL__N_120geam_min_plus_kernelIDF16_Dv2_DF16_S1_Li32ELi8ELi256ELi64ELi4ELi64ELi4ELi4ELi64ELc78ELc78ELb0ELb0ELb1EPKDF16_S2_DF16_EEviiiT16_PT17_ilS6_ilS4_S6_ilPT18_ili26rocblas_geam_ex_operation_
; %bb.0:
	s_load_dwordx4 s[4:7], s[0:1], 0x10
	s_load_dwordx4 s[12:15], s[0:1], 0x28
	s_mov_b32 s20, s3
	s_mov_b32 s21, 0
	s_lshl_b64 s[8:9], s[20:21], 1
	s_waitcnt lgkmcnt(0)
	s_add_u32 s4, s4, s8
	s_addc_u32 s5, s5, s9
	v_mov_b32_e32 v1, 0
	global_load_ushort v53, v1, s[4:5]
	s_load_dwordx4 s[16:19], s[0:1], 0x40
	s_load_dwordx2 s[10:11], s[0:1], 0x50
	s_mov_b64 s[22:23], 0
	s_waitcnt lgkmcnt(0)
	s_add_u32 s24, s18, s8
	s_addc_u32 s25, s19, s9
	s_mov_b64 s[18:19], 0
	s_waitcnt vmcnt(0)
	v_cmp_eq_f16_e32 vcc, 0, v53
	s_and_b64 s[4:5], exec, vcc
	v_cmp_neq_f16_e64 s[8:9], 0, v53
	s_mov_b64 vcc, s[4:5]
	s_cbranch_vccnz .LBB258_2
; %bb.1:
	s_mul_i32 s3, s13, s20
	s_mul_hi_u32 s13, s12, s20
	s_add_i32 s13, s13, s3
	s_mul_i32 s12, s12, s20
	s_lshl_b64 s[12:13], s[12:13], 1
	s_add_u32 s18, s6, s12
	s_addc_u32 s19, s7, s13
.LBB258_2:
	global_load_ushort v52, v1, s[24:25]
	v_cndmask_b32_e64 v1, 0, 1, s[8:9]
	v_cmp_ne_u32_e64 s[6:7], 1, v1
	s_andn2_b64 vcc, exec, s[8:9]
	s_cbranch_vccnz .LBB258_4
; %bb.3:
	s_mul_i32 s3, s17, s20
	s_mul_hi_u32 s8, s16, s20
	s_add_i32 s9, s8, s3
	s_mul_i32 s8, s16, s20
	s_lshl_b64 s[8:9], s[8:9], 1
	s_add_u32 s22, s14, s8
	s_addc_u32 s23, s15, s9
.LBB258_4:
	s_load_dwordx4 s[12:15], s[0:1], 0x60
	s_waitcnt vmcnt(0)
	v_cmp_eq_f16_e32 vcc, 0, v52
	s_and_b64 s[8:9], exec, vcc
	s_mov_b64 vcc, s[8:9]
	s_cbranch_vccnz .LBB258_6
; %bb.5:
	s_waitcnt lgkmcnt(0)
	s_mul_i32 s3, s13, s20
	s_mul_hi_u32 s13, s12, s20
	s_add_i32 s13, s13, s3
	s_mul_i32 s12, s12, s20
	s_lshl_b64 s[12:13], s[12:13], 1
	s_add_u32 s10, s10, s12
	s_addc_u32 s11, s11, s13
	s_branch .LBB258_7
.LBB258_6:
	s_mov_b64 s[10:11], 0
.LBB258_7:
	s_load_dword s3, s[0:1], 0x0
	s_waitcnt lgkmcnt(0)
	s_load_dword s12, s[0:1], 0x20
	v_and_b32_e32 v50, 0x3ff, v0
	v_bfe_u32 v51, v0, 10, 10
	v_lshl_add_u32 v5, v51, 5, v50
	s_add_i32 s3, s3, -1
	s_ashr_i32 s13, s3, 31
	s_lshr_b32 s13, s13, 24
	s_add_i32 s3, s3, s13
	s_ashr_i32 s3, s3, 8
	s_add_i32 s13, s3, 1
	v_cvt_f32_u32_e32 v1, s13
	v_lshrrev_b32_e32 v30, 6, v5
	s_not_b32 s3, s3
	v_and_b32_e32 v31, 63, v5
	v_rcp_iflag_f32_e32 v0, v1
	s_nop 0
	v_mul_f32_e32 v0, 0x4f7ffffe, v0
	v_cvt_u32_f32_e32 v4, v0
	s_waitcnt lgkmcnt(0)
	v_mad_i64_i32 v[0:1], s[16:17], s12, v30, 0
	v_lshl_add_u64 v[2:3], v[0:1], 1, s[18:19]
	v_readfirstlane_b32 s16, v4
	s_mul_i32 s3, s3, s16
	s_mul_hi_u32 s3, s16, s3
	s_add_i32 s16, s16, s3
	s_mul_hi_u32 s3, s2, s16
	s_mul_i32 s16, s3, s13
	s_sub_i32 s16, s2, s16
	s_add_i32 s17, s3, 1
	s_sub_i32 s21, s16, s13
	s_cmp_ge_u32 s16, s13
	s_cselect_b32 s3, s17, s3
	s_cselect_b32 s16, s21, s16
	s_add_i32 s17, s3, 1
	s_cmp_ge_u32 s16, s13
	s_cselect_b32 s24, s17, s3
	s_mul_i32 s3, s24, s13
	s_sub_i32 s13, s2, s3
	s_lshl_b32 s21, s13, 8
	v_or_b32_e32 v0, s21, v31
	s_and_b64 vcc, exec, s[6:7]
	v_ashrrev_i32_e32 v1, 31, v0
	s_cbranch_vccnz .LBB258_9
; %bb.8:
	v_lshl_add_u64 v[6:7], v[0:1], 1, v[2:3]
	global_load_ushort v4, v[6:7], off
	global_load_ushort v8, v[6:7], off offset:128
	s_waitcnt vmcnt(1)
	v_mul_f16_e32 v6, v53, v4
	s_waitcnt vmcnt(0)
	v_mul_f16_e32 v4, v53, v8
	v_pack_b32_f16 v7, v6, 0
	s_branch .LBB258_10
.LBB258_9:
	v_mov_b32_e32 v7, 0
	v_mov_b32_e32 v4, 0
.LBB258_10:
	s_mov_b32 s16, 0x5040100
	v_mov_b32_e32 v6, 0
	s_ashr_i32 s13, s12, 31
	v_perm_b32 v32, v4, v7, s16
	s_mov_b64 vcc, s[4:5]
	s_cbranch_vccz .LBB258_12
; %bb.11:
	v_and_b32_e32 v33, 0xffff0000, v6
	v_mov_b32_e32 v4, 0
	v_mov_b32_e32 v34, 0
	s_cbranch_execz .LBB258_13
	s_branch .LBB258_14
.LBB258_12:
	v_mov_b32_e32 v4, 0
	v_mov_b32_e32 v34, 0
.LBB258_13:
	v_lshl_add_u64 v[2:3], v[0:1], 1, v[2:3]
	global_load_ushort v7, v[2:3], off offset:256
	global_load_ushort v8, v[2:3], off offset:384
	s_mov_b32 s16, 0xffff
	s_waitcnt vmcnt(1)
	v_mul_f16_e32 v2, v53, v7
	v_bfi_b32 v33, s16, v2, v6
	s_waitcnt vmcnt(0)
	v_mul_f16_e32 v34, v53, v8
.LBB258_14:
	s_load_dword s25, s[0:1], 0x38
	v_and_b32_e32 v2, 3, v50
	v_lshrrev_b32_e32 v5, 2, v5
	s_lshl_b32 s24, s24, 6
	s_and_b64 vcc, exec, s[6:7]
	v_add_u32_e32 v35, s24, v5
	v_lshlrev_b32_e32 v28, 1, v2
	s_cbranch_vccnz .LBB258_16
; %bb.15:
	s_waitcnt lgkmcnt(0)
	v_mad_i64_i32 v[2:3], s[16:17], v35, s25, 0
	v_lshl_add_u64 v[2:3], v[2:3], 1, s[22:23]
	v_mov_b32_e32 v29, 0
	v_lshl_add_u64 v[2:3], v[2:3], 0, v[28:29]
	global_load_ushort v2, v[2:3], off
	s_waitcnt vmcnt(0)
	v_mul_f16_e32 v4, v53, v2
.LBB258_16:
	v_add_u32_e32 v2, 4, v30
	v_mad_i64_i32 v[2:3], s[16:17], s12, v2, 0
	s_and_b64 vcc, exec, s[6:7]
	v_lshl_add_u64 v[2:3], v[2:3], 1, s[18:19]
	s_cbranch_vccnz .LBB258_18
; %bb.17:
	v_lshl_add_u64 v[6:7], v[0:1], 1, v[2:3]
	global_load_ushort v8, v[6:7], off
	global_load_ushort v9, v[6:7], off offset:128
	s_waitcnt vmcnt(1)
	v_mul_f16_e32 v6, v53, v8
	s_waitcnt vmcnt(0)
	v_mul_f16_e32 v7, v53, v9
	v_pack_b32_f16 v8, v6, 0
	s_branch .LBB258_19
.LBB258_18:
	v_mov_b32_e32 v8, 0
	v_mov_b32_e32 v7, 0
.LBB258_19:
	s_mov_b32 s16, 0x5040100
	v_mov_b32_e32 v6, 0
	v_perm_b32 v44, v7, v8, s16
	s_mov_b64 vcc, s[4:5]
	s_cbranch_vccz .LBB258_21
; %bb.20:
	v_and_b32_e32 v45, 0xffff0000, v6
	v_mov_b32_e32 v29, 0
	v_mov_b32_e32 v36, 0
	s_cbranch_execz .LBB258_22
	s_branch .LBB258_23
.LBB258_21:
	v_mov_b32_e32 v29, 0
	v_mov_b32_e32 v36, 0
.LBB258_22:
	v_lshl_add_u64 v[0:1], v[0:1], 1, v[2:3]
	global_load_ushort v2, v[0:1], off offset:256
	global_load_ushort v3, v[0:1], off offset:384
	s_mov_b32 s16, 0xffff
	s_waitcnt vmcnt(1)
	v_mul_f16_e32 v0, v53, v2
	v_bfi_b32 v45, s16, v0, v6
	s_waitcnt vmcnt(0)
	v_mul_f16_e32 v36, v53, v3
.LBB258_23:
	s_and_b64 vcc, exec, s[6:7]
	s_cbranch_vccnz .LBB258_25
; %bb.24:
	s_waitcnt lgkmcnt(0)
	v_mad_i64_i32 v[0:1], s[16:17], v35, s25, 0
	v_lshl_add_u64 v[0:1], v[0:1], 1, s[22:23]
	v_mov_b32_e32 v29, 0
	v_lshl_add_u64 v[0:1], v[0:1], 0, v[28:29]
	global_load_ushort v0, v[0:1], off offset:8
	s_waitcnt vmcnt(0)
	v_mul_f16_e32 v29, v53, v0
.LBB258_25:
	v_lshlrev_b32_e32 v0, 3, v31
	v_lshlrev_b32_e32 v54, 3, v51
	v_lshl_add_u32 v71, v30, 1, v0
	v_lshl_or_b32 v37, v5, 3, v28
	v_lshlrev_b32_e32 v55, 3, v50
	v_add_u32_e32 v76, 0x1000, v54
	ds_write_b16 v71, v32
	ds_write_b16_d16_hi v71, v32 offset:512
	ds_write_b16 v71, v33 offset:1024
	ds_write_b16 v71, v34 offset:1536
	;; [unrolled: 1-line block ×3, first 2 shown]
	s_waitcnt lgkmcnt(0)
	s_barrier
	ds_read2_b64 v[16:19], v55 offset1:32
	ds_read2_b64 v[12:15], v55 offset0:64 offset1:96
	ds_read2_b64 v[4:7], v55 offset0:128 offset1:160
	ds_read2_b64 v[38:41], v76 offset1:8
	ds_read2_b64 v[0:3], v55 offset0:192 offset1:224
	ds_read2_b64 v[24:27], v76 offset0:16 offset1:24
	;; [unrolled: 1-line block ×4, first 2 shown]
	s_movk_i32 s17, 0x7c00
	s_waitcnt lgkmcnt(4)
	v_pk_add_f16 v42, v16, v38
	v_pk_add_f16 v43, v18, v38
	;; [unrolled: 1-line block ×6, first 2 shown]
	s_waitcnt lgkmcnt(3)
	v_pk_add_f16 v56, v0, v38
	v_pk_add_f16 v38, v2, v38
	v_pk_add_f16 v57, v16, v40
	v_pk_add_f16 v58, v18, v40
	v_pk_add_f16 v59, v12, v40
	v_pk_add_f16 v60, v14, v40
	v_pk_add_f16 v61, v4, v40
	v_pk_add_f16 v62, v6, v40
	v_pk_add_f16 v63, v0, v40
	v_pk_add_f16 v40, v2, v40
	s_waitcnt lgkmcnt(2)
	v_pk_add_f16 v64, v16, v24
	v_pk_add_f16 v65, v18, v24
	v_pk_add_f16 v66, v12, v24
	v_pk_add_f16 v67, v14, v24
	v_pk_add_f16 v68, v4, v24
	v_pk_add_f16 v69, v6, v24
	v_pk_add_f16 v70, v0, v24
	v_pk_add_f16 v24, v2, v24
	v_pk_add_f16 v72, v16, v26
	v_pk_add_f16 v73, v18, v26
	v_pk_add_f16 v74, v12, v26
	v_pk_add_f16 v75, v14, v26
	v_pk_add_f16 v77, v4, v26
	v_pk_add_f16 v78, v6, v26
	v_pk_add_f16 v79, v0, v26
	v_pk_add_f16 v26, v2, v26
	s_waitcnt lgkmcnt(1)
	v_pk_add_f16 v81, v16, v20
	v_pk_add_f16 v83, v18, v20
	v_pk_add_f16 v86, v12, v20
	v_pk_add_f16 v88, v14, v20
	v_pk_add_f16 v89, v4, v20
	v_pk_add_f16 v91, v6, v20
	;; [unrolled: 17-line block ×3, first 2 shown]
	v_pk_add_f16 v134, v0, v8
	v_pk_add_f16 v8, v2, v8
	;; [unrolled: 1-line block ×11, first 2 shown]
	v_pk_min_f16 v10, v42, s17 op_sel_hi:[1,0]
	v_pk_min_f16 v8, v8, s17 op_sel_hi:[1,0]
	v_pk_min_f16 v121, v10, v2
	v_pk_add_f16 v2, v19, v39
	v_pk_min_f16 v10, v43, s17 op_sel_hi:[1,0]
	s_load_dword s16, s[0:1], 0x8
	v_pk_min_f16 v120, v10, v2
	v_pk_add_f16 v2, v13, v39
	v_pk_min_f16 v10, v46, s17 op_sel_hi:[1,0]
	v_pk_min_f16 v4, v4, s17 op_sel_hi:[1,0]
	v_pk_min_f16 v119, v10, v2
	v_pk_add_f16 v2, v15, v39
	v_pk_min_f16 v10, v47, s17 op_sel_hi:[1,0]
	v_pk_min_f16 v0, v0, s17 op_sel_hi:[1,0]
	v_pk_min_f16 v118, v10, v2
	v_pk_add_f16 v2, v5, v39
	v_pk_min_f16 v10, v48, s17 op_sel_hi:[1,0]
	s_waitcnt lgkmcnt(0)
	s_cmp_lt_i32 s16, 9
	v_pk_min_f16 v117, v10, v2
	v_pk_add_f16 v2, v7, v39
	v_pk_min_f16 v10, v49, s17 op_sel_hi:[1,0]
	ds_write_b16 v71, v44 offset:2048
	ds_write_b16_d16_hi v71, v44 offset:2560
	ds_write_b16 v71, v45 offset:3072
	ds_write_b16 v71, v36 offset:3584
	;; [unrolled: 1-line block ×3, first 2 shown]
	v_pk_min_f16 v116, v10, v2
	v_pk_add_f16 v2, v1, v39
	v_pk_min_f16 v10, v56, s17 op_sel_hi:[1,0]
	s_waitcnt lgkmcnt(0)
	v_pk_min_f16 v114, v10, v2
	v_pk_add_f16 v2, v3, v39
	v_pk_min_f16 v10, v38, s17 op_sel_hi:[1,0]
	s_barrier
	v_pk_min_f16 v115, v10, v2
	v_pk_add_f16 v2, v17, v41
	v_pk_min_f16 v10, v57, s17 op_sel_hi:[1,0]
	s_nop 0
	v_pk_min_f16 v113, v10, v2
	v_pk_add_f16 v2, v19, v41
	v_pk_min_f16 v10, v58, s17 op_sel_hi:[1,0]
	s_nop 0
	;; [unrolled: 4-line block ×46, first 2 shown]
	v_pk_min_f16 v67, v10, v2
	v_pk_add_f16 v2, v1, v9
	v_pk_min_f16 v10, v134, s17 op_sel_hi:[1,0]
	v_pk_add_f16 v1, v1, v11
	v_pk_min_f16 v65, v10, v2
	v_pk_add_f16 v2, v3, v9
	s_nop 0
	v_pk_min_f16 v64, v8, v2
	v_pk_add_f16 v2, v17, v11
	v_pk_min_f16 v8, v16, s17 op_sel_hi:[1,0]
	s_nop 0
	v_pk_min_f16 v63, v8, v2
	v_pk_add_f16 v2, v19, v11
	v_pk_min_f16 v8, v18, s17 op_sel_hi:[1,0]
	;; [unrolled: 4-line block ×4, first 2 shown]
	s_nop 0
	v_pk_min_f16 v59, v8, v2
	v_pk_add_f16 v2, v5, v11
	s_nop 0
	v_pk_min_f16 v58, v4, v2
	v_pk_add_f16 v2, v7, v11
	v_pk_min_f16 v4, v6, s17 op_sel_hi:[1,0]
	s_nop 0
	v_pk_min_f16 v56, v4, v2
	v_pk_min_f16 v2, v135, s17 op_sel_hi:[1,0]
	s_nop 0
	v_pk_min_f16 v57, v2, v1
	v_pk_add_f16 v1, v3, v11
	s_nop 0
	v_pk_min_f16 v61, v0, v1
	s_cbranch_scc1 .LBB258_48
; %bb.26:
	v_mov_b32_e32 v0, 0x800
	v_lshl_add_u32 v125, v50, 3, v0
	v_mov_b32_e32 v0, 0x1200
	v_lshl_add_u32 v126, v51, 3, v0
	v_mad_i64_i32 v[0:1], s[26:27], s25, v35, 0
	v_mov_b32_e32 v29, 0
	v_lshl_add_u64 v[0:1], v[0:1], 1, v[28:29]
	s_mov_b32 s17, 0x5040100
	v_lshl_add_u64 v[0:1], s[22:23], 0, v[0:1]
	v_perm_b32 v33, v34, v33, s17
	v_lshl_add_u64 v[34:35], v[0:1], 0, 16
	v_lshl_or_b32 v0, s2, 8, v31
	s_lshl_b32 s2, s3, 8
	v_subrev_u32_e32 v0, s2, v0
	v_ashrrev_i32_e32 v1, 31, v0
	v_add_u32_e32 v122, 0x1000, v37
	v_add_u32_e32 v124, 0x1200, v37
	v_perm_b32 v45, v36, v45, s17
	v_lshlrev_b64 v[36:37], 1, v[0:1]
	v_add_u32_e32 v0, 12, v30
	v_mad_i64_i32 v[0:1], s[2:3], v0, s12, 0
	v_lshl_add_u64 v[38:39], v[0:1], 1, s[18:19]
	v_add_u32_e32 v0, 8, v30
	s_lshl_b64 s[2:3], s[12:13], 4
	v_mad_i64_i32 v[0:1], s[12:13], v0, s12, 0
	v_add_u32_e32 v123, 0x800, v71
	s_add_i32 s16, s16, -8
	v_lshl_add_u64 v[40:41], v[0:1], 1, s[18:19]
	s_mov_b32 s18, 0
	s_mov_b32 s19, 0xffff
	s_mov_b64 s[12:13], -1
	s_mov_b64 vcc, s[4:5]
                                        ; implicit-def: $vgpr0_vgpr1
	s_cbranch_vccz .LBB258_42
.LBB258_27:
	v_and_b32_e32 v0, 0xffff0000, v32
	v_mov_b32_e32 v1, v33
	v_mov_b32_e32 v4, 0
	v_lshl_add_u64 v[2:3], v[40:41], 0, v[36:37]
	s_cbranch_execz .LBB258_43
.LBB258_28:
	v_perm_b32 v32, v4, v0, s17
	s_mov_b64 s[12:13], -1
	s_mov_b64 vcc, s[4:5]
	s_cbranch_vccz .LBB258_44
.LBB258_29:
	v_and_b32_e32 v33, 0xffff0000, v1
	v_mov_b32_e32 v42, 0
	v_mov_b32_e32 v129, 0
	s_cbranch_execz .LBB258_45
.LBB258_30:
	s_and_b64 vcc, exec, s[6:7]
	s_cbranch_vccnz .LBB258_32
.LBB258_31:
	global_load_ushort v0, v[34:35], off
	s_waitcnt vmcnt(0)
	v_mul_f16_e32 v42, v53, v0
.LBB258_32:
	ds_read2_b64 v[16:19], v125 offset1:32
	ds_read2_b64 v[12:15], v125 offset0:64 offset1:96
	ds_read2_b64 v[4:7], v125 offset0:128 offset1:160
	ds_read2_b64 v[0:3], v125 offset0:192 offset1:224
	ds_read2_b64 v[28:31], v126 offset1:8
	ds_read2_b64 v[24:27], v126 offset0:16 offset1:24
	ds_read2_b64 v[20:23], v126 offset0:32 offset1:40
	;; [unrolled: 1-line block ×3, first 2 shown]
	s_mov_b64 s[12:13], -1
	s_mov_b64 vcc, s[4:5]
	ds_write_b16 v71, v32
	ds_write_b16_d16_hi v71, v32 offset:512
	ds_write_b16 v71, v33 offset:1024
	ds_write_b16 v71, v129 offset:1536
	ds_write_b16 v122, v42
	s_waitcnt lgkmcnt(0)
	s_barrier
                                        ; implicit-def: $vgpr46_vgpr47
	s_cbranch_vccz .LBB258_34
; %bb.33:
	v_and_b32_e32 v46, 0xffff0000, v44
	v_mov_b32_e32 v47, v45
	v_mov_b32_e32 v42, 0
	v_lshl_add_u64 v[48:49], v[38:39], 0, v[36:37]
	s_cbranch_execnz .LBB258_36
	s_branch .LBB258_35
.LBB258_34:
	v_mov_b32_e32 v42, 0
	s_andn2_b64 vcc, exec, s[12:13]
	v_lshl_add_u64 v[48:49], v[38:39], 0, v[36:37]
	s_cbranch_vccnz .LBB258_36
.LBB258_35:
	global_load_ushort v42, v[48:49], off
	global_load_ushort v43, v[48:49], off offset:128
	s_waitcnt vmcnt(1)
	v_mul_f16_e32 v42, v53, v42
	v_bfi_b32 v44, s19, v42, v44
	s_waitcnt vmcnt(0)
	v_mul_f16_e32 v42, v53, v43
	v_mov_b64_e32 v[46:47], v[44:45]
.LBB258_36:
	v_perm_b32 v42, v42, v46, s17
	s_mov_b64 s[12:13], -1
	s_mov_b64 vcc, s[4:5]
                                        ; implicit-def: $vgpr43
	s_cbranch_vccz .LBB258_46
; %bb.37:
	v_and_b32_e32 v43, 0xffff0000, v47
	v_mov_b32_e32 v46, 0
	v_mov_b32_e32 v127, 0
	s_cbranch_execz .LBB258_47
.LBB258_38:
	s_and_b64 vcc, exec, s[6:7]
	s_cbranch_vccnz .LBB258_40
.LBB258_39:
	global_load_ushort v44, v[34:35], off offset:8
	s_waitcnt vmcnt(0)
	v_mul_f16_e32 v46, v53, v44
.LBB258_40:
	v_pk_add_f16 v44, v16, v28
	v_pk_max_f16 v45, v121, v121
	v_pk_max_f16 v47, v120, v120
	v_pk_min_f16 v44, v45, v44
	v_pk_add_f16 v45, v18, v28
	v_pk_max_f16 v48, v119, v119
	v_pk_min_f16 v45, v47, v45
	v_pk_add_f16 v47, v12, v28
	v_pk_max_f16 v49, v118, v118
	v_pk_min_f16 v47, v48, v47
	v_pk_add_f16 v48, v14, v28
	v_pk_max_f16 v117, v117, v117
	v_pk_min_f16 v48, v49, v48
	v_pk_add_f16 v49, v4, v28
	v_pk_max_f16 v116, v116, v116
	v_pk_min_f16 v49, v117, v49
	v_pk_add_f16 v117, v6, v28
	v_pk_max_f16 v115, v115, v115
	v_pk_min_f16 v116, v116, v117
	v_pk_add_f16 v117, v0, v28
	v_pk_add_f16 v28, v2, v28
	v_pk_max_f16 v113, v113, v113
	v_pk_min_f16 v28, v115, v28
	v_pk_add_f16 v115, v16, v30
	v_pk_max_f16 v112, v112, v112
	v_pk_min_f16 v113, v113, v115
	v_pk_add_f16 v115, v18, v30
	v_pk_max_f16 v111, v111, v111
	v_pk_min_f16 v112, v112, v115
	v_pk_add_f16 v115, v12, v30
	v_pk_max_f16 v110, v110, v110
	v_pk_min_f16 v111, v111, v115
	v_pk_add_f16 v115, v14, v30
	v_pk_max_f16 v109, v109, v109
	v_pk_min_f16 v110, v110, v115
	v_pk_add_f16 v115, v4, v30
	v_pk_max_f16 v108, v108, v108
	v_pk_min_f16 v109, v109, v115
	v_pk_add_f16 v115, v6, v30
	v_pk_max_f16 v106, v106, v106
	v_pk_min_f16 v108, v108, v115
	v_pk_add_f16 v115, v0, v30
	v_pk_add_f16 v30, v2, v30
	v_pk_max_f16 v105, v105, v105
	v_pk_min_f16 v30, v106, v30
	v_pk_add_f16 v106, v16, v24
	;; [unrolled: 22-line block ×4, first 2 shown]
	v_pk_max_f16 v77, v77, v77
	v_pk_max_f16 v114, v114, v114
	v_pk_min_f16 v107, v107, v115
	v_pk_min_f16 v115, v77, v75
	v_pk_add_f16 v75, v18, v20
	v_pk_max_f16 v73, v73, v73
	v_pk_min_f16 v114, v114, v117
	v_pk_min_f16 v117, v73, v75
	v_pk_add_f16 v73, v12, v20
	v_pk_max_f16 v70, v70, v70
	v_pk_max_f16 v68, v68, v68
	v_pk_min_f16 v118, v70, v73
	v_pk_add_f16 v70, v14, v20
	v_pk_max_f16 v66, v66, v66
	v_pk_min_f16 v119, v68, v70
	v_pk_add_f16 v68, v4, v20
	v_pk_max_f16 v67, v67, v67
	v_pk_min_f16 v120, v66, v68
	v_pk_add_f16 v66, v6, v20
	v_pk_max_f16 v68, v104, v104
	v_pk_max_f16 v94, v94, v94
	v_pk_min_f16 v104, v68, v66
	v_pk_add_f16 v66, v0, v20
	v_pk_max_f16 v68, v102, v102
	v_pk_add_f16 v20, v2, v20
	v_pk_min_f16 v102, v68, v66
	v_pk_max_f16 v66, v100, v100
	v_pk_max_f16 v68, v98, v98
	v_pk_min_f16 v20, v66, v20
	v_pk_add_f16 v66, v16, v22
	v_pk_min_f16 v94, v94, v106
	v_pk_min_f16 v98, v68, v66
	v_pk_add_f16 v66, v18, v22
	v_pk_max_f16 v68, v95, v95
	v_pk_max_f16 v79, v79, v79
	v_pk_min_f16 v95, v68, v66
	v_pk_add_f16 v66, v12, v22
	v_pk_max_f16 v68, v93, v93
	v_pk_min_f16 v106, v79, v80
	v_pk_min_f16 v93, v68, v66
	v_pk_add_f16 v66, v14, v22
	v_pk_max_f16 v68, v91, v91
	v_pk_max_f16 v65, v65, v65
	v_pk_min_f16 v91, v68, v66
	v_pk_add_f16 v66, v4, v22
	v_pk_max_f16 v68, v89, v89
	v_pk_max_f16 v64, v64, v64
	;; [unrolled: 4-line block ×3, first 2 shown]
	v_pk_min_f16 v88, v68, v66
	v_pk_add_f16 v66, v0, v22
	v_pk_max_f16 v68, v86, v86
	v_pk_add_f16 v22, v2, v22
	v_pk_min_f16 v86, v68, v66
	v_pk_max_f16 v66, v83, v83
	v_pk_max_f16 v68, v81, v81
	v_pk_min_f16 v22, v66, v22
	v_pk_add_f16 v66, v16, v8
	v_pk_add_f16 v16, v16, v10
	v_pk_min_f16 v83, v68, v66
	v_pk_add_f16 v66, v18, v8
	v_pk_max_f16 v68, v78, v78
	v_pk_add_f16 v18, v18, v10
	v_pk_min_f16 v100, v68, v66
	v_pk_add_f16 v66, v12, v8
	v_pk_max_f16 v68, v74, v74
	;; [unrolled: 4-line block ×4, first 2 shown]
	v_pk_add_f16 v4, v4, v10
	v_pk_min_f16 v130, v68, v66
	v_pk_add_f16 v66, v6, v8
	v_pk_add_f16 v6, v6, v10
	v_pk_min_f16 v131, v67, v66
	v_pk_add_f16 v66, v0, v8
	v_pk_add_f16 v8, v2, v8
	;; [unrolled: 1-line block ×4, first 2 shown]
	v_pk_max_f16 v10, v61, v61
	v_pk_min_f16 v132, v65, v66
	v_pk_min_f16 v2, v10, v2
	v_pk_add_f16 v10, v17, v29
	v_pk_min_f16 v8, v64, v8
	v_pk_min_f16 v133, v44, v10
	v_pk_add_f16 v10, v19, v29
	;; [unrolled: 3-line block ×3, first 2 shown]
	v_pk_max_f16 v62, v62, v62
	v_pk_min_f16 v135, v47, v10
	v_pk_add_f16 v10, v15, v29
	v_pk_min_f16 v18, v62, v18
	v_pk_min_f16 v136, v48, v10
	v_pk_add_f16 v10, v5, v29
	v_pk_max_f16 v60, v60, v60
	v_pk_min_f16 v137, v49, v10
	v_pk_add_f16 v10, v7, v29
	v_pk_min_f16 v12, v60, v12
	v_pk_min_f16 v116, v116, v10
	v_pk_add_f16 v10, v1, v29
	v_pk_max_f16 v58, v58, v58
	v_pk_min_f16 v114, v114, v10
	v_pk_add_f16 v10, v3, v29
	v_pk_max_f16 v59, v59, v59
	v_pk_min_f16 v138, v28, v10
	v_pk_add_f16 v10, v17, v31
	v_pk_min_f16 v4, v58, v4
	v_pk_min_f16 v113, v113, v10
	v_pk_add_f16 v10, v19, v31
	v_pk_max_f16 v56, v56, v56
	v_pk_min_f16 v112, v112, v10
	v_pk_add_f16 v10, v13, v31
	v_pk_min_f16 v14, v59, v14
	v_pk_min_f16 v111, v111, v10
	v_pk_add_f16 v10, v15, v31
	v_pk_min_f16 v6, v56, v6
	v_pk_min_f16 v110, v110, v10
	v_pk_add_f16 v10, v5, v31
	v_pk_max_f16 v56, v57, v57
	v_pk_min_f16 v109, v109, v10
	v_pk_add_f16 v10, v7, v31
	v_pk_min_f16 v0, v56, v0
	v_pk_min_f16 v108, v108, v10
	v_pk_add_f16 v10, v1, v31
	v_perm_b32 v33, v129, v33, s17
	v_pk_min_f16 v107, v107, v10
	v_pk_add_f16 v10, v3, v31
	s_add_i32 s18, s18, 8
	v_pk_min_f16 v139, v30, v10
	v_pk_add_f16 v10, v17, v25
	v_lshl_add_u64 v[34:35], v[34:35], 0, 16
	v_pk_min_f16 v105, v105, v10
	v_pk_add_f16 v10, v19, v25
	v_lshl_add_u64 v[38:39], v[38:39], 0, s[2:3]
	v_pk_min_f16 v103, v103, v10
	v_pk_add_f16 v10, v13, v25
	s_cmp_ge_i32 s18, s16
	v_pk_min_f16 v101, v101, v10
	v_pk_add_f16 v10, v15, v25
	v_lshl_add_u64 v[40:41], v[40:41], 0, s[2:3]
	v_pk_min_f16 v99, v99, v10
	v_pk_add_f16 v10, v5, v25
	s_nop 0
	v_pk_min_f16 v97, v97, v10
	v_pk_add_f16 v10, v7, v25
	s_nop 0
	;; [unrolled: 3-line block ×13, first 2 shown]
	v_pk_min_f16 v73, v115, v10
	v_pk_add_f16 v10, v19, v21
	v_pk_max_f16 v115, v138, v138
	v_pk_min_f16 v70, v117, v10
	v_pk_add_f16 v10, v13, v21
	s_nop 0
	v_pk_min_f16 v68, v118, v10
	v_pk_add_f16 v10, v15, v21
	s_nop 0
	;; [unrolled: 3-line block ×4, first 2 shown]
	v_pk_min_f16 v44, v104, v10
	v_pk_add_f16 v10, v1, v21
	v_pk_max_f16 v44, v44, v44
	v_pk_min_f16 v74, v102, v10
	v_pk_add_f16 v10, v3, v21
	v_pk_max_f16 v74, v74, v74
	;; [unrolled: 3-line block ×3, first 2 shown]
	v_pk_min_f16 v69, v98, v10
	v_pk_add_f16 v10, v19, v23
	s_nop 0
	v_pk_min_f16 v67, v95, v10
	v_pk_add_f16 v10, v13, v23
	v_pk_max_f16 v67, v67, v67
	v_pk_min_f16 v65, v93, v10
	v_pk_add_f16 v10, v15, v23
	v_pk_max_f16 v65, v65, v65
	;; [unrolled: 3-line block ×5, first 2 shown]
	v_pk_min_f16 v60, v86, v10
	v_pk_add_f16 v10, v3, v23
	s_nop 0
	v_pk_min_f16 v58, v22, v10
	v_pk_add_f16 v10, v17, v9
	s_nop 0
	;; [unrolled: 3-line block ×5, first 2 shown]
	v_pk_min_f16 v28, v128, v10
	v_pk_add_f16 v10, v5, v9
	v_pk_add_f16 v5, v5, v11
	v_pk_min_f16 v27, v130, v10
	v_pk_add_f16 v10, v7, v9
	v_pk_min_f16 v57, v4, v5
	v_pk_min_f16 v26, v131, v10
	v_pk_add_f16 v10, v1, v9
	v_pk_add_f16 v9, v3, v9
	;; [unrolled: 1-line block ×3, first 2 shown]
	v_pk_min_f16 v24, v8, v9
	v_pk_add_f16 v8, v17, v11
	v_pk_add_f16 v4, v7, v11
	v_pk_min_f16 v30, v16, v8
	v_pk_add_f16 v8, v19, v11
	v_pk_min_f16 v128, v0, v1
	v_pk_min_f16 v29, v18, v8
	v_pk_add_f16 v8, v13, v11
	v_pk_add_f16 v0, v3, v11
	v_pk_min_f16 v48, v12, v8
	v_pk_add_f16 v8, v15, v11
	v_pk_min_f16 v25, v132, v10
	v_pk_min_f16 v47, v14, v8
	;; [unrolled: 1-line block ×4, first 2 shown]
	ds_read2_b64 v[8:11], v55 offset1:32
	ds_read2_b64 v[20:23], v76 offset1:8
	ds_read2_b64 v[12:15], v55 offset0:64 offset1:96
	ds_read2_b64 v[4:7], v55 offset0:128 offset1:160
	;; [unrolled: 1-line block ×4, first 2 shown]
	s_waitcnt lgkmcnt(4)
	v_pk_add_f16 v82, v8, v20
	v_pk_add_f16 v92, v8, v22
	v_pk_add_f16 v93, v10, v22
	s_waitcnt lgkmcnt(1)
	v_pk_add_f16 v91, v2, v20
	v_pk_add_f16 v95, v12, v22
	;; [unrolled: 1-line block ×7, first 2 shown]
	v_pk_max_f16 v22, v133, v133
	v_pk_add_f16 v83, v10, v20
	v_pk_add_f16 v84, v12, v20
	v_pk_add_f16 v85, v14, v20
	v_pk_add_f16 v86, v4, v20
	v_pk_add_f16 v88, v6, v20
	v_pk_add_f16 v89, v0, v20
	v_pk_add_f16 v20, v9, v21
	v_pk_min_f16 v22, v22, v82
	v_pk_add_f16 v82, v3, v21
	v_pk_min_f16 v91, v115, v91
	v_pk_min_f16 v121, v22, v20
	v_pk_max_f16 v22, v134, v134
	v_pk_min_f16 v115, v91, v82
	v_pk_max_f16 v91, v113, v113
	v_pk_add_f16 v20, v11, v21
	v_pk_min_f16 v22, v22, v83
	v_pk_add_f16 v83, v9, v23
	v_pk_min_f16 v91, v91, v92
	v_pk_min_f16 v120, v22, v20
	v_pk_max_f16 v22, v135, v135
	v_pk_min_f16 v113, v91, v83
	v_pk_max_f16 v91, v112, v112
	v_pk_add_f16 v20, v13, v21
	;; [unrolled: 8-line block ×5, first 2 shown]
	v_pk_min_f16 v22, v22, v88
	v_pk_add_f16 v88, v5, v23
	v_pk_min_f16 v86, v86, v100
	v_pk_min_f16 v116, v22, v20
	v_pk_max_f16 v22, v114, v114
	v_pk_min_f16 v109, v86, v88
	v_pk_max_f16 v86, v108, v108
	v_pk_min_f16 v22, v22, v89
	v_pk_add_f16 v89, v7, v23
	v_pk_min_f16 v86, v86, v102
	v_pk_add_f16 v129, v1, v23
	v_pk_min_f16 v108, v86, v89
	v_pk_max_f16 v86, v107, v107
	v_pk_add_f16 v130, v3, v23
	v_pk_min_f16 v86, v86, v104
	s_waitcnt lgkmcnt(0)
	v_pk_add_f16 v131, v8, v16
	v_pk_min_f16 v107, v86, v129
	v_pk_max_f16 v86, v139, v139
	v_pk_add_f16 v82, v10, v16
	v_pk_min_f16 v86, v86, v106
	v_pk_add_f16 v92, v12, v16
	v_pk_min_f16 v106, v86, v130
	v_pk_max_f16 v86, v105, v105
	v_pk_add_f16 v105, v9, v17
	v_pk_min_f16 v86, v86, v131
	;; [unrolled: 5-line block ×3, first 2 shown]
	v_pk_add_f16 v86, v11, v17
	v_pk_add_f16 v84, v6, v16
	v_pk_min_f16 v103, v82, v86
	v_pk_max_f16 v82, v101, v101
	v_pk_add_f16 v86, v13, v17
	v_pk_min_f16 v82, v82, v92
	v_pk_add_f16 v95, v0, v16
	v_pk_min_f16 v101, v82, v86
	v_pk_max_f16 v82, v99, v99
	v_pk_add_f16 v86, v5, v17
	v_pk_min_f16 v82, v82, v83
	v_pk_add_f16 v83, v15, v17
	v_pk_add_f16 v16, v2, v16
	v_pk_min_f16 v99, v82, v83
	v_pk_max_f16 v82, v97, v97
	v_pk_add_f16 v91, v8, v18
	v_pk_min_f16 v82, v82, v93
	v_pk_add_f16 v85, v10, v18
	v_pk_min_f16 v97, v82, v86
	v_pk_max_f16 v82, v96, v96
	v_pk_add_f16 v98, v12, v18
	v_pk_min_f16 v82, v82, v84
	;; [unrolled: 11-line block ×3, first 2 shown]
	v_pk_add_f16 v20, v1, v21
	v_pk_min_f16 v92, v16, v17
	v_pk_max_f16 v16, v90, v90
	v_pk_add_f16 v17, v9, v19
	v_pk_min_f16 v16, v16, v91
	v_pk_add_f16 v89, v6, v18
	v_pk_min_f16 v90, v16, v17
	v_pk_max_f16 v16, v87, v87
	v_pk_add_f16 v17, v11, v19
	v_pk_min_f16 v16, v16, v85
	v_pk_min_f16 v114, v22, v20
	;; [unrolled: 1-line block ×3, first 2 shown]
	v_pk_max_f16 v16, v81, v81
	v_pk_add_f16 v17, v13, v19
	v_pk_min_f16 v16, v16, v98
	ds_read2_b64 v[20:23], v76 offset0:32 offset1:40
	v_pk_min_f16 v85, v16, v17
	v_pk_max_f16 v16, v80, v80
	v_pk_add_f16 v17, v15, v19
	v_pk_min_f16 v16, v16, v88
	v_pk_add_f16 v102, v0, v18
	v_pk_min_f16 v84, v16, v17
	v_pk_max_f16 v16, v79, v79
	v_pk_add_f16 v17, v5, v19
	v_pk_min_f16 v16, v16, v100
	v_pk_add_f16 v18, v2, v18
	v_pk_min_f16 v82, v16, v17
	v_pk_max_f16 v16, v78, v78
	v_pk_add_f16 v17, v7, v19
	v_pk_min_f16 v16, v16, v89
	s_waitcnt lgkmcnt(0)
	v_pk_add_f16 v104, v8, v20
	v_pk_min_f16 v80, v16, v17
	v_pk_max_f16 v16, v77, v77
	v_pk_add_f16 v17, v1, v19
	v_pk_min_f16 v16, v16, v102
	v_pk_add_f16 v129, v10, v20
	v_pk_min_f16 v79, v16, v17
	v_pk_max_f16 v17, v75, v75
	v_pk_add_f16 v16, v3, v19
	v_pk_min_f16 v17, v17, v18
	;; [unrolled: 5-line block ×7, first 2 shown]
	v_pk_add_f16 v20, v2, v20
	v_pk_min_f16 v66, v17, v16
	ds_read2_b64 v[16:19], v76 offset0:48 offset1:56
	v_pk_add_f16 v45, v7, v21
	v_pk_add_f16 v78, v1, v21
	;; [unrolled: 1-line block ×3, first 2 shown]
	v_pk_min_f16 v20, v72, v20
	v_pk_add_f16 v93, v8, v22
	v_pk_min_f16 v100, v20, v21
	v_pk_max_f16 v21, v69, v69
	v_pk_add_f16 v89, v9, v23
	v_pk_min_f16 v74, v74, v86
	v_pk_min_f16 v21, v21, v93
	v_pk_add_f16 v95, v10, v22
	v_pk_add_f16 v91, v12, v22
	v_pk_add_f16 v133, v14, v22
	v_pk_add_f16 v81, v4, v22
	v_pk_add_f16 v88, v6, v22
	v_pk_add_f16 v134, v0, v22
	v_pk_add_f16 v22, v2, v22
	s_waitcnt lgkmcnt(0)
	v_pk_add_f16 v137, v8, v16
	v_pk_min_f16 v102, v74, v78
	v_pk_add_f16 v74, v10, v16
	v_pk_add_f16 v72, v12, v16
	;; [unrolled: 1-line block ×4, first 2 shown]
	v_pk_min_f16 v98, v21, v89
	v_pk_add_f16 v21, v6, v16
	v_pk_add_f16 v138, v0, v16
	;; [unrolled: 1-line block ×11, first 2 shown]
	v_pk_max_f16 v18, v60, v60
	v_pk_add_f16 v136, v1, v23
	v_pk_min_f16 v18, v18, v134
	v_pk_add_f16 v129, v11, v23
	v_pk_min_f16 v86, v18, v136
	v_pk_max_f16 v18, v58, v58
	v_pk_add_f16 v130, v13, v23
	v_pk_add_f16 v131, v15, v23
	;; [unrolled: 1-line block ×5, first 2 shown]
	v_pk_min_f16 v18, v18, v22
	v_pk_max_f16 v22, v59, v59
	v_pk_min_f16 v44, v44, v83
	v_pk_min_f16 v83, v18, v23
	v_pk_add_f16 v18, v9, v17
	v_pk_min_f16 v22, v22, v137
	v_pk_min_f16 v63, v63, v81
	v_pk_min_f16 v81, v22, v18
	v_pk_max_f16 v22, v56, v56
	v_pk_add_f16 v18, v11, v17
	v_pk_min_f16 v22, v22, v74
	v_pk_min_f16 v67, v67, v95
	v_pk_min_f16 v78, v22, v18
	v_pk_max_f16 v22, v31, v31
	;; [unrolled: 5-line block ×6, first 2 shown]
	v_pk_add_f16 v18, v1, v17
	v_pk_min_f16 v20, v20, v138
	v_pk_add_f16 v17, v3, v17
	v_pk_min_f16 v65, v20, v18
	v_pk_max_f16 v18, v24, v24
	v_pk_min_f16 v91, v64, v131
	v_pk_min_f16 v16, v18, v16
	v_pk_add_f16 v9, v9, v19
	v_pk_min_f16 v64, v16, v17
	v_pk_max_f16 v16, v30, v30
	v_pk_min_f16 v89, v63, v132
	v_pk_min_f16 v8, v16, v8
	;; [unrolled: 1-line block ×4, first 2 shown]
	v_pk_max_f16 v9, v29, v29
	v_pk_add_f16 v8, v11, v19
	v_pk_min_f16 v9, v9, v10
	v_pk_min_f16 v88, v62, v135
	;; [unrolled: 1-line block ×3, first 2 shown]
	v_pk_max_f16 v9, v48, v48
	v_pk_add_f16 v8, v13, v19
	v_pk_min_f16 v9, v9, v12
	v_pk_add_f16 v5, v5, v19
	v_pk_min_f16 v60, v9, v8
	v_pk_max_f16 v9, v47, v47
	v_pk_add_f16 v8, v15, v19
	v_pk_min_f16 v9, v9, v14
	v_pk_add_f16 v1, v1, v19
	v_pk_min_f16 v59, v9, v8
	v_pk_max_f16 v8, v57, v57
	v_pk_min_f16 v104, v44, v45
	v_pk_min_f16 v4, v8, v4
	v_perm_b32 v45, v127, v43, s17
	v_pk_min_f16 v58, v4, v5
	v_pk_max_f16 v5, v49, v49
	v_pk_add_f16 v4, v7, v19
	v_pk_min_f16 v5, v5, v6
	ds_write_b16 v123, v42
	ds_write_b16_d16_hi v123, v42 offset:512
	ds_write_b16 v123, v43 offset:1024
	ds_write_b16 v123, v127 offset:1536
	ds_write_b16 v124, v46
	v_pk_min_f16 v56, v5, v4
	v_pk_max_f16 v4, v128, v128
	s_waitcnt lgkmcnt(0)
	v_pk_min_f16 v0, v4, v0
	s_barrier
	v_pk_min_f16 v57, v0, v1
	v_pk_max_f16 v1, v61, v61
	v_pk_add_f16 v0, v3, v19
	v_pk_min_f16 v1, v1, v2
	s_nop 0
	v_pk_min_f16 v61, v1, v0
	s_cbranch_scc1 .LBB258_48
; %bb.41:
	v_mov_b32_e32 v44, v42
	s_mov_b64 s[12:13], -1
	s_mov_b64 vcc, s[4:5]
                                        ; implicit-def: $vgpr0_vgpr1
	s_cbranch_vccnz .LBB258_27
.LBB258_42:
	v_mov_b32_e32 v4, 0
	s_andn2_b64 vcc, exec, s[12:13]
	v_lshl_add_u64 v[2:3], v[40:41], 0, v[36:37]
	s_cbranch_vccnz .LBB258_28
.LBB258_43:
	global_load_ushort v0, v[2:3], off
	global_load_ushort v1, v[2:3], off offset:128
	s_waitcnt vmcnt(1)
	v_mul_f16_e32 v0, v53, v0
	v_bfi_b32 v32, s19, v0, v32
	s_waitcnt vmcnt(0)
	v_mul_f16_e32 v4, v53, v1
	v_mov_b64_e32 v[0:1], v[32:33]
	v_perm_b32 v32, v4, v0, s17
	s_mov_b64 s[12:13], -1
	s_mov_b64 vcc, s[4:5]
	s_cbranch_vccnz .LBB258_29
.LBB258_44:
	v_mov_b32_e32 v42, 0
	s_andn2_b64 vcc, exec, s[12:13]
	v_mov_b32_e32 v129, 0
	s_cbranch_vccnz .LBB258_30
.LBB258_45:
	global_load_ushort v0, v[2:3], off offset:256
	global_load_ushort v4, v[2:3], off offset:384
	s_waitcnt vmcnt(1)
	v_mul_f16_e32 v0, v53, v0
	v_bfi_b32 v33, s19, v0, v1
	s_waitcnt vmcnt(0)
	v_mul_f16_e32 v129, v53, v4
	s_and_b64 vcc, exec, s[6:7]
	s_cbranch_vccz .LBB258_31
	s_branch .LBB258_32
.LBB258_46:
	v_mov_b32_e32 v46, 0
	s_andn2_b64 vcc, exec, s[12:13]
	v_mov_b32_e32 v127, 0
	s_cbranch_vccnz .LBB258_38
.LBB258_47:
	global_load_ushort v43, v[48:49], off offset:256
	global_load_ushort v44, v[48:49], off offset:384
	s_waitcnt vmcnt(1)
	v_mul_f16_e32 v43, v53, v43
	v_bfi_b32 v43, s19, v43, v47
	s_waitcnt vmcnt(0)
	v_mul_f16_e32 v127, v53, v44
	s_and_b64 vcc, exec, s[6:7]
	s_cbranch_vccz .LBB258_39
	s_branch .LBB258_40
.LBB258_48:
	s_load_dword s6, s[0:1], 0x58
	ds_read_b64 v[30:31], v55 offset:2048
	ds_read_b64 v[46:47], v54 offset:4608
	v_add_u32_e32 v53, s24, v51
	v_cmp_neq_f16_e64 s[4:5], 0, v52
	v_add_u32_e32 v28, s21, v50
	s_waitcnt lgkmcnt(0)
	v_mad_i64_i32 v[0:1], s[2:3], v53, s6, 0
	v_ashrrev_i32_e32 v29, 31, v28
	v_lshl_add_u64 v[48:49], v[0:1], 1, s[10:11]
	v_mov_b32_e32 v34, 0
	s_and_b64 vcc, exec, s[4:5]
	v_mov_b32_e32 v35, 0
	s_cbranch_vccz .LBB258_50
; %bb.49:
	v_lshl_add_u64 v[0:1], v[28:29], 1, v[48:49]
	global_load_ushort v0, v[0:1], off
	s_waitcnt vmcnt(0)
	v_mul_f16_e32 v0, v52, v0
	v_cvt_f32_f16_e32 v35, v0
.LBB258_50:
	v_add_u32_e32 v0, 0x800, v55
	v_pk_add_f16 v32, v30, v46
	v_max_f16_e32 v33, v121, v121
	v_pk_add_f16 v37, v31, v47
	ds_read2_b64 v[8:11], v0 offset0:32 offset1:64
	ds_read2_b64 v[4:7], v0 offset0:96 offset1:128
	;; [unrolled: 1-line block ×3, first 2 shown]
	ds_read_b64 v[24:25], v55 offset:3840
	s_load_dword s7, s[0:1], 0x70
	s_load_dwordx2 s[2:3], s[0:1], 0x78
	v_min_f16_e32 v36, v33, v32
	v_lshrrev_b32_e32 v33, 16, v121
	v_lshrrev_b32_e32 v32, 16, v32
	;; [unrolled: 1-line block ×3, first 2 shown]
	v_min3_f16 v38, v33, v32, v38
	v_min3_f16 v36, v36, v37, v38
	v_cvt_f32_f16_e32 v38, v36
	v_add_u32_e32 v12, 0x1000, v54
	ds_read2_b64 v[20:23], v12 offset0:72 offset1:80
	ds_read2_b64 v[16:19], v12 offset0:88 offset1:96
	ds_read2_b64 v[12:15], v12 offset0:104 offset1:112
	ds_read_b64 v[26:27], v54 offset:5056
	s_waitcnt lgkmcnt(0)
	s_mul_i32 s0, s3, s20
	s_mul_hi_u32 s1, s2, s20
	s_add_i32 s1, s1, s0
	s_mul_i32 s0, s2, s20
	v_max_f32_e32 v35, v35, v35
	s_lshl_b64 s[0:1], s[0:1], 1
	v_min_f32_e32 v35, v35, v38
	s_add_u32 s2, s14, s0
	v_cvt_f16_f32_e32 v35, v35
	s_addc_u32 s3, s15, s1
	v_mad_i64_i32 v[36:37], s[0:1], v53, s7, 0
	v_add_u32_e32 v32, 32, v28
	v_lshl_add_u64 v[50:51], v[36:37], 1, s[2:3]
	v_cndmask_b32_e64 v38, 0, 1, s[4:5]
	v_ashrrev_i32_e32 v33, 31, v32
	v_lshl_add_u64 v[36:37], v[28:29], 1, v[50:51]
	v_cmp_ne_u32_e64 s[0:1], 1, v38
	s_andn2_b64 vcc, exec, s[4:5]
	global_store_short v[36:37], v35, off
	s_cbranch_vccnz .LBB258_52
; %bb.51:
	v_lshl_add_u64 v[34:35], v[32:33], 1, v[48:49]
	global_load_ushort v34, v[34:35], off
	s_waitcnt vmcnt(0)
	v_mul_f16_e32 v34, v52, v34
	v_cvt_f32_f16_e32 v34, v34
.LBB258_52:
	v_pk_add_f16 v35, v8, v46
	v_max_f16_e32 v36, v120, v120
	v_pk_add_f16 v38, v9, v47
	v_min_f16_e32 v36, v36, v35
	v_lshrrev_b32_e32 v37, 16, v120
	v_lshrrev_b32_e32 v35, 16, v35
	;; [unrolled: 1-line block ×3, first 2 shown]
	v_min3_f16 v35, v37, v35, v39
	v_min3_f16 v35, v36, v38, v35
	v_cvt_f32_f16_e32 v35, v35
	v_max_f32_e32 v34, v34, v34
	v_lshl_add_u64 v[36:37], v[32:33], 1, v[50:51]
	s_and_b64 vcc, exec, s[0:1]
	v_min_f32_e32 v34, v34, v35
	v_cvt_f16_f32_e32 v38, v34
	v_add_u32_e32 v34, 64, v28
	v_ashrrev_i32_e32 v35, 31, v34
	global_store_short v[36:37], v38, off
	v_mov_b32_e32 v38, 0
	v_mov_b32_e32 v37, 0
	s_cbranch_vccnz .LBB258_54
; %bb.53:
	v_lshl_add_u64 v[36:37], v[34:35], 1, v[48:49]
	global_load_ushort v36, v[36:37], off
	s_waitcnt vmcnt(0)
	v_mul_f16_e32 v36, v52, v36
	v_cvt_f32_f16_e32 v37, v36
.LBB258_54:
	v_pk_add_f16 v36, v10, v46
	v_max_f16_e32 v39, v119, v119
	v_pk_add_f16 v41, v11, v47
	v_min_f16_e32 v39, v39, v36
	v_lshrrev_b32_e32 v40, 16, v119
	v_lshrrev_b32_e32 v36, 16, v36
	;; [unrolled: 1-line block ×3, first 2 shown]
	v_min3_f16 v36, v40, v36, v42
	v_min3_f16 v36, v39, v41, v36
	v_cvt_f32_f16_e32 v39, v36
	v_max_f32_e32 v37, v37, v37
	v_add_u32_e32 v36, 0x60, v28
	v_lshl_add_u64 v[40:41], v[34:35], 1, v[50:51]
	v_min_f32_e32 v37, v37, v39
	v_cvt_f16_f32_e32 v39, v37
	v_ashrrev_i32_e32 v37, 31, v36
	s_and_b64 vcc, exec, s[0:1]
	global_store_short v[40:41], v39, off
	s_cbranch_vccnz .LBB258_56
; %bb.55:
	v_lshl_add_u64 v[38:39], v[36:37], 1, v[48:49]
	global_load_ushort v38, v[38:39], off
	s_waitcnt vmcnt(0)
	v_mul_f16_e32 v38, v52, v38
	v_cvt_f32_f16_e32 v38, v38
.LBB258_56:
	v_pk_add_f16 v39, v4, v46
	v_max_f16_e32 v40, v118, v118
	v_pk_add_f16 v42, v5, v47
	v_min_f16_e32 v40, v40, v39
	v_lshrrev_b32_e32 v41, 16, v118
	v_lshrrev_b32_e32 v39, 16, v39
	;; [unrolled: 1-line block ×3, first 2 shown]
	v_min3_f16 v39, v41, v39, v43
	v_min3_f16 v39, v40, v42, v39
	v_cvt_f32_f16_e32 v39, v39
	v_max_f32_e32 v38, v38, v38
	v_add_u32_e32 v40, 0x80, v28
	v_ashrrev_i32_e32 v41, 31, v40
	v_min_f32_e32 v38, v38, v39
	v_cvt_f16_f32_e32 v42, v38
	v_lshl_add_u64 v[38:39], v[36:37], 1, v[50:51]
	s_and_b64 vcc, exec, s[0:1]
	global_store_short v[38:39], v42, off
	v_mov_b32_e32 v42, 0
	v_mov_b32_e32 v39, 0
	s_cbranch_vccnz .LBB258_58
; %bb.57:
	v_lshl_add_u64 v[38:39], v[40:41], 1, v[48:49]
	global_load_ushort v38, v[38:39], off
	s_waitcnt vmcnt(0)
	v_mul_f16_e32 v38, v52, v38
	v_cvt_f32_f16_e32 v39, v38
.LBB258_58:
	v_pk_add_f16 v38, v6, v46
	v_max_f16_e32 v43, v117, v117
	v_pk_add_f16 v45, v7, v47
	v_min_f16_e32 v43, v43, v38
	v_lshrrev_b32_e32 v44, 16, v117
	v_lshrrev_b32_e32 v38, 16, v38
	;; [unrolled: 1-line block ×3, first 2 shown]
	v_min3_f16 v38, v44, v38, v54
	v_min3_f16 v38, v43, v45, v38
	v_cvt_f32_f16_e32 v43, v38
	v_max_f32_e32 v39, v39, v39
	v_add_u32_e32 v38, 0xa0, v28
	v_lshl_add_u64 v[44:45], v[40:41], 1, v[50:51]
	v_min_f32_e32 v39, v39, v43
	v_cvt_f16_f32_e32 v43, v39
	v_ashrrev_i32_e32 v39, 31, v38
	s_and_b64 vcc, exec, s[0:1]
	global_store_short v[44:45], v43, off
	s_cbranch_vccnz .LBB258_60
; %bb.59:
	v_lshl_add_u64 v[42:43], v[38:39], 1, v[48:49]
	global_load_ushort v42, v[42:43], off
	s_waitcnt vmcnt(0)
	v_mul_f16_e32 v42, v52, v42
	v_cvt_f32_f16_e32 v42, v42
.LBB258_60:
	v_pk_add_f16 v43, v0, v46
	v_max_f16_e32 v44, v116, v116
	v_pk_add_f16 v54, v1, v47
	v_min_f16_e32 v44, v44, v43
	v_lshrrev_b32_e32 v45, 16, v116
	v_lshrrev_b32_e32 v43, 16, v43
	;; [unrolled: 1-line block ×3, first 2 shown]
	v_min3_f16 v43, v45, v43, v55
	v_min3_f16 v43, v44, v54, v43
	v_cvt_f32_f16_e32 v43, v43
	v_max_f32_e32 v42, v42, v42
	v_lshl_add_u64 v[44:45], v[38:39], 1, v[50:51]
	s_and_b64 vcc, exec, s[0:1]
	v_min_f32_e32 v42, v42, v43
	v_cvt_f16_f32_e32 v54, v42
	v_add_u32_e32 v42, 0xc0, v28
	v_ashrrev_i32_e32 v43, 31, v42
	global_store_short v[44:45], v54, off
	v_mov_b32_e32 v54, 0
	v_mov_b32_e32 v45, 0
	s_cbranch_vccnz .LBB258_62
; %bb.61:
	v_lshl_add_u64 v[44:45], v[42:43], 1, v[48:49]
	global_load_ushort v44, v[44:45], off
	s_waitcnt vmcnt(0)
	v_mul_f16_e32 v44, v52, v44
	v_cvt_f32_f16_e32 v45, v44
.LBB258_62:
	v_pk_add_f16 v44, v2, v46
	v_max_f16_e32 v55, v114, v114
	v_pk_add_f16 v76, v3, v47
	v_min_f16_e32 v55, v55, v44
	v_lshrrev_b32_e32 v71, 16, v114
	v_lshrrev_b32_e32 v44, 16, v44
	v_lshrrev_b32_e32 v114, 16, v76
	v_min3_f16 v44, v71, v44, v114
	v_min3_f16 v44, v55, v76, v44
	v_cvt_f32_f16_e32 v55, v44
	v_max_f32_e32 v45, v45, v45
	v_add_u32_e32 v44, 0xe0, v28
	v_lshl_add_u64 v[116:117], v[42:43], 1, v[50:51]
	v_min_f32_e32 v45, v45, v55
	v_cvt_f16_f32_e32 v55, v45
	v_ashrrev_i32_e32 v45, 31, v44
	s_and_b64 vcc, exec, s[0:1]
	global_store_short v[116:117], v55, off
	s_cbranch_vccnz .LBB258_64
; %bb.63:
	v_lshl_add_u64 v[48:49], v[44:45], 1, v[48:49]
	global_load_ushort v48, v[48:49], off
	s_waitcnt vmcnt(0)
	v_mul_f16_e32 v48, v52, v48
	v_cvt_f32_f16_e32 v54, v48
.LBB258_64:
	v_pk_add_f16 v46, v24, v46
	v_max_f16_e32 v48, v115, v115
	v_pk_add_f16 v47, v25, v47
	v_min_f16_e32 v48, v48, v46
	v_lshrrev_b32_e32 v49, 16, v115
	v_lshrrev_b32_e32 v46, 16, v46
	v_lshrrev_b32_e32 v55, 16, v47
	v_min3_f16 v46, v49, v46, v55
	v_min3_f16 v46, v48, v47, v46
	v_cvt_f32_f16_e32 v46, v46
	v_max_f32_e32 v47, v54, v54
	s_and_b64 vcc, exec, s[0:1]
	v_mov_b32_e32 v49, 0
	v_min_f32_e32 v46, v47, v46
	v_cvt_f16_f32_e32 v48, v46
	v_lshl_add_u64 v[46:47], v[44:45], 1, v[50:51]
	v_mov_b32_e32 v50, 0
	global_store_short v[46:47], v48, off
	v_add_u32_e32 v48, 8, v53
	v_mad_i64_i32 v[46:47], s[4:5], v48, s6, 0
	v_lshl_add_u64 v[46:47], v[46:47], 1, s[10:11]
	s_cbranch_vccnz .LBB258_66
; %bb.65:
	v_lshl_add_u64 v[54:55], v[28:29], 1, v[46:47]
	global_load_ushort v49, v[54:55], off
	s_waitcnt vmcnt(0)
	v_mul_f16_e32 v49, v52, v49
	v_cvt_f32_f16_e32 v49, v49
.LBB258_66:
	v_pk_add_f16 v51, v30, v20
	v_max_f16_e32 v54, v113, v113
	v_pk_add_f16 v71, v31, v21
	v_min_f16_e32 v54, v54, v51
	v_lshrrev_b32_e32 v55, 16, v113
	v_lshrrev_b32_e32 v51, 16, v51
	;; [unrolled: 1-line block ×3, first 2 shown]
	v_min3_f16 v51, v55, v51, v76
	v_min3_f16 v51, v54, v71, v51
	v_cvt_f32_f16_e32 v51, v51
	v_mad_i64_i32 v[54:55], s[4:5], v48, s7, 0
	v_max_f32_e32 v48, v49, v49
	v_min_f32_e32 v48, v48, v51
	v_cvt_f16_f32_e32 v51, v48
	v_lshl_add_u64 v[48:49], v[54:55], 1, s[2:3]
	v_lshl_add_u64 v[54:55], v[28:29], 1, v[48:49]
	s_and_b64 vcc, exec, s[0:1]
	global_store_short v[54:55], v51, off
	s_cbranch_vccnz .LBB258_68
; %bb.67:
	v_lshl_add_u64 v[50:51], v[32:33], 1, v[46:47]
	global_load_ushort v50, v[50:51], off
	s_waitcnt vmcnt(0)
	v_mul_f16_e32 v50, v52, v50
	v_cvt_f32_f16_e32 v50, v50
.LBB258_68:
	v_pk_add_f16 v51, v8, v20
	v_max_f16_e32 v54, v112, v112
	v_pk_add_f16 v71, v9, v21
	v_min_f16_e32 v54, v54, v51
	v_lshrrev_b32_e32 v55, 16, v112
	v_lshrrev_b32_e32 v51, 16, v51
	v_lshrrev_b32_e32 v76, 16, v71
	v_min3_f16 v51, v55, v51, v76
	v_min3_f16 v51, v54, v71, v51
	v_cvt_f32_f16_e32 v51, v51
	v_max_f32_e32 v50, v50, v50
	s_and_b64 vcc, exec, s[0:1]
	v_min_f32_e32 v50, v50, v51
	v_cvt_f16_f32_e32 v54, v50
	v_lshl_add_u64 v[50:51], v[32:33], 1, v[48:49]
	global_store_short v[50:51], v54, off
	v_mov_b32_e32 v50, 0
	v_mov_b32_e32 v51, 0
	s_cbranch_vccnz .LBB258_70
; %bb.69:
	v_lshl_add_u64 v[54:55], v[34:35], 1, v[46:47]
	global_load_ushort v51, v[54:55], off
	s_waitcnt vmcnt(0)
	v_mul_f16_e32 v51, v52, v51
	v_cvt_f32_f16_e32 v51, v51
.LBB258_70:
	v_pk_add_f16 v54, v10, v20
	v_max_f16_e32 v55, v111, v111
	v_pk_add_f16 v76, v11, v21
	v_min_f16_e32 v55, v55, v54
	v_lshrrev_b32_e32 v71, 16, v111
	v_lshrrev_b32_e32 v54, 16, v54
	v_lshrrev_b32_e32 v111, 16, v76
	v_min3_f16 v54, v71, v54, v111
	v_min3_f16 v54, v55, v76, v54
	v_cvt_f32_f16_e32 v54, v54
	v_max_f32_e32 v51, v51, v51
	s_and_b64 vcc, exec, s[0:1]
	v_min_f32_e32 v51, v51, v54
	v_cvt_f16_f32_e32 v51, v51
	v_lshl_add_u64 v[54:55], v[34:35], 1, v[48:49]
	global_store_short v[54:55], v51, off
	s_cbranch_vccnz .LBB258_72
; %bb.71:
	v_lshl_add_u64 v[50:51], v[36:37], 1, v[46:47]
	global_load_ushort v50, v[50:51], off
	s_waitcnt vmcnt(0)
	v_mul_f16_e32 v50, v52, v50
	v_cvt_f32_f16_e32 v50, v50
.LBB258_72:
	v_pk_add_f16 v51, v4, v20
	v_max_f16_e32 v54, v110, v110
	v_pk_add_f16 v71, v5, v21
	v_min_f16_e32 v54, v54, v51
	v_lshrrev_b32_e32 v55, 16, v110
	v_lshrrev_b32_e32 v51, 16, v51
	v_lshrrev_b32_e32 v76, 16, v71
	v_min3_f16 v51, v55, v51, v76
	v_min3_f16 v51, v54, v71, v51
	v_cvt_f32_f16_e32 v51, v51
	v_max_f32_e32 v50, v50, v50
	s_and_b64 vcc, exec, s[0:1]
	v_min_f32_e32 v50, v50, v51
	v_cvt_f16_f32_e32 v54, v50
	v_lshl_add_u64 v[50:51], v[36:37], 1, v[48:49]
	global_store_short v[50:51], v54, off
	v_mov_b32_e32 v50, 0
	v_mov_b32_e32 v51, 0
	s_cbranch_vccnz .LBB258_74
; %bb.73:
	v_lshl_add_u64 v[54:55], v[40:41], 1, v[46:47]
	global_load_ushort v51, v[54:55], off
	s_waitcnt vmcnt(0)
	v_mul_f16_e32 v51, v52, v51
	v_cvt_f32_f16_e32 v51, v51
.LBB258_74:
	v_pk_add_f16 v54, v6, v20
	v_max_f16_e32 v55, v109, v109
	v_pk_add_f16 v76, v7, v21
	v_min_f16_e32 v55, v55, v54
	v_lshrrev_b32_e32 v71, 16, v109
	v_lshrrev_b32_e32 v54, 16, v54
	v_lshrrev_b32_e32 v109, 16, v76
	v_min3_f16 v54, v71, v54, v109
	v_min3_f16 v54, v55, v76, v54
	v_cvt_f32_f16_e32 v54, v54
	v_max_f32_e32 v51, v51, v51
	s_and_b64 vcc, exec, s[0:1]
	v_min_f32_e32 v51, v51, v54
	v_cvt_f16_f32_e32 v51, v51
	v_lshl_add_u64 v[54:55], v[40:41], 1, v[48:49]
	;; [unrolled: 50-line block ×3, first 2 shown]
	global_store_short v[54:55], v51, off
	s_cbranch_vccnz .LBB258_80
; %bb.79:
	v_lshl_add_u64 v[46:47], v[44:45], 1, v[46:47]
	global_load_ushort v46, v[46:47], off
	s_waitcnt vmcnt(0)
	v_mul_f16_e32 v46, v52, v46
	v_cvt_f32_f16_e32 v50, v46
.LBB258_80:
	v_pk_add_f16 v20, v24, v20
	v_max_f16_e32 v46, v106, v106
	v_pk_add_f16 v21, v25, v21
	v_min_f16_e32 v46, v46, v20
	v_lshrrev_b32_e32 v47, 16, v106
	v_lshrrev_b32_e32 v20, 16, v20
	;; [unrolled: 1-line block ×3, first 2 shown]
	v_min3_f16 v20, v47, v20, v51
	v_min3_f16 v20, v46, v21, v20
	v_cvt_f32_f16_e32 v20, v20
	v_max_f32_e32 v21, v50, v50
	s_and_b64 vcc, exec, s[0:1]
	v_mov_b32_e32 v47, 0
	v_min_f32_e32 v20, v21, v20
	v_cvt_f16_f32_e32 v46, v20
	v_lshl_add_u64 v[20:21], v[44:45], 1, v[48:49]
	v_mov_b32_e32 v48, 0
	global_store_short v[20:21], v46, off
	v_add_u32_e32 v46, 16, v53
	v_mad_i64_i32 v[20:21], s[4:5], v46, s6, 0
	v_lshl_add_u64 v[20:21], v[20:21], 1, s[10:11]
	s_cbranch_vccnz .LBB258_82
; %bb.81:
	v_lshl_add_u64 v[50:51], v[28:29], 1, v[20:21]
	global_load_ushort v47, v[50:51], off
	s_waitcnt vmcnt(0)
	v_mul_f16_e32 v47, v52, v47
	v_cvt_f32_f16_e32 v47, v47
.LBB258_82:
	v_pk_add_f16 v49, v30, v22
	v_max_f16_e32 v50, v105, v105
	v_pk_add_f16 v54, v31, v23
	v_min_f16_e32 v50, v50, v49
	v_lshrrev_b32_e32 v51, 16, v105
	v_lshrrev_b32_e32 v49, 16, v49
	;; [unrolled: 1-line block ×3, first 2 shown]
	v_min3_f16 v49, v51, v49, v55
	v_min3_f16 v49, v50, v54, v49
	v_cvt_f32_f16_e32 v49, v49
	v_mad_i64_i32 v[50:51], s[4:5], v46, s7, 0
	v_max_f32_e32 v46, v47, v47
	v_min_f32_e32 v46, v46, v49
	v_cvt_f16_f32_e32 v49, v46
	v_lshl_add_u64 v[46:47], v[50:51], 1, s[2:3]
	v_lshl_add_u64 v[50:51], v[28:29], 1, v[46:47]
	s_and_b64 vcc, exec, s[0:1]
	global_store_short v[50:51], v49, off
	s_cbranch_vccnz .LBB258_84
; %bb.83:
	v_lshl_add_u64 v[48:49], v[32:33], 1, v[20:21]
	global_load_ushort v48, v[48:49], off
	s_waitcnt vmcnt(0)
	v_mul_f16_e32 v48, v52, v48
	v_cvt_f32_f16_e32 v48, v48
.LBB258_84:
	v_pk_add_f16 v49, v8, v22
	v_max_f16_e32 v50, v103, v103
	v_pk_add_f16 v54, v9, v23
	v_min_f16_e32 v50, v50, v49
	v_lshrrev_b32_e32 v51, 16, v103
	v_lshrrev_b32_e32 v49, 16, v49
	v_lshrrev_b32_e32 v55, 16, v54
	v_min3_f16 v49, v51, v49, v55
	v_min3_f16 v49, v50, v54, v49
	v_cvt_f32_f16_e32 v49, v49
	v_max_f32_e32 v48, v48, v48
	s_and_b64 vcc, exec, s[0:1]
	v_min_f32_e32 v48, v48, v49
	v_cvt_f16_f32_e32 v50, v48
	v_lshl_add_u64 v[48:49], v[32:33], 1, v[46:47]
	global_store_short v[48:49], v50, off
	v_mov_b32_e32 v48, 0
	v_mov_b32_e32 v49, 0
	s_cbranch_vccnz .LBB258_86
; %bb.85:
	v_lshl_add_u64 v[50:51], v[34:35], 1, v[20:21]
	global_load_ushort v49, v[50:51], off
	s_waitcnt vmcnt(0)
	v_mul_f16_e32 v49, v52, v49
	v_cvt_f32_f16_e32 v49, v49
.LBB258_86:
	v_pk_add_f16 v50, v10, v22
	v_max_f16_e32 v51, v101, v101
	v_pk_add_f16 v55, v11, v23
	v_min_f16_e32 v51, v51, v50
	v_lshrrev_b32_e32 v54, 16, v101
	v_lshrrev_b32_e32 v50, 16, v50
	v_lshrrev_b32_e32 v71, 16, v55
	v_min3_f16 v50, v54, v50, v71
	v_min3_f16 v50, v51, v55, v50
	v_cvt_f32_f16_e32 v50, v50
	v_max_f32_e32 v49, v49, v49
	s_and_b64 vcc, exec, s[0:1]
	v_min_f32_e32 v49, v49, v50
	v_cvt_f16_f32_e32 v49, v49
	v_lshl_add_u64 v[50:51], v[34:35], 1, v[46:47]
	global_store_short v[50:51], v49, off
	s_cbranch_vccnz .LBB258_88
; %bb.87:
	v_lshl_add_u64 v[48:49], v[36:37], 1, v[20:21]
	global_load_ushort v48, v[48:49], off
	s_waitcnt vmcnt(0)
	v_mul_f16_e32 v48, v52, v48
	v_cvt_f32_f16_e32 v48, v48
.LBB258_88:
	v_pk_add_f16 v49, v4, v22
	v_max_f16_e32 v50, v99, v99
	v_pk_add_f16 v54, v5, v23
	v_min_f16_e32 v50, v50, v49
	v_lshrrev_b32_e32 v51, 16, v99
	v_lshrrev_b32_e32 v49, 16, v49
	v_lshrrev_b32_e32 v55, 16, v54
	v_min3_f16 v49, v51, v49, v55
	v_min3_f16 v49, v50, v54, v49
	v_cvt_f32_f16_e32 v49, v49
	v_max_f32_e32 v48, v48, v48
	s_and_b64 vcc, exec, s[0:1]
	v_min_f32_e32 v48, v48, v49
	v_cvt_f16_f32_e32 v50, v48
	v_lshl_add_u64 v[48:49], v[36:37], 1, v[46:47]
	global_store_short v[48:49], v50, off
	v_mov_b32_e32 v48, 0
	v_mov_b32_e32 v49, 0
	s_cbranch_vccnz .LBB258_90
; %bb.89:
	v_lshl_add_u64 v[50:51], v[40:41], 1, v[20:21]
	global_load_ushort v49, v[50:51], off
	s_waitcnt vmcnt(0)
	v_mul_f16_e32 v49, v52, v49
	v_cvt_f32_f16_e32 v49, v49
.LBB258_90:
	v_pk_add_f16 v50, v6, v22
	v_max_f16_e32 v51, v97, v97
	v_pk_add_f16 v55, v7, v23
	v_min_f16_e32 v51, v51, v50
	v_lshrrev_b32_e32 v54, 16, v97
	v_lshrrev_b32_e32 v50, 16, v50
	v_lshrrev_b32_e32 v71, 16, v55
	v_min3_f16 v50, v54, v50, v71
	v_min3_f16 v50, v51, v55, v50
	v_cvt_f32_f16_e32 v50, v50
	v_max_f32_e32 v49, v49, v49
	s_and_b64 vcc, exec, s[0:1]
	v_min_f32_e32 v49, v49, v50
	v_cvt_f16_f32_e32 v49, v49
	v_lshl_add_u64 v[50:51], v[40:41], 1, v[46:47]
	;; [unrolled: 50-line block ×3, first 2 shown]
	global_store_short v[50:51], v49, off
	s_cbranch_vccnz .LBB258_96
; %bb.95:
	v_lshl_add_u64 v[20:21], v[44:45], 1, v[20:21]
	global_load_ushort v20, v[20:21], off
	s_waitcnt vmcnt(0)
	v_mul_f16_e32 v20, v52, v20
	v_cvt_f32_f16_e32 v48, v20
.LBB258_96:
	v_pk_add_f16 v20, v24, v22
	v_max_f16_e32 v21, v92, v92
	v_pk_add_f16 v23, v25, v23
	v_min_f16_e32 v21, v21, v20
	v_lshrrev_b32_e32 v22, 16, v92
	v_lshrrev_b32_e32 v20, 16, v20
	;; [unrolled: 1-line block ×3, first 2 shown]
	v_min3_f16 v20, v22, v20, v49
	v_min3_f16 v20, v21, v23, v20
	v_cvt_f32_f16_e32 v20, v20
	v_max_f32_e32 v21, v48, v48
	s_and_b64 vcc, exec, s[0:1]
	v_mov_b32_e32 v23, 0
	v_min_f32_e32 v20, v21, v20
	v_cvt_f16_f32_e32 v22, v20
	v_lshl_add_u64 v[20:21], v[44:45], 1, v[46:47]
	v_mov_b32_e32 v46, 0
	global_store_short v[20:21], v22, off
	v_add_u32_e32 v22, 24, v53
	v_mad_i64_i32 v[20:21], s[4:5], v22, s6, 0
	v_lshl_add_u64 v[20:21], v[20:21], 1, s[10:11]
	s_cbranch_vccnz .LBB258_98
; %bb.97:
	v_lshl_add_u64 v[48:49], v[28:29], 1, v[20:21]
	global_load_ushort v23, v[48:49], off
	s_waitcnt vmcnt(0)
	v_mul_f16_e32 v23, v52, v23
	v_cvt_f32_f16_e32 v23, v23
.LBB258_98:
	v_pk_add_f16 v47, v30, v16
	v_max_f16_e32 v48, v90, v90
	v_pk_add_f16 v50, v31, v17
	v_min_f16_e32 v48, v48, v47
	v_lshrrev_b32_e32 v49, 16, v90
	v_lshrrev_b32_e32 v47, 16, v47
	;; [unrolled: 1-line block ×3, first 2 shown]
	v_min3_f16 v47, v49, v47, v51
	v_min3_f16 v47, v48, v50, v47
	v_cvt_f32_f16_e32 v47, v47
	v_mad_i64_i32 v[48:49], s[4:5], v22, s7, 0
	v_max_f32_e32 v22, v23, v23
	v_min_f32_e32 v22, v22, v47
	v_cvt_f16_f32_e32 v47, v22
	v_lshl_add_u64 v[22:23], v[48:49], 1, s[2:3]
	v_lshl_add_u64 v[48:49], v[28:29], 1, v[22:23]
	s_and_b64 vcc, exec, s[0:1]
	global_store_short v[48:49], v47, off
	s_cbranch_vccnz .LBB258_100
; %bb.99:
	v_lshl_add_u64 v[46:47], v[32:33], 1, v[20:21]
	global_load_ushort v46, v[46:47], off
	s_waitcnt vmcnt(0)
	v_mul_f16_e32 v46, v52, v46
	v_cvt_f32_f16_e32 v46, v46
.LBB258_100:
	v_pk_add_f16 v47, v8, v16
	v_max_f16_e32 v48, v87, v87
	v_pk_add_f16 v50, v9, v17
	v_min_f16_e32 v48, v48, v47
	v_lshrrev_b32_e32 v49, 16, v87
	v_lshrrev_b32_e32 v47, 16, v47
	v_lshrrev_b32_e32 v51, 16, v50
	v_min3_f16 v47, v49, v47, v51
	v_min3_f16 v47, v48, v50, v47
	v_cvt_f32_f16_e32 v47, v47
	v_max_f32_e32 v46, v46, v46
	s_and_b64 vcc, exec, s[0:1]
	v_min_f32_e32 v46, v46, v47
	v_cvt_f16_f32_e32 v48, v46
	v_lshl_add_u64 v[46:47], v[32:33], 1, v[22:23]
	global_store_short v[46:47], v48, off
	v_mov_b32_e32 v46, 0
	v_mov_b32_e32 v47, 0
	s_cbranch_vccnz .LBB258_102
; %bb.101:
	v_lshl_add_u64 v[48:49], v[34:35], 1, v[20:21]
	global_load_ushort v47, v[48:49], off
	s_waitcnt vmcnt(0)
	v_mul_f16_e32 v47, v52, v47
	v_cvt_f32_f16_e32 v47, v47
.LBB258_102:
	v_pk_add_f16 v48, v10, v16
	v_max_f16_e32 v49, v85, v85
	v_pk_add_f16 v51, v11, v17
	v_min_f16_e32 v49, v49, v48
	v_lshrrev_b32_e32 v50, 16, v85
	v_lshrrev_b32_e32 v48, 16, v48
	v_lshrrev_b32_e32 v54, 16, v51
	v_min3_f16 v48, v50, v48, v54
	v_min3_f16 v48, v49, v51, v48
	v_cvt_f32_f16_e32 v48, v48
	v_max_f32_e32 v47, v47, v47
	s_and_b64 vcc, exec, s[0:1]
	v_min_f32_e32 v47, v47, v48
	v_cvt_f16_f32_e32 v47, v47
	v_lshl_add_u64 v[48:49], v[34:35], 1, v[22:23]
	global_store_short v[48:49], v47, off
	s_cbranch_vccnz .LBB258_104
; %bb.103:
	v_lshl_add_u64 v[46:47], v[36:37], 1, v[20:21]
	global_load_ushort v46, v[46:47], off
	s_waitcnt vmcnt(0)
	v_mul_f16_e32 v46, v52, v46
	v_cvt_f32_f16_e32 v46, v46
.LBB258_104:
	v_pk_add_f16 v47, v4, v16
	v_max_f16_e32 v48, v84, v84
	v_pk_add_f16 v50, v5, v17
	v_min_f16_e32 v48, v48, v47
	v_lshrrev_b32_e32 v49, 16, v84
	v_lshrrev_b32_e32 v47, 16, v47
	v_lshrrev_b32_e32 v51, 16, v50
	v_min3_f16 v47, v49, v47, v51
	v_min3_f16 v47, v48, v50, v47
	v_cvt_f32_f16_e32 v47, v47
	v_max_f32_e32 v46, v46, v46
	s_and_b64 vcc, exec, s[0:1]
	v_min_f32_e32 v46, v46, v47
	v_cvt_f16_f32_e32 v48, v46
	v_lshl_add_u64 v[46:47], v[36:37], 1, v[22:23]
	global_store_short v[46:47], v48, off
	v_mov_b32_e32 v46, 0
	v_mov_b32_e32 v47, 0
	s_cbranch_vccnz .LBB258_106
; %bb.105:
	v_lshl_add_u64 v[48:49], v[40:41], 1, v[20:21]
	global_load_ushort v47, v[48:49], off
	s_waitcnt vmcnt(0)
	v_mul_f16_e32 v47, v52, v47
	v_cvt_f32_f16_e32 v47, v47
.LBB258_106:
	v_pk_add_f16 v48, v6, v16
	v_max_f16_e32 v49, v82, v82
	v_pk_add_f16 v51, v7, v17
	v_min_f16_e32 v49, v49, v48
	v_lshrrev_b32_e32 v50, 16, v82
	v_lshrrev_b32_e32 v48, 16, v48
	v_lshrrev_b32_e32 v54, 16, v51
	v_min3_f16 v48, v50, v48, v54
	v_min3_f16 v48, v49, v51, v48
	v_cvt_f32_f16_e32 v48, v48
	v_max_f32_e32 v47, v47, v47
	s_and_b64 vcc, exec, s[0:1]
	v_min_f32_e32 v47, v47, v48
	v_cvt_f16_f32_e32 v47, v47
	v_lshl_add_u64 v[48:49], v[40:41], 1, v[22:23]
	;; [unrolled: 50-line block ×3, first 2 shown]
	global_store_short v[48:49], v47, off
	s_cbranch_vccnz .LBB258_112
; %bb.111:
	v_lshl_add_u64 v[20:21], v[44:45], 1, v[20:21]
	global_load_ushort v20, v[20:21], off
	s_waitcnt vmcnt(0)
	v_mul_f16_e32 v20, v52, v20
	v_cvt_f32_f16_e32 v46, v20
.LBB258_112:
	v_pk_add_f16 v16, v24, v16
	v_max_f16_e32 v20, v75, v75
	v_pk_add_f16 v17, v25, v17
	v_min_f16_e32 v20, v20, v16
	v_lshrrev_b32_e32 v21, 16, v75
	v_lshrrev_b32_e32 v16, 16, v16
	;; [unrolled: 1-line block ×3, first 2 shown]
	v_min3_f16 v16, v21, v16, v47
	v_min3_f16 v16, v20, v17, v16
	v_cvt_f32_f16_e32 v16, v16
	v_max_f32_e32 v17, v46, v46
	s_and_b64 vcc, exec, s[0:1]
	v_mov_b32_e32 v21, 0
	v_min_f32_e32 v16, v17, v16
	v_cvt_f16_f32_e32 v20, v16
	v_lshl_add_u64 v[16:17], v[44:45], 1, v[22:23]
	v_mov_b32_e32 v22, 0
	global_store_short v[16:17], v20, off
	v_add_u32_e32 v20, 32, v53
	v_mad_i64_i32 v[16:17], s[4:5], v20, s6, 0
	v_lshl_add_u64 v[16:17], v[16:17], 1, s[10:11]
	s_cbranch_vccnz .LBB258_114
; %bb.113:
	v_lshl_add_u64 v[46:47], v[28:29], 1, v[16:17]
	global_load_ushort v21, v[46:47], off
	s_waitcnt vmcnt(0)
	v_mul_f16_e32 v21, v52, v21
	v_cvt_f32_f16_e32 v21, v21
.LBB258_114:
	v_pk_add_f16 v23, v30, v18
	v_max_f16_e32 v46, v77, v77
	v_pk_add_f16 v48, v31, v19
	v_min_f16_e32 v46, v46, v23
	v_lshrrev_b32_e32 v47, 16, v77
	v_lshrrev_b32_e32 v23, 16, v23
	;; [unrolled: 1-line block ×3, first 2 shown]
	v_min3_f16 v23, v47, v23, v49
	v_min3_f16 v23, v46, v48, v23
	v_cvt_f32_f16_e32 v23, v23
	v_mad_i64_i32 v[46:47], s[4:5], v20, s7, 0
	v_max_f32_e32 v20, v21, v21
	v_min_f32_e32 v20, v20, v23
	v_cvt_f16_f32_e32 v23, v20
	v_lshl_add_u64 v[20:21], v[46:47], 1, s[2:3]
	v_lshl_add_u64 v[46:47], v[28:29], 1, v[20:21]
	s_and_b64 vcc, exec, s[0:1]
	global_store_short v[46:47], v23, off
	s_cbranch_vccnz .LBB258_116
; %bb.115:
	v_lshl_add_u64 v[22:23], v[32:33], 1, v[16:17]
	global_load_ushort v22, v[22:23], off
	s_waitcnt vmcnt(0)
	v_mul_f16_e32 v22, v52, v22
	v_cvt_f32_f16_e32 v22, v22
.LBB258_116:
	v_pk_add_f16 v23, v8, v18
	v_max_f16_e32 v46, v73, v73
	v_pk_add_f16 v48, v9, v19
	v_min_f16_e32 v46, v46, v23
	v_lshrrev_b32_e32 v47, 16, v73
	v_lshrrev_b32_e32 v23, 16, v23
	v_lshrrev_b32_e32 v49, 16, v48
	v_min3_f16 v23, v47, v23, v49
	v_min3_f16 v23, v46, v48, v23
	v_cvt_f32_f16_e32 v23, v23
	v_max_f32_e32 v22, v22, v22
	s_and_b64 vcc, exec, s[0:1]
	v_min_f32_e32 v22, v22, v23
	v_cvt_f16_f32_e32 v46, v22
	v_lshl_add_u64 v[22:23], v[32:33], 1, v[20:21]
	global_store_short v[22:23], v46, off
	v_mov_b32_e32 v22, 0
	v_mov_b32_e32 v23, 0
	s_cbranch_vccnz .LBB258_118
; %bb.117:
	v_lshl_add_u64 v[46:47], v[34:35], 1, v[16:17]
	global_load_ushort v23, v[46:47], off
	s_waitcnt vmcnt(0)
	v_mul_f16_e32 v23, v52, v23
	v_cvt_f32_f16_e32 v23, v23
.LBB258_118:
	v_pk_add_f16 v46, v10, v18
	v_max_f16_e32 v47, v70, v70
	v_pk_add_f16 v49, v11, v19
	v_min_f16_e32 v47, v47, v46
	v_lshrrev_b32_e32 v48, 16, v70
	v_lshrrev_b32_e32 v46, 16, v46
	v_lshrrev_b32_e32 v50, 16, v49
	v_min3_f16 v46, v48, v46, v50
	v_min3_f16 v46, v47, v49, v46
	v_cvt_f32_f16_e32 v46, v46
	v_max_f32_e32 v23, v23, v23
	s_and_b64 vcc, exec, s[0:1]
	v_min_f32_e32 v23, v23, v46
	v_cvt_f16_f32_e32 v23, v23
	v_lshl_add_u64 v[46:47], v[34:35], 1, v[20:21]
	global_store_short v[46:47], v23, off
	s_cbranch_vccnz .LBB258_120
; %bb.119:
	v_lshl_add_u64 v[22:23], v[36:37], 1, v[16:17]
	global_load_ushort v22, v[22:23], off
	s_waitcnt vmcnt(0)
	v_mul_f16_e32 v22, v52, v22
	v_cvt_f32_f16_e32 v22, v22
.LBB258_120:
	v_pk_add_f16 v23, v4, v18
	v_max_f16_e32 v46, v68, v68
	v_pk_add_f16 v48, v5, v19
	v_min_f16_e32 v46, v46, v23
	v_lshrrev_b32_e32 v47, 16, v68
	v_lshrrev_b32_e32 v23, 16, v23
	v_lshrrev_b32_e32 v49, 16, v48
	v_min3_f16 v23, v47, v23, v49
	v_min3_f16 v23, v46, v48, v23
	v_cvt_f32_f16_e32 v23, v23
	v_max_f32_e32 v22, v22, v22
	s_and_b64 vcc, exec, s[0:1]
	v_min_f32_e32 v22, v22, v23
	v_cvt_f16_f32_e32 v46, v22
	v_lshl_add_u64 v[22:23], v[36:37], 1, v[20:21]
	global_store_short v[22:23], v46, off
	v_mov_b32_e32 v22, 0
	v_mov_b32_e32 v23, 0
	s_cbranch_vccnz .LBB258_122
; %bb.121:
	v_lshl_add_u64 v[46:47], v[40:41], 1, v[16:17]
	global_load_ushort v23, v[46:47], off
	s_waitcnt vmcnt(0)
	v_mul_f16_e32 v23, v52, v23
	v_cvt_f32_f16_e32 v23, v23
.LBB258_122:
	v_pk_add_f16 v46, v6, v18
	v_max_f16_e32 v47, v66, v66
	v_pk_add_f16 v49, v7, v19
	v_min_f16_e32 v47, v47, v46
	v_lshrrev_b32_e32 v48, 16, v66
	v_lshrrev_b32_e32 v46, 16, v46
	v_lshrrev_b32_e32 v50, 16, v49
	v_min3_f16 v46, v48, v46, v50
	v_min3_f16 v46, v47, v49, v46
	v_cvt_f32_f16_e32 v46, v46
	v_max_f32_e32 v23, v23, v23
	s_and_b64 vcc, exec, s[0:1]
	v_min_f32_e32 v23, v23, v46
	v_cvt_f16_f32_e32 v23, v23
	v_lshl_add_u64 v[46:47], v[40:41], 1, v[20:21]
	;; [unrolled: 50-line block ×3, first 2 shown]
	global_store_short v[46:47], v23, off
	s_cbranch_vccnz .LBB258_128
; %bb.127:
	v_lshl_add_u64 v[16:17], v[44:45], 1, v[16:17]
	global_load_ushort v16, v[16:17], off
	s_waitcnt vmcnt(0)
	v_mul_f16_e32 v16, v52, v16
	v_cvt_f32_f16_e32 v22, v16
.LBB258_128:
	v_pk_add_f16 v16, v24, v18
	v_max_f16_e32 v17, v100, v100
	v_pk_add_f16 v19, v25, v19
	v_min_f16_e32 v17, v17, v16
	v_lshrrev_b32_e32 v18, 16, v100
	v_lshrrev_b32_e32 v16, 16, v16
	;; [unrolled: 1-line block ×3, first 2 shown]
	v_min3_f16 v16, v18, v16, v23
	v_min3_f16 v16, v17, v19, v16
	v_cvt_f32_f16_e32 v16, v16
	v_max_f32_e32 v17, v22, v22
	s_and_b64 vcc, exec, s[0:1]
	v_mov_b32_e32 v19, 0
	v_min_f32_e32 v16, v17, v16
	v_cvt_f16_f32_e32 v18, v16
	v_lshl_add_u64 v[16:17], v[44:45], 1, v[20:21]
	v_mov_b32_e32 v20, 0
	global_store_short v[16:17], v18, off
	v_add_u32_e32 v18, 40, v53
	v_mad_i64_i32 v[16:17], s[4:5], v18, s6, 0
	v_lshl_add_u64 v[16:17], v[16:17], 1, s[10:11]
	s_cbranch_vccnz .LBB258_130
; %bb.129:
	v_lshl_add_u64 v[22:23], v[28:29], 1, v[16:17]
	global_load_ushort v19, v[22:23], off
	s_waitcnt vmcnt(0)
	v_mul_f16_e32 v19, v52, v19
	v_cvt_f32_f16_e32 v19, v19
.LBB258_130:
	v_pk_add_f16 v21, v30, v12
	v_max_f16_e32 v22, v98, v98
	v_pk_add_f16 v46, v31, v13
	v_min_f16_e32 v22, v22, v21
	v_lshrrev_b32_e32 v23, 16, v98
	v_lshrrev_b32_e32 v21, 16, v21
	;; [unrolled: 1-line block ×3, first 2 shown]
	v_min3_f16 v21, v23, v21, v47
	v_min3_f16 v21, v22, v46, v21
	v_cvt_f32_f16_e32 v21, v21
	v_mad_i64_i32 v[22:23], s[4:5], v18, s7, 0
	v_max_f32_e32 v18, v19, v19
	v_min_f32_e32 v18, v18, v21
	v_cvt_f16_f32_e32 v21, v18
	v_lshl_add_u64 v[18:19], v[22:23], 1, s[2:3]
	v_lshl_add_u64 v[22:23], v[28:29], 1, v[18:19]
	s_and_b64 vcc, exec, s[0:1]
	global_store_short v[22:23], v21, off
	s_cbranch_vccnz .LBB258_132
; %bb.131:
	v_lshl_add_u64 v[20:21], v[32:33], 1, v[16:17]
	global_load_ushort v20, v[20:21], off
	s_waitcnt vmcnt(0)
	v_mul_f16_e32 v20, v52, v20
	v_cvt_f32_f16_e32 v20, v20
.LBB258_132:
	v_pk_add_f16 v21, v8, v12
	v_max_f16_e32 v22, v95, v95
	v_pk_add_f16 v46, v9, v13
	v_min_f16_e32 v22, v22, v21
	v_lshrrev_b32_e32 v23, 16, v95
	v_lshrrev_b32_e32 v21, 16, v21
	v_lshrrev_b32_e32 v47, 16, v46
	v_min3_f16 v21, v23, v21, v47
	v_min3_f16 v21, v22, v46, v21
	v_cvt_f32_f16_e32 v21, v21
	v_max_f32_e32 v20, v20, v20
	s_and_b64 vcc, exec, s[0:1]
	v_min_f32_e32 v20, v20, v21
	v_cvt_f16_f32_e32 v22, v20
	v_lshl_add_u64 v[20:21], v[32:33], 1, v[18:19]
	global_store_short v[20:21], v22, off
	v_mov_b32_e32 v20, 0
	v_mov_b32_e32 v21, 0
	s_cbranch_vccnz .LBB258_134
; %bb.133:
	v_lshl_add_u64 v[22:23], v[34:35], 1, v[16:17]
	global_load_ushort v21, v[22:23], off
	s_waitcnt vmcnt(0)
	v_mul_f16_e32 v21, v52, v21
	v_cvt_f32_f16_e32 v21, v21
.LBB258_134:
	v_pk_add_f16 v22, v10, v12
	v_max_f16_e32 v23, v93, v93
	v_pk_add_f16 v47, v11, v13
	v_min_f16_e32 v23, v23, v22
	v_lshrrev_b32_e32 v46, 16, v93
	v_lshrrev_b32_e32 v22, 16, v22
	v_lshrrev_b32_e32 v48, 16, v47
	v_min3_f16 v22, v46, v22, v48
	v_min3_f16 v22, v23, v47, v22
	v_cvt_f32_f16_e32 v22, v22
	v_max_f32_e32 v21, v21, v21
	s_and_b64 vcc, exec, s[0:1]
	v_min_f32_e32 v21, v21, v22
	v_cvt_f16_f32_e32 v21, v21
	v_lshl_add_u64 v[22:23], v[34:35], 1, v[18:19]
	global_store_short v[22:23], v21, off
	s_cbranch_vccnz .LBB258_136
; %bb.135:
	v_lshl_add_u64 v[20:21], v[36:37], 1, v[16:17]
	global_load_ushort v20, v[20:21], off
	s_waitcnt vmcnt(0)
	v_mul_f16_e32 v20, v52, v20
	v_cvt_f32_f16_e32 v20, v20
.LBB258_136:
	v_pk_add_f16 v21, v4, v12
	v_max_f16_e32 v22, v91, v91
	v_pk_add_f16 v46, v5, v13
	v_min_f16_e32 v22, v22, v21
	v_lshrrev_b32_e32 v23, 16, v91
	v_lshrrev_b32_e32 v21, 16, v21
	v_lshrrev_b32_e32 v47, 16, v46
	v_min3_f16 v21, v23, v21, v47
	v_min3_f16 v21, v22, v46, v21
	v_cvt_f32_f16_e32 v21, v21
	v_max_f32_e32 v20, v20, v20
	s_and_b64 vcc, exec, s[0:1]
	v_min_f32_e32 v20, v20, v21
	v_cvt_f16_f32_e32 v22, v20
	v_lshl_add_u64 v[20:21], v[36:37], 1, v[18:19]
	global_store_short v[20:21], v22, off
	v_mov_b32_e32 v20, 0
	v_mov_b32_e32 v21, 0
	s_cbranch_vccnz .LBB258_138
; %bb.137:
	v_lshl_add_u64 v[22:23], v[40:41], 1, v[16:17]
	global_load_ushort v21, v[22:23], off
	s_waitcnt vmcnt(0)
	v_mul_f16_e32 v21, v52, v21
	v_cvt_f32_f16_e32 v21, v21
.LBB258_138:
	v_pk_add_f16 v22, v6, v12
	v_max_f16_e32 v23, v89, v89
	v_pk_add_f16 v47, v7, v13
	v_min_f16_e32 v23, v23, v22
	v_lshrrev_b32_e32 v46, 16, v89
	v_lshrrev_b32_e32 v22, 16, v22
	v_lshrrev_b32_e32 v48, 16, v47
	v_min3_f16 v22, v46, v22, v48
	v_min3_f16 v22, v23, v47, v22
	v_cvt_f32_f16_e32 v22, v22
	v_max_f32_e32 v21, v21, v21
	s_and_b64 vcc, exec, s[0:1]
	v_min_f32_e32 v21, v21, v22
	v_cvt_f16_f32_e32 v21, v21
	v_lshl_add_u64 v[22:23], v[40:41], 1, v[18:19]
	;; [unrolled: 50-line block ×3, first 2 shown]
	global_store_short v[22:23], v21, off
	s_cbranch_vccnz .LBB258_144
; %bb.143:
	v_lshl_add_u64 v[16:17], v[44:45], 1, v[16:17]
	global_load_ushort v16, v[16:17], off
	s_waitcnt vmcnt(0)
	v_mul_f16_e32 v16, v52, v16
	v_cvt_f32_f16_e32 v20, v16
.LBB258_144:
	v_pk_add_f16 v12, v24, v12
	v_max_f16_e32 v16, v83, v83
	v_pk_add_f16 v13, v25, v13
	v_min_f16_e32 v16, v16, v12
	v_lshrrev_b32_e32 v17, 16, v83
	v_lshrrev_b32_e32 v12, 16, v12
	;; [unrolled: 1-line block ×3, first 2 shown]
	v_min3_f16 v12, v17, v12, v21
	v_min3_f16 v12, v16, v13, v12
	v_cvt_f32_f16_e32 v12, v12
	v_max_f32_e32 v13, v20, v20
	s_and_b64 vcc, exec, s[0:1]
	v_mov_b32_e32 v17, 0
	v_min_f32_e32 v12, v13, v12
	v_cvt_f16_f32_e32 v16, v12
	v_lshl_add_u64 v[12:13], v[44:45], 1, v[18:19]
	v_mov_b32_e32 v18, 0
	global_store_short v[12:13], v16, off
	v_add_u32_e32 v16, 48, v53
	v_mad_i64_i32 v[12:13], s[4:5], v16, s6, 0
	v_lshl_add_u64 v[12:13], v[12:13], 1, s[10:11]
	s_cbranch_vccnz .LBB258_146
; %bb.145:
	v_lshl_add_u64 v[20:21], v[28:29], 1, v[12:13]
	global_load_ushort v17, v[20:21], off
	s_waitcnt vmcnt(0)
	v_mul_f16_e32 v17, v52, v17
	v_cvt_f32_f16_e32 v17, v17
.LBB258_146:
	v_pk_add_f16 v19, v30, v14
	v_max_f16_e32 v20, v81, v81
	v_pk_add_f16 v22, v31, v15
	v_min_f16_e32 v20, v20, v19
	v_lshrrev_b32_e32 v21, 16, v81
	v_lshrrev_b32_e32 v19, 16, v19
	;; [unrolled: 1-line block ×3, first 2 shown]
	v_min3_f16 v19, v21, v19, v23
	v_min3_f16 v19, v20, v22, v19
	v_cvt_f32_f16_e32 v19, v19
	v_mad_i64_i32 v[20:21], s[4:5], v16, s7, 0
	v_max_f32_e32 v16, v17, v17
	v_min_f32_e32 v16, v16, v19
	v_cvt_f16_f32_e32 v19, v16
	v_lshl_add_u64 v[16:17], v[20:21], 1, s[2:3]
	v_lshl_add_u64 v[20:21], v[28:29], 1, v[16:17]
	s_and_b64 vcc, exec, s[0:1]
	global_store_short v[20:21], v19, off
	s_cbranch_vccnz .LBB258_148
; %bb.147:
	v_lshl_add_u64 v[18:19], v[32:33], 1, v[12:13]
	global_load_ushort v18, v[18:19], off
	s_waitcnt vmcnt(0)
	v_mul_f16_e32 v18, v52, v18
	v_cvt_f32_f16_e32 v18, v18
.LBB258_148:
	v_pk_add_f16 v19, v8, v14
	v_max_f16_e32 v20, v78, v78
	v_pk_add_f16 v22, v9, v15
	v_min_f16_e32 v20, v20, v19
	v_lshrrev_b32_e32 v21, 16, v78
	v_lshrrev_b32_e32 v19, 16, v19
	v_lshrrev_b32_e32 v23, 16, v22
	v_min3_f16 v19, v21, v19, v23
	v_min3_f16 v19, v20, v22, v19
	v_cvt_f32_f16_e32 v19, v19
	v_max_f32_e32 v18, v18, v18
	s_and_b64 vcc, exec, s[0:1]
	v_min_f32_e32 v18, v18, v19
	v_cvt_f16_f32_e32 v20, v18
	v_lshl_add_u64 v[18:19], v[32:33], 1, v[16:17]
	global_store_short v[18:19], v20, off
	v_mov_b32_e32 v18, 0
	v_mov_b32_e32 v19, 0
	s_cbranch_vccnz .LBB258_150
; %bb.149:
	v_lshl_add_u64 v[20:21], v[34:35], 1, v[12:13]
	global_load_ushort v19, v[20:21], off
	s_waitcnt vmcnt(0)
	v_mul_f16_e32 v19, v52, v19
	v_cvt_f32_f16_e32 v19, v19
.LBB258_150:
	v_pk_add_f16 v20, v10, v14
	v_max_f16_e32 v21, v74, v74
	v_pk_add_f16 v23, v11, v15
	v_min_f16_e32 v21, v21, v20
	v_lshrrev_b32_e32 v22, 16, v74
	v_lshrrev_b32_e32 v20, 16, v20
	v_lshrrev_b32_e32 v46, 16, v23
	v_min3_f16 v20, v22, v20, v46
	v_min3_f16 v20, v21, v23, v20
	v_cvt_f32_f16_e32 v20, v20
	v_max_f32_e32 v19, v19, v19
	s_and_b64 vcc, exec, s[0:1]
	v_min_f32_e32 v19, v19, v20
	v_cvt_f16_f32_e32 v19, v19
	v_lshl_add_u64 v[20:21], v[34:35], 1, v[16:17]
	global_store_short v[20:21], v19, off
	s_cbranch_vccnz .LBB258_152
; %bb.151:
	v_lshl_add_u64 v[18:19], v[36:37], 1, v[12:13]
	global_load_ushort v18, v[18:19], off
	s_waitcnt vmcnt(0)
	v_mul_f16_e32 v18, v52, v18
	v_cvt_f32_f16_e32 v18, v18
.LBB258_152:
	v_pk_add_f16 v19, v4, v14
	v_max_f16_e32 v20, v72, v72
	v_pk_add_f16 v22, v5, v15
	v_min_f16_e32 v20, v20, v19
	v_lshrrev_b32_e32 v21, 16, v72
	v_lshrrev_b32_e32 v19, 16, v19
	v_lshrrev_b32_e32 v23, 16, v22
	v_min3_f16 v19, v21, v19, v23
	v_min3_f16 v19, v20, v22, v19
	v_cvt_f32_f16_e32 v19, v19
	v_max_f32_e32 v18, v18, v18
	s_and_b64 vcc, exec, s[0:1]
	v_min_f32_e32 v18, v18, v19
	v_cvt_f16_f32_e32 v20, v18
	v_lshl_add_u64 v[18:19], v[36:37], 1, v[16:17]
	global_store_short v[18:19], v20, off
	v_mov_b32_e32 v18, 0
	v_mov_b32_e32 v19, 0
	s_cbranch_vccnz .LBB258_154
; %bb.153:
	v_lshl_add_u64 v[20:21], v[40:41], 1, v[12:13]
	global_load_ushort v19, v[20:21], off
	s_waitcnt vmcnt(0)
	v_mul_f16_e32 v19, v52, v19
	v_cvt_f32_f16_e32 v19, v19
.LBB258_154:
	v_pk_add_f16 v20, v6, v14
	v_max_f16_e32 v21, v69, v69
	v_pk_add_f16 v23, v7, v15
	v_min_f16_e32 v21, v21, v20
	v_lshrrev_b32_e32 v22, 16, v69
	v_lshrrev_b32_e32 v20, 16, v20
	v_lshrrev_b32_e32 v46, 16, v23
	v_min3_f16 v20, v22, v20, v46
	v_min3_f16 v20, v21, v23, v20
	v_cvt_f32_f16_e32 v20, v20
	v_max_f32_e32 v19, v19, v19
	s_and_b64 vcc, exec, s[0:1]
	v_min_f32_e32 v19, v19, v20
	v_cvt_f16_f32_e32 v19, v19
	v_lshl_add_u64 v[20:21], v[40:41], 1, v[16:17]
	;; [unrolled: 50-line block ×3, first 2 shown]
	global_store_short v[20:21], v19, off
	s_cbranch_vccnz .LBB258_160
; %bb.159:
	v_lshl_add_u64 v[12:13], v[44:45], 1, v[12:13]
	global_load_ushort v12, v[12:13], off
	s_waitcnt vmcnt(0)
	v_mul_f16_e32 v12, v52, v12
	v_cvt_f32_f16_e32 v18, v12
.LBB258_160:
	v_pk_add_f16 v12, v24, v14
	v_max_f16_e32 v13, v64, v64
	v_pk_add_f16 v15, v25, v15
	v_min_f16_e32 v13, v13, v12
	v_lshrrev_b32_e32 v14, 16, v64
	v_lshrrev_b32_e32 v12, 16, v12
	v_lshrrev_b32_e32 v19, 16, v15
	v_min3_f16 v12, v14, v12, v19
	v_min3_f16 v12, v13, v15, v12
	v_cvt_f32_f16_e32 v12, v12
	v_max_f32_e32 v13, v18, v18
	s_and_b64 vcc, exec, s[0:1]
	v_mov_b32_e32 v15, 0
	v_min_f32_e32 v12, v13, v12
	v_cvt_f16_f32_e32 v14, v12
	v_lshl_add_u64 v[12:13], v[44:45], 1, v[16:17]
	v_mov_b32_e32 v16, 0
	global_store_short v[12:13], v14, off
	v_add_u32_e32 v14, 56, v53
	v_mad_i64_i32 v[12:13], s[4:5], v14, s6, 0
	v_lshl_add_u64 v[12:13], v[12:13], 1, s[10:11]
	s_cbranch_vccnz .LBB258_162
; %bb.161:
	v_lshl_add_u64 v[18:19], v[28:29], 1, v[12:13]
	global_load_ushort v15, v[18:19], off
	s_waitcnt vmcnt(0)
	v_mul_f16_e32 v15, v52, v15
	v_cvt_f32_f16_e32 v15, v15
.LBB258_162:
	v_pk_add_f16 v17, v30, v26
	v_max_f16_e32 v18, v63, v63
	v_pk_add_f16 v20, v31, v27
	v_min_f16_e32 v18, v18, v17
	v_lshrrev_b32_e32 v19, 16, v63
	v_lshrrev_b32_e32 v17, 16, v17
	;; [unrolled: 1-line block ×3, first 2 shown]
	v_min3_f16 v17, v19, v17, v21
	v_min3_f16 v17, v18, v20, v17
	v_cvt_f32_f16_e32 v17, v17
	v_mad_i64_i32 v[18:19], s[4:5], v14, s7, 0
	v_max_f32_e32 v14, v15, v15
	v_min_f32_e32 v14, v14, v17
	v_cvt_f16_f32_e32 v17, v14
	v_lshl_add_u64 v[14:15], v[18:19], 1, s[2:3]
	v_lshl_add_u64 v[18:19], v[28:29], 1, v[14:15]
	s_and_b64 vcc, exec, s[0:1]
	global_store_short v[18:19], v17, off
	s_cbranch_vccnz .LBB258_164
; %bb.163:
	v_lshl_add_u64 v[16:17], v[32:33], 1, v[12:13]
	global_load_ushort v16, v[16:17], off
	s_waitcnt vmcnt(0)
	v_mul_f16_e32 v16, v52, v16
	v_cvt_f32_f16_e32 v16, v16
.LBB258_164:
	v_pk_add_f16 v8, v8, v26
	v_max_f16_e32 v17, v62, v62
	v_pk_add_f16 v9, v9, v27
	v_min_f16_e32 v17, v17, v8
	v_lshrrev_b32_e32 v18, 16, v62
	v_lshrrev_b32_e32 v8, 16, v8
	;; [unrolled: 1-line block ×3, first 2 shown]
	v_min3_f16 v8, v18, v8, v19
	v_min3_f16 v8, v17, v9, v8
	v_cvt_f32_f16_e32 v8, v8
	v_max_f32_e32 v9, v16, v16
	s_and_b64 vcc, exec, s[0:1]
	v_min_f32_e32 v8, v9, v8
	v_cvt_f16_f32_e32 v16, v8
	v_lshl_add_u64 v[8:9], v[32:33], 1, v[14:15]
	global_store_short v[8:9], v16, off
	v_mov_b32_e32 v8, 0
	v_mov_b32_e32 v9, 0
	s_cbranch_vccnz .LBB258_166
; %bb.165:
	v_lshl_add_u64 v[16:17], v[34:35], 1, v[12:13]
	global_load_ushort v9, v[16:17], off
	s_waitcnt vmcnt(0)
	v_mul_f16_e32 v9, v52, v9
	v_cvt_f32_f16_e32 v9, v9
.LBB258_166:
	v_pk_add_f16 v10, v10, v26
	v_max_f16_e32 v16, v60, v60
	v_pk_add_f16 v11, v11, v27
	v_min_f16_e32 v16, v16, v10
	v_lshrrev_b32_e32 v17, 16, v60
	v_lshrrev_b32_e32 v10, 16, v10
	;; [unrolled: 1-line block ×3, first 2 shown]
	v_min3_f16 v10, v17, v10, v18
	v_min3_f16 v10, v16, v11, v10
	v_cvt_f32_f16_e32 v10, v10
	v_max_f32_e32 v9, v9, v9
	s_and_b64 vcc, exec, s[0:1]
	v_min_f32_e32 v9, v9, v10
	v_cvt_f16_f32_e32 v9, v9
	v_lshl_add_u64 v[10:11], v[34:35], 1, v[14:15]
	global_store_short v[10:11], v9, off
	s_cbranch_vccnz .LBB258_168
; %bb.167:
	v_lshl_add_u64 v[8:9], v[36:37], 1, v[12:13]
	global_load_ushort v8, v[8:9], off
	s_waitcnt vmcnt(0)
	v_mul_f16_e32 v8, v52, v8
	v_cvt_f32_f16_e32 v8, v8
.LBB258_168:
	v_pk_add_f16 v4, v4, v26
	v_max_f16_e32 v9, v59, v59
	v_pk_add_f16 v5, v5, v27
	v_min_f16_e32 v9, v9, v4
	v_lshrrev_b32_e32 v10, 16, v59
	v_lshrrev_b32_e32 v4, 16, v4
	;; [unrolled: 1-line block ×3, first 2 shown]
	v_min3_f16 v4, v10, v4, v11
	v_min3_f16 v4, v9, v5, v4
	v_cvt_f32_f16_e32 v4, v4
	v_max_f32_e32 v5, v8, v8
	s_and_b64 vcc, exec, s[0:1]
	v_min_f32_e32 v4, v5, v4
	v_cvt_f16_f32_e32 v8, v4
	v_lshl_add_u64 v[4:5], v[36:37], 1, v[14:15]
	global_store_short v[4:5], v8, off
	v_mov_b32_e32 v4, 0
	v_mov_b32_e32 v5, 0
	s_cbranch_vccnz .LBB258_170
; %bb.169:
	v_lshl_add_u64 v[8:9], v[40:41], 1, v[12:13]
	global_load_ushort v5, v[8:9], off
	s_waitcnt vmcnt(0)
	v_mul_f16_e32 v5, v52, v5
	v_cvt_f32_f16_e32 v5, v5
.LBB258_170:
	v_pk_add_f16 v6, v6, v26
	v_max_f16_e32 v8, v58, v58
	v_pk_add_f16 v7, v7, v27
	v_min_f16_e32 v8, v8, v6
	v_lshrrev_b32_e32 v9, 16, v58
	v_lshrrev_b32_e32 v6, 16, v6
	;; [unrolled: 1-line block ×3, first 2 shown]
	v_min3_f16 v6, v9, v6, v10
	v_min3_f16 v6, v8, v7, v6
	v_cvt_f32_f16_e32 v6, v6
	v_max_f32_e32 v5, v5, v5
	s_and_b64 vcc, exec, s[0:1]
	v_min_f32_e32 v5, v5, v6
	v_cvt_f16_f32_e32 v5, v5
	v_lshl_add_u64 v[6:7], v[40:41], 1, v[14:15]
	global_store_short v[6:7], v5, off
	s_cbranch_vccnz .LBB258_172
; %bb.171:
	v_lshl_add_u64 v[4:5], v[38:39], 1, v[12:13]
	global_load_ushort v4, v[4:5], off
	s_waitcnt vmcnt(0)
	v_mul_f16_e32 v4, v52, v4
	v_cvt_f32_f16_e32 v4, v4
.LBB258_172:
	v_pk_add_f16 v0, v0, v26
	v_max_f16_e32 v5, v56, v56
	v_pk_add_f16 v1, v1, v27
	v_min_f16_e32 v5, v5, v0
	v_lshrrev_b32_e32 v6, 16, v56
	v_lshrrev_b32_e32 v0, 16, v0
	v_lshrrev_b32_e32 v7, 16, v1
	v_min3_f16 v0, v6, v0, v7
	v_min3_f16 v0, v5, v1, v0
	v_cvt_f32_f16_e32 v0, v0
	v_max_f32_e32 v4, v4, v4
	v_pk_add_f16 v1, v2, v26
	v_max_f16_e32 v2, v57, v57
	v_min_f32_e32 v0, v4, v0
	v_cvt_f16_f32_e32 v4, v0
	v_pk_add_f16 v3, v3, v27
	v_min_f16_e32 v2, v2, v1
	v_lshrrev_b32_e32 v5, 16, v57
	v_lshrrev_b32_e32 v1, 16, v1
	;; [unrolled: 1-line block ×3, first 2 shown]
	v_min3_f16 v5, v5, v1, v0
	v_lshl_add_u64 v[0:1], v[38:39], 1, v[14:15]
	global_store_short v[0:1], v4, off
	v_min3_f16 v0, v2, v3, v5
	s_mov_b64 s[0:1], -1
	s_mov_b64 vcc, s[8:9]
	s_cbranch_vccz .LBB258_174
; %bb.173:
	v_cvt_f32_f16_e32 v1, v0
	v_lshl_add_u64 v[2:3], v[42:43], 1, v[14:15]
	s_mov_b64 s[0:1], 0
	v_min_f32_e32 v1, 0, v1
	v_cvt_f16_f32_e32 v1, v1
	global_store_short v[2:3], v1, off
.LBB258_174:
	s_andn2_b64 vcc, exec, s[0:1]
	v_mov_b32_e32 v1, 0
	s_cbranch_vccnz .LBB258_176
; %bb.175:
	v_lshlrev_b64 v[2:3], 1, v[42:43]
	v_lshl_add_u64 v[4:5], v[12:13], 0, v[2:3]
	global_load_ushort v4, v[4:5], off
	v_max_f16_e32 v5, v0, v0
	v_lshl_add_u64 v[0:1], v[14:15], 0, v[2:3]
	s_waitcnt vmcnt(0)
	v_mul_f16_e32 v2, v52, v4
	v_min_f16_e32 v2, v2, v5
	global_store_short v[0:1], v2, off
	v_lshl_add_u64 v[0:1], v[44:45], 1, v[12:13]
	global_load_ushort v0, v[0:1], off
	s_waitcnt vmcnt(0)
	v_mul_f16_e32 v0, v52, v0
	v_cvt_f32_f16_e32 v1, v0
.LBB258_176:
	v_pk_add_f16 v0, v24, v26
	v_max_f16_e32 v2, v61, v61
	v_pk_add_f16 v3, v25, v27
	v_min_f16_e32 v2, v2, v0
	v_lshrrev_b32_e32 v4, 16, v61
	v_lshrrev_b32_e32 v0, 16, v0
	v_lshrrev_b32_e32 v5, 16, v3
	v_min3_f16 v0, v4, v0, v5
	v_min3_f16 v0, v2, v3, v0
	v_cvt_f32_f16_e32 v0, v0
	v_max_f32_e32 v1, v1, v1
	v_min_f32_e32 v0, v1, v0
	v_cvt_f16_f32_e32 v2, v0
	v_lshl_add_u64 v[0:1], v[44:45], 1, v[14:15]
	global_store_short v[0:1], v2, off
	s_endpgm
	.section	.rodata,"a",@progbits
	.p2align	6, 0x0
	.amdhsa_kernel _ZN12_GLOBAL__N_120geam_min_plus_kernelIDF16_Dv2_DF16_S1_Li32ELi8ELi256ELi64ELi4ELi64ELi4ELi4ELi64ELc78ELc78ELb0ELb0ELb1EPKDF16_S2_DF16_EEviiiT16_PT17_ilS6_ilS4_S6_ilPT18_ili26rocblas_geam_ex_operation_
		.amdhsa_group_segment_fixed_size 5120
		.amdhsa_private_segment_fixed_size 0
		.amdhsa_kernarg_size 136
		.amdhsa_user_sgpr_count 2
		.amdhsa_user_sgpr_dispatch_ptr 0
		.amdhsa_user_sgpr_queue_ptr 0
		.amdhsa_user_sgpr_kernarg_segment_ptr 1
		.amdhsa_user_sgpr_dispatch_id 0
		.amdhsa_user_sgpr_kernarg_preload_length 0
		.amdhsa_user_sgpr_kernarg_preload_offset 0
		.amdhsa_user_sgpr_private_segment_size 0
		.amdhsa_uses_dynamic_stack 0
		.amdhsa_enable_private_segment 0
		.amdhsa_system_sgpr_workgroup_id_x 1
		.amdhsa_system_sgpr_workgroup_id_y 0
		.amdhsa_system_sgpr_workgroup_id_z 1
		.amdhsa_system_sgpr_workgroup_info 0
		.amdhsa_system_vgpr_workitem_id 1
		.amdhsa_next_free_vgpr 141
		.amdhsa_next_free_sgpr 28
		.amdhsa_accum_offset 144
		.amdhsa_reserve_vcc 1
		.amdhsa_float_round_mode_32 0
		.amdhsa_float_round_mode_16_64 0
		.amdhsa_float_denorm_mode_32 3
		.amdhsa_float_denorm_mode_16_64 3
		.amdhsa_dx10_clamp 1
		.amdhsa_ieee_mode 1
		.amdhsa_fp16_overflow 0
		.amdhsa_tg_split 0
		.amdhsa_exception_fp_ieee_invalid_op 0
		.amdhsa_exception_fp_denorm_src 0
		.amdhsa_exception_fp_ieee_div_zero 0
		.amdhsa_exception_fp_ieee_overflow 0
		.amdhsa_exception_fp_ieee_underflow 0
		.amdhsa_exception_fp_ieee_inexact 0
		.amdhsa_exception_int_div_zero 0
	.end_amdhsa_kernel
	.section	.text._ZN12_GLOBAL__N_120geam_min_plus_kernelIDF16_Dv2_DF16_S1_Li32ELi8ELi256ELi64ELi4ELi64ELi4ELi4ELi64ELc78ELc78ELb0ELb0ELb1EPKDF16_S2_DF16_EEviiiT16_PT17_ilS6_ilS4_S6_ilPT18_ili26rocblas_geam_ex_operation_,"axG",@progbits,_ZN12_GLOBAL__N_120geam_min_plus_kernelIDF16_Dv2_DF16_S1_Li32ELi8ELi256ELi64ELi4ELi64ELi4ELi4ELi64ELc78ELc78ELb0ELb0ELb1EPKDF16_S2_DF16_EEviiiT16_PT17_ilS6_ilS4_S6_ilPT18_ili26rocblas_geam_ex_operation_,comdat
.Lfunc_end258:
	.size	_ZN12_GLOBAL__N_120geam_min_plus_kernelIDF16_Dv2_DF16_S1_Li32ELi8ELi256ELi64ELi4ELi64ELi4ELi4ELi64ELc78ELc78ELb0ELb0ELb1EPKDF16_S2_DF16_EEviiiT16_PT17_ilS6_ilS4_S6_ilPT18_ili26rocblas_geam_ex_operation_, .Lfunc_end258-_ZN12_GLOBAL__N_120geam_min_plus_kernelIDF16_Dv2_DF16_S1_Li32ELi8ELi256ELi64ELi4ELi64ELi4ELi4ELi64ELc78ELc78ELb0ELb0ELb1EPKDF16_S2_DF16_EEviiiT16_PT17_ilS6_ilS4_S6_ilPT18_ili26rocblas_geam_ex_operation_
                                        ; -- End function
	.set _ZN12_GLOBAL__N_120geam_min_plus_kernelIDF16_Dv2_DF16_S1_Li32ELi8ELi256ELi64ELi4ELi64ELi4ELi4ELi64ELc78ELc78ELb0ELb0ELb1EPKDF16_S2_DF16_EEviiiT16_PT17_ilS6_ilS4_S6_ilPT18_ili26rocblas_geam_ex_operation_.num_vgpr, 141
	.set _ZN12_GLOBAL__N_120geam_min_plus_kernelIDF16_Dv2_DF16_S1_Li32ELi8ELi256ELi64ELi4ELi64ELi4ELi4ELi64ELc78ELc78ELb0ELb0ELb1EPKDF16_S2_DF16_EEviiiT16_PT17_ilS6_ilS4_S6_ilPT18_ili26rocblas_geam_ex_operation_.num_agpr, 0
	.set _ZN12_GLOBAL__N_120geam_min_plus_kernelIDF16_Dv2_DF16_S1_Li32ELi8ELi256ELi64ELi4ELi64ELi4ELi4ELi64ELc78ELc78ELb0ELb0ELb1EPKDF16_S2_DF16_EEviiiT16_PT17_ilS6_ilS4_S6_ilPT18_ili26rocblas_geam_ex_operation_.numbered_sgpr, 28
	.set _ZN12_GLOBAL__N_120geam_min_plus_kernelIDF16_Dv2_DF16_S1_Li32ELi8ELi256ELi64ELi4ELi64ELi4ELi4ELi64ELc78ELc78ELb0ELb0ELb1EPKDF16_S2_DF16_EEviiiT16_PT17_ilS6_ilS4_S6_ilPT18_ili26rocblas_geam_ex_operation_.num_named_barrier, 0
	.set _ZN12_GLOBAL__N_120geam_min_plus_kernelIDF16_Dv2_DF16_S1_Li32ELi8ELi256ELi64ELi4ELi64ELi4ELi4ELi64ELc78ELc78ELb0ELb0ELb1EPKDF16_S2_DF16_EEviiiT16_PT17_ilS6_ilS4_S6_ilPT18_ili26rocblas_geam_ex_operation_.private_seg_size, 0
	.set _ZN12_GLOBAL__N_120geam_min_plus_kernelIDF16_Dv2_DF16_S1_Li32ELi8ELi256ELi64ELi4ELi64ELi4ELi4ELi64ELc78ELc78ELb0ELb0ELb1EPKDF16_S2_DF16_EEviiiT16_PT17_ilS6_ilS4_S6_ilPT18_ili26rocblas_geam_ex_operation_.uses_vcc, 1
	.set _ZN12_GLOBAL__N_120geam_min_plus_kernelIDF16_Dv2_DF16_S1_Li32ELi8ELi256ELi64ELi4ELi64ELi4ELi4ELi64ELc78ELc78ELb0ELb0ELb1EPKDF16_S2_DF16_EEviiiT16_PT17_ilS6_ilS4_S6_ilPT18_ili26rocblas_geam_ex_operation_.uses_flat_scratch, 0
	.set _ZN12_GLOBAL__N_120geam_min_plus_kernelIDF16_Dv2_DF16_S1_Li32ELi8ELi256ELi64ELi4ELi64ELi4ELi4ELi64ELc78ELc78ELb0ELb0ELb1EPKDF16_S2_DF16_EEviiiT16_PT17_ilS6_ilS4_S6_ilPT18_ili26rocblas_geam_ex_operation_.has_dyn_sized_stack, 0
	.set _ZN12_GLOBAL__N_120geam_min_plus_kernelIDF16_Dv2_DF16_S1_Li32ELi8ELi256ELi64ELi4ELi64ELi4ELi4ELi64ELc78ELc78ELb0ELb0ELb1EPKDF16_S2_DF16_EEviiiT16_PT17_ilS6_ilS4_S6_ilPT18_ili26rocblas_geam_ex_operation_.has_recursion, 0
	.set _ZN12_GLOBAL__N_120geam_min_plus_kernelIDF16_Dv2_DF16_S1_Li32ELi8ELi256ELi64ELi4ELi64ELi4ELi4ELi64ELc78ELc78ELb0ELb0ELb1EPKDF16_S2_DF16_EEviiiT16_PT17_ilS6_ilS4_S6_ilPT18_ili26rocblas_geam_ex_operation_.has_indirect_call, 0
	.section	.AMDGPU.csdata,"",@progbits
; Kernel info:
; codeLenInByte = 18264
; TotalNumSgprs: 34
; NumVgprs: 141
; NumAgprs: 0
; TotalNumVgprs: 141
; ScratchSize: 0
; MemoryBound: 0
; FloatMode: 240
; IeeeMode: 1
; LDSByteSize: 5120 bytes/workgroup (compile time only)
; SGPRBlocks: 4
; VGPRBlocks: 17
; NumSGPRsForWavesPerEU: 34
; NumVGPRsForWavesPerEU: 141
; AccumOffset: 144
; Occupancy: 3
; WaveLimiterHint : 1
; COMPUTE_PGM_RSRC2:SCRATCH_EN: 0
; COMPUTE_PGM_RSRC2:USER_SGPR: 2
; COMPUTE_PGM_RSRC2:TRAP_HANDLER: 0
; COMPUTE_PGM_RSRC2:TGID_X_EN: 1
; COMPUTE_PGM_RSRC2:TGID_Y_EN: 0
; COMPUTE_PGM_RSRC2:TGID_Z_EN: 1
; COMPUTE_PGM_RSRC2:TIDIG_COMP_CNT: 1
; COMPUTE_PGM_RSRC3_GFX90A:ACCUM_OFFSET: 35
; COMPUTE_PGM_RSRC3_GFX90A:TG_SPLIT: 0
	.section	.text._ZN12_GLOBAL__N_120geam_min_plus_kernelIDF16_Dv2_DF16_S1_Li32ELi8ELi256ELi64ELi4ELi64ELi4ELi4ELi64ELc78ELc78ELb1ELb0ELb1EDF16_KDF16_DF16_EEviiiT16_PT17_ilS5_ilS3_S5_ilPT18_ili26rocblas_geam_ex_operation_,"axG",@progbits,_ZN12_GLOBAL__N_120geam_min_plus_kernelIDF16_Dv2_DF16_S1_Li32ELi8ELi256ELi64ELi4ELi64ELi4ELi4ELi64ELc78ELc78ELb1ELb0ELb1EDF16_KDF16_DF16_EEviiiT16_PT17_ilS5_ilS3_S5_ilPT18_ili26rocblas_geam_ex_operation_,comdat
	.globl	_ZN12_GLOBAL__N_120geam_min_plus_kernelIDF16_Dv2_DF16_S1_Li32ELi8ELi256ELi64ELi4ELi64ELi4ELi4ELi64ELc78ELc78ELb1ELb0ELb1EDF16_KDF16_DF16_EEviiiT16_PT17_ilS5_ilS3_S5_ilPT18_ili26rocblas_geam_ex_operation_ ; -- Begin function _ZN12_GLOBAL__N_120geam_min_plus_kernelIDF16_Dv2_DF16_S1_Li32ELi8ELi256ELi64ELi4ELi64ELi4ELi4ELi64ELc78ELc78ELb1ELb0ELb1EDF16_KDF16_DF16_EEviiiT16_PT17_ilS5_ilS3_S5_ilPT18_ili26rocblas_geam_ex_operation_
	.p2align	8
	.type	_ZN12_GLOBAL__N_120geam_min_plus_kernelIDF16_Dv2_DF16_S1_Li32ELi8ELi256ELi64ELi4ELi64ELi4ELi4ELi64ELc78ELc78ELb1ELb0ELb1EDF16_KDF16_DF16_EEviiiT16_PT17_ilS5_ilS3_S5_ilPT18_ili26rocblas_geam_ex_operation_,@function
_ZN12_GLOBAL__N_120geam_min_plus_kernelIDF16_Dv2_DF16_S1_Li32ELi8ELi256ELi64ELi4ELi64ELi4ELi4ELi64ELc78ELc78ELb1ELb0ELb1EDF16_KDF16_DF16_EEviiiT16_PT17_ilS5_ilS3_S5_ilPT18_ili26rocblas_geam_ex_operation_: ; @_ZN12_GLOBAL__N_120geam_min_plus_kernelIDF16_Dv2_DF16_S1_Li32ELi8ELi256ELi64ELi4ELi64ELi4ELi4ELi64ELc78ELc78ELb1ELb0ELb1EDF16_KDF16_DF16_EEviiiT16_PT17_ilS5_ilS3_S5_ilPT18_ili26rocblas_geam_ex_operation_
; %bb.0:
	s_load_dwordx2 s[16:17], s[0:1], 0x8
	s_load_dwordx4 s[4:7], s[0:1], 0x20
	s_waitcnt lgkmcnt(0)
	v_cmp_eq_f16_e64 s[8:9], s17, 0
	s_and_b64 vcc, exec, s[8:9]
	s_cbranch_vccnz .LBB259_139
; %bb.1:
	s_load_dwordx2 s[10:11], s[0:1], 0x10
	s_mul_i32 s5, s5, s3
	s_mul_hi_u32 s12, s4, s3
	s_add_i32 s5, s12, s5
	s_mul_i32 s4, s4, s3
	s_lshl_b64 s[4:5], s[4:5], 1
	s_waitcnt lgkmcnt(0)
	s_add_u32 s14, s10, s4
	s_addc_u32 s15, s11, s5
	s_andn2_b64 vcc, exec, s[8:9]
	s_mov_b64 s[4:5], -1
	s_cbranch_vccnz .LBB259_3
.LBB259_2:
	s_mov_b64 s[4:5], 0
.LBB259_3:
	s_mov_b64 s[12:13], 0
	s_andn2_b64 vcc, exec, s[4:5]
	s_mov_b64 s[18:19], 0
	s_cbranch_vccnz .LBB259_5
; %bb.4:
	s_load_dwordx2 s[4:5], s[0:1], 0x38
	s_waitcnt lgkmcnt(0)
	s_mul_i32 s5, s5, s3
	s_mul_hi_u32 s8, s4, s3
	s_add_i32 s5, s8, s5
	s_mul_i32 s4, s4, s3
	s_lshl_b64 s[4:5], s[4:5], 1
	s_add_u32 s18, s6, s4
	s_addc_u32 s19, s7, s5
.LBB259_5:
	s_load_dword s17, s[0:1], 0x40
	s_load_dwordx4 s[8:11], s[0:1], 0x58
	s_waitcnt lgkmcnt(0)
	v_cmp_eq_f16_e64 s[4:5], s17, 0
	s_and_b64 s[4:5], exec, s[4:5]
	s_mov_b64 vcc, s[4:5]
	s_cbranch_vccnz .LBB259_7
; %bb.6:
	s_load_dwordx2 s[6:7], s[0:1], 0x48
	s_mul_i32 s9, s9, s3
	s_mul_hi_u32 s12, s8, s3
	s_add_i32 s9, s12, s9
	s_mul_i32 s8, s8, s3
	s_lshl_b64 s[8:9], s[8:9], 1
	s_waitcnt lgkmcnt(0)
	s_add_u32 s12, s6, s8
	s_addc_u32 s13, s7, s9
.LBB259_7:
	s_load_dword s6, s[0:1], 0x0
	s_load_dword s8, s[0:1], 0x18
	;; [unrolled: 1-line block ×3, first 2 shown]
	v_and_b32_e32 v44, 0x3ff, v0
	v_bfe_u32 v45, v0, 10, 10
	s_waitcnt lgkmcnt(0)
	s_add_i32 s6, s6, -1
	s_ashr_i32 s7, s6, 31
	s_lshr_b32 s7, s7, 24
	s_add_i32 s6, s6, s7
	s_ashr_i32 s6, s6, 8
	s_add_i32 s7, s6, 1
	v_cvt_f32_u32_e32 v1, s7
	s_not_b32 s6, s6
	v_lshl_add_u32 v2, v45, 5, v44
	v_and_b32_e32 v6, 63, v2
	v_rcp_iflag_f32_e32 v1, v1
	v_lshrrev_b32_e32 v38, 6, v2
	v_lshrrev_b32_e32 v7, 2, v2
	v_lshlrev_b32_e32 v0, 1, v0
	v_mul_f32_e32 v1, 0x4f7ffffe, v1
	v_cvt_u32_f32_e32 v1, v1
	v_and_b32_e32 v30, 6, v0
	v_mov_b32_e32 v31, 0
	v_lshlrev_b32_e32 v51, 3, v44
	v_readfirstlane_b32 s20, v1
	s_mul_i32 s6, s6, s20
	s_mul_hi_u32 s6, s20, s6
	s_add_i32 s20, s20, s6
	s_mul_hi_u32 s6, s2, s20
	s_mul_i32 s20, s6, s7
	s_sub_i32 s20, s2, s20
	s_add_i32 s21, s6, 1
	s_sub_i32 s22, s20, s7
	s_cmp_ge_u32 s20, s7
	s_cselect_b32 s6, s21, s6
	s_cselect_b32 s20, s22, s20
	s_add_i32 s21, s6, 1
	s_cmp_ge_u32 s20, s7
	s_cselect_b32 s6, s21, s6
	s_mul_i32 s7, s6, s7
	s_sub_i32 s2, s2, s7
	s_lshl_b32 s2, s2, 8
	s_lshl_b32 s20, s6, 6
	v_or_b32_e32 v2, s2, v6
	v_mad_i64_i32 v[4:5], s[6:7], s8, v38, 0
	v_ashrrev_i32_e32 v3, 31, v2
	v_add_u32_e32 v1, s20, v7
	v_lshl_add_u64 v[4:5], v[4:5], 1, s[14:15]
	v_lshlrev_b64 v[32:33], 1, v[2:3]
	v_mad_i64_i32 v[28:29], s[6:7], v1, s9, 0
	v_lshl_add_u64 v[2:3], v[4:5], 0, v[32:33]
	v_lshl_add_u64 v[4:5], v[28:29], 1, s[18:19]
	;; [unrolled: 1-line block ×3, first 2 shown]
	global_load_ushort v4, v[0:1], off
	global_load_ushort v5, v[2:3], off
	global_load_ushort v8, v[2:3], off offset:128
	global_load_ushort v9, v[2:3], off offset:256
	;; [unrolled: 1-line block ×3, first 2 shown]
	v_add_u32_e32 v2, 4, v38
	v_lshlrev_b32_e32 v3, 3, v6
	v_lshl_add_u32 v47, v38, 1, v3
	v_mad_i64_i32 v[2:3], s[6:7], s8, v2, 0
	v_lshl_add_u64 v[2:3], v[2:3], 1, s[14:15]
	global_load_ushort v34, v[0:1], off offset:8
	v_lshl_add_u64 v[0:1], v[2:3], 0, v[32:33]
	global_load_ushort v35, v[0:1], off
	global_load_ushort v36, v[0:1], off offset:128
	global_load_ushort v37, v[0:1], off offset:256
	;; [unrolled: 1-line block ×3, first 2 shown]
	v_lshlrev_b32_e32 v50, 3, v45
	v_lshl_or_b32 v30, v7, 3, v30
	v_add_u32_e32 v46, 0x1000, v50
	s_movk_i32 s6, 0x7c00
	s_cmp_lt_i32 s16, 9
	s_waitcnt vmcnt(9)
	ds_write_b16 v30, v4 offset:4096
	s_waitcnt vmcnt(8)
	ds_write_b16 v47, v5
	s_waitcnt vmcnt(7)
	ds_write_b16 v47, v8 offset:512
	s_waitcnt vmcnt(6)
	ds_write_b16 v47, v9 offset:1024
	;; [unrolled: 2-line block ×3, first 2 shown]
	s_waitcnt lgkmcnt(0)
	s_barrier
	ds_read2_b64 v[16:19], v51 offset1:32
	ds_read2_b64 v[12:15], v51 offset0:64 offset1:96
	ds_read2_b64 v[0:3], v51 offset0:128 offset1:160
	ds_read2_b64 v[40:43], v46 offset1:8
	ds_read2_b64 v[4:7], v51 offset0:192 offset1:224
	ds_read2_b64 v[24:27], v46 offset0:16 offset1:24
	;; [unrolled: 1-line block ×4, first 2 shown]
	s_waitcnt lgkmcnt(4)
	v_pk_add_f16 v48, v16, v40
	v_pk_add_f16 v49, v18, v40
	;; [unrolled: 1-line block ×6, first 2 shown]
	s_waitcnt lgkmcnt(3)
	v_pk_add_f16 v56, v4, v40
	v_pk_add_f16 v40, v6, v40
	v_pk_add_f16 v57, v16, v42
	v_pk_add_f16 v58, v18, v42
	v_pk_add_f16 v59, v12, v42
	v_pk_add_f16 v60, v14, v42
	v_pk_add_f16 v61, v0, v42
	v_pk_add_f16 v62, v2, v42
	v_pk_add_f16 v63, v4, v42
	v_pk_add_f16 v42, v6, v42
	s_waitcnt lgkmcnt(2)
	v_pk_add_f16 v64, v16, v24
	v_pk_add_f16 v65, v18, v24
	v_pk_add_f16 v66, v12, v24
	v_pk_add_f16 v67, v14, v24
	v_pk_add_f16 v68, v0, v24
	v_pk_add_f16 v69, v2, v24
	v_pk_add_f16 v70, v4, v24
	v_pk_add_f16 v24, v6, v24
	v_pk_add_f16 v71, v16, v26
	v_pk_add_f16 v72, v18, v26
	v_pk_add_f16 v73, v12, v26
	v_pk_add_f16 v74, v14, v26
	v_pk_add_f16 v75, v0, v26
	v_pk_add_f16 v76, v2, v26
	v_pk_add_f16 v77, v4, v26
	v_pk_add_f16 v26, v6, v26
	s_waitcnt lgkmcnt(1)
	v_pk_add_f16 v78, v16, v20
	v_pk_add_f16 v79, v18, v20
	v_pk_add_f16 v80, v12, v20
	v_pk_add_f16 v95, v14, v20
	v_pk_add_f16 v96, v0, v20
	v_pk_add_f16 v97, v2, v20
	;; [unrolled: 17-line block ×3, first 2 shown]
	v_pk_add_f16 v133, v4, v8
	v_pk_add_f16 v8, v6, v8
	;; [unrolled: 1-line block ×11, first 2 shown]
	v_pk_min_f16 v10, v48, s6 op_sel_hi:[1,0]
	v_pk_min_f16 v8, v8, s6 op_sel_hi:[1,0]
	v_pk_min_f16 v119, v10, v6
	v_pk_add_f16 v6, v19, v41
	v_pk_min_f16 v10, v49, s6 op_sel_hi:[1,0]
	v_pk_min_f16 v2, v2, s6 op_sel_hi:[1,0]
	v_pk_min_f16 v118, v10, v6
	v_pk_add_f16 v6, v13, v41
	;; [unrolled: 4-line block ×3, first 2 shown]
	v_pk_min_f16 v10, v53, s6 op_sel_hi:[1,0]
	s_waitcnt vmcnt(3)
	ds_write_b16 v47, v35 offset:2048
	s_waitcnt vmcnt(2)
	ds_write_b16 v47, v36 offset:2560
	;; [unrolled: 2-line block ×4, first 2 shown]
	ds_write_b16 v30, v34 offset:4608
	v_pk_min_f16 v116, v10, v6
	v_pk_add_f16 v6, v1, v41
	v_pk_min_f16 v10, v54, s6 op_sel_hi:[1,0]
	s_waitcnt lgkmcnt(0)
	v_pk_min_f16 v115, v10, v6
	v_pk_add_f16 v6, v3, v41
	v_pk_min_f16 v10, v55, s6 op_sel_hi:[1,0]
	s_barrier
	v_pk_min_f16 v114, v10, v6
	v_pk_add_f16 v6, v5, v41
	v_pk_min_f16 v10, v56, s6 op_sel_hi:[1,0]
	s_nop 0
	v_pk_min_f16 v113, v10, v6
	v_pk_add_f16 v6, v7, v41
	v_pk_min_f16 v10, v40, s6 op_sel_hi:[1,0]
	s_nop 0
	;; [unrolled: 4-line block ×46, first 2 shown]
	v_pk_min_f16 v64, v10, v6
	v_pk_add_f16 v6, v1, v9
	v_pk_min_f16 v10, v131, s6 op_sel_hi:[1,0]
	v_pk_add_f16 v1, v1, v11
	v_pk_min_f16 v63, v10, v6
	v_pk_add_f16 v6, v3, v9
	v_pk_min_f16 v10, v132, s6 op_sel_hi:[1,0]
	s_nop 0
	v_pk_min_f16 v62, v10, v6
	v_pk_add_f16 v6, v5, v9
	v_pk_min_f16 v10, v133, s6 op_sel_hi:[1,0]
	s_nop 0
	v_pk_min_f16 v61, v10, v6
	v_pk_add_f16 v6, v7, v9
	s_nop 0
	v_pk_min_f16 v60, v8, v6
	v_pk_add_f16 v6, v17, v11
	v_pk_min_f16 v8, v16, s6 op_sel_hi:[1,0]
	s_nop 0
	v_pk_min_f16 v59, v8, v6
	v_pk_add_f16 v6, v19, v11
	v_pk_min_f16 v8, v18, s6 op_sel_hi:[1,0]
	;; [unrolled: 4-line block ×4, first 2 shown]
	s_nop 0
	v_pk_min_f16 v56, v8, v6
	v_pk_min_f16 v6, v134, s6 op_sel_hi:[1,0]
	s_nop 0
	v_pk_min_f16 v55, v6, v1
	v_pk_add_f16 v1, v3, v11
	s_nop 0
	v_pk_min_f16 v54, v2, v1
	v_pk_add_f16 v1, v5, v11
	v_pk_min_f16 v2, v4, s6 op_sel_hi:[1,0]
	s_nop 0
	v_pk_min_f16 v52, v2, v1
	v_pk_add_f16 v1, v7, v11
	s_nop 0
	v_pk_min_f16 v53, v0, v1
	s_cbranch_scc1 .LBB259_10
; %bb.8:
	v_mov_b32_e32 v0, 0x800
	v_lshl_add_u32 v96, v44, 3, v0
	v_mov_b32_e32 v0, 0x1200
	v_lshl_add_u32 v97, v45, 3, v0
	v_and_b32_e32 v0, 3, v44
	v_add_u32_e32 v48, 0x1000, v30
	v_add_u32_e32 v95, 0x1200, v30
	v_lshlrev_b32_e32 v30, 1, v0
	v_lshl_add_u64 v[0:1], v[28:29], 1, v[30:31]
	v_lshl_add_u64 v[0:1], s[18:19], 0, v[0:1]
	v_lshl_add_u64 v[34:35], v[0:1], 0, 16
	v_add_u32_e32 v0, 12, v38
	v_mad_i64_i32 v[0:1], s[6:7], v0, s8, 0
	s_ashr_i32 s9, s8, 31
	v_lshl_add_u64 v[36:37], v[0:1], 1, s[14:15]
	v_add_u32_e32 v0, 8, v38
	s_lshl_b64 s[6:7], s[8:9], 4
	v_mad_i64_i32 v[0:1], s[8:9], v0, s8, 0
	v_add_u32_e32 v49, 0x800, v47
	s_add_i32 s16, s16, -8
	v_lshl_add_u64 v[38:39], v[0:1], 1, s[14:15]
	s_mov_b32 s8, 0
.LBB259_9:                              ; =>This Inner Loop Header: Depth=1
	v_lshl_add_u64 v[40:41], v[38:39], 0, v[32:33]
	global_load_ushort v112, v[34:35], off
	ds_read2_b64 v[12:15], v96 offset1:32
	ds_read2_b64 v[8:11], v96 offset0:64 offset1:96
	ds_read2_b64 v[4:7], v96 offset0:128 offset1:160
	;; [unrolled: 1-line block ×3, first 2 shown]
	ds_read2_b64 v[28:31], v97 offset1:8
	ds_read2_b64 v[24:27], v97 offset0:16 offset1:24
	ds_read2_b64 v[20:23], v97 offset0:32 offset1:40
	;; [unrolled: 1-line block ×3, first 2 shown]
	global_load_ushort v120, v[40:41], off
	global_load_ushort v121, v[40:41], off offset:128
	global_load_ushort v122, v[40:41], off offset:256
	global_load_ushort v123, v[40:41], off offset:384
	v_lshl_add_u64 v[42:43], v[36:37], 0, v[32:33]
	v_pk_max_f16 v119, v119, v119
	v_pk_max_f16 v116, v116, v116
	;; [unrolled: 1-line block ×27, first 2 shown]
	s_waitcnt lgkmcnt(3)
	v_pk_add_f16 v40, v12, v28
	v_pk_add_f16 v41, v14, v28
	v_pk_add_f16 v124, v8, v28
	v_pk_add_f16 v125, v10, v28
	v_pk_add_f16 v126, v4, v28
	v_pk_add_f16 v127, v6, v28
	v_pk_add_f16 v128, v0, v28
	v_pk_add_f16 v28, v2, v28
	v_pk_add_f16 v129, v12, v30
	v_pk_add_f16 v130, v14, v30
	v_pk_add_f16 v131, v8, v30
	v_pk_add_f16 v132, v10, v30
	v_pk_add_f16 v133, v4, v30
	v_pk_add_f16 v134, v6, v30
	v_pk_add_f16 v135, v0, v30
	v_pk_add_f16 v30, v2, v30
	s_waitcnt lgkmcnt(2)
	v_pk_add_f16 v136, v12, v24
	v_pk_add_f16 v137, v14, v24
	v_pk_add_f16 v138, v8, v24
	v_pk_add_f16 v139, v10, v24
	v_pk_add_f16 v140, v4, v24
	v_pk_add_f16 v141, v6, v24
	v_pk_add_f16 v142, v0, v24
	v_pk_add_f16 v24, v2, v24
	v_pk_add_f16 v143, v12, v26
	v_pk_add_f16 v144, v14, v26
	v_pk_add_f16 v145, v8, v26
	v_pk_add_f16 v146, v10, v26
	v_pk_add_f16 v147, v4, v26
	v_pk_add_f16 v148, v6, v26
	v_pk_add_f16 v149, v0, v26
	v_pk_add_f16 v26, v2, v26
	s_waitcnt lgkmcnt(1)
	v_pk_add_f16 v150, v12, v20
	v_pk_add_f16 v151, v14, v20
	v_pk_add_f16 v152, v8, v20
	v_pk_add_f16 v153, v10, v20
	v_pk_add_f16 v154, v4, v20
	v_pk_add_f16 v155, v6, v20
	v_pk_add_f16 v156, v0, v20
	v_pk_add_f16 v20, v2, v20
	v_pk_add_f16 v157, v12, v22
	v_pk_add_f16 v158, v14, v22
	v_pk_add_f16 v159, v8, v22
	v_pk_add_f16 v160, v10, v22
	v_pk_add_f16 v161, v4, v22
	v_pk_add_f16 v162, v6, v22
	v_pk_add_f16 v163, v0, v22
	v_pk_add_f16 v22, v2, v22
	s_waitcnt lgkmcnt(0)
	v_pk_add_f16 v164, v12, v16
	s_waitcnt vmcnt(4)
	ds_write_b16 v48, v112
	s_waitcnt vmcnt(3)
	ds_write_b16 v47, v120
	s_waitcnt vmcnt(2)
	ds_write_b16 v47, v121 offset:512
	s_waitcnt vmcnt(1)
	ds_write_b16 v47, v122 offset:1024
	;; [unrolled: 2-line block ×3, first 2 shown]
	s_waitcnt lgkmcnt(0)
	s_barrier
	global_load_ushort v112, v[42:43], off
	global_load_ushort v120, v[42:43], off offset:128
	global_load_ushort v121, v[42:43], off offset:256
	;; [unrolled: 1-line block ×4, first 2 shown]
	v_pk_add_f16 v165, v14, v16
	v_pk_add_f16 v166, v8, v16
	;; [unrolled: 1-line block ×15, first 2 shown]
	v_pk_max_f16 v118, v118, v118
	v_pk_max_f16 v117, v117, v117
	v_pk_add_f16 v18, v13, v29
	v_pk_add_f16 v171, v15, v29
	;; [unrolled: 1-line block ×64, first 2 shown]
	v_pk_min_f16 v19, v119, v40
	v_pk_min_f16 v116, v116, v125
	;; [unrolled: 1-line block ×56, first 2 shown]
	ds_read2_b64 v[0:3], v51 offset1:32
	ds_read2_b64 v[4:7], v51 offset0:64 offset1:96
	ds_read2_b64 v[8:11], v51 offset0:128 offset1:160
	;; [unrolled: 1-line block ×3, first 2 shown]
	ds_read2_b64 v[16:19], v46 offset1:8
	ds_read2_b64 v[20:23], v46 offset0:16 offset1:24
	ds_read2_b64 v[24:27], v46 offset0:32 offset1:40
	;; [unrolled: 1-line block ×3, first 2 shown]
	v_pk_max_f16 v102, v102, v102
	v_pk_max_f16 v101, v101, v101
	;; [unrolled: 1-line block ×35, first 2 shown]
	v_pk_min_f16 v102, v102, v136
	v_pk_min_f16 v101, v101, v137
	;; [unrolled: 1-line block ×72, first 2 shown]
	s_waitcnt lgkmcnt(3)
	v_pk_add_f16 v42, v0, v16
	v_pk_add_f16 v43, v2, v16
	v_pk_add_f16 v118, v4, v16
	v_pk_add_f16 v119, v6, v16
	v_pk_add_f16 v124, v8, v16
	v_pk_add_f16 v125, v10, v16
	v_pk_add_f16 v126, v12, v16
	v_pk_add_f16 v16, v14, v16
	v_pk_add_f16 v127, v0, v18
	v_pk_add_f16 v128, v2, v18
	v_pk_add_f16 v129, v4, v18
	v_pk_add_f16 v130, v6, v18
	v_pk_add_f16 v131, v8, v18
	v_pk_add_f16 v132, v10, v18
	v_pk_add_f16 v133, v12, v18
	v_pk_add_f16 v18, v14, v18
	s_waitcnt lgkmcnt(2)
	v_pk_add_f16 v134, v0, v20
	v_pk_add_f16 v135, v2, v20
	v_pk_add_f16 v136, v4, v20
	v_pk_add_f16 v137, v6, v20
	v_pk_add_f16 v138, v8, v20
	v_pk_add_f16 v139, v10, v20
	v_pk_add_f16 v140, v12, v20
	v_pk_add_f16 v20, v14, v20
	v_pk_add_f16 v141, v0, v22
	v_pk_add_f16 v142, v2, v22
	v_pk_add_f16 v143, v4, v22
	v_pk_add_f16 v144, v6, v22
	v_pk_add_f16 v145, v8, v22
	v_pk_add_f16 v146, v10, v22
	v_pk_add_f16 v147, v12, v22
	v_pk_add_f16 v22, v14, v22
	;; [unrolled: 17-line block ×4, first 2 shown]
	s_add_i32 s8, s8, 8
	v_pk_add_f16 v30, v1, v17
	v_pk_add_f16 v169, v3, v17
	;; [unrolled: 1-line block ×64, first 2 shown]
	v_pk_min_f16 v31, v52, v42
	v_pk_min_f16 v40, v40, v43
	;; [unrolled: 1-line block ×64, first 2 shown]
	v_lshl_add_u64 v[36:37], v[36:37], 0, s[6:7]
	v_lshl_add_u64 v[38:39], v[38:39], 0, s[6:7]
	s_cmp_ge_i32 s8, s16
	v_lshl_add_u64 v[34:35], v[34:35], 0, 16
	v_pk_min_f16 v119, v31, v30
	v_pk_min_f16 v118, v40, v169
	;; [unrolled: 1-line block ×64, first 2 shown]
	s_waitcnt vmcnt(4)
	ds_write_b16 v49, v112
	s_waitcnt vmcnt(3)
	ds_write_b16 v49, v120 offset:512
	s_waitcnt vmcnt(2)
	ds_write_b16 v49, v121 offset:1024
	;; [unrolled: 2-line block ×3, first 2 shown]
	s_waitcnt vmcnt(0)
	ds_write_b16 v95, v123
	s_waitcnt lgkmcnt(0)
	s_barrier
	s_cbranch_scc0 .LBB259_9
.LBB259_10:
	s_load_dword s8, s[0:1], 0x50
	ds_read_b64 v[30:31], v51 offset:2048
	ds_read_b64 v[46:47], v50 offset:4608
	v_add_u32_e32 v95, s20, v45
	v_cmp_neq_f16_e64 s[6:7], s17, 0
	v_add_u32_e32 v28, s2, v44
	s_waitcnt lgkmcnt(0)
	v_mad_i64_i32 v[0:1], s[14:15], v95, s8, 0
	v_ashrrev_i32_e32 v29, 31, v28
	v_lshl_add_u64 v[48:49], v[0:1], 1, s[12:13]
	v_mov_b32_e32 v34, 0
	s_and_b64 vcc, exec, s[6:7]
	v_mov_b32_e32 v35, 0
	s_cbranch_vccz .LBB259_12
; %bb.11:
	v_lshl_add_u64 v[0:1], v[28:29], 1, v[48:49]
	global_load_ushort v0, v[0:1], off
	s_waitcnt vmcnt(0)
	v_mul_f16_e32 v0, s17, v0
	v_cvt_f32_f16_e32 v35, v0
.LBB259_12:
	v_add_u32_e32 v0, 0x800, v51
	v_pk_add_f16 v32, v30, v46
	v_max_f16_e32 v33, v119, v119
	v_pk_add_f16 v37, v31, v47
	ds_read2_b64 v[8:11], v0 offset0:32 offset1:64
	ds_read2_b64 v[4:7], v0 offset0:96 offset1:128
	;; [unrolled: 1-line block ×3, first 2 shown]
	ds_read_b64 v[24:25], v51 offset:3840
	s_load_dword s9, s[0:1], 0x68
	s_load_dwordx2 s[14:15], s[0:1], 0x70
	v_min_f16_e32 v36, v33, v32
	v_lshrrev_b32_e32 v33, 16, v119
	v_lshrrev_b32_e32 v32, 16, v32
	;; [unrolled: 1-line block ×3, first 2 shown]
	v_min3_f16 v38, v33, v32, v38
	v_min3_f16 v36, v36, v37, v38
	v_cvt_f32_f16_e32 v38, v36
	v_add_u32_e32 v12, 0x1000, v50
	ds_read2_b64 v[20:23], v12 offset0:72 offset1:80
	ds_read2_b64 v[16:19], v12 offset0:88 offset1:96
	;; [unrolled: 1-line block ×3, first 2 shown]
	ds_read_b64 v[26:27], v50 offset:5056
	s_waitcnt lgkmcnt(0)
	s_mul_i32 s0, s15, s3
	s_mul_hi_u32 s1, s14, s3
	s_add_i32 s1, s1, s0
	s_mul_i32 s0, s14, s3
	v_max_f32_e32 v35, v35, v35
	s_lshl_b64 s[0:1], s[0:1], 1
	v_min_f32_e32 v35, v35, v38
	s_add_u32 s2, s10, s0
	v_cvt_f16_f32_e32 v35, v35
	s_addc_u32 s3, s11, s1
	v_mad_i64_i32 v[36:37], s[0:1], v95, s9, 0
	v_add_u32_e32 v32, 32, v28
	v_lshl_add_u64 v[50:51], v[36:37], 1, s[2:3]
	v_cndmask_b32_e64 v38, 0, 1, s[6:7]
	v_ashrrev_i32_e32 v33, 31, v32
	v_lshl_add_u64 v[36:37], v[28:29], 1, v[50:51]
	v_cmp_ne_u32_e64 s[0:1], 1, v38
	s_andn2_b64 vcc, exec, s[6:7]
	global_store_short v[36:37], v35, off
	s_cbranch_vccnz .LBB259_14
; %bb.13:
	v_lshl_add_u64 v[34:35], v[32:33], 1, v[48:49]
	global_load_ushort v34, v[34:35], off
	s_waitcnt vmcnt(0)
	v_mul_f16_e32 v34, s17, v34
	v_cvt_f32_f16_e32 v34, v34
.LBB259_14:
	v_pk_add_f16 v35, v8, v46
	v_max_f16_e32 v36, v118, v118
	v_pk_add_f16 v38, v9, v47
	v_min_f16_e32 v36, v36, v35
	v_lshrrev_b32_e32 v37, 16, v118
	v_lshrrev_b32_e32 v35, 16, v35
	;; [unrolled: 1-line block ×3, first 2 shown]
	v_min3_f16 v35, v37, v35, v39
	v_min3_f16 v35, v36, v38, v35
	v_cvt_f32_f16_e32 v35, v35
	v_max_f32_e32 v34, v34, v34
	v_lshl_add_u64 v[36:37], v[32:33], 1, v[50:51]
	s_and_b64 vcc, exec, s[0:1]
	v_min_f32_e32 v34, v34, v35
	v_cvt_f16_f32_e32 v38, v34
	v_add_u32_e32 v34, 64, v28
	v_ashrrev_i32_e32 v35, 31, v34
	global_store_short v[36:37], v38, off
	v_mov_b32_e32 v38, 0
	v_mov_b32_e32 v37, 0
	s_cbranch_vccnz .LBB259_16
; %bb.15:
	v_lshl_add_u64 v[36:37], v[34:35], 1, v[48:49]
	global_load_ushort v36, v[36:37], off
	s_waitcnt vmcnt(0)
	v_mul_f16_e32 v36, s17, v36
	v_cvt_f32_f16_e32 v37, v36
.LBB259_16:
	v_pk_add_f16 v36, v10, v46
	v_max_f16_e32 v39, v117, v117
	v_pk_add_f16 v41, v11, v47
	v_min_f16_e32 v39, v39, v36
	v_lshrrev_b32_e32 v40, 16, v117
	v_lshrrev_b32_e32 v36, 16, v36
	;; [unrolled: 1-line block ×3, first 2 shown]
	v_min3_f16 v36, v40, v36, v42
	v_min3_f16 v36, v39, v41, v36
	v_cvt_f32_f16_e32 v39, v36
	v_max_f32_e32 v37, v37, v37
	v_add_u32_e32 v36, 0x60, v28
	v_lshl_add_u64 v[40:41], v[34:35], 1, v[50:51]
	v_min_f32_e32 v37, v37, v39
	v_cvt_f16_f32_e32 v39, v37
	v_ashrrev_i32_e32 v37, 31, v36
	s_and_b64 vcc, exec, s[0:1]
	global_store_short v[40:41], v39, off
	s_cbranch_vccnz .LBB259_18
; %bb.17:
	v_lshl_add_u64 v[38:39], v[36:37], 1, v[48:49]
	global_load_ushort v38, v[38:39], off
	s_waitcnt vmcnt(0)
	v_mul_f16_e32 v38, s17, v38
	v_cvt_f32_f16_e32 v38, v38
.LBB259_18:
	v_pk_add_f16 v39, v4, v46
	v_max_f16_e32 v40, v116, v116
	v_pk_add_f16 v42, v5, v47
	v_min_f16_e32 v40, v40, v39
	v_lshrrev_b32_e32 v41, 16, v116
	v_lshrrev_b32_e32 v39, 16, v39
	;; [unrolled: 1-line block ×3, first 2 shown]
	v_min3_f16 v39, v41, v39, v43
	v_min3_f16 v39, v40, v42, v39
	v_cvt_f32_f16_e32 v39, v39
	v_max_f32_e32 v38, v38, v38
	v_add_u32_e32 v40, 0x80, v28
	v_ashrrev_i32_e32 v41, 31, v40
	v_min_f32_e32 v38, v38, v39
	v_cvt_f16_f32_e32 v42, v38
	v_lshl_add_u64 v[38:39], v[36:37], 1, v[50:51]
	s_and_b64 vcc, exec, s[0:1]
	global_store_short v[38:39], v42, off
	v_mov_b32_e32 v42, 0
	v_mov_b32_e32 v39, 0
	s_cbranch_vccnz .LBB259_20
; %bb.19:
	v_lshl_add_u64 v[38:39], v[40:41], 1, v[48:49]
	global_load_ushort v38, v[38:39], off
	s_waitcnt vmcnt(0)
	v_mul_f16_e32 v38, s17, v38
	v_cvt_f32_f16_e32 v39, v38
.LBB259_20:
	v_pk_add_f16 v38, v6, v46
	v_max_f16_e32 v43, v115, v115
	v_pk_add_f16 v45, v7, v47
	v_min_f16_e32 v43, v43, v38
	v_lshrrev_b32_e32 v44, 16, v115
	v_lshrrev_b32_e32 v38, 16, v38
	;; [unrolled: 1-line block ×3, first 2 shown]
	v_min3_f16 v38, v44, v38, v96
	v_min3_f16 v38, v43, v45, v38
	v_cvt_f32_f16_e32 v43, v38
	v_max_f32_e32 v39, v39, v39
	v_add_u32_e32 v38, 0xa0, v28
	v_lshl_add_u64 v[44:45], v[40:41], 1, v[50:51]
	v_min_f32_e32 v39, v39, v43
	v_cvt_f16_f32_e32 v43, v39
	v_ashrrev_i32_e32 v39, 31, v38
	s_and_b64 vcc, exec, s[0:1]
	global_store_short v[44:45], v43, off
	s_cbranch_vccnz .LBB259_22
; %bb.21:
	v_lshl_add_u64 v[42:43], v[38:39], 1, v[48:49]
	global_load_ushort v42, v[42:43], off
	s_waitcnt vmcnt(0)
	v_mul_f16_e32 v42, s17, v42
	v_cvt_f32_f16_e32 v42, v42
.LBB259_22:
	v_pk_add_f16 v43, v0, v46
	v_max_f16_e32 v44, v114, v114
	v_pk_add_f16 v96, v1, v47
	v_min_f16_e32 v44, v44, v43
	v_lshrrev_b32_e32 v45, 16, v114
	v_lshrrev_b32_e32 v43, 16, v43
	;; [unrolled: 1-line block ×3, first 2 shown]
	v_min3_f16 v43, v45, v43, v97
	v_min3_f16 v43, v44, v96, v43
	v_cvt_f32_f16_e32 v43, v43
	v_max_f32_e32 v42, v42, v42
	v_lshl_add_u64 v[44:45], v[38:39], 1, v[50:51]
	s_and_b64 vcc, exec, s[0:1]
	v_min_f32_e32 v42, v42, v43
	v_cvt_f16_f32_e32 v96, v42
	v_add_u32_e32 v42, 0xc0, v28
	v_ashrrev_i32_e32 v43, 31, v42
	global_store_short v[44:45], v96, off
	v_mov_b32_e32 v96, 0
	v_mov_b32_e32 v45, 0
	s_cbranch_vccnz .LBB259_24
; %bb.23:
	v_lshl_add_u64 v[44:45], v[42:43], 1, v[48:49]
	global_load_ushort v44, v[44:45], off
	s_waitcnt vmcnt(0)
	v_mul_f16_e32 v44, s17, v44
	v_cvt_f32_f16_e32 v45, v44
.LBB259_24:
	v_pk_add_f16 v44, v2, v46
	v_max_f16_e32 v97, v113, v113
	v_lshrrev_b32_e32 v112, 16, v113
	v_pk_add_f16 v113, v3, v47
	v_min_f16_e32 v97, v97, v44
	v_lshrrev_b32_e32 v44, 16, v44
	v_lshrrev_b32_e32 v114, 16, v113
	v_min3_f16 v44, v112, v44, v114
	v_min3_f16 v44, v97, v113, v44
	v_cvt_f32_f16_e32 v97, v44
	v_max_f32_e32 v45, v45, v45
	v_add_u32_e32 v44, 0xe0, v28
	v_lshl_add_u64 v[112:113], v[42:43], 1, v[50:51]
	v_min_f32_e32 v45, v45, v97
	v_cvt_f16_f32_e32 v97, v45
	v_ashrrev_i32_e32 v45, 31, v44
	s_and_b64 vcc, exec, s[0:1]
	global_store_short v[112:113], v97, off
	s_cbranch_vccnz .LBB259_26
; %bb.25:
	v_lshl_add_u64 v[48:49], v[44:45], 1, v[48:49]
	global_load_ushort v48, v[48:49], off
	s_waitcnt vmcnt(0)
	v_mul_f16_e32 v48, s17, v48
	v_cvt_f32_f16_e32 v96, v48
.LBB259_26:
	v_pk_add_f16 v46, v24, v46
	v_max_f16_e32 v48, v111, v111
	v_pk_add_f16 v47, v25, v47
	v_min_f16_e32 v48, v48, v46
	v_lshrrev_b32_e32 v49, 16, v111
	v_lshrrev_b32_e32 v46, 16, v46
	;; [unrolled: 1-line block ×3, first 2 shown]
	v_min3_f16 v46, v49, v46, v97
	v_min3_f16 v46, v48, v47, v46
	v_cvt_f32_f16_e32 v46, v46
	v_max_f32_e32 v47, v96, v96
	s_and_b64 vcc, exec, s[0:1]
	v_mov_b32_e32 v49, 0
	v_min_f32_e32 v46, v47, v46
	v_cvt_f16_f32_e32 v48, v46
	v_lshl_add_u64 v[46:47], v[44:45], 1, v[50:51]
	v_mov_b32_e32 v50, 0
	global_store_short v[46:47], v48, off
	v_add_u32_e32 v48, 8, v95
	v_mad_i64_i32 v[46:47], s[6:7], v48, s8, 0
	v_lshl_add_u64 v[46:47], v[46:47], 1, s[12:13]
	s_cbranch_vccnz .LBB259_28
; %bb.27:
	v_lshl_add_u64 v[96:97], v[28:29], 1, v[46:47]
	global_load_ushort v49, v[96:97], off
	s_waitcnt vmcnt(0)
	v_mul_f16_e32 v49, s17, v49
	v_cvt_f32_f16_e32 v49, v49
.LBB259_28:
	v_pk_add_f16 v51, v30, v20
	v_max_f16_e32 v96, v110, v110
	v_lshrrev_b32_e32 v97, 16, v110
	v_pk_add_f16 v110, v31, v21
	v_min_f16_e32 v96, v96, v51
	v_lshrrev_b32_e32 v51, 16, v51
	v_lshrrev_b32_e32 v111, 16, v110
	v_min3_f16 v51, v97, v51, v111
	v_min3_f16 v51, v96, v110, v51
	v_cvt_f32_f16_e32 v51, v51
	v_mad_i64_i32 v[96:97], s[6:7], v48, s9, 0
	v_max_f32_e32 v48, v49, v49
	v_min_f32_e32 v48, v48, v51
	v_cvt_f16_f32_e32 v51, v48
	v_lshl_add_u64 v[48:49], v[96:97], 1, s[2:3]
	v_lshl_add_u64 v[96:97], v[28:29], 1, v[48:49]
	s_and_b64 vcc, exec, s[0:1]
	global_store_short v[96:97], v51, off
	s_cbranch_vccnz .LBB259_30
; %bb.29:
	v_lshl_add_u64 v[50:51], v[32:33], 1, v[46:47]
	global_load_ushort v50, v[50:51], off
	s_waitcnt vmcnt(0)
	v_mul_f16_e32 v50, s17, v50
	v_cvt_f32_f16_e32 v50, v50
.LBB259_30:
	v_pk_add_f16 v51, v8, v20
	v_max_f16_e32 v96, v109, v109
	v_lshrrev_b32_e32 v97, 16, v109
	v_pk_add_f16 v109, v9, v21
	v_min_f16_e32 v96, v96, v51
	v_lshrrev_b32_e32 v51, 16, v51
	v_lshrrev_b32_e32 v110, 16, v109
	v_min3_f16 v51, v97, v51, v110
	v_min3_f16 v51, v96, v109, v51
	v_cvt_f32_f16_e32 v51, v51
	v_max_f32_e32 v50, v50, v50
	s_and_b64 vcc, exec, s[0:1]
	v_min_f32_e32 v50, v50, v51
	v_cvt_f16_f32_e32 v96, v50
	v_lshl_add_u64 v[50:51], v[32:33], 1, v[48:49]
	global_store_short v[50:51], v96, off
	v_mov_b32_e32 v50, 0
	v_mov_b32_e32 v51, 0
	s_cbranch_vccnz .LBB259_32
; %bb.31:
	v_lshl_add_u64 v[96:97], v[34:35], 1, v[46:47]
	global_load_ushort v51, v[96:97], off
	s_waitcnt vmcnt(0)
	v_mul_f16_e32 v51, s17, v51
	v_cvt_f32_f16_e32 v51, v51
.LBB259_32:
	v_pk_add_f16 v96, v10, v20
	v_max_f16_e32 v97, v108, v108
	v_pk_add_f16 v109, v11, v21
	v_min_f16_e32 v97, v97, v96
	v_lshrrev_b32_e32 v108, 16, v108
	v_lshrrev_b32_e32 v96, 16, v96
	v_lshrrev_b32_e32 v110, 16, v109
	v_min3_f16 v96, v108, v96, v110
	v_min3_f16 v96, v97, v109, v96
	v_cvt_f32_f16_e32 v96, v96
	v_max_f32_e32 v51, v51, v51
	s_and_b64 vcc, exec, s[0:1]
	v_min_f32_e32 v51, v51, v96
	v_cvt_f16_f32_e32 v51, v51
	v_lshl_add_u64 v[96:97], v[34:35], 1, v[48:49]
	global_store_short v[96:97], v51, off
	s_cbranch_vccnz .LBB259_34
; %bb.33:
	v_lshl_add_u64 v[50:51], v[36:37], 1, v[46:47]
	global_load_ushort v50, v[50:51], off
	s_waitcnt vmcnt(0)
	v_mul_f16_e32 v50, s17, v50
	v_cvt_f32_f16_e32 v50, v50
.LBB259_34:
	v_pk_add_f16 v51, v4, v20
	v_max_f16_e32 v96, v107, v107
	v_lshrrev_b32_e32 v97, 16, v107
	v_pk_add_f16 v107, v5, v21
	v_min_f16_e32 v96, v96, v51
	v_lshrrev_b32_e32 v51, 16, v51
	v_lshrrev_b32_e32 v108, 16, v107
	v_min3_f16 v51, v97, v51, v108
	v_min3_f16 v51, v96, v107, v51
	v_cvt_f32_f16_e32 v51, v51
	v_max_f32_e32 v50, v50, v50
	s_and_b64 vcc, exec, s[0:1]
	v_min_f32_e32 v50, v50, v51
	v_cvt_f16_f32_e32 v96, v50
	v_lshl_add_u64 v[50:51], v[36:37], 1, v[48:49]
	global_store_short v[50:51], v96, off
	v_mov_b32_e32 v50, 0
	v_mov_b32_e32 v51, 0
	s_cbranch_vccnz .LBB259_36
; %bb.35:
	v_lshl_add_u64 v[96:97], v[40:41], 1, v[46:47]
	global_load_ushort v51, v[96:97], off
	s_waitcnt vmcnt(0)
	v_mul_f16_e32 v51, s17, v51
	v_cvt_f32_f16_e32 v51, v51
.LBB259_36:
	v_pk_add_f16 v96, v6, v20
	v_max_f16_e32 v97, v106, v106
	v_pk_add_f16 v107, v7, v21
	v_min_f16_e32 v97, v97, v96
	v_lshrrev_b32_e32 v106, 16, v106
	v_lshrrev_b32_e32 v96, 16, v96
	v_lshrrev_b32_e32 v108, 16, v107
	v_min3_f16 v96, v106, v96, v108
	v_min3_f16 v96, v97, v107, v96
	v_cvt_f32_f16_e32 v96, v96
	v_max_f32_e32 v51, v51, v51
	s_and_b64 vcc, exec, s[0:1]
	v_min_f32_e32 v51, v51, v96
	v_cvt_f16_f32_e32 v51, v51
	v_lshl_add_u64 v[96:97], v[40:41], 1, v[48:49]
	;; [unrolled: 50-line block ×3, first 2 shown]
	global_store_short v[96:97], v51, off
	s_cbranch_vccnz .LBB259_42
; %bb.41:
	v_lshl_add_u64 v[46:47], v[44:45], 1, v[46:47]
	global_load_ushort v46, v[46:47], off
	s_waitcnt vmcnt(0)
	v_mul_f16_e32 v46, s17, v46
	v_cvt_f32_f16_e32 v50, v46
.LBB259_42:
	v_pk_add_f16 v20, v24, v20
	v_max_f16_e32 v46, v103, v103
	v_pk_add_f16 v21, v25, v21
	v_min_f16_e32 v46, v46, v20
	v_lshrrev_b32_e32 v47, 16, v103
	v_lshrrev_b32_e32 v20, 16, v20
	v_lshrrev_b32_e32 v51, 16, v21
	v_min3_f16 v20, v47, v20, v51
	v_min3_f16 v20, v46, v21, v20
	v_cvt_f32_f16_e32 v20, v20
	v_max_f32_e32 v21, v50, v50
	s_and_b64 vcc, exec, s[0:1]
	v_mov_b32_e32 v47, 0
	v_min_f32_e32 v20, v21, v20
	v_cvt_f16_f32_e32 v46, v20
	v_lshl_add_u64 v[20:21], v[44:45], 1, v[48:49]
	v_mov_b32_e32 v48, 0
	global_store_short v[20:21], v46, off
	v_add_u32_e32 v46, 16, v95
	v_mad_i64_i32 v[20:21], s[6:7], v46, s8, 0
	v_lshl_add_u64 v[20:21], v[20:21], 1, s[12:13]
	s_cbranch_vccnz .LBB259_44
; %bb.43:
	v_lshl_add_u64 v[50:51], v[28:29], 1, v[20:21]
	global_load_ushort v47, v[50:51], off
	s_waitcnt vmcnt(0)
	v_mul_f16_e32 v47, s17, v47
	v_cvt_f32_f16_e32 v47, v47
.LBB259_44:
	v_pk_add_f16 v49, v30, v22
	v_max_f16_e32 v50, v102, v102
	v_pk_add_f16 v96, v31, v23
	v_min_f16_e32 v50, v50, v49
	v_lshrrev_b32_e32 v51, 16, v102
	v_lshrrev_b32_e32 v49, 16, v49
	;; [unrolled: 1-line block ×3, first 2 shown]
	v_min3_f16 v49, v51, v49, v97
	v_min3_f16 v49, v50, v96, v49
	v_cvt_f32_f16_e32 v49, v49
	v_mad_i64_i32 v[50:51], s[6:7], v46, s9, 0
	v_max_f32_e32 v46, v47, v47
	v_min_f32_e32 v46, v46, v49
	v_cvt_f16_f32_e32 v49, v46
	v_lshl_add_u64 v[46:47], v[50:51], 1, s[2:3]
	v_lshl_add_u64 v[50:51], v[28:29], 1, v[46:47]
	s_and_b64 vcc, exec, s[0:1]
	global_store_short v[50:51], v49, off
	s_cbranch_vccnz .LBB259_46
; %bb.45:
	v_lshl_add_u64 v[48:49], v[32:33], 1, v[20:21]
	global_load_ushort v48, v[48:49], off
	s_waitcnt vmcnt(0)
	v_mul_f16_e32 v48, s17, v48
	v_cvt_f32_f16_e32 v48, v48
.LBB259_46:
	v_pk_add_f16 v49, v8, v22
	v_max_f16_e32 v50, v101, v101
	v_pk_add_f16 v96, v9, v23
	v_min_f16_e32 v50, v50, v49
	v_lshrrev_b32_e32 v51, 16, v101
	v_lshrrev_b32_e32 v49, 16, v49
	;; [unrolled: 1-line block ×3, first 2 shown]
	v_min3_f16 v49, v51, v49, v97
	v_min3_f16 v49, v50, v96, v49
	v_cvt_f32_f16_e32 v49, v49
	v_max_f32_e32 v48, v48, v48
	s_and_b64 vcc, exec, s[0:1]
	v_min_f32_e32 v48, v48, v49
	v_cvt_f16_f32_e32 v50, v48
	v_lshl_add_u64 v[48:49], v[32:33], 1, v[46:47]
	global_store_short v[48:49], v50, off
	v_mov_b32_e32 v48, 0
	v_mov_b32_e32 v49, 0
	s_cbranch_vccnz .LBB259_48
; %bb.47:
	v_lshl_add_u64 v[50:51], v[34:35], 1, v[20:21]
	global_load_ushort v49, v[50:51], off
	s_waitcnt vmcnt(0)
	v_mul_f16_e32 v49, s17, v49
	v_cvt_f32_f16_e32 v49, v49
.LBB259_48:
	v_pk_add_f16 v50, v10, v22
	v_max_f16_e32 v51, v100, v100
	v_pk_add_f16 v97, v11, v23
	v_min_f16_e32 v51, v51, v50
	v_lshrrev_b32_e32 v96, 16, v100
	v_lshrrev_b32_e32 v50, 16, v50
	;; [unrolled: 1-line block ×3, first 2 shown]
	v_min3_f16 v50, v96, v50, v100
	v_min3_f16 v50, v51, v97, v50
	v_cvt_f32_f16_e32 v50, v50
	v_max_f32_e32 v49, v49, v49
	s_and_b64 vcc, exec, s[0:1]
	v_min_f32_e32 v49, v49, v50
	v_cvt_f16_f32_e32 v49, v49
	v_lshl_add_u64 v[50:51], v[34:35], 1, v[46:47]
	global_store_short v[50:51], v49, off
	s_cbranch_vccnz .LBB259_50
; %bb.49:
	v_lshl_add_u64 v[48:49], v[36:37], 1, v[20:21]
	global_load_ushort v48, v[48:49], off
	s_waitcnt vmcnt(0)
	v_mul_f16_e32 v48, s17, v48
	v_cvt_f32_f16_e32 v48, v48
.LBB259_50:
	v_pk_add_f16 v49, v4, v22
	v_max_f16_e32 v50, v99, v99
	v_pk_add_f16 v96, v5, v23
	v_min_f16_e32 v50, v50, v49
	v_lshrrev_b32_e32 v51, 16, v99
	v_lshrrev_b32_e32 v49, 16, v49
	;; [unrolled: 1-line block ×3, first 2 shown]
	v_min3_f16 v49, v51, v49, v97
	v_min3_f16 v49, v50, v96, v49
	v_cvt_f32_f16_e32 v49, v49
	v_max_f32_e32 v48, v48, v48
	s_and_b64 vcc, exec, s[0:1]
	v_min_f32_e32 v48, v48, v49
	v_cvt_f16_f32_e32 v50, v48
	v_lshl_add_u64 v[48:49], v[36:37], 1, v[46:47]
	global_store_short v[48:49], v50, off
	v_mov_b32_e32 v48, 0
	v_mov_b32_e32 v49, 0
	s_cbranch_vccnz .LBB259_52
; %bb.51:
	v_lshl_add_u64 v[50:51], v[40:41], 1, v[20:21]
	global_load_ushort v49, v[50:51], off
	s_waitcnt vmcnt(0)
	v_mul_f16_e32 v49, s17, v49
	v_cvt_f32_f16_e32 v49, v49
.LBB259_52:
	v_pk_add_f16 v50, v6, v22
	v_max_f16_e32 v51, v98, v98
	v_pk_add_f16 v97, v7, v23
	v_min_f16_e32 v51, v51, v50
	v_lshrrev_b32_e32 v96, 16, v98
	v_lshrrev_b32_e32 v50, 16, v50
	;; [unrolled: 1-line block ×3, first 2 shown]
	v_min3_f16 v50, v96, v50, v98
	v_min3_f16 v50, v51, v97, v50
	v_cvt_f32_f16_e32 v50, v50
	v_max_f32_e32 v49, v49, v49
	s_and_b64 vcc, exec, s[0:1]
	v_min_f32_e32 v49, v49, v50
	v_cvt_f16_f32_e32 v49, v49
	v_lshl_add_u64 v[50:51], v[40:41], 1, v[46:47]
	global_store_short v[50:51], v49, off
	s_cbranch_vccnz .LBB259_54
; %bb.53:
	v_lshl_add_u64 v[48:49], v[38:39], 1, v[20:21]
	global_load_ushort v48, v[48:49], off
	s_waitcnt vmcnt(0)
	v_mul_f16_e32 v48, s17, v48
	v_cvt_f32_f16_e32 v48, v48
.LBB259_54:
	v_pk_add_f16 v49, v0, v22
	v_max_f16_e32 v50, v94, v94
	v_lshrrev_b32_e32 v51, 16, v94
	v_pk_add_f16 v94, v1, v23
	v_min_f16_e32 v50, v50, v49
	v_lshrrev_b32_e32 v49, 16, v49
	v_lshrrev_b32_e32 v96, 16, v94
	v_min3_f16 v49, v51, v49, v96
	v_min3_f16 v49, v50, v94, v49
	v_cvt_f32_f16_e32 v49, v49
	v_max_f32_e32 v48, v48, v48
	s_and_b64 vcc, exec, s[0:1]
	v_min_f32_e32 v48, v48, v49
	v_cvt_f16_f32_e32 v50, v48
	v_lshl_add_u64 v[48:49], v[38:39], 1, v[46:47]
	global_store_short v[48:49], v50, off
	v_mov_b32_e32 v48, 0
	v_mov_b32_e32 v49, 0
	s_cbranch_vccnz .LBB259_56
; %bb.55:
	v_lshl_add_u64 v[50:51], v[42:43], 1, v[20:21]
	global_load_ushort v49, v[50:51], off
	s_waitcnt vmcnt(0)
	v_mul_f16_e32 v49, s17, v49
	v_cvt_f32_f16_e32 v49, v49
.LBB259_56:
	v_pk_add_f16 v50, v2, v22
	v_max_f16_e32 v51, v93, v93
	v_pk_add_f16 v94, v3, v23
	v_min_f16_e32 v51, v51, v50
	v_lshrrev_b32_e32 v93, 16, v93
	v_lshrrev_b32_e32 v50, 16, v50
	;; [unrolled: 1-line block ×3, first 2 shown]
	v_min3_f16 v50, v93, v50, v96
	v_min3_f16 v50, v51, v94, v50
	v_cvt_f32_f16_e32 v50, v50
	v_max_f32_e32 v49, v49, v49
	s_and_b64 vcc, exec, s[0:1]
	v_min_f32_e32 v49, v49, v50
	v_cvt_f16_f32_e32 v49, v49
	v_lshl_add_u64 v[50:51], v[42:43], 1, v[46:47]
	global_store_short v[50:51], v49, off
	s_cbranch_vccnz .LBB259_58
; %bb.57:
	v_lshl_add_u64 v[20:21], v[44:45], 1, v[20:21]
	global_load_ushort v20, v[20:21], off
	s_waitcnt vmcnt(0)
	v_mul_f16_e32 v20, s17, v20
	v_cvt_f32_f16_e32 v48, v20
.LBB259_58:
	v_pk_add_f16 v20, v24, v22
	v_max_f16_e32 v21, v92, v92
	v_pk_add_f16 v23, v25, v23
	v_min_f16_e32 v21, v21, v20
	v_lshrrev_b32_e32 v22, 16, v92
	v_lshrrev_b32_e32 v20, 16, v20
	;; [unrolled: 1-line block ×3, first 2 shown]
	v_min3_f16 v20, v22, v20, v49
	v_min3_f16 v20, v21, v23, v20
	v_cvt_f32_f16_e32 v20, v20
	v_max_f32_e32 v21, v48, v48
	s_and_b64 vcc, exec, s[0:1]
	v_mov_b32_e32 v23, 0
	v_min_f32_e32 v20, v21, v20
	v_cvt_f16_f32_e32 v22, v20
	v_lshl_add_u64 v[20:21], v[44:45], 1, v[46:47]
	v_mov_b32_e32 v46, 0
	global_store_short v[20:21], v22, off
	v_add_u32_e32 v22, 24, v95
	v_mad_i64_i32 v[20:21], s[6:7], v22, s8, 0
	v_lshl_add_u64 v[20:21], v[20:21], 1, s[12:13]
	s_cbranch_vccnz .LBB259_60
; %bb.59:
	v_lshl_add_u64 v[48:49], v[28:29], 1, v[20:21]
	global_load_ushort v23, v[48:49], off
	s_waitcnt vmcnt(0)
	v_mul_f16_e32 v23, s17, v23
	v_cvt_f32_f16_e32 v23, v23
.LBB259_60:
	v_pk_add_f16 v47, v30, v16
	v_max_f16_e32 v48, v91, v91
	v_pk_add_f16 v50, v31, v17
	v_min_f16_e32 v48, v48, v47
	v_lshrrev_b32_e32 v49, 16, v91
	v_lshrrev_b32_e32 v47, 16, v47
	;; [unrolled: 1-line block ×3, first 2 shown]
	v_min3_f16 v47, v49, v47, v51
	v_min3_f16 v47, v48, v50, v47
	v_cvt_f32_f16_e32 v47, v47
	v_mad_i64_i32 v[48:49], s[6:7], v22, s9, 0
	v_max_f32_e32 v22, v23, v23
	v_min_f32_e32 v22, v22, v47
	v_cvt_f16_f32_e32 v47, v22
	v_lshl_add_u64 v[22:23], v[48:49], 1, s[2:3]
	v_lshl_add_u64 v[48:49], v[28:29], 1, v[22:23]
	s_and_b64 vcc, exec, s[0:1]
	global_store_short v[48:49], v47, off
	s_cbranch_vccnz .LBB259_62
; %bb.61:
	v_lshl_add_u64 v[46:47], v[32:33], 1, v[20:21]
	global_load_ushort v46, v[46:47], off
	s_waitcnt vmcnt(0)
	v_mul_f16_e32 v46, s17, v46
	v_cvt_f32_f16_e32 v46, v46
.LBB259_62:
	v_pk_add_f16 v47, v8, v16
	v_max_f16_e32 v48, v90, v90
	v_pk_add_f16 v50, v9, v17
	v_min_f16_e32 v48, v48, v47
	v_lshrrev_b32_e32 v49, 16, v90
	v_lshrrev_b32_e32 v47, 16, v47
	v_lshrrev_b32_e32 v51, 16, v50
	v_min3_f16 v47, v49, v47, v51
	v_min3_f16 v47, v48, v50, v47
	v_cvt_f32_f16_e32 v47, v47
	v_max_f32_e32 v46, v46, v46
	s_and_b64 vcc, exec, s[0:1]
	v_min_f32_e32 v46, v46, v47
	v_cvt_f16_f32_e32 v48, v46
	v_lshl_add_u64 v[46:47], v[32:33], 1, v[22:23]
	global_store_short v[46:47], v48, off
	v_mov_b32_e32 v46, 0
	v_mov_b32_e32 v47, 0
	s_cbranch_vccnz .LBB259_64
; %bb.63:
	v_lshl_add_u64 v[48:49], v[34:35], 1, v[20:21]
	global_load_ushort v47, v[48:49], off
	s_waitcnt vmcnt(0)
	v_mul_f16_e32 v47, s17, v47
	v_cvt_f32_f16_e32 v47, v47
.LBB259_64:
	v_pk_add_f16 v48, v10, v16
	v_max_f16_e32 v49, v89, v89
	v_pk_add_f16 v51, v11, v17
	v_min_f16_e32 v49, v49, v48
	v_lshrrev_b32_e32 v50, 16, v89
	v_lshrrev_b32_e32 v48, 16, v48
	v_lshrrev_b32_e32 v89, 16, v51
	v_min3_f16 v48, v50, v48, v89
	v_min3_f16 v48, v49, v51, v48
	v_cvt_f32_f16_e32 v48, v48
	v_max_f32_e32 v47, v47, v47
	s_and_b64 vcc, exec, s[0:1]
	v_min_f32_e32 v47, v47, v48
	v_cvt_f16_f32_e32 v47, v47
	v_lshl_add_u64 v[48:49], v[34:35], 1, v[22:23]
	global_store_short v[48:49], v47, off
	s_cbranch_vccnz .LBB259_66
; %bb.65:
	v_lshl_add_u64 v[46:47], v[36:37], 1, v[20:21]
	global_load_ushort v46, v[46:47], off
	s_waitcnt vmcnt(0)
	v_mul_f16_e32 v46, s17, v46
	v_cvt_f32_f16_e32 v46, v46
.LBB259_66:
	v_pk_add_f16 v47, v4, v16
	v_max_f16_e32 v48, v88, v88
	v_pk_add_f16 v50, v5, v17
	v_min_f16_e32 v48, v48, v47
	v_lshrrev_b32_e32 v49, 16, v88
	v_lshrrev_b32_e32 v47, 16, v47
	v_lshrrev_b32_e32 v51, 16, v50
	v_min3_f16 v47, v49, v47, v51
	v_min3_f16 v47, v48, v50, v47
	v_cvt_f32_f16_e32 v47, v47
	v_max_f32_e32 v46, v46, v46
	s_and_b64 vcc, exec, s[0:1]
	v_min_f32_e32 v46, v46, v47
	v_cvt_f16_f32_e32 v48, v46
	v_lshl_add_u64 v[46:47], v[36:37], 1, v[22:23]
	global_store_short v[46:47], v48, off
	v_mov_b32_e32 v46, 0
	v_mov_b32_e32 v47, 0
	s_cbranch_vccnz .LBB259_68
; %bb.67:
	v_lshl_add_u64 v[48:49], v[40:41], 1, v[20:21]
	global_load_ushort v47, v[48:49], off
	s_waitcnt vmcnt(0)
	v_mul_f16_e32 v47, s17, v47
	v_cvt_f32_f16_e32 v47, v47
.LBB259_68:
	v_pk_add_f16 v48, v6, v16
	v_max_f16_e32 v49, v87, v87
	v_pk_add_f16 v51, v7, v17
	v_min_f16_e32 v49, v49, v48
	v_lshrrev_b32_e32 v50, 16, v87
	v_lshrrev_b32_e32 v48, 16, v48
	v_lshrrev_b32_e32 v87, 16, v51
	v_min3_f16 v48, v50, v48, v87
	v_min3_f16 v48, v49, v51, v48
	v_cvt_f32_f16_e32 v48, v48
	v_max_f32_e32 v47, v47, v47
	s_and_b64 vcc, exec, s[0:1]
	v_min_f32_e32 v47, v47, v48
	v_cvt_f16_f32_e32 v47, v47
	v_lshl_add_u64 v[48:49], v[40:41], 1, v[22:23]
	;; [unrolled: 50-line block ×3, first 2 shown]
	global_store_short v[48:49], v47, off
	s_cbranch_vccnz .LBB259_74
; %bb.73:
	v_lshl_add_u64 v[20:21], v[44:45], 1, v[20:21]
	global_load_ushort v20, v[20:21], off
	s_waitcnt vmcnt(0)
	v_mul_f16_e32 v20, s17, v20
	v_cvt_f32_f16_e32 v46, v20
.LBB259_74:
	v_pk_add_f16 v16, v24, v16
	v_max_f16_e32 v20, v84, v84
	v_pk_add_f16 v17, v25, v17
	v_min_f16_e32 v20, v20, v16
	v_lshrrev_b32_e32 v21, 16, v84
	v_lshrrev_b32_e32 v16, 16, v16
	;; [unrolled: 1-line block ×3, first 2 shown]
	v_min3_f16 v16, v21, v16, v47
	v_min3_f16 v16, v20, v17, v16
	v_cvt_f32_f16_e32 v16, v16
	v_max_f32_e32 v17, v46, v46
	s_and_b64 vcc, exec, s[0:1]
	v_mov_b32_e32 v21, 0
	v_min_f32_e32 v16, v17, v16
	v_cvt_f16_f32_e32 v20, v16
	v_lshl_add_u64 v[16:17], v[44:45], 1, v[22:23]
	v_mov_b32_e32 v22, 0
	global_store_short v[16:17], v20, off
	v_add_u32_e32 v20, 32, v95
	v_mad_i64_i32 v[16:17], s[6:7], v20, s8, 0
	v_lshl_add_u64 v[16:17], v[16:17], 1, s[12:13]
	s_cbranch_vccnz .LBB259_76
; %bb.75:
	v_lshl_add_u64 v[46:47], v[28:29], 1, v[16:17]
	global_load_ushort v21, v[46:47], off
	s_waitcnt vmcnt(0)
	v_mul_f16_e32 v21, s17, v21
	v_cvt_f32_f16_e32 v21, v21
.LBB259_76:
	v_pk_add_f16 v23, v30, v18
	v_max_f16_e32 v46, v83, v83
	v_pk_add_f16 v48, v31, v19
	v_min_f16_e32 v46, v46, v23
	v_lshrrev_b32_e32 v47, 16, v83
	v_lshrrev_b32_e32 v23, 16, v23
	v_lshrrev_b32_e32 v49, 16, v48
	v_min3_f16 v23, v47, v23, v49
	v_min3_f16 v23, v46, v48, v23
	v_cvt_f32_f16_e32 v23, v23
	v_mad_i64_i32 v[46:47], s[6:7], v20, s9, 0
	v_max_f32_e32 v20, v21, v21
	v_min_f32_e32 v20, v20, v23
	v_cvt_f16_f32_e32 v23, v20
	v_lshl_add_u64 v[20:21], v[46:47], 1, s[2:3]
	v_lshl_add_u64 v[46:47], v[28:29], 1, v[20:21]
	s_and_b64 vcc, exec, s[0:1]
	global_store_short v[46:47], v23, off
	s_cbranch_vccnz .LBB259_78
; %bb.77:
	v_lshl_add_u64 v[22:23], v[32:33], 1, v[16:17]
	global_load_ushort v22, v[22:23], off
	s_waitcnt vmcnt(0)
	v_mul_f16_e32 v22, s17, v22
	v_cvt_f32_f16_e32 v22, v22
.LBB259_78:
	v_pk_add_f16 v23, v8, v18
	v_max_f16_e32 v46, v82, v82
	v_pk_add_f16 v48, v9, v19
	v_min_f16_e32 v46, v46, v23
	v_lshrrev_b32_e32 v47, 16, v82
	v_lshrrev_b32_e32 v23, 16, v23
	v_lshrrev_b32_e32 v49, 16, v48
	v_min3_f16 v23, v47, v23, v49
	v_min3_f16 v23, v46, v48, v23
	v_cvt_f32_f16_e32 v23, v23
	v_max_f32_e32 v22, v22, v22
	s_and_b64 vcc, exec, s[0:1]
	v_min_f32_e32 v22, v22, v23
	v_cvt_f16_f32_e32 v46, v22
	v_lshl_add_u64 v[22:23], v[32:33], 1, v[20:21]
	global_store_short v[22:23], v46, off
	v_mov_b32_e32 v22, 0
	v_mov_b32_e32 v23, 0
	s_cbranch_vccnz .LBB259_80
; %bb.79:
	v_lshl_add_u64 v[46:47], v[34:35], 1, v[16:17]
	global_load_ushort v23, v[46:47], off
	s_waitcnt vmcnt(0)
	v_mul_f16_e32 v23, s17, v23
	v_cvt_f32_f16_e32 v23, v23
.LBB259_80:
	v_pk_add_f16 v46, v10, v18
	v_max_f16_e32 v47, v81, v81
	v_pk_add_f16 v49, v11, v19
	v_min_f16_e32 v47, v47, v46
	v_lshrrev_b32_e32 v48, 16, v81
	v_lshrrev_b32_e32 v46, 16, v46
	v_lshrrev_b32_e32 v50, 16, v49
	v_min3_f16 v46, v48, v46, v50
	v_min3_f16 v46, v47, v49, v46
	v_cvt_f32_f16_e32 v46, v46
	v_max_f32_e32 v23, v23, v23
	s_and_b64 vcc, exec, s[0:1]
	v_min_f32_e32 v23, v23, v46
	v_cvt_f16_f32_e32 v23, v23
	v_lshl_add_u64 v[46:47], v[34:35], 1, v[20:21]
	global_store_short v[46:47], v23, off
	s_cbranch_vccnz .LBB259_82
; %bb.81:
	v_lshl_add_u64 v[22:23], v[36:37], 1, v[16:17]
	global_load_ushort v22, v[22:23], off
	s_waitcnt vmcnt(0)
	v_mul_f16_e32 v22, s17, v22
	v_cvt_f32_f16_e32 v22, v22
.LBB259_82:
	v_pk_add_f16 v23, v4, v18
	v_max_f16_e32 v46, v80, v80
	v_pk_add_f16 v48, v5, v19
	v_min_f16_e32 v46, v46, v23
	v_lshrrev_b32_e32 v47, 16, v80
	v_lshrrev_b32_e32 v23, 16, v23
	v_lshrrev_b32_e32 v49, 16, v48
	v_min3_f16 v23, v47, v23, v49
	v_min3_f16 v23, v46, v48, v23
	v_cvt_f32_f16_e32 v23, v23
	v_max_f32_e32 v22, v22, v22
	s_and_b64 vcc, exec, s[0:1]
	v_min_f32_e32 v22, v22, v23
	v_cvt_f16_f32_e32 v46, v22
	v_lshl_add_u64 v[22:23], v[36:37], 1, v[20:21]
	global_store_short v[22:23], v46, off
	v_mov_b32_e32 v22, 0
	v_mov_b32_e32 v23, 0
	s_cbranch_vccnz .LBB259_84
; %bb.83:
	v_lshl_add_u64 v[46:47], v[40:41], 1, v[16:17]
	global_load_ushort v23, v[46:47], off
	s_waitcnt vmcnt(0)
	v_mul_f16_e32 v23, s17, v23
	v_cvt_f32_f16_e32 v23, v23
.LBB259_84:
	v_pk_add_f16 v46, v6, v18
	v_max_f16_e32 v47, v79, v79
	v_pk_add_f16 v49, v7, v19
	v_min_f16_e32 v47, v47, v46
	v_lshrrev_b32_e32 v48, 16, v79
	v_lshrrev_b32_e32 v46, 16, v46
	v_lshrrev_b32_e32 v50, 16, v49
	v_min3_f16 v46, v48, v46, v50
	v_min3_f16 v46, v47, v49, v46
	v_cvt_f32_f16_e32 v46, v46
	v_max_f32_e32 v23, v23, v23
	s_and_b64 vcc, exec, s[0:1]
	v_min_f32_e32 v23, v23, v46
	v_cvt_f16_f32_e32 v23, v23
	v_lshl_add_u64 v[46:47], v[40:41], 1, v[20:21]
	;; [unrolled: 50-line block ×3, first 2 shown]
	global_store_short v[46:47], v23, off
	s_cbranch_vccnz .LBB259_90
; %bb.89:
	v_lshl_add_u64 v[16:17], v[44:45], 1, v[16:17]
	global_load_ushort v16, v[16:17], off
	s_waitcnt vmcnt(0)
	v_mul_f16_e32 v16, s17, v16
	v_cvt_f32_f16_e32 v22, v16
.LBB259_90:
	v_pk_add_f16 v16, v24, v18
	v_max_f16_e32 v17, v76, v76
	v_pk_add_f16 v19, v25, v19
	v_min_f16_e32 v17, v17, v16
	v_lshrrev_b32_e32 v18, 16, v76
	v_lshrrev_b32_e32 v16, 16, v16
	;; [unrolled: 1-line block ×3, first 2 shown]
	v_min3_f16 v16, v18, v16, v23
	v_min3_f16 v16, v17, v19, v16
	v_cvt_f32_f16_e32 v16, v16
	v_max_f32_e32 v17, v22, v22
	s_and_b64 vcc, exec, s[0:1]
	v_mov_b32_e32 v19, 0
	v_min_f32_e32 v16, v17, v16
	v_cvt_f16_f32_e32 v18, v16
	v_lshl_add_u64 v[16:17], v[44:45], 1, v[20:21]
	v_mov_b32_e32 v20, 0
	global_store_short v[16:17], v18, off
	v_add_u32_e32 v18, 40, v95
	v_mad_i64_i32 v[16:17], s[6:7], v18, s8, 0
	v_lshl_add_u64 v[16:17], v[16:17], 1, s[12:13]
	s_cbranch_vccnz .LBB259_92
; %bb.91:
	v_lshl_add_u64 v[22:23], v[28:29], 1, v[16:17]
	global_load_ushort v19, v[22:23], off
	s_waitcnt vmcnt(0)
	v_mul_f16_e32 v19, s17, v19
	v_cvt_f32_f16_e32 v19, v19
.LBB259_92:
	v_pk_add_f16 v21, v30, v12
	v_max_f16_e32 v22, v75, v75
	v_pk_add_f16 v46, v31, v13
	v_min_f16_e32 v22, v22, v21
	v_lshrrev_b32_e32 v23, 16, v75
	v_lshrrev_b32_e32 v21, 16, v21
	;; [unrolled: 1-line block ×3, first 2 shown]
	v_min3_f16 v21, v23, v21, v47
	v_min3_f16 v21, v22, v46, v21
	v_cvt_f32_f16_e32 v21, v21
	v_mad_i64_i32 v[22:23], s[6:7], v18, s9, 0
	v_max_f32_e32 v18, v19, v19
	v_min_f32_e32 v18, v18, v21
	v_cvt_f16_f32_e32 v21, v18
	v_lshl_add_u64 v[18:19], v[22:23], 1, s[2:3]
	v_lshl_add_u64 v[22:23], v[28:29], 1, v[18:19]
	s_and_b64 vcc, exec, s[0:1]
	global_store_short v[22:23], v21, off
	s_cbranch_vccnz .LBB259_94
; %bb.93:
	v_lshl_add_u64 v[20:21], v[32:33], 1, v[16:17]
	global_load_ushort v20, v[20:21], off
	s_waitcnt vmcnt(0)
	v_mul_f16_e32 v20, s17, v20
	v_cvt_f32_f16_e32 v20, v20
.LBB259_94:
	v_pk_add_f16 v21, v8, v12
	v_max_f16_e32 v22, v74, v74
	v_pk_add_f16 v46, v9, v13
	v_min_f16_e32 v22, v22, v21
	v_lshrrev_b32_e32 v23, 16, v74
	v_lshrrev_b32_e32 v21, 16, v21
	v_lshrrev_b32_e32 v47, 16, v46
	v_min3_f16 v21, v23, v21, v47
	v_min3_f16 v21, v22, v46, v21
	v_cvt_f32_f16_e32 v21, v21
	v_max_f32_e32 v20, v20, v20
	s_and_b64 vcc, exec, s[0:1]
	v_min_f32_e32 v20, v20, v21
	v_cvt_f16_f32_e32 v22, v20
	v_lshl_add_u64 v[20:21], v[32:33], 1, v[18:19]
	global_store_short v[20:21], v22, off
	v_mov_b32_e32 v20, 0
	v_mov_b32_e32 v21, 0
	s_cbranch_vccnz .LBB259_96
; %bb.95:
	v_lshl_add_u64 v[22:23], v[34:35], 1, v[16:17]
	global_load_ushort v21, v[22:23], off
	s_waitcnt vmcnt(0)
	v_mul_f16_e32 v21, s17, v21
	v_cvt_f32_f16_e32 v21, v21
.LBB259_96:
	v_pk_add_f16 v22, v10, v12
	v_max_f16_e32 v23, v73, v73
	v_pk_add_f16 v47, v11, v13
	v_min_f16_e32 v23, v23, v22
	v_lshrrev_b32_e32 v46, 16, v73
	v_lshrrev_b32_e32 v22, 16, v22
	v_lshrrev_b32_e32 v48, 16, v47
	v_min3_f16 v22, v46, v22, v48
	v_min3_f16 v22, v23, v47, v22
	v_cvt_f32_f16_e32 v22, v22
	v_max_f32_e32 v21, v21, v21
	s_and_b64 vcc, exec, s[0:1]
	v_min_f32_e32 v21, v21, v22
	v_cvt_f16_f32_e32 v21, v21
	v_lshl_add_u64 v[22:23], v[34:35], 1, v[18:19]
	global_store_short v[22:23], v21, off
	s_cbranch_vccnz .LBB259_98
; %bb.97:
	v_lshl_add_u64 v[20:21], v[36:37], 1, v[16:17]
	global_load_ushort v20, v[20:21], off
	s_waitcnt vmcnt(0)
	v_mul_f16_e32 v20, s17, v20
	v_cvt_f32_f16_e32 v20, v20
.LBB259_98:
	v_pk_add_f16 v21, v4, v12
	v_max_f16_e32 v22, v72, v72
	v_pk_add_f16 v46, v5, v13
	v_min_f16_e32 v22, v22, v21
	v_lshrrev_b32_e32 v23, 16, v72
	v_lshrrev_b32_e32 v21, 16, v21
	v_lshrrev_b32_e32 v47, 16, v46
	v_min3_f16 v21, v23, v21, v47
	v_min3_f16 v21, v22, v46, v21
	v_cvt_f32_f16_e32 v21, v21
	v_max_f32_e32 v20, v20, v20
	s_and_b64 vcc, exec, s[0:1]
	v_min_f32_e32 v20, v20, v21
	v_cvt_f16_f32_e32 v22, v20
	v_lshl_add_u64 v[20:21], v[36:37], 1, v[18:19]
	global_store_short v[20:21], v22, off
	v_mov_b32_e32 v20, 0
	v_mov_b32_e32 v21, 0
	s_cbranch_vccnz .LBB259_100
; %bb.99:
	v_lshl_add_u64 v[22:23], v[40:41], 1, v[16:17]
	global_load_ushort v21, v[22:23], off
	s_waitcnt vmcnt(0)
	v_mul_f16_e32 v21, s17, v21
	v_cvt_f32_f16_e32 v21, v21
.LBB259_100:
	v_pk_add_f16 v22, v6, v12
	v_max_f16_e32 v23, v71, v71
	v_pk_add_f16 v47, v7, v13
	v_min_f16_e32 v23, v23, v22
	v_lshrrev_b32_e32 v46, 16, v71
	v_lshrrev_b32_e32 v22, 16, v22
	v_lshrrev_b32_e32 v48, 16, v47
	v_min3_f16 v22, v46, v22, v48
	v_min3_f16 v22, v23, v47, v22
	v_cvt_f32_f16_e32 v22, v22
	v_max_f32_e32 v21, v21, v21
	s_and_b64 vcc, exec, s[0:1]
	v_min_f32_e32 v21, v21, v22
	v_cvt_f16_f32_e32 v21, v21
	v_lshl_add_u64 v[22:23], v[40:41], 1, v[18:19]
	;; [unrolled: 50-line block ×3, first 2 shown]
	global_store_short v[22:23], v21, off
	s_cbranch_vccnz .LBB259_106
; %bb.105:
	v_lshl_add_u64 v[16:17], v[44:45], 1, v[16:17]
	global_load_ushort v16, v[16:17], off
	s_waitcnt vmcnt(0)
	v_mul_f16_e32 v16, s17, v16
	v_cvt_f32_f16_e32 v20, v16
.LBB259_106:
	v_pk_add_f16 v12, v24, v12
	v_max_f16_e32 v16, v68, v68
	v_pk_add_f16 v13, v25, v13
	v_min_f16_e32 v16, v16, v12
	v_lshrrev_b32_e32 v17, 16, v68
	v_lshrrev_b32_e32 v12, 16, v12
	v_lshrrev_b32_e32 v21, 16, v13
	v_min3_f16 v12, v17, v12, v21
	v_min3_f16 v12, v16, v13, v12
	v_cvt_f32_f16_e32 v12, v12
	v_max_f32_e32 v13, v20, v20
	s_and_b64 vcc, exec, s[0:1]
	v_mov_b32_e32 v17, 0
	v_min_f32_e32 v12, v13, v12
	v_cvt_f16_f32_e32 v16, v12
	v_lshl_add_u64 v[12:13], v[44:45], 1, v[18:19]
	v_mov_b32_e32 v18, 0
	global_store_short v[12:13], v16, off
	v_add_u32_e32 v16, 48, v95
	v_mad_i64_i32 v[12:13], s[6:7], v16, s8, 0
	v_lshl_add_u64 v[12:13], v[12:13], 1, s[12:13]
	s_cbranch_vccnz .LBB259_108
; %bb.107:
	v_lshl_add_u64 v[20:21], v[28:29], 1, v[12:13]
	global_load_ushort v17, v[20:21], off
	s_waitcnt vmcnt(0)
	v_mul_f16_e32 v17, s17, v17
	v_cvt_f32_f16_e32 v17, v17
.LBB259_108:
	v_pk_add_f16 v19, v30, v14
	v_max_f16_e32 v20, v67, v67
	v_pk_add_f16 v22, v31, v15
	v_min_f16_e32 v20, v20, v19
	v_lshrrev_b32_e32 v21, 16, v67
	v_lshrrev_b32_e32 v19, 16, v19
	;; [unrolled: 1-line block ×3, first 2 shown]
	v_min3_f16 v19, v21, v19, v23
	v_min3_f16 v19, v20, v22, v19
	v_cvt_f32_f16_e32 v19, v19
	v_mad_i64_i32 v[20:21], s[6:7], v16, s9, 0
	v_max_f32_e32 v16, v17, v17
	v_min_f32_e32 v16, v16, v19
	v_cvt_f16_f32_e32 v19, v16
	v_lshl_add_u64 v[16:17], v[20:21], 1, s[2:3]
	v_lshl_add_u64 v[20:21], v[28:29], 1, v[16:17]
	s_and_b64 vcc, exec, s[0:1]
	global_store_short v[20:21], v19, off
	s_cbranch_vccnz .LBB259_110
; %bb.109:
	v_lshl_add_u64 v[18:19], v[32:33], 1, v[12:13]
	global_load_ushort v18, v[18:19], off
	s_waitcnt vmcnt(0)
	v_mul_f16_e32 v18, s17, v18
	v_cvt_f32_f16_e32 v18, v18
.LBB259_110:
	v_pk_add_f16 v19, v8, v14
	v_max_f16_e32 v20, v66, v66
	v_pk_add_f16 v22, v9, v15
	v_min_f16_e32 v20, v20, v19
	v_lshrrev_b32_e32 v21, 16, v66
	v_lshrrev_b32_e32 v19, 16, v19
	v_lshrrev_b32_e32 v23, 16, v22
	v_min3_f16 v19, v21, v19, v23
	v_min3_f16 v19, v20, v22, v19
	v_cvt_f32_f16_e32 v19, v19
	v_max_f32_e32 v18, v18, v18
	s_and_b64 vcc, exec, s[0:1]
	v_min_f32_e32 v18, v18, v19
	v_cvt_f16_f32_e32 v20, v18
	v_lshl_add_u64 v[18:19], v[32:33], 1, v[16:17]
	global_store_short v[18:19], v20, off
	v_mov_b32_e32 v18, 0
	v_mov_b32_e32 v19, 0
	s_cbranch_vccnz .LBB259_112
; %bb.111:
	v_lshl_add_u64 v[20:21], v[34:35], 1, v[12:13]
	global_load_ushort v19, v[20:21], off
	s_waitcnt vmcnt(0)
	v_mul_f16_e32 v19, s17, v19
	v_cvt_f32_f16_e32 v19, v19
.LBB259_112:
	v_pk_add_f16 v20, v10, v14
	v_max_f16_e32 v21, v65, v65
	v_pk_add_f16 v23, v11, v15
	v_min_f16_e32 v21, v21, v20
	v_lshrrev_b32_e32 v22, 16, v65
	v_lshrrev_b32_e32 v20, 16, v20
	v_lshrrev_b32_e32 v46, 16, v23
	v_min3_f16 v20, v22, v20, v46
	v_min3_f16 v20, v21, v23, v20
	v_cvt_f32_f16_e32 v20, v20
	v_max_f32_e32 v19, v19, v19
	s_and_b64 vcc, exec, s[0:1]
	v_min_f32_e32 v19, v19, v20
	v_cvt_f16_f32_e32 v19, v19
	v_lshl_add_u64 v[20:21], v[34:35], 1, v[16:17]
	global_store_short v[20:21], v19, off
	s_cbranch_vccnz .LBB259_114
; %bb.113:
	v_lshl_add_u64 v[18:19], v[36:37], 1, v[12:13]
	global_load_ushort v18, v[18:19], off
	s_waitcnt vmcnt(0)
	v_mul_f16_e32 v18, s17, v18
	v_cvt_f32_f16_e32 v18, v18
.LBB259_114:
	v_pk_add_f16 v19, v4, v14
	v_max_f16_e32 v20, v64, v64
	v_pk_add_f16 v22, v5, v15
	v_min_f16_e32 v20, v20, v19
	v_lshrrev_b32_e32 v21, 16, v64
	v_lshrrev_b32_e32 v19, 16, v19
	v_lshrrev_b32_e32 v23, 16, v22
	v_min3_f16 v19, v21, v19, v23
	v_min3_f16 v19, v20, v22, v19
	v_cvt_f32_f16_e32 v19, v19
	v_max_f32_e32 v18, v18, v18
	s_and_b64 vcc, exec, s[0:1]
	v_min_f32_e32 v18, v18, v19
	v_cvt_f16_f32_e32 v20, v18
	v_lshl_add_u64 v[18:19], v[36:37], 1, v[16:17]
	global_store_short v[18:19], v20, off
	v_mov_b32_e32 v18, 0
	v_mov_b32_e32 v19, 0
	s_cbranch_vccnz .LBB259_116
; %bb.115:
	v_lshl_add_u64 v[20:21], v[40:41], 1, v[12:13]
	global_load_ushort v19, v[20:21], off
	s_waitcnt vmcnt(0)
	v_mul_f16_e32 v19, s17, v19
	v_cvt_f32_f16_e32 v19, v19
.LBB259_116:
	v_pk_add_f16 v20, v6, v14
	v_max_f16_e32 v21, v63, v63
	v_pk_add_f16 v23, v7, v15
	v_min_f16_e32 v21, v21, v20
	v_lshrrev_b32_e32 v22, 16, v63
	v_lshrrev_b32_e32 v20, 16, v20
	v_lshrrev_b32_e32 v46, 16, v23
	v_min3_f16 v20, v22, v20, v46
	v_min3_f16 v20, v21, v23, v20
	v_cvt_f32_f16_e32 v20, v20
	v_max_f32_e32 v19, v19, v19
	s_and_b64 vcc, exec, s[0:1]
	v_min_f32_e32 v19, v19, v20
	v_cvt_f16_f32_e32 v19, v19
	v_lshl_add_u64 v[20:21], v[40:41], 1, v[16:17]
	;; [unrolled: 50-line block ×3, first 2 shown]
	global_store_short v[20:21], v19, off
	s_cbranch_vccnz .LBB259_122
; %bb.121:
	v_lshl_add_u64 v[12:13], v[44:45], 1, v[12:13]
	global_load_ushort v12, v[12:13], off
	s_waitcnt vmcnt(0)
	v_mul_f16_e32 v12, s17, v12
	v_cvt_f32_f16_e32 v18, v12
.LBB259_122:
	v_pk_add_f16 v12, v24, v14
	v_max_f16_e32 v13, v60, v60
	v_pk_add_f16 v15, v25, v15
	v_min_f16_e32 v13, v13, v12
	v_lshrrev_b32_e32 v14, 16, v60
	v_lshrrev_b32_e32 v12, 16, v12
	;; [unrolled: 1-line block ×3, first 2 shown]
	v_min3_f16 v12, v14, v12, v19
	v_min3_f16 v12, v13, v15, v12
	v_cvt_f32_f16_e32 v12, v12
	v_max_f32_e32 v13, v18, v18
	s_and_b64 vcc, exec, s[0:1]
	v_mov_b32_e32 v15, 0
	v_min_f32_e32 v12, v13, v12
	v_cvt_f16_f32_e32 v14, v12
	v_lshl_add_u64 v[12:13], v[44:45], 1, v[16:17]
	v_mov_b32_e32 v16, 0
	global_store_short v[12:13], v14, off
	v_add_u32_e32 v14, 56, v95
	v_mad_i64_i32 v[12:13], s[6:7], v14, s8, 0
	v_lshl_add_u64 v[12:13], v[12:13], 1, s[12:13]
	s_cbranch_vccnz .LBB259_124
; %bb.123:
	v_lshl_add_u64 v[18:19], v[28:29], 1, v[12:13]
	global_load_ushort v15, v[18:19], off
	s_waitcnt vmcnt(0)
	v_mul_f16_e32 v15, s17, v15
	v_cvt_f32_f16_e32 v15, v15
.LBB259_124:
	v_pk_add_f16 v17, v30, v26
	v_max_f16_e32 v18, v59, v59
	v_pk_add_f16 v20, v31, v27
	v_min_f16_e32 v18, v18, v17
	v_lshrrev_b32_e32 v19, 16, v59
	v_lshrrev_b32_e32 v17, 16, v17
	;; [unrolled: 1-line block ×3, first 2 shown]
	v_min3_f16 v17, v19, v17, v21
	v_min3_f16 v17, v18, v20, v17
	v_cvt_f32_f16_e32 v17, v17
	v_mad_i64_i32 v[18:19], s[6:7], v14, s9, 0
	v_max_f32_e32 v14, v15, v15
	v_min_f32_e32 v14, v14, v17
	v_cvt_f16_f32_e32 v17, v14
	v_lshl_add_u64 v[14:15], v[18:19], 1, s[2:3]
	v_lshl_add_u64 v[18:19], v[28:29], 1, v[14:15]
	s_and_b64 vcc, exec, s[0:1]
	global_store_short v[18:19], v17, off
	s_cbranch_vccnz .LBB259_126
; %bb.125:
	v_lshl_add_u64 v[16:17], v[32:33], 1, v[12:13]
	global_load_ushort v16, v[16:17], off
	s_waitcnt vmcnt(0)
	v_mul_f16_e32 v16, s17, v16
	v_cvt_f32_f16_e32 v16, v16
.LBB259_126:
	v_pk_add_f16 v8, v8, v26
	v_max_f16_e32 v17, v58, v58
	v_pk_add_f16 v9, v9, v27
	v_min_f16_e32 v17, v17, v8
	v_lshrrev_b32_e32 v18, 16, v58
	v_lshrrev_b32_e32 v8, 16, v8
	;; [unrolled: 1-line block ×3, first 2 shown]
	v_min3_f16 v8, v18, v8, v19
	v_min3_f16 v8, v17, v9, v8
	v_cvt_f32_f16_e32 v8, v8
	v_max_f32_e32 v9, v16, v16
	s_and_b64 vcc, exec, s[0:1]
	v_min_f32_e32 v8, v9, v8
	v_cvt_f16_f32_e32 v16, v8
	v_lshl_add_u64 v[8:9], v[32:33], 1, v[14:15]
	global_store_short v[8:9], v16, off
	v_mov_b32_e32 v8, 0
	v_mov_b32_e32 v9, 0
	s_cbranch_vccnz .LBB259_128
; %bb.127:
	v_lshl_add_u64 v[16:17], v[34:35], 1, v[12:13]
	global_load_ushort v9, v[16:17], off
	s_waitcnt vmcnt(0)
	v_mul_f16_e32 v9, s17, v9
	v_cvt_f32_f16_e32 v9, v9
.LBB259_128:
	v_pk_add_f16 v10, v10, v26
	v_max_f16_e32 v16, v57, v57
	v_pk_add_f16 v11, v11, v27
	v_min_f16_e32 v16, v16, v10
	v_lshrrev_b32_e32 v17, 16, v57
	v_lshrrev_b32_e32 v10, 16, v10
	;; [unrolled: 1-line block ×3, first 2 shown]
	v_min3_f16 v10, v17, v10, v18
	v_min3_f16 v10, v16, v11, v10
	v_cvt_f32_f16_e32 v10, v10
	v_max_f32_e32 v9, v9, v9
	s_and_b64 vcc, exec, s[0:1]
	v_min_f32_e32 v9, v9, v10
	v_cvt_f16_f32_e32 v9, v9
	v_lshl_add_u64 v[10:11], v[34:35], 1, v[14:15]
	global_store_short v[10:11], v9, off
	s_cbranch_vccnz .LBB259_130
; %bb.129:
	v_lshl_add_u64 v[8:9], v[36:37], 1, v[12:13]
	global_load_ushort v8, v[8:9], off
	s_waitcnt vmcnt(0)
	v_mul_f16_e32 v8, s17, v8
	v_cvt_f32_f16_e32 v8, v8
.LBB259_130:
	v_pk_add_f16 v4, v4, v26
	v_max_f16_e32 v9, v56, v56
	v_pk_add_f16 v5, v5, v27
	v_min_f16_e32 v9, v9, v4
	v_lshrrev_b32_e32 v10, 16, v56
	v_lshrrev_b32_e32 v4, 16, v4
	;; [unrolled: 1-line block ×3, first 2 shown]
	v_min3_f16 v4, v10, v4, v11
	v_min3_f16 v4, v9, v5, v4
	v_cvt_f32_f16_e32 v4, v4
	v_max_f32_e32 v5, v8, v8
	s_and_b64 vcc, exec, s[0:1]
	v_min_f32_e32 v4, v5, v4
	v_cvt_f16_f32_e32 v8, v4
	v_lshl_add_u64 v[4:5], v[36:37], 1, v[14:15]
	global_store_short v[4:5], v8, off
	v_mov_b32_e32 v4, 0
	v_mov_b32_e32 v5, 0
	s_cbranch_vccnz .LBB259_132
; %bb.131:
	v_lshl_add_u64 v[8:9], v[40:41], 1, v[12:13]
	global_load_ushort v5, v[8:9], off
	s_waitcnt vmcnt(0)
	v_mul_f16_e32 v5, s17, v5
	v_cvt_f32_f16_e32 v5, v5
.LBB259_132:
	v_pk_add_f16 v6, v6, v26
	v_max_f16_e32 v8, v55, v55
	v_pk_add_f16 v7, v7, v27
	v_min_f16_e32 v8, v8, v6
	v_lshrrev_b32_e32 v9, 16, v55
	v_lshrrev_b32_e32 v6, 16, v6
	;; [unrolled: 1-line block ×3, first 2 shown]
	v_min3_f16 v6, v9, v6, v10
	v_min3_f16 v6, v8, v7, v6
	v_cvt_f32_f16_e32 v6, v6
	v_max_f32_e32 v5, v5, v5
	s_and_b64 vcc, exec, s[0:1]
	v_min_f32_e32 v5, v5, v6
	v_cvt_f16_f32_e32 v5, v5
	v_lshl_add_u64 v[6:7], v[40:41], 1, v[14:15]
	global_store_short v[6:7], v5, off
	s_cbranch_vccnz .LBB259_134
; %bb.133:
	v_lshl_add_u64 v[4:5], v[38:39], 1, v[12:13]
	global_load_ushort v4, v[4:5], off
	s_waitcnt vmcnt(0)
	v_mul_f16_e32 v4, s17, v4
	v_cvt_f32_f16_e32 v4, v4
.LBB259_134:
	v_pk_add_f16 v0, v0, v26
	v_max_f16_e32 v5, v54, v54
	v_pk_add_f16 v1, v1, v27
	v_min_f16_e32 v5, v5, v0
	v_lshrrev_b32_e32 v6, 16, v54
	v_lshrrev_b32_e32 v0, 16, v0
	;; [unrolled: 1-line block ×3, first 2 shown]
	v_min3_f16 v0, v6, v0, v7
	v_min3_f16 v0, v5, v1, v0
	v_cvt_f32_f16_e32 v0, v0
	v_max_f32_e32 v4, v4, v4
	v_pk_add_f16 v1, v2, v26
	v_max_f16_e32 v2, v52, v52
	v_min_f32_e32 v0, v4, v0
	v_cvt_f16_f32_e32 v4, v0
	v_pk_add_f16 v3, v3, v27
	v_min_f16_e32 v2, v2, v1
	v_lshrrev_b32_e32 v5, 16, v52
	v_lshrrev_b32_e32 v1, 16, v1
	;; [unrolled: 1-line block ×3, first 2 shown]
	v_min3_f16 v5, v5, v1, v0
	v_lshl_add_u64 v[0:1], v[38:39], 1, v[14:15]
	global_store_short v[0:1], v4, off
	v_min3_f16 v0, v2, v3, v5
	s_mov_b64 s[0:1], -1
	s_mov_b64 vcc, s[4:5]
	s_cbranch_vccz .LBB259_136
; %bb.135:
	v_cvt_f32_f16_e32 v1, v0
	v_lshl_add_u64 v[2:3], v[42:43], 1, v[14:15]
	s_mov_b64 s[0:1], 0
	v_min_f32_e32 v1, 0, v1
	v_cvt_f16_f32_e32 v1, v1
	global_store_short v[2:3], v1, off
.LBB259_136:
	s_andn2_b64 vcc, exec, s[0:1]
	v_mov_b32_e32 v1, 0
	s_cbranch_vccnz .LBB259_138
; %bb.137:
	v_lshlrev_b64 v[2:3], 1, v[42:43]
	v_lshl_add_u64 v[4:5], v[12:13], 0, v[2:3]
	global_load_ushort v4, v[4:5], off
	v_max_f16_e32 v5, v0, v0
	v_lshl_add_u64 v[0:1], v[14:15], 0, v[2:3]
	s_waitcnt vmcnt(0)
	v_mul_f16_e32 v2, s17, v4
	v_min_f16_e32 v2, v2, v5
	global_store_short v[0:1], v2, off
	v_lshl_add_u64 v[0:1], v[44:45], 1, v[12:13]
	global_load_ushort v0, v[0:1], off
	s_waitcnt vmcnt(0)
	v_mul_f16_e32 v0, s17, v0
	v_cvt_f32_f16_e32 v1, v0
.LBB259_138:
	v_pk_add_f16 v0, v24, v26
	v_max_f16_e32 v2, v53, v53
	v_pk_add_f16 v3, v25, v27
	v_min_f16_e32 v2, v2, v0
	v_lshrrev_b32_e32 v4, 16, v53
	v_lshrrev_b32_e32 v0, 16, v0
	;; [unrolled: 1-line block ×3, first 2 shown]
	v_min3_f16 v0, v4, v0, v5
	v_min3_f16 v0, v2, v3, v0
	v_cvt_f32_f16_e32 v0, v0
	v_max_f32_e32 v1, v1, v1
	v_min_f32_e32 v0, v1, v0
	v_cvt_f16_f32_e32 v2, v0
	v_lshl_add_u64 v[0:1], v[44:45], 1, v[14:15]
	global_store_short v[0:1], v2, off
	s_endpgm
.LBB259_139:
	s_mov_b64 s[14:15], 0
	s_andn2_b64 vcc, exec, s[8:9]
	s_mov_b64 s[4:5], -1
	s_cbranch_vccz .LBB259_2
	s_branch .LBB259_3
	.section	.rodata,"a",@progbits
	.p2align	6, 0x0
	.amdhsa_kernel _ZN12_GLOBAL__N_120geam_min_plus_kernelIDF16_Dv2_DF16_S1_Li32ELi8ELi256ELi64ELi4ELi64ELi4ELi4ELi64ELc78ELc78ELb1ELb0ELb1EDF16_KDF16_DF16_EEviiiT16_PT17_ilS5_ilS3_S5_ilPT18_ili26rocblas_geam_ex_operation_
		.amdhsa_group_segment_fixed_size 5120
		.amdhsa_private_segment_fixed_size 0
		.amdhsa_kernarg_size 128
		.amdhsa_user_sgpr_count 2
		.amdhsa_user_sgpr_dispatch_ptr 0
		.amdhsa_user_sgpr_queue_ptr 0
		.amdhsa_user_sgpr_kernarg_segment_ptr 1
		.amdhsa_user_sgpr_dispatch_id 0
		.amdhsa_user_sgpr_kernarg_preload_length 0
		.amdhsa_user_sgpr_kernarg_preload_offset 0
		.amdhsa_user_sgpr_private_segment_size 0
		.amdhsa_uses_dynamic_stack 0
		.amdhsa_enable_private_segment 0
		.amdhsa_system_sgpr_workgroup_id_x 1
		.amdhsa_system_sgpr_workgroup_id_y 0
		.amdhsa_system_sgpr_workgroup_id_z 1
		.amdhsa_system_sgpr_workgroup_info 0
		.amdhsa_system_vgpr_workitem_id 1
		.amdhsa_next_free_vgpr 219
		.amdhsa_next_free_sgpr 23
		.amdhsa_accum_offset 220
		.amdhsa_reserve_vcc 1
		.amdhsa_float_round_mode_32 0
		.amdhsa_float_round_mode_16_64 0
		.amdhsa_float_denorm_mode_32 3
		.amdhsa_float_denorm_mode_16_64 3
		.amdhsa_dx10_clamp 1
		.amdhsa_ieee_mode 1
		.amdhsa_fp16_overflow 0
		.amdhsa_tg_split 0
		.amdhsa_exception_fp_ieee_invalid_op 0
		.amdhsa_exception_fp_denorm_src 0
		.amdhsa_exception_fp_ieee_div_zero 0
		.amdhsa_exception_fp_ieee_overflow 0
		.amdhsa_exception_fp_ieee_underflow 0
		.amdhsa_exception_fp_ieee_inexact 0
		.amdhsa_exception_int_div_zero 0
	.end_amdhsa_kernel
	.section	.text._ZN12_GLOBAL__N_120geam_min_plus_kernelIDF16_Dv2_DF16_S1_Li32ELi8ELi256ELi64ELi4ELi64ELi4ELi4ELi64ELc78ELc78ELb1ELb0ELb1EDF16_KDF16_DF16_EEviiiT16_PT17_ilS5_ilS3_S5_ilPT18_ili26rocblas_geam_ex_operation_,"axG",@progbits,_ZN12_GLOBAL__N_120geam_min_plus_kernelIDF16_Dv2_DF16_S1_Li32ELi8ELi256ELi64ELi4ELi64ELi4ELi4ELi64ELc78ELc78ELb1ELb0ELb1EDF16_KDF16_DF16_EEviiiT16_PT17_ilS5_ilS3_S5_ilPT18_ili26rocblas_geam_ex_operation_,comdat
.Lfunc_end259:
	.size	_ZN12_GLOBAL__N_120geam_min_plus_kernelIDF16_Dv2_DF16_S1_Li32ELi8ELi256ELi64ELi4ELi64ELi4ELi4ELi64ELc78ELc78ELb1ELb0ELb1EDF16_KDF16_DF16_EEviiiT16_PT17_ilS5_ilS3_S5_ilPT18_ili26rocblas_geam_ex_operation_, .Lfunc_end259-_ZN12_GLOBAL__N_120geam_min_plus_kernelIDF16_Dv2_DF16_S1_Li32ELi8ELi256ELi64ELi4ELi64ELi4ELi4ELi64ELc78ELc78ELb1ELb0ELb1EDF16_KDF16_DF16_EEviiiT16_PT17_ilS5_ilS3_S5_ilPT18_ili26rocblas_geam_ex_operation_
                                        ; -- End function
	.set _ZN12_GLOBAL__N_120geam_min_plus_kernelIDF16_Dv2_DF16_S1_Li32ELi8ELi256ELi64ELi4ELi64ELi4ELi4ELi64ELc78ELc78ELb1ELb0ELb1EDF16_KDF16_DF16_EEviiiT16_PT17_ilS5_ilS3_S5_ilPT18_ili26rocblas_geam_ex_operation_.num_vgpr, 219
	.set _ZN12_GLOBAL__N_120geam_min_plus_kernelIDF16_Dv2_DF16_S1_Li32ELi8ELi256ELi64ELi4ELi64ELi4ELi4ELi64ELc78ELc78ELb1ELb0ELb1EDF16_KDF16_DF16_EEviiiT16_PT17_ilS5_ilS3_S5_ilPT18_ili26rocblas_geam_ex_operation_.num_agpr, 0
	.set _ZN12_GLOBAL__N_120geam_min_plus_kernelIDF16_Dv2_DF16_S1_Li32ELi8ELi256ELi64ELi4ELi64ELi4ELi4ELi64ELc78ELc78ELb1ELb0ELb1EDF16_KDF16_DF16_EEviiiT16_PT17_ilS5_ilS3_S5_ilPT18_ili26rocblas_geam_ex_operation_.numbered_sgpr, 23
	.set _ZN12_GLOBAL__N_120geam_min_plus_kernelIDF16_Dv2_DF16_S1_Li32ELi8ELi256ELi64ELi4ELi64ELi4ELi4ELi64ELc78ELc78ELb1ELb0ELb1EDF16_KDF16_DF16_EEviiiT16_PT17_ilS5_ilS3_S5_ilPT18_ili26rocblas_geam_ex_operation_.num_named_barrier, 0
	.set _ZN12_GLOBAL__N_120geam_min_plus_kernelIDF16_Dv2_DF16_S1_Li32ELi8ELi256ELi64ELi4ELi64ELi4ELi4ELi64ELc78ELc78ELb1ELb0ELb1EDF16_KDF16_DF16_EEviiiT16_PT17_ilS5_ilS3_S5_ilPT18_ili26rocblas_geam_ex_operation_.private_seg_size, 0
	.set _ZN12_GLOBAL__N_120geam_min_plus_kernelIDF16_Dv2_DF16_S1_Li32ELi8ELi256ELi64ELi4ELi64ELi4ELi4ELi64ELc78ELc78ELb1ELb0ELb1EDF16_KDF16_DF16_EEviiiT16_PT17_ilS5_ilS3_S5_ilPT18_ili26rocblas_geam_ex_operation_.uses_vcc, 1
	.set _ZN12_GLOBAL__N_120geam_min_plus_kernelIDF16_Dv2_DF16_S1_Li32ELi8ELi256ELi64ELi4ELi64ELi4ELi4ELi64ELc78ELc78ELb1ELb0ELb1EDF16_KDF16_DF16_EEviiiT16_PT17_ilS5_ilS3_S5_ilPT18_ili26rocblas_geam_ex_operation_.uses_flat_scratch, 0
	.set _ZN12_GLOBAL__N_120geam_min_plus_kernelIDF16_Dv2_DF16_S1_Li32ELi8ELi256ELi64ELi4ELi64ELi4ELi4ELi64ELc78ELc78ELb1ELb0ELb1EDF16_KDF16_DF16_EEviiiT16_PT17_ilS5_ilS3_S5_ilPT18_ili26rocblas_geam_ex_operation_.has_dyn_sized_stack, 0
	.set _ZN12_GLOBAL__N_120geam_min_plus_kernelIDF16_Dv2_DF16_S1_Li32ELi8ELi256ELi64ELi4ELi64ELi4ELi4ELi64ELc78ELc78ELb1ELb0ELb1EDF16_KDF16_DF16_EEviiiT16_PT17_ilS5_ilS3_S5_ilPT18_ili26rocblas_geam_ex_operation_.has_recursion, 0
	.set _ZN12_GLOBAL__N_120geam_min_plus_kernelIDF16_Dv2_DF16_S1_Li32ELi8ELi256ELi64ELi4ELi64ELi4ELi4ELi64ELc78ELc78ELb1ELb0ELb1EDF16_KDF16_DF16_EEviiiT16_PT17_ilS5_ilS3_S5_ilPT18_ili26rocblas_geam_ex_operation_.has_indirect_call, 0
	.section	.AMDGPU.csdata,"",@progbits
; Kernel info:
; codeLenInByte = 16864
; TotalNumSgprs: 29
; NumVgprs: 219
; NumAgprs: 0
; TotalNumVgprs: 219
; ScratchSize: 0
; MemoryBound: 0
; FloatMode: 240
; IeeeMode: 1
; LDSByteSize: 5120 bytes/workgroup (compile time only)
; SGPRBlocks: 3
; VGPRBlocks: 27
; NumSGPRsForWavesPerEU: 29
; NumVGPRsForWavesPerEU: 219
; AccumOffset: 220
; Occupancy: 2
; WaveLimiterHint : 1
; COMPUTE_PGM_RSRC2:SCRATCH_EN: 0
; COMPUTE_PGM_RSRC2:USER_SGPR: 2
; COMPUTE_PGM_RSRC2:TRAP_HANDLER: 0
; COMPUTE_PGM_RSRC2:TGID_X_EN: 1
; COMPUTE_PGM_RSRC2:TGID_Y_EN: 0
; COMPUTE_PGM_RSRC2:TGID_Z_EN: 1
; COMPUTE_PGM_RSRC2:TIDIG_COMP_CNT: 1
; COMPUTE_PGM_RSRC3_GFX90A:ACCUM_OFFSET: 54
; COMPUTE_PGM_RSRC3_GFX90A:TG_SPLIT: 0
	.section	.text._ZN12_GLOBAL__N_120geam_min_plus_kernelIDF16_Dv2_DF16_S1_Li32ELi8ELi256ELi64ELi4ELi64ELi4ELi4ELi64ELc78ELc78ELb0ELb0ELb1EDF16_KDF16_DF16_EEviiiT16_PT17_ilS5_ilS3_S5_ilPT18_ili26rocblas_geam_ex_operation_,"axG",@progbits,_ZN12_GLOBAL__N_120geam_min_plus_kernelIDF16_Dv2_DF16_S1_Li32ELi8ELi256ELi64ELi4ELi64ELi4ELi4ELi64ELc78ELc78ELb0ELb0ELb1EDF16_KDF16_DF16_EEviiiT16_PT17_ilS5_ilS3_S5_ilPT18_ili26rocblas_geam_ex_operation_,comdat
	.globl	_ZN12_GLOBAL__N_120geam_min_plus_kernelIDF16_Dv2_DF16_S1_Li32ELi8ELi256ELi64ELi4ELi64ELi4ELi4ELi64ELc78ELc78ELb0ELb0ELb1EDF16_KDF16_DF16_EEviiiT16_PT17_ilS5_ilS3_S5_ilPT18_ili26rocblas_geam_ex_operation_ ; -- Begin function _ZN12_GLOBAL__N_120geam_min_plus_kernelIDF16_Dv2_DF16_S1_Li32ELi8ELi256ELi64ELi4ELi64ELi4ELi4ELi64ELc78ELc78ELb0ELb0ELb1EDF16_KDF16_DF16_EEviiiT16_PT17_ilS5_ilS3_S5_ilPT18_ili26rocblas_geam_ex_operation_
	.p2align	8
	.type	_ZN12_GLOBAL__N_120geam_min_plus_kernelIDF16_Dv2_DF16_S1_Li32ELi8ELi256ELi64ELi4ELi64ELi4ELi4ELi64ELc78ELc78ELb0ELb0ELb1EDF16_KDF16_DF16_EEviiiT16_PT17_ilS5_ilS3_S5_ilPT18_ili26rocblas_geam_ex_operation_,@function
_ZN12_GLOBAL__N_120geam_min_plus_kernelIDF16_Dv2_DF16_S1_Li32ELi8ELi256ELi64ELi4ELi64ELi4ELi4ELi64ELc78ELc78ELb0ELb0ELb1EDF16_KDF16_DF16_EEviiiT16_PT17_ilS5_ilS3_S5_ilPT18_ili26rocblas_geam_ex_operation_: ; @_ZN12_GLOBAL__N_120geam_min_plus_kernelIDF16_Dv2_DF16_S1_Li32ELi8ELi256ELi64ELi4ELi64ELi4ELi4ELi64ELc78ELc78ELb0ELb0ELb1EDF16_KDF16_DF16_EEviiiT16_PT17_ilS5_ilS3_S5_ilPT18_ili26rocblas_geam_ex_operation_
; %bb.0:
	s_load_dwordx2 s[18:19], s[0:1], 0x8
	s_load_dwordx4 s[8:11], s[0:1], 0x20
	s_waitcnt lgkmcnt(0)
	v_cmp_eq_f16_e64 s[6:7], s19, 0
	s_and_b64 s[4:5], exec, s[6:7]
	s_mov_b64 vcc, s[4:5]
	s_cbranch_vccnz .LBB260_9
; %bb.1:
	s_load_dwordx2 s[12:13], s[0:1], 0x10
	s_mul_i32 s9, s9, s3
	s_mul_hi_u32 s14, s8, s3
	s_add_i32 s9, s14, s9
	s_mul_i32 s8, s8, s3
	s_lshl_b64 s[8:9], s[8:9], 1
	s_waitcnt lgkmcnt(0)
	s_add_u32 s20, s12, s8
	s_addc_u32 s21, s13, s9
	s_andn2_b64 vcc, exec, s[6:7]
	s_mov_b64 s[6:7], -1
	s_cbranch_vccnz .LBB260_3
.LBB260_2:
	s_mov_b64 s[6:7], 0
.LBB260_3:
	s_mov_b64 s[16:17], 0
	s_andn2_b64 vcc, exec, s[6:7]
	s_mov_b64 s[22:23], 0
	s_cbranch_vccnz .LBB260_5
; %bb.4:
	s_load_dwordx2 s[6:7], s[0:1], 0x38
	s_waitcnt lgkmcnt(0)
	s_mul_i32 s7, s7, s3
	s_mul_hi_u32 s8, s6, s3
	s_add_i32 s7, s8, s7
	s_mul_i32 s6, s6, s3
	s_lshl_b64 s[6:7], s[6:7], 1
	s_add_u32 s22, s10, s6
	s_addc_u32 s23, s11, s7
.LBB260_5:
	s_load_dword s24, s[0:1], 0x40
	s_load_dwordx4 s[12:15], s[0:1], 0x58
	v_cmp_neq_f16_e64 s[10:11], s19, 0
	s_waitcnt lgkmcnt(0)
	v_cmp_eq_f16_e64 s[6:7], s24, 0
	s_and_b64 s[8:9], exec, s[6:7]
	s_mov_b64 vcc, s[8:9]
	s_cbranch_vccnz .LBB260_7
; %bb.6:
	s_load_dwordx2 s[6:7], s[0:1], 0x48
	s_mul_i32 s13, s13, s3
	s_mul_hi_u32 s16, s12, s3
	s_add_i32 s13, s16, s13
	s_mul_i32 s12, s12, s3
	s_lshl_b64 s[12:13], s[12:13], 1
	s_waitcnt lgkmcnt(0)
	s_add_u32 s16, s6, s12
	s_addc_u32 s17, s7, s13
.LBB260_7:
	s_load_dword s6, s[0:1], 0x0
	s_load_dword s12, s[0:1], 0x18
	v_and_b32_e32 v50, 0x3ff, v0
	v_bfe_u32 v51, v0, 10, 10
	v_lshl_add_u32 v5, v51, 5, v50
	s_waitcnt lgkmcnt(0)
	s_add_i32 s6, s6, -1
	s_ashr_i32 s7, s6, 31
	s_lshr_b32 s7, s7, 24
	s_add_i32 s6, s6, s7
	s_ashr_i32 s13, s6, 8
	s_add_i32 s25, s13, 1
	v_cvt_f32_u32_e32 v1, s25
	v_lshrrev_b32_e32 v30, 6, v5
	v_and_b32_e32 v31, 63, v5
	v_cndmask_b32_e64 v4, 0, 1, s[10:11]
	v_rcp_iflag_f32_e32 v0, v1
	s_nop 0
	v_mul_f32_e32 v0, 0x4f7ffffe, v0
	v_cvt_u32_f32_e32 v6, v0
	v_mad_i64_i32 v[0:1], s[6:7], s12, v30, 0
	s_not_b32 s6, s13
	v_readfirstlane_b32 s7, v6
	s_mul_i32 s6, s6, s7
	s_mul_hi_u32 s6, s7, s6
	s_add_i32 s7, s7, s6
	s_mul_hi_u32 s6, s2, s7
	s_mul_i32 s7, s6, s25
	s_sub_i32 s7, s2, s7
	s_add_i32 s13, s6, 1
	s_sub_i32 s26, s7, s25
	s_cmp_ge_u32 s7, s25
	s_cselect_b32 s6, s13, s6
	s_cselect_b32 s7, s26, s7
	s_add_i32 s13, s6, 1
	s_cmp_ge_u32 s7, s25
	s_cselect_b32 s26, s13, s6
	s_mul_i32 s28, s26, s25
	s_sub_i32 s6, s2, s28
	s_lshl_b32 s25, s6, 8
	v_lshl_add_u64 v[2:3], v[0:1], 1, s[20:21]
	v_or_b32_e32 v0, s25, v31
	v_cmp_ne_u32_e64 s[6:7], 1, v4
	s_andn2_b64 vcc, exec, s[10:11]
	v_ashrrev_i32_e32 v1, 31, v0
	s_cbranch_vccnz .LBB260_10
; %bb.8:
	v_lshl_add_u64 v[6:7], v[0:1], 1, v[2:3]
	global_load_ushort v4, v[6:7], off
	global_load_ushort v8, v[6:7], off offset:128
	s_waitcnt vmcnt(1)
	v_mul_f16_e32 v6, s19, v4
	s_waitcnt vmcnt(0)
	v_mul_f16_e32 v4, s19, v8
	v_pack_b32_f16 v7, v6, 0
	s_branch .LBB260_11
.LBB260_9:
	s_mov_b64 s[20:21], 0
	s_andn2_b64 vcc, exec, s[6:7]
	s_mov_b64 s[6:7], -1
	s_cbranch_vccz .LBB260_2
	s_branch .LBB260_3
.LBB260_10:
	v_mov_b32_e32 v7, 0
	v_mov_b32_e32 v4, 0
.LBB260_11:
	s_mov_b32 s10, 0x5040100
	v_mov_b32_e32 v6, 0
	s_ashr_i32 s13, s12, 31
	v_perm_b32 v32, v4, v7, s10
	s_mov_b64 vcc, s[4:5]
	s_cbranch_vccz .LBB260_13
; %bb.12:
	v_and_b32_e32 v33, 0xffff0000, v6
	v_mov_b32_e32 v4, 0
	v_mov_b32_e32 v34, 0
	s_cbranch_execz .LBB260_14
	s_branch .LBB260_15
.LBB260_13:
	v_mov_b32_e32 v4, 0
	v_mov_b32_e32 v34, 0
.LBB260_14:
	v_lshl_add_u64 v[2:3], v[0:1], 1, v[2:3]
	global_load_ushort v7, v[2:3], off offset:256
	global_load_ushort v8, v[2:3], off offset:384
	s_mov_b32 s10, 0xffff
	s_waitcnt vmcnt(1)
	v_mul_f16_e32 v2, s19, v7
	v_bfi_b32 v33, s10, v2, v6
	s_waitcnt vmcnt(0)
	v_mul_f16_e32 v34, s19, v8
.LBB260_15:
	s_load_dword s29, s[0:1], 0x30
	v_and_b32_e32 v2, 3, v50
	v_lshrrev_b32_e32 v5, 2, v5
	s_lshl_b32 s26, s26, 6
	s_and_b64 vcc, exec, s[6:7]
	v_add_u32_e32 v35, s26, v5
	v_lshlrev_b32_e32 v28, 1, v2
	s_cbranch_vccnz .LBB260_17
; %bb.16:
	s_waitcnt lgkmcnt(0)
	v_mad_i64_i32 v[2:3], s[10:11], v35, s29, 0
	v_lshl_add_u64 v[2:3], v[2:3], 1, s[22:23]
	v_mov_b32_e32 v29, 0
	v_lshl_add_u64 v[2:3], v[2:3], 0, v[28:29]
	global_load_ushort v2, v[2:3], off
	s_waitcnt vmcnt(0)
	v_mul_f16_e32 v4, s19, v2
.LBB260_17:
	v_add_u32_e32 v2, 4, v30
	v_mad_i64_i32 v[2:3], s[10:11], s12, v2, 0
	s_and_b64 vcc, exec, s[6:7]
	v_lshl_add_u64 v[2:3], v[2:3], 1, s[20:21]
	s_cbranch_vccnz .LBB260_19
; %bb.18:
	v_lshl_add_u64 v[6:7], v[0:1], 1, v[2:3]
	global_load_ushort v8, v[6:7], off
	global_load_ushort v9, v[6:7], off offset:128
	s_waitcnt vmcnt(1)
	v_mul_f16_e32 v6, s19, v8
	s_waitcnt vmcnt(0)
	v_mul_f16_e32 v7, s19, v9
	v_pack_b32_f16 v8, v6, 0
	s_branch .LBB260_20
.LBB260_19:
	v_mov_b32_e32 v8, 0
	v_mov_b32_e32 v7, 0
.LBB260_20:
	s_mov_b32 s10, 0x5040100
	v_mov_b32_e32 v6, 0
	v_perm_b32 v44, v7, v8, s10
	s_mov_b64 vcc, s[4:5]
	s_cbranch_vccz .LBB260_22
; %bb.21:
	v_and_b32_e32 v45, 0xffff0000, v6
	v_mov_b32_e32 v29, 0
	v_mov_b32_e32 v36, 0
	s_cbranch_execz .LBB260_23
	s_branch .LBB260_24
.LBB260_22:
	v_mov_b32_e32 v29, 0
	v_mov_b32_e32 v36, 0
.LBB260_23:
	v_lshl_add_u64 v[0:1], v[0:1], 1, v[2:3]
	global_load_ushort v2, v[0:1], off offset:256
	global_load_ushort v3, v[0:1], off offset:384
	s_mov_b32 s10, 0xffff
	s_waitcnt vmcnt(1)
	v_mul_f16_e32 v0, s19, v2
	v_bfi_b32 v45, s10, v0, v6
	s_waitcnt vmcnt(0)
	v_mul_f16_e32 v36, s19, v3
.LBB260_24:
	s_and_b64 vcc, exec, s[6:7]
	s_cbranch_vccnz .LBB260_26
; %bb.25:
	s_waitcnt lgkmcnt(0)
	v_mad_i64_i32 v[0:1], s[10:11], v35, s29, 0
	v_lshl_add_u64 v[0:1], v[0:1], 1, s[22:23]
	v_mov_b32_e32 v29, 0
	v_lshl_add_u64 v[0:1], v[0:1], 0, v[28:29]
	global_load_ushort v0, v[0:1], off offset:8
	s_waitcnt vmcnt(0)
	v_mul_f16_e32 v29, s19, v0
.LBB260_26:
	v_lshlrev_b32_e32 v0, 3, v31
	v_lshlrev_b32_e32 v52, 3, v51
	v_lshl_add_u32 v69, v30, 1, v0
	v_lshl_or_b32 v37, v5, 3, v28
	v_lshlrev_b32_e32 v53, 3, v50
	v_add_u32_e32 v74, 0x1000, v52
	ds_write_b16 v69, v32
	ds_write_b16_d16_hi v69, v32 offset:512
	ds_write_b16 v69, v33 offset:1024
	ds_write_b16 v69, v34 offset:1536
	;; [unrolled: 1-line block ×3, first 2 shown]
	s_waitcnt lgkmcnt(0)
	s_barrier
	ds_read2_b64 v[16:19], v53 offset1:32
	ds_read2_b64 v[12:15], v53 offset0:64 offset1:96
	ds_read2_b64 v[4:7], v53 offset0:128 offset1:160
	ds_read2_b64 v[38:41], v74 offset1:8
	ds_read2_b64 v[0:3], v53 offset0:192 offset1:224
	ds_read2_b64 v[24:27], v74 offset0:16 offset1:24
	;; [unrolled: 1-line block ×4, first 2 shown]
	s_movk_i32 s10, 0x7c00
	s_waitcnt lgkmcnt(4)
	v_pk_add_f16 v42, v16, v38
	v_pk_add_f16 v43, v18, v38
	;; [unrolled: 1-line block ×6, first 2 shown]
	s_waitcnt lgkmcnt(3)
	v_pk_add_f16 v54, v0, v38
	v_pk_add_f16 v38, v2, v38
	v_pk_add_f16 v55, v16, v40
	v_pk_add_f16 v56, v18, v40
	v_pk_add_f16 v57, v12, v40
	v_pk_add_f16 v58, v14, v40
	v_pk_add_f16 v59, v4, v40
	v_pk_add_f16 v60, v6, v40
	v_pk_add_f16 v61, v0, v40
	v_pk_add_f16 v40, v2, v40
	s_waitcnt lgkmcnt(2)
	v_pk_add_f16 v62, v16, v24
	v_pk_add_f16 v63, v18, v24
	v_pk_add_f16 v64, v12, v24
	v_pk_add_f16 v65, v14, v24
	v_pk_add_f16 v66, v4, v24
	v_pk_add_f16 v67, v6, v24
	v_pk_add_f16 v68, v0, v24
	v_pk_add_f16 v24, v2, v24
	v_pk_add_f16 v70, v16, v26
	v_pk_add_f16 v71, v18, v26
	v_pk_add_f16 v72, v12, v26
	v_pk_add_f16 v73, v14, v26
	v_pk_add_f16 v75, v4, v26
	v_pk_add_f16 v76, v6, v26
	v_pk_add_f16 v77, v0, v26
	v_pk_add_f16 v26, v2, v26
	s_waitcnt lgkmcnt(1)
	v_pk_add_f16 v79, v16, v20
	v_pk_add_f16 v81, v18, v20
	v_pk_add_f16 v84, v12, v20
	v_pk_add_f16 v86, v14, v20
	v_pk_add_f16 v87, v4, v20
	v_pk_add_f16 v89, v6, v20
	;; [unrolled: 17-line block ×3, first 2 shown]
	v_pk_add_f16 v132, v0, v8
	v_pk_add_f16 v8, v2, v8
	;; [unrolled: 1-line block ×11, first 2 shown]
	v_pk_min_f16 v10, v42, s10 op_sel_hi:[1,0]
	v_pk_min_f16 v8, v8, s10 op_sel_hi:[1,0]
	v_pk_min_f16 v119, v10, v2
	v_pk_add_f16 v2, v19, v39
	v_pk_min_f16 v10, v43, s10 op_sel_hi:[1,0]
	v_pk_min_f16 v4, v4, s10 op_sel_hi:[1,0]
	v_pk_min_f16 v118, v10, v2
	v_pk_add_f16 v2, v13, v39
	;; [unrolled: 4-line block ×3, first 2 shown]
	v_pk_min_f16 v10, v47, s10 op_sel_hi:[1,0]
	s_cmp_lt_i32 s18, 9
	v_pk_min_f16 v116, v10, v2
	v_pk_add_f16 v2, v5, v39
	v_pk_min_f16 v10, v48, s10 op_sel_hi:[1,0]
	ds_write_b16 v69, v44 offset:2048
	ds_write_b16_d16_hi v69, v44 offset:2560
	ds_write_b16 v69, v45 offset:3072
	ds_write_b16 v69, v36 offset:3584
	;; [unrolled: 1-line block ×3, first 2 shown]
	v_pk_min_f16 v115, v10, v2
	v_pk_add_f16 v2, v7, v39
	v_pk_min_f16 v10, v49, s10 op_sel_hi:[1,0]
	s_waitcnt lgkmcnt(0)
	v_pk_min_f16 v114, v10, v2
	v_pk_add_f16 v2, v1, v39
	v_pk_min_f16 v10, v54, s10 op_sel_hi:[1,0]
	s_barrier
	v_pk_min_f16 v112, v10, v2
	v_pk_add_f16 v2, v3, v39
	v_pk_min_f16 v10, v38, s10 op_sel_hi:[1,0]
	s_nop 0
	v_pk_min_f16 v113, v10, v2
	v_pk_add_f16 v2, v17, v41
	v_pk_min_f16 v10, v55, s10 op_sel_hi:[1,0]
	s_nop 0
	;; [unrolled: 4-line block ×47, first 2 shown]
	v_pk_min_f16 v65, v10, v2
	v_pk_add_f16 v2, v1, v9
	v_pk_min_f16 v10, v132, s10 op_sel_hi:[1,0]
	v_pk_add_f16 v1, v1, v11
	v_pk_min_f16 v63, v10, v2
	v_pk_add_f16 v2, v3, v9
	s_nop 0
	v_pk_min_f16 v62, v8, v2
	v_pk_add_f16 v2, v17, v11
	v_pk_min_f16 v8, v16, s10 op_sel_hi:[1,0]
	s_nop 0
	v_pk_min_f16 v61, v8, v2
	v_pk_add_f16 v2, v19, v11
	v_pk_min_f16 v8, v18, s10 op_sel_hi:[1,0]
	;; [unrolled: 4-line block ×4, first 2 shown]
	s_nop 0
	v_pk_min_f16 v57, v8, v2
	v_pk_add_f16 v2, v5, v11
	s_nop 0
	v_pk_min_f16 v56, v4, v2
	v_pk_add_f16 v2, v7, v11
	v_pk_min_f16 v4, v6, s10 op_sel_hi:[1,0]
	s_nop 0
	v_pk_min_f16 v54, v4, v2
	v_pk_min_f16 v2, v133, s10 op_sel_hi:[1,0]
	s_nop 0
	v_pk_min_f16 v55, v2, v1
	v_pk_add_f16 v1, v3, v11
	s_nop 0
	v_pk_min_f16 v59, v0, v1
	s_cbranch_scc1 .LBB260_49
; %bb.27:
	v_mov_b32_e32 v0, 0x800
	v_lshl_add_u32 v123, v50, 3, v0
	v_mov_b32_e32 v0, 0x1200
	v_lshl_add_u32 v124, v51, 3, v0
	v_mad_i64_i32 v[0:1], s[10:11], s29, v35, 0
	v_mov_b32_e32 v29, 0
	v_lshl_add_u64 v[0:1], v[0:1], 1, v[28:29]
	s_mov_b32 s27, 0x5040100
	v_lshl_add_u64 v[0:1], s[22:23], 0, v[0:1]
	v_perm_b32 v33, v34, v33, s27
	v_lshl_add_u64 v[34:35], v[0:1], 0, 16
	v_lshl_or_b32 v0, s2, 8, v31
	s_lshl_b32 s2, s28, 8
	v_subrev_u32_e32 v0, s2, v0
	v_ashrrev_i32_e32 v1, 31, v0
	v_add_u32_e32 v120, 0x1000, v37
	v_add_u32_e32 v122, 0x1200, v37
	v_perm_b32 v45, v36, v45, s27
	v_lshlrev_b64 v[36:37], 1, v[0:1]
	v_add_u32_e32 v0, 12, v30
	v_mad_i64_i32 v[0:1], s[10:11], v0, s12, 0
	v_lshl_add_u64 v[38:39], v[0:1], 1, s[20:21]
	v_add_u32_e32 v0, 8, v30
	s_lshl_b64 s[10:11], s[12:13], 4
	v_mad_i64_i32 v[0:1], s[12:13], v0, s12, 0
	v_add_u32_e32 v121, 0x800, v69
	s_add_i32 s18, s18, -8
	v_lshl_add_u64 v[40:41], v[0:1], 1, s[20:21]
	s_mov_b32 s2, 0
	s_mov_b32 s20, 0xffff
	s_mov_b64 s[12:13], -1
	s_mov_b64 vcc, s[4:5]
                                        ; implicit-def: $vgpr0_vgpr1
	s_cbranch_vccz .LBB260_43
.LBB260_28:
	v_and_b32_e32 v0, 0xffff0000, v32
	v_mov_b32_e32 v1, v33
	v_mov_b32_e32 v4, 0
	v_lshl_add_u64 v[2:3], v[40:41], 0, v[36:37]
	s_cbranch_execz .LBB260_44
.LBB260_29:
	v_perm_b32 v32, v4, v0, s27
	s_mov_b64 s[12:13], -1
	s_mov_b64 vcc, s[4:5]
	s_cbranch_vccz .LBB260_45
.LBB260_30:
	v_and_b32_e32 v33, 0xffff0000, v1
	v_mov_b32_e32 v42, 0
	v_mov_b32_e32 v127, 0
	s_cbranch_execz .LBB260_46
.LBB260_31:
	s_and_b64 vcc, exec, s[6:7]
	s_cbranch_vccnz .LBB260_33
.LBB260_32:
	global_load_ushort v0, v[34:35], off
	s_waitcnt vmcnt(0)
	v_mul_f16_e32 v42, s19, v0
.LBB260_33:
	ds_read2_b64 v[16:19], v123 offset1:32
	ds_read2_b64 v[12:15], v123 offset0:64 offset1:96
	ds_read2_b64 v[4:7], v123 offset0:128 offset1:160
	;; [unrolled: 1-line block ×3, first 2 shown]
	ds_read2_b64 v[28:31], v124 offset1:8
	ds_read2_b64 v[24:27], v124 offset0:16 offset1:24
	ds_read2_b64 v[20:23], v124 offset0:32 offset1:40
	ds_read2_b64 v[8:11], v124 offset0:48 offset1:56
	s_mov_b64 s[12:13], -1
	s_mov_b64 vcc, s[4:5]
	ds_write_b16 v69, v32
	ds_write_b16_d16_hi v69, v32 offset:512
	ds_write_b16 v69, v33 offset:1024
	ds_write_b16 v69, v127 offset:1536
	ds_write_b16 v120, v42
	s_waitcnt lgkmcnt(0)
	s_barrier
                                        ; implicit-def: $vgpr46_vgpr47
	s_cbranch_vccz .LBB260_35
; %bb.34:
	v_and_b32_e32 v46, 0xffff0000, v44
	v_mov_b32_e32 v47, v45
	v_mov_b32_e32 v42, 0
	v_lshl_add_u64 v[48:49], v[38:39], 0, v[36:37]
	s_cbranch_execnz .LBB260_37
	s_branch .LBB260_36
.LBB260_35:
	v_mov_b32_e32 v42, 0
	s_andn2_b64 vcc, exec, s[12:13]
	v_lshl_add_u64 v[48:49], v[38:39], 0, v[36:37]
	s_cbranch_vccnz .LBB260_37
.LBB260_36:
	global_load_ushort v42, v[48:49], off
	global_load_ushort v43, v[48:49], off offset:128
	s_waitcnt vmcnt(1)
	v_mul_f16_e32 v42, s19, v42
	v_bfi_b32 v44, s20, v42, v44
	s_waitcnt vmcnt(0)
	v_mul_f16_e32 v42, s19, v43
	v_mov_b64_e32 v[46:47], v[44:45]
.LBB260_37:
	v_perm_b32 v42, v42, v46, s27
	s_mov_b64 s[12:13], -1
	s_mov_b64 vcc, s[4:5]
                                        ; implicit-def: $vgpr43
	s_cbranch_vccz .LBB260_47
; %bb.38:
	v_and_b32_e32 v43, 0xffff0000, v47
	v_mov_b32_e32 v46, 0
	v_mov_b32_e32 v125, 0
	s_cbranch_execz .LBB260_48
.LBB260_39:
	s_and_b64 vcc, exec, s[6:7]
	s_cbranch_vccnz .LBB260_41
.LBB260_40:
	global_load_ushort v44, v[34:35], off offset:8
	s_waitcnt vmcnt(0)
	v_mul_f16_e32 v46, s19, v44
.LBB260_41:
	v_pk_add_f16 v44, v16, v28
	v_pk_max_f16 v45, v119, v119
	v_pk_max_f16 v47, v118, v118
	v_pk_min_f16 v44, v45, v44
	v_pk_add_f16 v45, v18, v28
	v_pk_max_f16 v48, v117, v117
	v_pk_min_f16 v45, v47, v45
	v_pk_add_f16 v47, v12, v28
	v_pk_max_f16 v49, v116, v116
	v_pk_min_f16 v47, v48, v47
	v_pk_add_f16 v48, v14, v28
	v_pk_max_f16 v115, v115, v115
	v_pk_min_f16 v48, v49, v48
	v_pk_add_f16 v49, v4, v28
	v_pk_max_f16 v114, v114, v114
	v_pk_min_f16 v49, v115, v49
	v_pk_add_f16 v115, v6, v28
	v_pk_max_f16 v113, v113, v113
	v_pk_min_f16 v114, v114, v115
	v_pk_add_f16 v115, v0, v28
	v_pk_add_f16 v28, v2, v28
	v_pk_max_f16 v111, v111, v111
	v_pk_min_f16 v28, v113, v28
	v_pk_add_f16 v113, v16, v30
	v_pk_max_f16 v110, v110, v110
	v_pk_min_f16 v111, v111, v113
	v_pk_add_f16 v113, v18, v30
	v_pk_max_f16 v109, v109, v109
	v_pk_min_f16 v110, v110, v113
	v_pk_add_f16 v113, v12, v30
	v_pk_max_f16 v108, v108, v108
	v_pk_min_f16 v109, v109, v113
	v_pk_add_f16 v113, v14, v30
	v_pk_max_f16 v107, v107, v107
	v_pk_min_f16 v108, v108, v113
	v_pk_add_f16 v113, v4, v30
	v_pk_max_f16 v106, v106, v106
	v_pk_min_f16 v107, v107, v113
	v_pk_add_f16 v113, v6, v30
	v_pk_max_f16 v104, v104, v104
	v_pk_min_f16 v106, v106, v113
	v_pk_add_f16 v113, v0, v30
	v_pk_add_f16 v30, v2, v30
	v_pk_max_f16 v103, v103, v103
	v_pk_min_f16 v30, v104, v30
	v_pk_add_f16 v104, v16, v24
	;; [unrolled: 22-line block ×4, first 2 shown]
	v_pk_max_f16 v75, v75, v75
	v_pk_max_f16 v112, v112, v112
	v_pk_min_f16 v105, v105, v113
	v_pk_min_f16 v113, v75, v73
	v_pk_add_f16 v73, v18, v20
	v_pk_max_f16 v71, v71, v71
	v_pk_min_f16 v112, v112, v115
	v_pk_min_f16 v115, v71, v73
	v_pk_add_f16 v71, v12, v20
	v_pk_max_f16 v68, v68, v68
	v_pk_max_f16 v66, v66, v66
	v_pk_min_f16 v116, v68, v71
	v_pk_add_f16 v68, v14, v20
	v_pk_max_f16 v64, v64, v64
	v_pk_min_f16 v117, v66, v68
	v_pk_add_f16 v66, v4, v20
	;; [unrolled: 3-line block ×3, first 2 shown]
	v_pk_max_f16 v66, v102, v102
	v_pk_max_f16 v92, v92, v92
	v_pk_min_f16 v102, v66, v64
	v_pk_add_f16 v64, v0, v20
	v_pk_max_f16 v66, v100, v100
	v_pk_add_f16 v20, v2, v20
	v_pk_min_f16 v100, v66, v64
	v_pk_max_f16 v64, v98, v98
	v_pk_max_f16 v66, v96, v96
	v_pk_min_f16 v20, v64, v20
	v_pk_add_f16 v64, v16, v22
	v_pk_min_f16 v92, v92, v104
	v_pk_min_f16 v96, v66, v64
	v_pk_add_f16 v64, v18, v22
	v_pk_max_f16 v66, v93, v93
	v_pk_max_f16 v77, v77, v77
	v_pk_min_f16 v93, v66, v64
	v_pk_add_f16 v64, v12, v22
	v_pk_max_f16 v66, v91, v91
	v_pk_min_f16 v104, v77, v78
	v_pk_min_f16 v91, v66, v64
	v_pk_add_f16 v64, v14, v22
	v_pk_max_f16 v66, v89, v89
	v_pk_max_f16 v63, v63, v63
	v_pk_min_f16 v89, v66, v64
	v_pk_add_f16 v64, v4, v22
	v_pk_max_f16 v66, v87, v87
	v_pk_max_f16 v62, v62, v62
	v_pk_min_f16 v87, v66, v64
	v_pk_add_f16 v64, v6, v22
	v_pk_max_f16 v66, v86, v86
	v_pk_max_f16 v61, v61, v61
	v_pk_min_f16 v86, v66, v64
	v_pk_add_f16 v64, v0, v22
	v_pk_max_f16 v66, v84, v84
	v_pk_add_f16 v22, v2, v22
	v_pk_min_f16 v84, v66, v64
	v_pk_max_f16 v64, v81, v81
	v_pk_max_f16 v66, v79, v79
	v_pk_min_f16 v22, v64, v22
	v_pk_add_f16 v64, v16, v8
	v_pk_add_f16 v16, v16, v10
	v_pk_min_f16 v81, v66, v64
	v_pk_add_f16 v64, v18, v8
	v_pk_max_f16 v66, v76, v76
	v_pk_add_f16 v18, v18, v10
	v_pk_min_f16 v98, v66, v64
	v_pk_add_f16 v64, v12, v8
	v_pk_max_f16 v66, v72, v72
	v_pk_add_f16 v12, v12, v10
	v_pk_min_f16 v119, v66, v64
	v_pk_add_f16 v64, v14, v8
	v_pk_max_f16 v66, v70, v70
	v_pk_add_f16 v14, v14, v10
	v_pk_min_f16 v126, v66, v64
	v_pk_add_f16 v64, v4, v8
	v_pk_max_f16 v66, v67, v67
	v_pk_add_f16 v4, v4, v10
	v_pk_min_f16 v128, v66, v64
	v_pk_add_f16 v64, v6, v8
	v_pk_add_f16 v6, v6, v10
	v_pk_min_f16 v129, v65, v64
	v_pk_add_f16 v64, v0, v8
	v_pk_add_f16 v8, v2, v8
	;; [unrolled: 1-line block ×4, first 2 shown]
	v_pk_max_f16 v10, v59, v59
	v_pk_min_f16 v130, v63, v64
	v_pk_min_f16 v2, v10, v2
	v_pk_add_f16 v10, v17, v29
	v_pk_min_f16 v8, v62, v8
	v_pk_min_f16 v131, v44, v10
	v_pk_add_f16 v10, v19, v29
	;; [unrolled: 3-line block ×3, first 2 shown]
	v_pk_max_f16 v60, v60, v60
	v_pk_min_f16 v133, v47, v10
	v_pk_add_f16 v10, v15, v29
	v_pk_min_f16 v18, v60, v18
	v_pk_min_f16 v134, v48, v10
	v_pk_add_f16 v10, v5, v29
	v_pk_max_f16 v58, v58, v58
	v_pk_min_f16 v135, v49, v10
	v_pk_add_f16 v10, v7, v29
	v_pk_min_f16 v12, v58, v12
	v_pk_min_f16 v114, v114, v10
	v_pk_add_f16 v10, v1, v29
	v_pk_max_f16 v56, v56, v56
	v_pk_min_f16 v112, v112, v10
	v_pk_add_f16 v10, v3, v29
	v_pk_max_f16 v57, v57, v57
	v_pk_min_f16 v136, v28, v10
	v_pk_add_f16 v10, v17, v31
	v_pk_min_f16 v4, v56, v4
	v_pk_min_f16 v111, v111, v10
	v_pk_add_f16 v10, v19, v31
	v_pk_max_f16 v54, v54, v54
	v_pk_min_f16 v110, v110, v10
	v_pk_add_f16 v10, v13, v31
	v_pk_min_f16 v14, v57, v14
	v_pk_min_f16 v109, v109, v10
	v_pk_add_f16 v10, v15, v31
	v_pk_min_f16 v6, v54, v6
	v_pk_min_f16 v108, v108, v10
	v_pk_add_f16 v10, v5, v31
	v_pk_max_f16 v54, v55, v55
	v_pk_min_f16 v107, v107, v10
	v_pk_add_f16 v10, v7, v31
	v_pk_min_f16 v0, v54, v0
	v_pk_min_f16 v106, v106, v10
	v_pk_add_f16 v10, v1, v31
	v_perm_b32 v33, v127, v33, s27
	v_pk_min_f16 v105, v105, v10
	v_pk_add_f16 v10, v3, v31
	s_add_i32 s2, s2, 8
	v_pk_min_f16 v137, v30, v10
	v_pk_add_f16 v10, v17, v25
	v_lshl_add_u64 v[34:35], v[34:35], 0, 16
	v_pk_min_f16 v103, v103, v10
	v_pk_add_f16 v10, v19, v25
	v_lshl_add_u64 v[38:39], v[38:39], 0, s[10:11]
	v_pk_min_f16 v101, v101, v10
	v_pk_add_f16 v10, v13, v25
	s_cmp_ge_i32 s2, s18
	v_pk_min_f16 v99, v99, v10
	v_pk_add_f16 v10, v15, v25
	v_lshl_add_u64 v[40:41], v[40:41], 0, s[10:11]
	v_pk_min_f16 v97, v97, v10
	v_pk_add_f16 v10, v5, v25
	s_nop 0
	v_pk_min_f16 v95, v95, v10
	v_pk_add_f16 v10, v7, v25
	s_nop 0
	;; [unrolled: 3-line block ×13, first 2 shown]
	v_pk_min_f16 v71, v113, v10
	v_pk_add_f16 v10, v19, v21
	v_pk_max_f16 v113, v136, v136
	v_pk_min_f16 v68, v115, v10
	v_pk_add_f16 v10, v13, v21
	s_nop 0
	v_pk_min_f16 v66, v116, v10
	v_pk_add_f16 v10, v15, v21
	s_nop 0
	;; [unrolled: 3-line block ×4, first 2 shown]
	v_pk_min_f16 v44, v102, v10
	v_pk_add_f16 v10, v1, v21
	v_pk_max_f16 v44, v44, v44
	v_pk_min_f16 v72, v100, v10
	v_pk_add_f16 v10, v3, v21
	v_pk_max_f16 v72, v72, v72
	;; [unrolled: 3-line block ×3, first 2 shown]
	v_pk_min_f16 v67, v96, v10
	v_pk_add_f16 v10, v19, v23
	s_nop 0
	v_pk_min_f16 v65, v93, v10
	v_pk_add_f16 v10, v13, v23
	v_pk_max_f16 v65, v65, v65
	v_pk_min_f16 v63, v91, v10
	v_pk_add_f16 v10, v15, v23
	v_pk_max_f16 v63, v63, v63
	;; [unrolled: 3-line block ×5, first 2 shown]
	v_pk_min_f16 v58, v84, v10
	v_pk_add_f16 v10, v3, v23
	s_nop 0
	v_pk_min_f16 v56, v22, v10
	v_pk_add_f16 v10, v17, v9
	s_nop 0
	;; [unrolled: 3-line block ×5, first 2 shown]
	v_pk_min_f16 v28, v126, v10
	v_pk_add_f16 v10, v5, v9
	v_pk_add_f16 v5, v5, v11
	v_pk_min_f16 v27, v128, v10
	v_pk_add_f16 v10, v7, v9
	v_pk_min_f16 v55, v4, v5
	v_pk_min_f16 v26, v129, v10
	v_pk_add_f16 v10, v1, v9
	v_pk_add_f16 v9, v3, v9
	;; [unrolled: 1-line block ×3, first 2 shown]
	v_pk_min_f16 v24, v8, v9
	v_pk_add_f16 v8, v17, v11
	v_pk_add_f16 v4, v7, v11
	v_pk_min_f16 v30, v16, v8
	v_pk_add_f16 v8, v19, v11
	v_pk_min_f16 v126, v0, v1
	v_pk_min_f16 v29, v18, v8
	v_pk_add_f16 v8, v13, v11
	v_pk_add_f16 v0, v3, v11
	v_pk_min_f16 v48, v12, v8
	v_pk_add_f16 v8, v15, v11
	v_pk_min_f16 v25, v130, v10
	v_pk_min_f16 v47, v14, v8
	;; [unrolled: 1-line block ×4, first 2 shown]
	ds_read2_b64 v[8:11], v53 offset1:32
	ds_read2_b64 v[20:23], v74 offset1:8
	ds_read2_b64 v[12:15], v53 offset0:64 offset1:96
	ds_read2_b64 v[4:7], v53 offset0:128 offset1:160
	;; [unrolled: 1-line block ×4, first 2 shown]
	s_waitcnt lgkmcnt(4)
	v_pk_add_f16 v80, v8, v20
	v_pk_add_f16 v90, v8, v22
	;; [unrolled: 1-line block ×3, first 2 shown]
	s_waitcnt lgkmcnt(1)
	v_pk_add_f16 v89, v2, v20
	v_pk_add_f16 v93, v12, v22
	;; [unrolled: 1-line block ×7, first 2 shown]
	v_pk_max_f16 v22, v131, v131
	v_pk_add_f16 v81, v10, v20
	v_pk_add_f16 v82, v12, v20
	;; [unrolled: 1-line block ×7, first 2 shown]
	v_pk_min_f16 v22, v22, v80
	v_pk_add_f16 v80, v3, v21
	v_pk_min_f16 v89, v113, v89
	v_pk_min_f16 v119, v22, v20
	v_pk_max_f16 v22, v132, v132
	v_pk_min_f16 v113, v89, v80
	v_pk_max_f16 v89, v111, v111
	v_pk_add_f16 v20, v11, v21
	v_pk_min_f16 v22, v22, v81
	v_pk_add_f16 v81, v9, v23
	v_pk_min_f16 v89, v89, v90
	v_pk_min_f16 v118, v22, v20
	v_pk_max_f16 v22, v133, v133
	v_pk_min_f16 v111, v89, v81
	v_pk_max_f16 v89, v110, v110
	v_pk_add_f16 v20, v13, v21
	;; [unrolled: 8-line block ×5, first 2 shown]
	v_pk_min_f16 v22, v22, v86
	v_pk_add_f16 v86, v5, v23
	v_pk_min_f16 v84, v84, v98
	v_pk_min_f16 v114, v22, v20
	v_pk_max_f16 v22, v112, v112
	v_pk_min_f16 v107, v84, v86
	v_pk_max_f16 v84, v106, v106
	v_pk_min_f16 v22, v22, v87
	v_pk_add_f16 v87, v7, v23
	v_pk_min_f16 v84, v84, v100
	v_pk_add_f16 v127, v1, v23
	v_pk_min_f16 v106, v84, v87
	v_pk_max_f16 v84, v105, v105
	v_pk_add_f16 v128, v3, v23
	v_pk_min_f16 v84, v84, v102
	s_waitcnt lgkmcnt(0)
	v_pk_add_f16 v129, v8, v16
	v_pk_min_f16 v105, v84, v127
	v_pk_max_f16 v84, v137, v137
	v_pk_add_f16 v80, v10, v16
	v_pk_min_f16 v84, v84, v104
	v_pk_add_f16 v90, v12, v16
	v_pk_min_f16 v104, v84, v128
	v_pk_max_f16 v84, v103, v103
	v_pk_add_f16 v103, v9, v17
	v_pk_min_f16 v84, v84, v129
	;; [unrolled: 5-line block ×3, first 2 shown]
	v_pk_add_f16 v84, v11, v17
	v_pk_add_f16 v82, v6, v16
	v_pk_min_f16 v101, v80, v84
	v_pk_max_f16 v80, v99, v99
	v_pk_add_f16 v84, v13, v17
	v_pk_min_f16 v80, v80, v90
	v_pk_add_f16 v93, v0, v16
	v_pk_min_f16 v99, v80, v84
	v_pk_max_f16 v80, v97, v97
	v_pk_add_f16 v84, v5, v17
	v_pk_min_f16 v80, v80, v81
	v_pk_add_f16 v81, v15, v17
	v_pk_add_f16 v16, v2, v16
	v_pk_min_f16 v97, v80, v81
	v_pk_max_f16 v80, v95, v95
	v_pk_add_f16 v89, v8, v18
	v_pk_min_f16 v80, v80, v91
	v_pk_add_f16 v83, v10, v18
	v_pk_min_f16 v95, v80, v84
	v_pk_max_f16 v80, v94, v94
	v_pk_add_f16 v96, v12, v18
	v_pk_min_f16 v80, v80, v82
	;; [unrolled: 11-line block ×3, first 2 shown]
	v_pk_add_f16 v20, v1, v21
	v_pk_min_f16 v90, v16, v17
	v_pk_max_f16 v16, v88, v88
	v_pk_add_f16 v17, v9, v19
	v_pk_min_f16 v16, v16, v89
	v_pk_add_f16 v87, v6, v18
	v_pk_min_f16 v88, v16, v17
	v_pk_max_f16 v16, v85, v85
	v_pk_add_f16 v17, v11, v19
	v_pk_min_f16 v16, v16, v83
	v_pk_min_f16 v112, v22, v20
	v_pk_min_f16 v85, v16, v17
	v_pk_max_f16 v16, v79, v79
	v_pk_add_f16 v17, v13, v19
	v_pk_min_f16 v16, v16, v96
	ds_read2_b64 v[20:23], v74 offset0:32 offset1:40
	v_pk_min_f16 v83, v16, v17
	v_pk_max_f16 v16, v78, v78
	v_pk_add_f16 v17, v15, v19
	v_pk_min_f16 v16, v16, v86
	v_pk_add_f16 v100, v0, v18
	v_pk_min_f16 v82, v16, v17
	v_pk_max_f16 v16, v77, v77
	v_pk_add_f16 v17, v5, v19
	v_pk_min_f16 v16, v16, v98
	v_pk_add_f16 v18, v2, v18
	v_pk_min_f16 v80, v16, v17
	v_pk_max_f16 v16, v76, v76
	v_pk_add_f16 v17, v7, v19
	v_pk_min_f16 v16, v16, v87
	s_waitcnt lgkmcnt(0)
	v_pk_add_f16 v102, v8, v20
	v_pk_min_f16 v78, v16, v17
	v_pk_max_f16 v16, v75, v75
	v_pk_add_f16 v17, v1, v19
	v_pk_min_f16 v16, v16, v100
	v_pk_add_f16 v127, v10, v20
	v_pk_min_f16 v77, v16, v17
	v_pk_max_f16 v17, v73, v73
	v_pk_add_f16 v16, v3, v19
	v_pk_min_f16 v17, v17, v18
	;; [unrolled: 5-line block ×7, first 2 shown]
	v_pk_add_f16 v20, v2, v20
	v_pk_min_f16 v64, v17, v16
	ds_read2_b64 v[16:19], v74 offset0:48 offset1:56
	v_pk_add_f16 v45, v7, v21
	v_pk_add_f16 v76, v1, v21
	;; [unrolled: 1-line block ×3, first 2 shown]
	v_pk_min_f16 v20, v70, v20
	v_pk_add_f16 v91, v8, v22
	v_pk_min_f16 v98, v20, v21
	v_pk_max_f16 v21, v67, v67
	v_pk_add_f16 v87, v9, v23
	v_pk_min_f16 v72, v72, v84
	v_pk_min_f16 v21, v21, v91
	v_pk_add_f16 v93, v10, v22
	v_pk_add_f16 v89, v12, v22
	v_pk_add_f16 v131, v14, v22
	v_pk_add_f16 v79, v4, v22
	v_pk_add_f16 v86, v6, v22
	v_pk_add_f16 v132, v0, v22
	v_pk_add_f16 v22, v2, v22
	s_waitcnt lgkmcnt(0)
	v_pk_add_f16 v135, v8, v16
	v_pk_min_f16 v100, v72, v76
	v_pk_add_f16 v72, v10, v16
	v_pk_add_f16 v70, v12, v16
	;; [unrolled: 1-line block ×4, first 2 shown]
	v_pk_min_f16 v96, v21, v87
	v_pk_add_f16 v21, v6, v16
	v_pk_add_f16 v136, v0, v16
	;; [unrolled: 1-line block ×11, first 2 shown]
	v_pk_max_f16 v18, v58, v58
	v_pk_add_f16 v134, v1, v23
	v_pk_min_f16 v18, v18, v132
	v_pk_add_f16 v127, v11, v23
	v_pk_min_f16 v84, v18, v134
	v_pk_max_f16 v18, v56, v56
	v_pk_add_f16 v128, v13, v23
	v_pk_add_f16 v129, v15, v23
	;; [unrolled: 1-line block ×5, first 2 shown]
	v_pk_min_f16 v18, v18, v22
	v_pk_max_f16 v22, v57, v57
	v_pk_min_f16 v44, v44, v81
	v_pk_min_f16 v81, v18, v23
	v_pk_add_f16 v18, v9, v17
	v_pk_min_f16 v22, v22, v135
	v_pk_min_f16 v61, v61, v79
	v_pk_min_f16 v79, v22, v18
	v_pk_max_f16 v22, v54, v54
	v_pk_add_f16 v18, v11, v17
	v_pk_min_f16 v22, v22, v72
	v_pk_min_f16 v65, v65, v93
	v_pk_min_f16 v76, v22, v18
	v_pk_max_f16 v22, v31, v31
	;; [unrolled: 5-line block ×6, first 2 shown]
	v_pk_add_f16 v18, v1, v17
	v_pk_min_f16 v20, v20, v136
	v_pk_add_f16 v17, v3, v17
	v_pk_min_f16 v63, v20, v18
	v_pk_max_f16 v18, v24, v24
	v_pk_min_f16 v89, v62, v129
	v_pk_min_f16 v16, v18, v16
	v_pk_add_f16 v9, v9, v19
	v_pk_min_f16 v62, v16, v17
	v_pk_max_f16 v16, v30, v30
	v_pk_min_f16 v87, v61, v130
	v_pk_min_f16 v8, v16, v8
	;; [unrolled: 1-line block ×4, first 2 shown]
	v_pk_max_f16 v9, v29, v29
	v_pk_add_f16 v8, v11, v19
	v_pk_min_f16 v9, v9, v10
	v_pk_min_f16 v86, v60, v133
	;; [unrolled: 1-line block ×3, first 2 shown]
	v_pk_max_f16 v9, v48, v48
	v_pk_add_f16 v8, v13, v19
	v_pk_min_f16 v9, v9, v12
	v_pk_add_f16 v5, v5, v19
	v_pk_min_f16 v58, v9, v8
	v_pk_max_f16 v9, v47, v47
	v_pk_add_f16 v8, v15, v19
	v_pk_min_f16 v9, v9, v14
	v_pk_add_f16 v1, v1, v19
	v_pk_min_f16 v57, v9, v8
	v_pk_max_f16 v8, v55, v55
	v_pk_min_f16 v102, v44, v45
	v_pk_min_f16 v4, v8, v4
	v_perm_b32 v45, v125, v43, s27
	v_pk_min_f16 v56, v4, v5
	v_pk_max_f16 v5, v49, v49
	v_pk_add_f16 v4, v7, v19
	v_pk_min_f16 v5, v5, v6
	ds_write_b16 v121, v42
	ds_write_b16_d16_hi v121, v42 offset:512
	ds_write_b16 v121, v43 offset:1024
	ds_write_b16 v121, v125 offset:1536
	ds_write_b16 v122, v46
	v_pk_min_f16 v54, v5, v4
	v_pk_max_f16 v4, v126, v126
	s_waitcnt lgkmcnt(0)
	v_pk_min_f16 v0, v4, v0
	s_barrier
	v_pk_min_f16 v55, v0, v1
	v_pk_max_f16 v1, v59, v59
	v_pk_add_f16 v0, v3, v19
	v_pk_min_f16 v1, v1, v2
	s_nop 0
	v_pk_min_f16 v59, v1, v0
	s_cbranch_scc1 .LBB260_49
; %bb.42:
	v_mov_b32_e32 v44, v42
	s_mov_b64 s[12:13], -1
	s_mov_b64 vcc, s[4:5]
                                        ; implicit-def: $vgpr0_vgpr1
	s_cbranch_vccnz .LBB260_28
.LBB260_43:
	v_mov_b32_e32 v4, 0
	s_andn2_b64 vcc, exec, s[12:13]
	v_lshl_add_u64 v[2:3], v[40:41], 0, v[36:37]
	s_cbranch_vccnz .LBB260_29
.LBB260_44:
	global_load_ushort v0, v[2:3], off
	global_load_ushort v1, v[2:3], off offset:128
	s_waitcnt vmcnt(1)
	v_mul_f16_e32 v0, s19, v0
	v_bfi_b32 v32, s20, v0, v32
	s_waitcnt vmcnt(0)
	v_mul_f16_e32 v4, s19, v1
	v_mov_b64_e32 v[0:1], v[32:33]
	v_perm_b32 v32, v4, v0, s27
	s_mov_b64 s[12:13], -1
	s_mov_b64 vcc, s[4:5]
	s_cbranch_vccnz .LBB260_30
.LBB260_45:
	v_mov_b32_e32 v42, 0
	s_andn2_b64 vcc, exec, s[12:13]
	v_mov_b32_e32 v127, 0
	s_cbranch_vccnz .LBB260_31
.LBB260_46:
	global_load_ushort v0, v[2:3], off offset:256
	global_load_ushort v4, v[2:3], off offset:384
	s_waitcnt vmcnt(1)
	v_mul_f16_e32 v0, s19, v0
	v_bfi_b32 v33, s20, v0, v1
	s_waitcnt vmcnt(0)
	v_mul_f16_e32 v127, s19, v4
	s_and_b64 vcc, exec, s[6:7]
	s_cbranch_vccz .LBB260_32
	s_branch .LBB260_33
.LBB260_47:
	v_mov_b32_e32 v46, 0
	s_andn2_b64 vcc, exec, s[12:13]
	v_mov_b32_e32 v125, 0
	s_cbranch_vccnz .LBB260_39
.LBB260_48:
	global_load_ushort v43, v[48:49], off offset:256
	global_load_ushort v44, v[48:49], off offset:384
	s_waitcnt vmcnt(1)
	v_mul_f16_e32 v43, s19, v43
	v_bfi_b32 v43, s20, v43, v47
	s_waitcnt vmcnt(0)
	v_mul_f16_e32 v125, s19, v44
	s_and_b64 vcc, exec, s[6:7]
	s_cbranch_vccz .LBB260_40
	s_branch .LBB260_41
.LBB260_49:
	s_load_dword s6, s[0:1], 0x50
	ds_read_b64 v[30:31], v53 offset:2048
	ds_read_b64 v[46:47], v52 offset:4608
	v_add_u32_e32 v69, s26, v51
	v_cmp_neq_f16_e64 s[4:5], s24, 0
	v_add_u32_e32 v28, s25, v50
	s_waitcnt lgkmcnt(0)
	v_mad_i64_i32 v[0:1], s[10:11], v69, s6, 0
	v_ashrrev_i32_e32 v29, 31, v28
	v_lshl_add_u64 v[48:49], v[0:1], 1, s[16:17]
	v_mov_b32_e32 v34, 0
	s_and_b64 vcc, exec, s[4:5]
	v_mov_b32_e32 v35, 0
	s_cbranch_vccz .LBB260_51
; %bb.50:
	v_lshl_add_u64 v[0:1], v[28:29], 1, v[48:49]
	global_load_ushort v0, v[0:1], off
	s_waitcnt vmcnt(0)
	v_mul_f16_e32 v0, s24, v0
	v_cvt_f32_f16_e32 v35, v0
.LBB260_51:
	v_add_u32_e32 v0, 0x800, v53
	v_pk_add_f16 v32, v30, v46
	v_max_f16_e32 v33, v119, v119
	v_pk_add_f16 v37, v31, v47
	ds_read2_b64 v[8:11], v0 offset0:32 offset1:64
	ds_read2_b64 v[4:7], v0 offset0:96 offset1:128
	;; [unrolled: 1-line block ×3, first 2 shown]
	ds_read_b64 v[24:25], v53 offset:3840
	s_load_dword s7, s[0:1], 0x68
	s_load_dwordx2 s[10:11], s[0:1], 0x70
	v_min_f16_e32 v36, v33, v32
	v_lshrrev_b32_e32 v33, 16, v119
	v_lshrrev_b32_e32 v32, 16, v32
	;; [unrolled: 1-line block ×3, first 2 shown]
	v_min3_f16 v38, v33, v32, v38
	v_min3_f16 v36, v36, v37, v38
	v_cvt_f32_f16_e32 v38, v36
	v_add_u32_e32 v12, 0x1000, v52
	ds_read2_b64 v[20:23], v12 offset0:72 offset1:80
	ds_read2_b64 v[16:19], v12 offset0:88 offset1:96
	ds_read2_b64 v[12:15], v12 offset0:104 offset1:112
	ds_read_b64 v[26:27], v52 offset:5056
	s_waitcnt lgkmcnt(0)
	s_mul_i32 s0, s11, s3
	s_mul_hi_u32 s1, s10, s3
	s_add_i32 s1, s1, s0
	s_mul_i32 s0, s10, s3
	v_max_f32_e32 v35, v35, v35
	s_lshl_b64 s[0:1], s[0:1], 1
	v_min_f32_e32 v35, v35, v38
	s_add_u32 s2, s14, s0
	v_cvt_f16_f32_e32 v35, v35
	s_addc_u32 s3, s15, s1
	v_mad_i64_i32 v[36:37], s[0:1], v69, s7, 0
	v_add_u32_e32 v32, 32, v28
	v_lshl_add_u64 v[50:51], v[36:37], 1, s[2:3]
	v_cndmask_b32_e64 v38, 0, 1, s[4:5]
	v_ashrrev_i32_e32 v33, 31, v32
	v_lshl_add_u64 v[36:37], v[28:29], 1, v[50:51]
	v_cmp_ne_u32_e64 s[0:1], 1, v38
	s_andn2_b64 vcc, exec, s[4:5]
	global_store_short v[36:37], v35, off
	s_cbranch_vccnz .LBB260_53
; %bb.52:
	v_lshl_add_u64 v[34:35], v[32:33], 1, v[48:49]
	global_load_ushort v34, v[34:35], off
	s_waitcnt vmcnt(0)
	v_mul_f16_e32 v34, s24, v34
	v_cvt_f32_f16_e32 v34, v34
.LBB260_53:
	v_pk_add_f16 v35, v8, v46
	v_max_f16_e32 v36, v118, v118
	v_pk_add_f16 v38, v9, v47
	v_min_f16_e32 v36, v36, v35
	v_lshrrev_b32_e32 v37, 16, v118
	v_lshrrev_b32_e32 v35, 16, v35
	;; [unrolled: 1-line block ×3, first 2 shown]
	v_min3_f16 v35, v37, v35, v39
	v_min3_f16 v35, v36, v38, v35
	v_cvt_f32_f16_e32 v35, v35
	v_max_f32_e32 v34, v34, v34
	v_lshl_add_u64 v[36:37], v[32:33], 1, v[50:51]
	s_and_b64 vcc, exec, s[0:1]
	v_min_f32_e32 v34, v34, v35
	v_cvt_f16_f32_e32 v38, v34
	v_add_u32_e32 v34, 64, v28
	v_ashrrev_i32_e32 v35, 31, v34
	global_store_short v[36:37], v38, off
	v_mov_b32_e32 v38, 0
	v_mov_b32_e32 v37, 0
	s_cbranch_vccnz .LBB260_55
; %bb.54:
	v_lshl_add_u64 v[36:37], v[34:35], 1, v[48:49]
	global_load_ushort v36, v[36:37], off
	s_waitcnt vmcnt(0)
	v_mul_f16_e32 v36, s24, v36
	v_cvt_f32_f16_e32 v37, v36
.LBB260_55:
	v_pk_add_f16 v36, v10, v46
	v_max_f16_e32 v39, v117, v117
	v_pk_add_f16 v41, v11, v47
	v_min_f16_e32 v39, v39, v36
	v_lshrrev_b32_e32 v40, 16, v117
	v_lshrrev_b32_e32 v36, 16, v36
	;; [unrolled: 1-line block ×3, first 2 shown]
	v_min3_f16 v36, v40, v36, v42
	v_min3_f16 v36, v39, v41, v36
	v_cvt_f32_f16_e32 v39, v36
	v_max_f32_e32 v37, v37, v37
	v_add_u32_e32 v36, 0x60, v28
	v_lshl_add_u64 v[40:41], v[34:35], 1, v[50:51]
	v_min_f32_e32 v37, v37, v39
	v_cvt_f16_f32_e32 v39, v37
	v_ashrrev_i32_e32 v37, 31, v36
	s_and_b64 vcc, exec, s[0:1]
	global_store_short v[40:41], v39, off
	s_cbranch_vccnz .LBB260_57
; %bb.56:
	v_lshl_add_u64 v[38:39], v[36:37], 1, v[48:49]
	global_load_ushort v38, v[38:39], off
	s_waitcnt vmcnt(0)
	v_mul_f16_e32 v38, s24, v38
	v_cvt_f32_f16_e32 v38, v38
.LBB260_57:
	v_pk_add_f16 v39, v4, v46
	v_max_f16_e32 v40, v116, v116
	v_pk_add_f16 v42, v5, v47
	v_min_f16_e32 v40, v40, v39
	v_lshrrev_b32_e32 v41, 16, v116
	v_lshrrev_b32_e32 v39, 16, v39
	;; [unrolled: 1-line block ×3, first 2 shown]
	v_min3_f16 v39, v41, v39, v43
	v_min3_f16 v39, v40, v42, v39
	v_cvt_f32_f16_e32 v39, v39
	v_max_f32_e32 v38, v38, v38
	v_add_u32_e32 v40, 0x80, v28
	v_ashrrev_i32_e32 v41, 31, v40
	v_min_f32_e32 v38, v38, v39
	v_cvt_f16_f32_e32 v42, v38
	v_lshl_add_u64 v[38:39], v[36:37], 1, v[50:51]
	s_and_b64 vcc, exec, s[0:1]
	global_store_short v[38:39], v42, off
	v_mov_b32_e32 v42, 0
	v_mov_b32_e32 v39, 0
	s_cbranch_vccnz .LBB260_59
; %bb.58:
	v_lshl_add_u64 v[38:39], v[40:41], 1, v[48:49]
	global_load_ushort v38, v[38:39], off
	s_waitcnt vmcnt(0)
	v_mul_f16_e32 v38, s24, v38
	v_cvt_f32_f16_e32 v39, v38
.LBB260_59:
	v_pk_add_f16 v38, v6, v46
	v_max_f16_e32 v43, v115, v115
	v_pk_add_f16 v45, v7, v47
	v_min_f16_e32 v43, v43, v38
	v_lshrrev_b32_e32 v44, 16, v115
	v_lshrrev_b32_e32 v38, 16, v38
	;; [unrolled: 1-line block ×3, first 2 shown]
	v_min3_f16 v38, v44, v38, v52
	v_min3_f16 v38, v43, v45, v38
	v_cvt_f32_f16_e32 v43, v38
	v_max_f32_e32 v39, v39, v39
	v_add_u32_e32 v38, 0xa0, v28
	v_lshl_add_u64 v[44:45], v[40:41], 1, v[50:51]
	v_min_f32_e32 v39, v39, v43
	v_cvt_f16_f32_e32 v43, v39
	v_ashrrev_i32_e32 v39, 31, v38
	s_and_b64 vcc, exec, s[0:1]
	global_store_short v[44:45], v43, off
	s_cbranch_vccnz .LBB260_61
; %bb.60:
	v_lshl_add_u64 v[42:43], v[38:39], 1, v[48:49]
	global_load_ushort v42, v[42:43], off
	s_waitcnt vmcnt(0)
	v_mul_f16_e32 v42, s24, v42
	v_cvt_f32_f16_e32 v42, v42
.LBB260_61:
	v_pk_add_f16 v43, v0, v46
	v_max_f16_e32 v44, v114, v114
	v_pk_add_f16 v52, v1, v47
	v_min_f16_e32 v44, v44, v43
	v_lshrrev_b32_e32 v45, 16, v114
	v_lshrrev_b32_e32 v43, 16, v43
	;; [unrolled: 1-line block ×3, first 2 shown]
	v_min3_f16 v43, v45, v43, v53
	v_min3_f16 v43, v44, v52, v43
	v_cvt_f32_f16_e32 v43, v43
	v_max_f32_e32 v42, v42, v42
	v_lshl_add_u64 v[44:45], v[38:39], 1, v[50:51]
	s_and_b64 vcc, exec, s[0:1]
	v_min_f32_e32 v42, v42, v43
	v_cvt_f16_f32_e32 v52, v42
	v_add_u32_e32 v42, 0xc0, v28
	v_ashrrev_i32_e32 v43, 31, v42
	global_store_short v[44:45], v52, off
	v_mov_b32_e32 v52, 0
	v_mov_b32_e32 v45, 0
	s_cbranch_vccnz .LBB260_63
; %bb.62:
	v_lshl_add_u64 v[44:45], v[42:43], 1, v[48:49]
	global_load_ushort v44, v[44:45], off
	s_waitcnt vmcnt(0)
	v_mul_f16_e32 v44, s24, v44
	v_cvt_f32_f16_e32 v45, v44
.LBB260_63:
	v_pk_add_f16 v44, v2, v46
	v_max_f16_e32 v53, v112, v112
	v_lshrrev_b32_e32 v74, 16, v112
	v_pk_add_f16 v112, v3, v47
	v_min_f16_e32 v53, v53, v44
	v_lshrrev_b32_e32 v44, 16, v44
	v_lshrrev_b32_e32 v114, 16, v112
	v_min3_f16 v44, v74, v44, v114
	v_min3_f16 v44, v53, v112, v44
	v_cvt_f32_f16_e32 v53, v44
	v_max_f32_e32 v45, v45, v45
	v_add_u32_e32 v44, 0xe0, v28
	v_lshl_add_u64 v[114:115], v[42:43], 1, v[50:51]
	v_min_f32_e32 v45, v45, v53
	v_cvt_f16_f32_e32 v53, v45
	v_ashrrev_i32_e32 v45, 31, v44
	s_and_b64 vcc, exec, s[0:1]
	global_store_short v[114:115], v53, off
	s_cbranch_vccnz .LBB260_65
; %bb.64:
	v_lshl_add_u64 v[48:49], v[44:45], 1, v[48:49]
	global_load_ushort v48, v[48:49], off
	s_waitcnt vmcnt(0)
	v_mul_f16_e32 v48, s24, v48
	v_cvt_f32_f16_e32 v52, v48
.LBB260_65:
	v_pk_add_f16 v46, v24, v46
	v_max_f16_e32 v48, v113, v113
	v_pk_add_f16 v47, v25, v47
	v_min_f16_e32 v48, v48, v46
	v_lshrrev_b32_e32 v49, 16, v113
	v_lshrrev_b32_e32 v46, 16, v46
	;; [unrolled: 1-line block ×3, first 2 shown]
	v_min3_f16 v46, v49, v46, v53
	v_min3_f16 v46, v48, v47, v46
	v_cvt_f32_f16_e32 v46, v46
	v_max_f32_e32 v47, v52, v52
	s_and_b64 vcc, exec, s[0:1]
	v_mov_b32_e32 v49, 0
	v_min_f32_e32 v46, v47, v46
	v_cvt_f16_f32_e32 v48, v46
	v_lshl_add_u64 v[46:47], v[44:45], 1, v[50:51]
	v_mov_b32_e32 v50, 0
	global_store_short v[46:47], v48, off
	v_add_u32_e32 v48, 8, v69
	v_mad_i64_i32 v[46:47], s[4:5], v48, s6, 0
	v_lshl_add_u64 v[46:47], v[46:47], 1, s[16:17]
	s_cbranch_vccnz .LBB260_67
; %bb.66:
	v_lshl_add_u64 v[52:53], v[28:29], 1, v[46:47]
	global_load_ushort v49, v[52:53], off
	s_waitcnt vmcnt(0)
	v_mul_f16_e32 v49, s24, v49
	v_cvt_f32_f16_e32 v49, v49
.LBB260_67:
	v_pk_add_f16 v51, v30, v20
	v_max_f16_e32 v52, v111, v111
	v_pk_add_f16 v74, v31, v21
	v_min_f16_e32 v52, v52, v51
	v_lshrrev_b32_e32 v53, 16, v111
	v_lshrrev_b32_e32 v51, 16, v51
	;; [unrolled: 1-line block ×3, first 2 shown]
	v_min3_f16 v51, v53, v51, v111
	v_min3_f16 v51, v52, v74, v51
	v_cvt_f32_f16_e32 v51, v51
	v_mad_i64_i32 v[52:53], s[4:5], v48, s7, 0
	v_max_f32_e32 v48, v49, v49
	v_min_f32_e32 v48, v48, v51
	v_cvt_f16_f32_e32 v51, v48
	v_lshl_add_u64 v[48:49], v[52:53], 1, s[2:3]
	v_lshl_add_u64 v[52:53], v[28:29], 1, v[48:49]
	s_and_b64 vcc, exec, s[0:1]
	global_store_short v[52:53], v51, off
	s_cbranch_vccnz .LBB260_69
; %bb.68:
	v_lshl_add_u64 v[50:51], v[32:33], 1, v[46:47]
	global_load_ushort v50, v[50:51], off
	s_waitcnt vmcnt(0)
	v_mul_f16_e32 v50, s24, v50
	v_cvt_f32_f16_e32 v50, v50
.LBB260_69:
	v_pk_add_f16 v51, v8, v20
	v_max_f16_e32 v52, v110, v110
	v_pk_add_f16 v74, v9, v21
	v_min_f16_e32 v52, v52, v51
	v_lshrrev_b32_e32 v53, 16, v110
	v_lshrrev_b32_e32 v51, 16, v51
	v_lshrrev_b32_e32 v110, 16, v74
	v_min3_f16 v51, v53, v51, v110
	v_min3_f16 v51, v52, v74, v51
	v_cvt_f32_f16_e32 v51, v51
	v_max_f32_e32 v50, v50, v50
	s_and_b64 vcc, exec, s[0:1]
	v_min_f32_e32 v50, v50, v51
	v_cvt_f16_f32_e32 v52, v50
	v_lshl_add_u64 v[50:51], v[32:33], 1, v[48:49]
	global_store_short v[50:51], v52, off
	v_mov_b32_e32 v50, 0
	v_mov_b32_e32 v51, 0
	s_cbranch_vccnz .LBB260_71
; %bb.70:
	v_lshl_add_u64 v[52:53], v[34:35], 1, v[46:47]
	global_load_ushort v51, v[52:53], off
	s_waitcnt vmcnt(0)
	v_mul_f16_e32 v51, s24, v51
	v_cvt_f32_f16_e32 v51, v51
.LBB260_71:
	v_pk_add_f16 v52, v10, v20
	v_max_f16_e32 v53, v109, v109
	v_lshrrev_b32_e32 v74, 16, v109
	v_pk_add_f16 v109, v11, v21
	v_min_f16_e32 v53, v53, v52
	v_lshrrev_b32_e32 v52, 16, v52
	v_lshrrev_b32_e32 v110, 16, v109
	v_min3_f16 v52, v74, v52, v110
	v_min3_f16 v52, v53, v109, v52
	v_cvt_f32_f16_e32 v52, v52
	v_max_f32_e32 v51, v51, v51
	s_and_b64 vcc, exec, s[0:1]
	v_min_f32_e32 v51, v51, v52
	v_cvt_f16_f32_e32 v51, v51
	v_lshl_add_u64 v[52:53], v[34:35], 1, v[48:49]
	global_store_short v[52:53], v51, off
	s_cbranch_vccnz .LBB260_73
; %bb.72:
	v_lshl_add_u64 v[50:51], v[36:37], 1, v[46:47]
	global_load_ushort v50, v[50:51], off
	s_waitcnt vmcnt(0)
	v_mul_f16_e32 v50, s24, v50
	v_cvt_f32_f16_e32 v50, v50
.LBB260_73:
	v_pk_add_f16 v51, v4, v20
	v_max_f16_e32 v52, v108, v108
	v_pk_add_f16 v74, v5, v21
	v_min_f16_e32 v52, v52, v51
	v_lshrrev_b32_e32 v53, 16, v108
	v_lshrrev_b32_e32 v51, 16, v51
	v_lshrrev_b32_e32 v108, 16, v74
	v_min3_f16 v51, v53, v51, v108
	v_min3_f16 v51, v52, v74, v51
	v_cvt_f32_f16_e32 v51, v51
	v_max_f32_e32 v50, v50, v50
	s_and_b64 vcc, exec, s[0:1]
	v_min_f32_e32 v50, v50, v51
	v_cvt_f16_f32_e32 v52, v50
	v_lshl_add_u64 v[50:51], v[36:37], 1, v[48:49]
	global_store_short v[50:51], v52, off
	v_mov_b32_e32 v50, 0
	v_mov_b32_e32 v51, 0
	s_cbranch_vccnz .LBB260_75
; %bb.74:
	v_lshl_add_u64 v[52:53], v[40:41], 1, v[46:47]
	global_load_ushort v51, v[52:53], off
	s_waitcnt vmcnt(0)
	v_mul_f16_e32 v51, s24, v51
	v_cvt_f32_f16_e32 v51, v51
.LBB260_75:
	v_pk_add_f16 v52, v6, v20
	v_max_f16_e32 v53, v107, v107
	v_lshrrev_b32_e32 v74, 16, v107
	v_pk_add_f16 v107, v7, v21
	v_min_f16_e32 v53, v53, v52
	v_lshrrev_b32_e32 v52, 16, v52
	v_lshrrev_b32_e32 v108, 16, v107
	v_min3_f16 v52, v74, v52, v108
	v_min3_f16 v52, v53, v107, v52
	v_cvt_f32_f16_e32 v52, v52
	v_max_f32_e32 v51, v51, v51
	s_and_b64 vcc, exec, s[0:1]
	v_min_f32_e32 v51, v51, v52
	v_cvt_f16_f32_e32 v51, v51
	v_lshl_add_u64 v[52:53], v[40:41], 1, v[48:49]
	;; [unrolled: 50-line block ×3, first 2 shown]
	global_store_short v[52:53], v51, off
	s_cbranch_vccnz .LBB260_81
; %bb.80:
	v_lshl_add_u64 v[46:47], v[44:45], 1, v[46:47]
	global_load_ushort v46, v[46:47], off
	s_waitcnt vmcnt(0)
	v_mul_f16_e32 v46, s24, v46
	v_cvt_f32_f16_e32 v50, v46
.LBB260_81:
	v_pk_add_f16 v20, v24, v20
	v_max_f16_e32 v46, v104, v104
	v_pk_add_f16 v21, v25, v21
	v_min_f16_e32 v46, v46, v20
	v_lshrrev_b32_e32 v47, 16, v104
	v_lshrrev_b32_e32 v20, 16, v20
	;; [unrolled: 1-line block ×3, first 2 shown]
	v_min3_f16 v20, v47, v20, v51
	v_min3_f16 v20, v46, v21, v20
	v_cvt_f32_f16_e32 v20, v20
	v_max_f32_e32 v21, v50, v50
	s_and_b64 vcc, exec, s[0:1]
	v_mov_b32_e32 v47, 0
	v_min_f32_e32 v20, v21, v20
	v_cvt_f16_f32_e32 v46, v20
	v_lshl_add_u64 v[20:21], v[44:45], 1, v[48:49]
	v_mov_b32_e32 v48, 0
	global_store_short v[20:21], v46, off
	v_add_u32_e32 v46, 16, v69
	v_mad_i64_i32 v[20:21], s[4:5], v46, s6, 0
	v_lshl_add_u64 v[20:21], v[20:21], 1, s[16:17]
	s_cbranch_vccnz .LBB260_83
; %bb.82:
	v_lshl_add_u64 v[50:51], v[28:29], 1, v[20:21]
	global_load_ushort v47, v[50:51], off
	s_waitcnt vmcnt(0)
	v_mul_f16_e32 v47, s24, v47
	v_cvt_f32_f16_e32 v47, v47
.LBB260_83:
	v_pk_add_f16 v49, v30, v22
	v_max_f16_e32 v50, v103, v103
	v_pk_add_f16 v52, v31, v23
	v_min_f16_e32 v50, v50, v49
	v_lshrrev_b32_e32 v51, 16, v103
	v_lshrrev_b32_e32 v49, 16, v49
	;; [unrolled: 1-line block ×3, first 2 shown]
	v_min3_f16 v49, v51, v49, v53
	v_min3_f16 v49, v50, v52, v49
	v_cvt_f32_f16_e32 v49, v49
	v_mad_i64_i32 v[50:51], s[4:5], v46, s7, 0
	v_max_f32_e32 v46, v47, v47
	v_min_f32_e32 v46, v46, v49
	v_cvt_f16_f32_e32 v49, v46
	v_lshl_add_u64 v[46:47], v[50:51], 1, s[2:3]
	v_lshl_add_u64 v[50:51], v[28:29], 1, v[46:47]
	s_and_b64 vcc, exec, s[0:1]
	global_store_short v[50:51], v49, off
	s_cbranch_vccnz .LBB260_85
; %bb.84:
	v_lshl_add_u64 v[48:49], v[32:33], 1, v[20:21]
	global_load_ushort v48, v[48:49], off
	s_waitcnt vmcnt(0)
	v_mul_f16_e32 v48, s24, v48
	v_cvt_f32_f16_e32 v48, v48
.LBB260_85:
	v_pk_add_f16 v49, v8, v22
	v_max_f16_e32 v50, v101, v101
	v_pk_add_f16 v52, v9, v23
	v_min_f16_e32 v50, v50, v49
	v_lshrrev_b32_e32 v51, 16, v101
	v_lshrrev_b32_e32 v49, 16, v49
	v_lshrrev_b32_e32 v53, 16, v52
	v_min3_f16 v49, v51, v49, v53
	v_min3_f16 v49, v50, v52, v49
	v_cvt_f32_f16_e32 v49, v49
	v_max_f32_e32 v48, v48, v48
	s_and_b64 vcc, exec, s[0:1]
	v_min_f32_e32 v48, v48, v49
	v_cvt_f16_f32_e32 v50, v48
	v_lshl_add_u64 v[48:49], v[32:33], 1, v[46:47]
	global_store_short v[48:49], v50, off
	v_mov_b32_e32 v48, 0
	v_mov_b32_e32 v49, 0
	s_cbranch_vccnz .LBB260_87
; %bb.86:
	v_lshl_add_u64 v[50:51], v[34:35], 1, v[20:21]
	global_load_ushort v49, v[50:51], off
	s_waitcnt vmcnt(0)
	v_mul_f16_e32 v49, s24, v49
	v_cvt_f32_f16_e32 v49, v49
.LBB260_87:
	v_pk_add_f16 v50, v10, v22
	v_max_f16_e32 v51, v99, v99
	v_pk_add_f16 v53, v11, v23
	v_min_f16_e32 v51, v51, v50
	v_lshrrev_b32_e32 v52, 16, v99
	v_lshrrev_b32_e32 v50, 16, v50
	v_lshrrev_b32_e32 v74, 16, v53
	v_min3_f16 v50, v52, v50, v74
	v_min3_f16 v50, v51, v53, v50
	v_cvt_f32_f16_e32 v50, v50
	v_max_f32_e32 v49, v49, v49
	s_and_b64 vcc, exec, s[0:1]
	v_min_f32_e32 v49, v49, v50
	v_cvt_f16_f32_e32 v49, v49
	v_lshl_add_u64 v[50:51], v[34:35], 1, v[46:47]
	global_store_short v[50:51], v49, off
	s_cbranch_vccnz .LBB260_89
; %bb.88:
	v_lshl_add_u64 v[48:49], v[36:37], 1, v[20:21]
	global_load_ushort v48, v[48:49], off
	s_waitcnt vmcnt(0)
	v_mul_f16_e32 v48, s24, v48
	v_cvt_f32_f16_e32 v48, v48
.LBB260_89:
	v_pk_add_f16 v49, v4, v22
	v_max_f16_e32 v50, v97, v97
	v_pk_add_f16 v52, v5, v23
	v_min_f16_e32 v50, v50, v49
	v_lshrrev_b32_e32 v51, 16, v97
	v_lshrrev_b32_e32 v49, 16, v49
	v_lshrrev_b32_e32 v53, 16, v52
	v_min3_f16 v49, v51, v49, v53
	v_min3_f16 v49, v50, v52, v49
	v_cvt_f32_f16_e32 v49, v49
	v_max_f32_e32 v48, v48, v48
	s_and_b64 vcc, exec, s[0:1]
	v_min_f32_e32 v48, v48, v49
	v_cvt_f16_f32_e32 v50, v48
	v_lshl_add_u64 v[48:49], v[36:37], 1, v[46:47]
	global_store_short v[48:49], v50, off
	v_mov_b32_e32 v48, 0
	v_mov_b32_e32 v49, 0
	s_cbranch_vccnz .LBB260_91
; %bb.90:
	v_lshl_add_u64 v[50:51], v[40:41], 1, v[20:21]
	global_load_ushort v49, v[50:51], off
	s_waitcnt vmcnt(0)
	v_mul_f16_e32 v49, s24, v49
	v_cvt_f32_f16_e32 v49, v49
.LBB260_91:
	v_pk_add_f16 v50, v6, v22
	v_max_f16_e32 v51, v95, v95
	v_pk_add_f16 v53, v7, v23
	v_min_f16_e32 v51, v51, v50
	v_lshrrev_b32_e32 v52, 16, v95
	v_lshrrev_b32_e32 v50, 16, v50
	v_lshrrev_b32_e32 v74, 16, v53
	v_min3_f16 v50, v52, v50, v74
	v_min3_f16 v50, v51, v53, v50
	v_cvt_f32_f16_e32 v50, v50
	v_max_f32_e32 v49, v49, v49
	s_and_b64 vcc, exec, s[0:1]
	v_min_f32_e32 v49, v49, v50
	v_cvt_f16_f32_e32 v49, v49
	v_lshl_add_u64 v[50:51], v[40:41], 1, v[46:47]
	;; [unrolled: 50-line block ×3, first 2 shown]
	global_store_short v[50:51], v49, off
	s_cbranch_vccnz .LBB260_97
; %bb.96:
	v_lshl_add_u64 v[20:21], v[44:45], 1, v[20:21]
	global_load_ushort v20, v[20:21], off
	s_waitcnt vmcnt(0)
	v_mul_f16_e32 v20, s24, v20
	v_cvt_f32_f16_e32 v48, v20
.LBB260_97:
	v_pk_add_f16 v20, v24, v22
	v_max_f16_e32 v21, v90, v90
	v_pk_add_f16 v23, v25, v23
	v_min_f16_e32 v21, v21, v20
	v_lshrrev_b32_e32 v22, 16, v90
	v_lshrrev_b32_e32 v20, 16, v20
	v_lshrrev_b32_e32 v49, 16, v23
	v_min3_f16 v20, v22, v20, v49
	v_min3_f16 v20, v21, v23, v20
	v_cvt_f32_f16_e32 v20, v20
	v_max_f32_e32 v21, v48, v48
	s_and_b64 vcc, exec, s[0:1]
	v_mov_b32_e32 v23, 0
	v_min_f32_e32 v20, v21, v20
	v_cvt_f16_f32_e32 v22, v20
	v_lshl_add_u64 v[20:21], v[44:45], 1, v[46:47]
	v_mov_b32_e32 v46, 0
	global_store_short v[20:21], v22, off
	v_add_u32_e32 v22, 24, v69
	v_mad_i64_i32 v[20:21], s[4:5], v22, s6, 0
	v_lshl_add_u64 v[20:21], v[20:21], 1, s[16:17]
	s_cbranch_vccnz .LBB260_99
; %bb.98:
	v_lshl_add_u64 v[48:49], v[28:29], 1, v[20:21]
	global_load_ushort v23, v[48:49], off
	s_waitcnt vmcnt(0)
	v_mul_f16_e32 v23, s24, v23
	v_cvt_f32_f16_e32 v23, v23
.LBB260_99:
	v_pk_add_f16 v47, v30, v16
	v_max_f16_e32 v48, v88, v88
	v_pk_add_f16 v50, v31, v17
	v_min_f16_e32 v48, v48, v47
	v_lshrrev_b32_e32 v49, 16, v88
	v_lshrrev_b32_e32 v47, 16, v47
	;; [unrolled: 1-line block ×3, first 2 shown]
	v_min3_f16 v47, v49, v47, v51
	v_min3_f16 v47, v48, v50, v47
	v_cvt_f32_f16_e32 v47, v47
	v_mad_i64_i32 v[48:49], s[4:5], v22, s7, 0
	v_max_f32_e32 v22, v23, v23
	v_min_f32_e32 v22, v22, v47
	v_cvt_f16_f32_e32 v47, v22
	v_lshl_add_u64 v[22:23], v[48:49], 1, s[2:3]
	v_lshl_add_u64 v[48:49], v[28:29], 1, v[22:23]
	s_and_b64 vcc, exec, s[0:1]
	global_store_short v[48:49], v47, off
	s_cbranch_vccnz .LBB260_101
; %bb.100:
	v_lshl_add_u64 v[46:47], v[32:33], 1, v[20:21]
	global_load_ushort v46, v[46:47], off
	s_waitcnt vmcnt(0)
	v_mul_f16_e32 v46, s24, v46
	v_cvt_f32_f16_e32 v46, v46
.LBB260_101:
	v_pk_add_f16 v47, v8, v16
	v_max_f16_e32 v48, v85, v85
	v_pk_add_f16 v50, v9, v17
	v_min_f16_e32 v48, v48, v47
	v_lshrrev_b32_e32 v49, 16, v85
	v_lshrrev_b32_e32 v47, 16, v47
	v_lshrrev_b32_e32 v51, 16, v50
	v_min3_f16 v47, v49, v47, v51
	v_min3_f16 v47, v48, v50, v47
	v_cvt_f32_f16_e32 v47, v47
	v_max_f32_e32 v46, v46, v46
	s_and_b64 vcc, exec, s[0:1]
	v_min_f32_e32 v46, v46, v47
	v_cvt_f16_f32_e32 v48, v46
	v_lshl_add_u64 v[46:47], v[32:33], 1, v[22:23]
	global_store_short v[46:47], v48, off
	v_mov_b32_e32 v46, 0
	v_mov_b32_e32 v47, 0
	s_cbranch_vccnz .LBB260_103
; %bb.102:
	v_lshl_add_u64 v[48:49], v[34:35], 1, v[20:21]
	global_load_ushort v47, v[48:49], off
	s_waitcnt vmcnt(0)
	v_mul_f16_e32 v47, s24, v47
	v_cvt_f32_f16_e32 v47, v47
.LBB260_103:
	v_pk_add_f16 v48, v10, v16
	v_max_f16_e32 v49, v83, v83
	v_pk_add_f16 v51, v11, v17
	v_min_f16_e32 v49, v49, v48
	v_lshrrev_b32_e32 v50, 16, v83
	v_lshrrev_b32_e32 v48, 16, v48
	v_lshrrev_b32_e32 v52, 16, v51
	v_min3_f16 v48, v50, v48, v52
	v_min3_f16 v48, v49, v51, v48
	v_cvt_f32_f16_e32 v48, v48
	v_max_f32_e32 v47, v47, v47
	s_and_b64 vcc, exec, s[0:1]
	v_min_f32_e32 v47, v47, v48
	v_cvt_f16_f32_e32 v47, v47
	v_lshl_add_u64 v[48:49], v[34:35], 1, v[22:23]
	global_store_short v[48:49], v47, off
	s_cbranch_vccnz .LBB260_105
; %bb.104:
	v_lshl_add_u64 v[46:47], v[36:37], 1, v[20:21]
	global_load_ushort v46, v[46:47], off
	s_waitcnt vmcnt(0)
	v_mul_f16_e32 v46, s24, v46
	v_cvt_f32_f16_e32 v46, v46
.LBB260_105:
	v_pk_add_f16 v47, v4, v16
	v_max_f16_e32 v48, v82, v82
	v_pk_add_f16 v50, v5, v17
	v_min_f16_e32 v48, v48, v47
	v_lshrrev_b32_e32 v49, 16, v82
	v_lshrrev_b32_e32 v47, 16, v47
	v_lshrrev_b32_e32 v51, 16, v50
	v_min3_f16 v47, v49, v47, v51
	v_min3_f16 v47, v48, v50, v47
	v_cvt_f32_f16_e32 v47, v47
	v_max_f32_e32 v46, v46, v46
	s_and_b64 vcc, exec, s[0:1]
	v_min_f32_e32 v46, v46, v47
	v_cvt_f16_f32_e32 v48, v46
	v_lshl_add_u64 v[46:47], v[36:37], 1, v[22:23]
	global_store_short v[46:47], v48, off
	v_mov_b32_e32 v46, 0
	v_mov_b32_e32 v47, 0
	s_cbranch_vccnz .LBB260_107
; %bb.106:
	v_lshl_add_u64 v[48:49], v[40:41], 1, v[20:21]
	global_load_ushort v47, v[48:49], off
	s_waitcnt vmcnt(0)
	v_mul_f16_e32 v47, s24, v47
	v_cvt_f32_f16_e32 v47, v47
.LBB260_107:
	v_pk_add_f16 v48, v6, v16
	v_max_f16_e32 v49, v80, v80
	v_pk_add_f16 v51, v7, v17
	v_min_f16_e32 v49, v49, v48
	v_lshrrev_b32_e32 v50, 16, v80
	v_lshrrev_b32_e32 v48, 16, v48
	v_lshrrev_b32_e32 v52, 16, v51
	v_min3_f16 v48, v50, v48, v52
	v_min3_f16 v48, v49, v51, v48
	v_cvt_f32_f16_e32 v48, v48
	v_max_f32_e32 v47, v47, v47
	s_and_b64 vcc, exec, s[0:1]
	v_min_f32_e32 v47, v47, v48
	v_cvt_f16_f32_e32 v47, v47
	v_lshl_add_u64 v[48:49], v[40:41], 1, v[22:23]
	;; [unrolled: 50-line block ×3, first 2 shown]
	global_store_short v[48:49], v47, off
	s_cbranch_vccnz .LBB260_113
; %bb.112:
	v_lshl_add_u64 v[20:21], v[44:45], 1, v[20:21]
	global_load_ushort v20, v[20:21], off
	s_waitcnt vmcnt(0)
	v_mul_f16_e32 v20, s24, v20
	v_cvt_f32_f16_e32 v46, v20
.LBB260_113:
	v_pk_add_f16 v16, v24, v16
	v_max_f16_e32 v20, v73, v73
	v_pk_add_f16 v17, v25, v17
	v_min_f16_e32 v20, v20, v16
	v_lshrrev_b32_e32 v21, 16, v73
	v_lshrrev_b32_e32 v16, 16, v16
	;; [unrolled: 1-line block ×3, first 2 shown]
	v_min3_f16 v16, v21, v16, v47
	v_min3_f16 v16, v20, v17, v16
	v_cvt_f32_f16_e32 v16, v16
	v_max_f32_e32 v17, v46, v46
	s_and_b64 vcc, exec, s[0:1]
	v_mov_b32_e32 v21, 0
	v_min_f32_e32 v16, v17, v16
	v_cvt_f16_f32_e32 v20, v16
	v_lshl_add_u64 v[16:17], v[44:45], 1, v[22:23]
	v_mov_b32_e32 v22, 0
	global_store_short v[16:17], v20, off
	v_add_u32_e32 v20, 32, v69
	v_mad_i64_i32 v[16:17], s[4:5], v20, s6, 0
	v_lshl_add_u64 v[16:17], v[16:17], 1, s[16:17]
	s_cbranch_vccnz .LBB260_115
; %bb.114:
	v_lshl_add_u64 v[46:47], v[28:29], 1, v[16:17]
	global_load_ushort v21, v[46:47], off
	s_waitcnt vmcnt(0)
	v_mul_f16_e32 v21, s24, v21
	v_cvt_f32_f16_e32 v21, v21
.LBB260_115:
	v_pk_add_f16 v23, v30, v18
	v_max_f16_e32 v46, v75, v75
	v_pk_add_f16 v48, v31, v19
	v_min_f16_e32 v46, v46, v23
	v_lshrrev_b32_e32 v47, 16, v75
	v_lshrrev_b32_e32 v23, 16, v23
	;; [unrolled: 1-line block ×3, first 2 shown]
	v_min3_f16 v23, v47, v23, v49
	v_min3_f16 v23, v46, v48, v23
	v_cvt_f32_f16_e32 v23, v23
	v_mad_i64_i32 v[46:47], s[4:5], v20, s7, 0
	v_max_f32_e32 v20, v21, v21
	v_min_f32_e32 v20, v20, v23
	v_cvt_f16_f32_e32 v23, v20
	v_lshl_add_u64 v[20:21], v[46:47], 1, s[2:3]
	v_lshl_add_u64 v[46:47], v[28:29], 1, v[20:21]
	s_and_b64 vcc, exec, s[0:1]
	global_store_short v[46:47], v23, off
	s_cbranch_vccnz .LBB260_117
; %bb.116:
	v_lshl_add_u64 v[22:23], v[32:33], 1, v[16:17]
	global_load_ushort v22, v[22:23], off
	s_waitcnt vmcnt(0)
	v_mul_f16_e32 v22, s24, v22
	v_cvt_f32_f16_e32 v22, v22
.LBB260_117:
	v_pk_add_f16 v23, v8, v18
	v_max_f16_e32 v46, v71, v71
	v_pk_add_f16 v48, v9, v19
	v_min_f16_e32 v46, v46, v23
	v_lshrrev_b32_e32 v47, 16, v71
	v_lshrrev_b32_e32 v23, 16, v23
	v_lshrrev_b32_e32 v49, 16, v48
	v_min3_f16 v23, v47, v23, v49
	v_min3_f16 v23, v46, v48, v23
	v_cvt_f32_f16_e32 v23, v23
	v_max_f32_e32 v22, v22, v22
	s_and_b64 vcc, exec, s[0:1]
	v_min_f32_e32 v22, v22, v23
	v_cvt_f16_f32_e32 v46, v22
	v_lshl_add_u64 v[22:23], v[32:33], 1, v[20:21]
	global_store_short v[22:23], v46, off
	v_mov_b32_e32 v22, 0
	v_mov_b32_e32 v23, 0
	s_cbranch_vccnz .LBB260_119
; %bb.118:
	v_lshl_add_u64 v[46:47], v[34:35], 1, v[16:17]
	global_load_ushort v23, v[46:47], off
	s_waitcnt vmcnt(0)
	v_mul_f16_e32 v23, s24, v23
	v_cvt_f32_f16_e32 v23, v23
.LBB260_119:
	v_pk_add_f16 v46, v10, v18
	v_max_f16_e32 v47, v68, v68
	v_pk_add_f16 v49, v11, v19
	v_min_f16_e32 v47, v47, v46
	v_lshrrev_b32_e32 v48, 16, v68
	v_lshrrev_b32_e32 v46, 16, v46
	v_lshrrev_b32_e32 v50, 16, v49
	v_min3_f16 v46, v48, v46, v50
	v_min3_f16 v46, v47, v49, v46
	v_cvt_f32_f16_e32 v46, v46
	v_max_f32_e32 v23, v23, v23
	s_and_b64 vcc, exec, s[0:1]
	v_min_f32_e32 v23, v23, v46
	v_cvt_f16_f32_e32 v23, v23
	v_lshl_add_u64 v[46:47], v[34:35], 1, v[20:21]
	global_store_short v[46:47], v23, off
	s_cbranch_vccnz .LBB260_121
; %bb.120:
	v_lshl_add_u64 v[22:23], v[36:37], 1, v[16:17]
	global_load_ushort v22, v[22:23], off
	s_waitcnt vmcnt(0)
	v_mul_f16_e32 v22, s24, v22
	v_cvt_f32_f16_e32 v22, v22
.LBB260_121:
	v_pk_add_f16 v23, v4, v18
	v_max_f16_e32 v46, v66, v66
	v_pk_add_f16 v48, v5, v19
	v_min_f16_e32 v46, v46, v23
	v_lshrrev_b32_e32 v47, 16, v66
	v_lshrrev_b32_e32 v23, 16, v23
	v_lshrrev_b32_e32 v49, 16, v48
	v_min3_f16 v23, v47, v23, v49
	v_min3_f16 v23, v46, v48, v23
	v_cvt_f32_f16_e32 v23, v23
	v_max_f32_e32 v22, v22, v22
	s_and_b64 vcc, exec, s[0:1]
	v_min_f32_e32 v22, v22, v23
	v_cvt_f16_f32_e32 v46, v22
	v_lshl_add_u64 v[22:23], v[36:37], 1, v[20:21]
	global_store_short v[22:23], v46, off
	v_mov_b32_e32 v22, 0
	v_mov_b32_e32 v23, 0
	s_cbranch_vccnz .LBB260_123
; %bb.122:
	v_lshl_add_u64 v[46:47], v[40:41], 1, v[16:17]
	global_load_ushort v23, v[46:47], off
	s_waitcnt vmcnt(0)
	v_mul_f16_e32 v23, s24, v23
	v_cvt_f32_f16_e32 v23, v23
.LBB260_123:
	v_pk_add_f16 v46, v6, v18
	v_max_f16_e32 v47, v64, v64
	v_pk_add_f16 v49, v7, v19
	v_min_f16_e32 v47, v47, v46
	v_lshrrev_b32_e32 v48, 16, v64
	v_lshrrev_b32_e32 v46, 16, v46
	v_lshrrev_b32_e32 v50, 16, v49
	v_min3_f16 v46, v48, v46, v50
	v_min3_f16 v46, v47, v49, v46
	v_cvt_f32_f16_e32 v46, v46
	v_max_f32_e32 v23, v23, v23
	s_and_b64 vcc, exec, s[0:1]
	v_min_f32_e32 v23, v23, v46
	v_cvt_f16_f32_e32 v23, v23
	v_lshl_add_u64 v[46:47], v[40:41], 1, v[20:21]
	;; [unrolled: 50-line block ×3, first 2 shown]
	global_store_short v[46:47], v23, off
	s_cbranch_vccnz .LBB260_129
; %bb.128:
	v_lshl_add_u64 v[16:17], v[44:45], 1, v[16:17]
	global_load_ushort v16, v[16:17], off
	s_waitcnt vmcnt(0)
	v_mul_f16_e32 v16, s24, v16
	v_cvt_f32_f16_e32 v22, v16
.LBB260_129:
	v_pk_add_f16 v16, v24, v18
	v_max_f16_e32 v17, v98, v98
	v_pk_add_f16 v19, v25, v19
	v_min_f16_e32 v17, v17, v16
	v_lshrrev_b32_e32 v18, 16, v98
	v_lshrrev_b32_e32 v16, 16, v16
	;; [unrolled: 1-line block ×3, first 2 shown]
	v_min3_f16 v16, v18, v16, v23
	v_min3_f16 v16, v17, v19, v16
	v_cvt_f32_f16_e32 v16, v16
	v_max_f32_e32 v17, v22, v22
	s_and_b64 vcc, exec, s[0:1]
	v_mov_b32_e32 v19, 0
	v_min_f32_e32 v16, v17, v16
	v_cvt_f16_f32_e32 v18, v16
	v_lshl_add_u64 v[16:17], v[44:45], 1, v[20:21]
	v_mov_b32_e32 v20, 0
	global_store_short v[16:17], v18, off
	v_add_u32_e32 v18, 40, v69
	v_mad_i64_i32 v[16:17], s[4:5], v18, s6, 0
	v_lshl_add_u64 v[16:17], v[16:17], 1, s[16:17]
	s_cbranch_vccnz .LBB260_131
; %bb.130:
	v_lshl_add_u64 v[22:23], v[28:29], 1, v[16:17]
	global_load_ushort v19, v[22:23], off
	s_waitcnt vmcnt(0)
	v_mul_f16_e32 v19, s24, v19
	v_cvt_f32_f16_e32 v19, v19
.LBB260_131:
	v_pk_add_f16 v21, v30, v12
	v_max_f16_e32 v22, v96, v96
	v_pk_add_f16 v46, v31, v13
	v_min_f16_e32 v22, v22, v21
	v_lshrrev_b32_e32 v23, 16, v96
	v_lshrrev_b32_e32 v21, 16, v21
	;; [unrolled: 1-line block ×3, first 2 shown]
	v_min3_f16 v21, v23, v21, v47
	v_min3_f16 v21, v22, v46, v21
	v_cvt_f32_f16_e32 v21, v21
	v_mad_i64_i32 v[22:23], s[4:5], v18, s7, 0
	v_max_f32_e32 v18, v19, v19
	v_min_f32_e32 v18, v18, v21
	v_cvt_f16_f32_e32 v21, v18
	v_lshl_add_u64 v[18:19], v[22:23], 1, s[2:3]
	v_lshl_add_u64 v[22:23], v[28:29], 1, v[18:19]
	s_and_b64 vcc, exec, s[0:1]
	global_store_short v[22:23], v21, off
	s_cbranch_vccnz .LBB260_133
; %bb.132:
	v_lshl_add_u64 v[20:21], v[32:33], 1, v[16:17]
	global_load_ushort v20, v[20:21], off
	s_waitcnt vmcnt(0)
	v_mul_f16_e32 v20, s24, v20
	v_cvt_f32_f16_e32 v20, v20
.LBB260_133:
	v_pk_add_f16 v21, v8, v12
	v_max_f16_e32 v22, v93, v93
	v_pk_add_f16 v46, v9, v13
	v_min_f16_e32 v22, v22, v21
	v_lshrrev_b32_e32 v23, 16, v93
	v_lshrrev_b32_e32 v21, 16, v21
	v_lshrrev_b32_e32 v47, 16, v46
	v_min3_f16 v21, v23, v21, v47
	v_min3_f16 v21, v22, v46, v21
	v_cvt_f32_f16_e32 v21, v21
	v_max_f32_e32 v20, v20, v20
	s_and_b64 vcc, exec, s[0:1]
	v_min_f32_e32 v20, v20, v21
	v_cvt_f16_f32_e32 v22, v20
	v_lshl_add_u64 v[20:21], v[32:33], 1, v[18:19]
	global_store_short v[20:21], v22, off
	v_mov_b32_e32 v20, 0
	v_mov_b32_e32 v21, 0
	s_cbranch_vccnz .LBB260_135
; %bb.134:
	v_lshl_add_u64 v[22:23], v[34:35], 1, v[16:17]
	global_load_ushort v21, v[22:23], off
	s_waitcnt vmcnt(0)
	v_mul_f16_e32 v21, s24, v21
	v_cvt_f32_f16_e32 v21, v21
.LBB260_135:
	v_pk_add_f16 v22, v10, v12
	v_max_f16_e32 v23, v91, v91
	v_pk_add_f16 v47, v11, v13
	v_min_f16_e32 v23, v23, v22
	v_lshrrev_b32_e32 v46, 16, v91
	v_lshrrev_b32_e32 v22, 16, v22
	v_lshrrev_b32_e32 v48, 16, v47
	v_min3_f16 v22, v46, v22, v48
	v_min3_f16 v22, v23, v47, v22
	v_cvt_f32_f16_e32 v22, v22
	v_max_f32_e32 v21, v21, v21
	s_and_b64 vcc, exec, s[0:1]
	v_min_f32_e32 v21, v21, v22
	v_cvt_f16_f32_e32 v21, v21
	v_lshl_add_u64 v[22:23], v[34:35], 1, v[18:19]
	global_store_short v[22:23], v21, off
	s_cbranch_vccnz .LBB260_137
; %bb.136:
	v_lshl_add_u64 v[20:21], v[36:37], 1, v[16:17]
	global_load_ushort v20, v[20:21], off
	s_waitcnt vmcnt(0)
	v_mul_f16_e32 v20, s24, v20
	v_cvt_f32_f16_e32 v20, v20
.LBB260_137:
	v_pk_add_f16 v21, v4, v12
	v_max_f16_e32 v22, v89, v89
	v_pk_add_f16 v46, v5, v13
	v_min_f16_e32 v22, v22, v21
	v_lshrrev_b32_e32 v23, 16, v89
	v_lshrrev_b32_e32 v21, 16, v21
	v_lshrrev_b32_e32 v47, 16, v46
	v_min3_f16 v21, v23, v21, v47
	v_min3_f16 v21, v22, v46, v21
	v_cvt_f32_f16_e32 v21, v21
	v_max_f32_e32 v20, v20, v20
	s_and_b64 vcc, exec, s[0:1]
	v_min_f32_e32 v20, v20, v21
	v_cvt_f16_f32_e32 v22, v20
	v_lshl_add_u64 v[20:21], v[36:37], 1, v[18:19]
	global_store_short v[20:21], v22, off
	v_mov_b32_e32 v20, 0
	v_mov_b32_e32 v21, 0
	s_cbranch_vccnz .LBB260_139
; %bb.138:
	v_lshl_add_u64 v[22:23], v[40:41], 1, v[16:17]
	global_load_ushort v21, v[22:23], off
	s_waitcnt vmcnt(0)
	v_mul_f16_e32 v21, s24, v21
	v_cvt_f32_f16_e32 v21, v21
.LBB260_139:
	v_pk_add_f16 v22, v6, v12
	v_max_f16_e32 v23, v87, v87
	v_pk_add_f16 v47, v7, v13
	v_min_f16_e32 v23, v23, v22
	v_lshrrev_b32_e32 v46, 16, v87
	v_lshrrev_b32_e32 v22, 16, v22
	v_lshrrev_b32_e32 v48, 16, v47
	v_min3_f16 v22, v46, v22, v48
	v_min3_f16 v22, v23, v47, v22
	v_cvt_f32_f16_e32 v22, v22
	v_max_f32_e32 v21, v21, v21
	s_and_b64 vcc, exec, s[0:1]
	v_min_f32_e32 v21, v21, v22
	v_cvt_f16_f32_e32 v21, v21
	v_lshl_add_u64 v[22:23], v[40:41], 1, v[18:19]
	;; [unrolled: 50-line block ×3, first 2 shown]
	global_store_short v[22:23], v21, off
	s_cbranch_vccnz .LBB260_145
; %bb.144:
	v_lshl_add_u64 v[16:17], v[44:45], 1, v[16:17]
	global_load_ushort v16, v[16:17], off
	s_waitcnt vmcnt(0)
	v_mul_f16_e32 v16, s24, v16
	v_cvt_f32_f16_e32 v20, v16
.LBB260_145:
	v_pk_add_f16 v12, v24, v12
	v_max_f16_e32 v16, v81, v81
	v_pk_add_f16 v13, v25, v13
	v_min_f16_e32 v16, v16, v12
	v_lshrrev_b32_e32 v17, 16, v81
	v_lshrrev_b32_e32 v12, 16, v12
	;; [unrolled: 1-line block ×3, first 2 shown]
	v_min3_f16 v12, v17, v12, v21
	v_min3_f16 v12, v16, v13, v12
	v_cvt_f32_f16_e32 v12, v12
	v_max_f32_e32 v13, v20, v20
	s_and_b64 vcc, exec, s[0:1]
	v_mov_b32_e32 v17, 0
	v_min_f32_e32 v12, v13, v12
	v_cvt_f16_f32_e32 v16, v12
	v_lshl_add_u64 v[12:13], v[44:45], 1, v[18:19]
	v_mov_b32_e32 v18, 0
	global_store_short v[12:13], v16, off
	v_add_u32_e32 v16, 48, v69
	v_mad_i64_i32 v[12:13], s[4:5], v16, s6, 0
	v_lshl_add_u64 v[12:13], v[12:13], 1, s[16:17]
	s_cbranch_vccnz .LBB260_147
; %bb.146:
	v_lshl_add_u64 v[20:21], v[28:29], 1, v[12:13]
	global_load_ushort v17, v[20:21], off
	s_waitcnt vmcnt(0)
	v_mul_f16_e32 v17, s24, v17
	v_cvt_f32_f16_e32 v17, v17
.LBB260_147:
	v_pk_add_f16 v19, v30, v14
	v_max_f16_e32 v20, v79, v79
	v_pk_add_f16 v22, v31, v15
	v_min_f16_e32 v20, v20, v19
	v_lshrrev_b32_e32 v21, 16, v79
	v_lshrrev_b32_e32 v19, 16, v19
	;; [unrolled: 1-line block ×3, first 2 shown]
	v_min3_f16 v19, v21, v19, v23
	v_min3_f16 v19, v20, v22, v19
	v_cvt_f32_f16_e32 v19, v19
	v_mad_i64_i32 v[20:21], s[4:5], v16, s7, 0
	v_max_f32_e32 v16, v17, v17
	v_min_f32_e32 v16, v16, v19
	v_cvt_f16_f32_e32 v19, v16
	v_lshl_add_u64 v[16:17], v[20:21], 1, s[2:3]
	v_lshl_add_u64 v[20:21], v[28:29], 1, v[16:17]
	s_and_b64 vcc, exec, s[0:1]
	global_store_short v[20:21], v19, off
	s_cbranch_vccnz .LBB260_149
; %bb.148:
	v_lshl_add_u64 v[18:19], v[32:33], 1, v[12:13]
	global_load_ushort v18, v[18:19], off
	s_waitcnt vmcnt(0)
	v_mul_f16_e32 v18, s24, v18
	v_cvt_f32_f16_e32 v18, v18
.LBB260_149:
	v_pk_add_f16 v19, v8, v14
	v_max_f16_e32 v20, v76, v76
	v_pk_add_f16 v22, v9, v15
	v_min_f16_e32 v20, v20, v19
	v_lshrrev_b32_e32 v21, 16, v76
	v_lshrrev_b32_e32 v19, 16, v19
	v_lshrrev_b32_e32 v23, 16, v22
	v_min3_f16 v19, v21, v19, v23
	v_min3_f16 v19, v20, v22, v19
	v_cvt_f32_f16_e32 v19, v19
	v_max_f32_e32 v18, v18, v18
	s_and_b64 vcc, exec, s[0:1]
	v_min_f32_e32 v18, v18, v19
	v_cvt_f16_f32_e32 v20, v18
	v_lshl_add_u64 v[18:19], v[32:33], 1, v[16:17]
	global_store_short v[18:19], v20, off
	v_mov_b32_e32 v18, 0
	v_mov_b32_e32 v19, 0
	s_cbranch_vccnz .LBB260_151
; %bb.150:
	v_lshl_add_u64 v[20:21], v[34:35], 1, v[12:13]
	global_load_ushort v19, v[20:21], off
	s_waitcnt vmcnt(0)
	v_mul_f16_e32 v19, s24, v19
	v_cvt_f32_f16_e32 v19, v19
.LBB260_151:
	v_pk_add_f16 v20, v10, v14
	v_max_f16_e32 v21, v72, v72
	v_pk_add_f16 v23, v11, v15
	v_min_f16_e32 v21, v21, v20
	v_lshrrev_b32_e32 v22, 16, v72
	v_lshrrev_b32_e32 v20, 16, v20
	v_lshrrev_b32_e32 v46, 16, v23
	v_min3_f16 v20, v22, v20, v46
	v_min3_f16 v20, v21, v23, v20
	v_cvt_f32_f16_e32 v20, v20
	v_max_f32_e32 v19, v19, v19
	s_and_b64 vcc, exec, s[0:1]
	v_min_f32_e32 v19, v19, v20
	v_cvt_f16_f32_e32 v19, v19
	v_lshl_add_u64 v[20:21], v[34:35], 1, v[16:17]
	global_store_short v[20:21], v19, off
	s_cbranch_vccnz .LBB260_153
; %bb.152:
	v_lshl_add_u64 v[18:19], v[36:37], 1, v[12:13]
	global_load_ushort v18, v[18:19], off
	s_waitcnt vmcnt(0)
	v_mul_f16_e32 v18, s24, v18
	v_cvt_f32_f16_e32 v18, v18
.LBB260_153:
	v_pk_add_f16 v19, v4, v14
	v_max_f16_e32 v20, v70, v70
	v_pk_add_f16 v22, v5, v15
	v_min_f16_e32 v20, v20, v19
	v_lshrrev_b32_e32 v21, 16, v70
	v_lshrrev_b32_e32 v19, 16, v19
	v_lshrrev_b32_e32 v23, 16, v22
	v_min3_f16 v19, v21, v19, v23
	v_min3_f16 v19, v20, v22, v19
	v_cvt_f32_f16_e32 v19, v19
	v_max_f32_e32 v18, v18, v18
	s_and_b64 vcc, exec, s[0:1]
	v_min_f32_e32 v18, v18, v19
	v_cvt_f16_f32_e32 v20, v18
	v_lshl_add_u64 v[18:19], v[36:37], 1, v[16:17]
	global_store_short v[18:19], v20, off
	v_mov_b32_e32 v18, 0
	v_mov_b32_e32 v19, 0
	s_cbranch_vccnz .LBB260_155
; %bb.154:
	v_lshl_add_u64 v[20:21], v[40:41], 1, v[12:13]
	global_load_ushort v19, v[20:21], off
	s_waitcnt vmcnt(0)
	v_mul_f16_e32 v19, s24, v19
	v_cvt_f32_f16_e32 v19, v19
.LBB260_155:
	v_pk_add_f16 v20, v6, v14
	v_max_f16_e32 v21, v67, v67
	v_pk_add_f16 v23, v7, v15
	v_min_f16_e32 v21, v21, v20
	v_lshrrev_b32_e32 v22, 16, v67
	v_lshrrev_b32_e32 v20, 16, v20
	v_lshrrev_b32_e32 v46, 16, v23
	v_min3_f16 v20, v22, v20, v46
	v_min3_f16 v20, v21, v23, v20
	v_cvt_f32_f16_e32 v20, v20
	v_max_f32_e32 v19, v19, v19
	s_and_b64 vcc, exec, s[0:1]
	v_min_f32_e32 v19, v19, v20
	v_cvt_f16_f32_e32 v19, v19
	v_lshl_add_u64 v[20:21], v[40:41], 1, v[16:17]
	;; [unrolled: 50-line block ×3, first 2 shown]
	global_store_short v[20:21], v19, off
	s_cbranch_vccnz .LBB260_161
; %bb.160:
	v_lshl_add_u64 v[12:13], v[44:45], 1, v[12:13]
	global_load_ushort v12, v[12:13], off
	s_waitcnt vmcnt(0)
	v_mul_f16_e32 v12, s24, v12
	v_cvt_f32_f16_e32 v18, v12
.LBB260_161:
	v_pk_add_f16 v12, v24, v14
	v_max_f16_e32 v13, v62, v62
	v_pk_add_f16 v15, v25, v15
	v_min_f16_e32 v13, v13, v12
	v_lshrrev_b32_e32 v14, 16, v62
	v_lshrrev_b32_e32 v12, 16, v12
	;; [unrolled: 1-line block ×3, first 2 shown]
	v_min3_f16 v12, v14, v12, v19
	v_min3_f16 v12, v13, v15, v12
	v_cvt_f32_f16_e32 v12, v12
	v_max_f32_e32 v13, v18, v18
	s_and_b64 vcc, exec, s[0:1]
	v_mov_b32_e32 v15, 0
	v_min_f32_e32 v12, v13, v12
	v_cvt_f16_f32_e32 v14, v12
	v_lshl_add_u64 v[12:13], v[44:45], 1, v[16:17]
	v_mov_b32_e32 v16, 0
	global_store_short v[12:13], v14, off
	v_add_u32_e32 v14, 56, v69
	v_mad_i64_i32 v[12:13], s[4:5], v14, s6, 0
	v_lshl_add_u64 v[12:13], v[12:13], 1, s[16:17]
	s_cbranch_vccnz .LBB260_163
; %bb.162:
	v_lshl_add_u64 v[18:19], v[28:29], 1, v[12:13]
	global_load_ushort v15, v[18:19], off
	s_waitcnt vmcnt(0)
	v_mul_f16_e32 v15, s24, v15
	v_cvt_f32_f16_e32 v15, v15
.LBB260_163:
	v_pk_add_f16 v17, v30, v26
	v_max_f16_e32 v18, v61, v61
	v_pk_add_f16 v20, v31, v27
	v_min_f16_e32 v18, v18, v17
	v_lshrrev_b32_e32 v19, 16, v61
	v_lshrrev_b32_e32 v17, 16, v17
	;; [unrolled: 1-line block ×3, first 2 shown]
	v_min3_f16 v17, v19, v17, v21
	v_min3_f16 v17, v18, v20, v17
	v_cvt_f32_f16_e32 v17, v17
	v_mad_i64_i32 v[18:19], s[4:5], v14, s7, 0
	v_max_f32_e32 v14, v15, v15
	v_min_f32_e32 v14, v14, v17
	v_cvt_f16_f32_e32 v17, v14
	v_lshl_add_u64 v[14:15], v[18:19], 1, s[2:3]
	v_lshl_add_u64 v[18:19], v[28:29], 1, v[14:15]
	s_and_b64 vcc, exec, s[0:1]
	global_store_short v[18:19], v17, off
	s_cbranch_vccnz .LBB260_165
; %bb.164:
	v_lshl_add_u64 v[16:17], v[32:33], 1, v[12:13]
	global_load_ushort v16, v[16:17], off
	s_waitcnt vmcnt(0)
	v_mul_f16_e32 v16, s24, v16
	v_cvt_f32_f16_e32 v16, v16
.LBB260_165:
	v_pk_add_f16 v8, v8, v26
	v_max_f16_e32 v17, v60, v60
	v_pk_add_f16 v9, v9, v27
	v_min_f16_e32 v17, v17, v8
	v_lshrrev_b32_e32 v18, 16, v60
	v_lshrrev_b32_e32 v8, 16, v8
	v_lshrrev_b32_e32 v19, 16, v9
	v_min3_f16 v8, v18, v8, v19
	v_min3_f16 v8, v17, v9, v8
	v_cvt_f32_f16_e32 v8, v8
	v_max_f32_e32 v9, v16, v16
	s_and_b64 vcc, exec, s[0:1]
	v_min_f32_e32 v8, v9, v8
	v_cvt_f16_f32_e32 v16, v8
	v_lshl_add_u64 v[8:9], v[32:33], 1, v[14:15]
	global_store_short v[8:9], v16, off
	v_mov_b32_e32 v8, 0
	v_mov_b32_e32 v9, 0
	s_cbranch_vccnz .LBB260_167
; %bb.166:
	v_lshl_add_u64 v[16:17], v[34:35], 1, v[12:13]
	global_load_ushort v9, v[16:17], off
	s_waitcnt vmcnt(0)
	v_mul_f16_e32 v9, s24, v9
	v_cvt_f32_f16_e32 v9, v9
.LBB260_167:
	v_pk_add_f16 v10, v10, v26
	v_max_f16_e32 v16, v58, v58
	v_pk_add_f16 v11, v11, v27
	v_min_f16_e32 v16, v16, v10
	v_lshrrev_b32_e32 v17, 16, v58
	v_lshrrev_b32_e32 v10, 16, v10
	;; [unrolled: 1-line block ×3, first 2 shown]
	v_min3_f16 v10, v17, v10, v18
	v_min3_f16 v10, v16, v11, v10
	v_cvt_f32_f16_e32 v10, v10
	v_max_f32_e32 v9, v9, v9
	s_and_b64 vcc, exec, s[0:1]
	v_min_f32_e32 v9, v9, v10
	v_cvt_f16_f32_e32 v9, v9
	v_lshl_add_u64 v[10:11], v[34:35], 1, v[14:15]
	global_store_short v[10:11], v9, off
	s_cbranch_vccnz .LBB260_169
; %bb.168:
	v_lshl_add_u64 v[8:9], v[36:37], 1, v[12:13]
	global_load_ushort v8, v[8:9], off
	s_waitcnt vmcnt(0)
	v_mul_f16_e32 v8, s24, v8
	v_cvt_f32_f16_e32 v8, v8
.LBB260_169:
	v_pk_add_f16 v4, v4, v26
	v_max_f16_e32 v9, v57, v57
	v_pk_add_f16 v5, v5, v27
	v_min_f16_e32 v9, v9, v4
	v_lshrrev_b32_e32 v10, 16, v57
	v_lshrrev_b32_e32 v4, 16, v4
	v_lshrrev_b32_e32 v11, 16, v5
	v_min3_f16 v4, v10, v4, v11
	v_min3_f16 v4, v9, v5, v4
	v_cvt_f32_f16_e32 v4, v4
	v_max_f32_e32 v5, v8, v8
	s_and_b64 vcc, exec, s[0:1]
	v_min_f32_e32 v4, v5, v4
	v_cvt_f16_f32_e32 v8, v4
	v_lshl_add_u64 v[4:5], v[36:37], 1, v[14:15]
	global_store_short v[4:5], v8, off
	v_mov_b32_e32 v4, 0
	v_mov_b32_e32 v5, 0
	s_cbranch_vccnz .LBB260_171
; %bb.170:
	v_lshl_add_u64 v[8:9], v[40:41], 1, v[12:13]
	global_load_ushort v5, v[8:9], off
	s_waitcnt vmcnt(0)
	v_mul_f16_e32 v5, s24, v5
	v_cvt_f32_f16_e32 v5, v5
.LBB260_171:
	v_pk_add_f16 v6, v6, v26
	v_max_f16_e32 v8, v56, v56
	v_pk_add_f16 v7, v7, v27
	v_min_f16_e32 v8, v8, v6
	v_lshrrev_b32_e32 v9, 16, v56
	v_lshrrev_b32_e32 v6, 16, v6
	v_lshrrev_b32_e32 v10, 16, v7
	v_min3_f16 v6, v9, v6, v10
	v_min3_f16 v6, v8, v7, v6
	v_cvt_f32_f16_e32 v6, v6
	v_max_f32_e32 v5, v5, v5
	s_and_b64 vcc, exec, s[0:1]
	v_min_f32_e32 v5, v5, v6
	v_cvt_f16_f32_e32 v5, v5
	v_lshl_add_u64 v[6:7], v[40:41], 1, v[14:15]
	global_store_short v[6:7], v5, off
	s_cbranch_vccnz .LBB260_173
; %bb.172:
	v_lshl_add_u64 v[4:5], v[38:39], 1, v[12:13]
	global_load_ushort v4, v[4:5], off
	s_waitcnt vmcnt(0)
	v_mul_f16_e32 v4, s24, v4
	v_cvt_f32_f16_e32 v4, v4
.LBB260_173:
	v_pk_add_f16 v0, v0, v26
	v_max_f16_e32 v5, v54, v54
	v_pk_add_f16 v1, v1, v27
	v_min_f16_e32 v5, v5, v0
	v_lshrrev_b32_e32 v6, 16, v54
	v_lshrrev_b32_e32 v0, 16, v0
	;; [unrolled: 1-line block ×3, first 2 shown]
	v_min3_f16 v0, v6, v0, v7
	v_min3_f16 v0, v5, v1, v0
	v_cvt_f32_f16_e32 v0, v0
	v_max_f32_e32 v4, v4, v4
	v_pk_add_f16 v1, v2, v26
	v_max_f16_e32 v2, v55, v55
	v_min_f32_e32 v0, v4, v0
	v_cvt_f16_f32_e32 v4, v0
	v_pk_add_f16 v3, v3, v27
	v_min_f16_e32 v2, v2, v1
	v_lshrrev_b32_e32 v5, 16, v55
	v_lshrrev_b32_e32 v1, 16, v1
	;; [unrolled: 1-line block ×3, first 2 shown]
	v_min3_f16 v5, v5, v1, v0
	v_lshl_add_u64 v[0:1], v[38:39], 1, v[14:15]
	global_store_short v[0:1], v4, off
	v_min3_f16 v0, v2, v3, v5
	s_mov_b64 s[0:1], -1
	s_mov_b64 vcc, s[8:9]
	s_cbranch_vccz .LBB260_175
; %bb.174:
	v_cvt_f32_f16_e32 v1, v0
	v_lshl_add_u64 v[2:3], v[42:43], 1, v[14:15]
	s_mov_b64 s[0:1], 0
	v_min_f32_e32 v1, 0, v1
	v_cvt_f16_f32_e32 v1, v1
	global_store_short v[2:3], v1, off
.LBB260_175:
	s_andn2_b64 vcc, exec, s[0:1]
	v_mov_b32_e32 v1, 0
	s_cbranch_vccnz .LBB260_177
; %bb.176:
	v_lshlrev_b64 v[2:3], 1, v[42:43]
	v_lshl_add_u64 v[4:5], v[12:13], 0, v[2:3]
	global_load_ushort v4, v[4:5], off
	v_max_f16_e32 v5, v0, v0
	v_lshl_add_u64 v[0:1], v[14:15], 0, v[2:3]
	s_waitcnt vmcnt(0)
	v_mul_f16_e32 v2, s24, v4
	v_min_f16_e32 v2, v2, v5
	global_store_short v[0:1], v2, off
	v_lshl_add_u64 v[0:1], v[44:45], 1, v[12:13]
	global_load_ushort v0, v[0:1], off
	s_waitcnt vmcnt(0)
	v_mul_f16_e32 v0, s24, v0
	v_cvt_f32_f16_e32 v1, v0
.LBB260_177:
	v_pk_add_f16 v0, v24, v26
	v_max_f16_e32 v2, v59, v59
	v_pk_add_f16 v3, v25, v27
	v_min_f16_e32 v2, v2, v0
	v_lshrrev_b32_e32 v4, 16, v59
	v_lshrrev_b32_e32 v0, 16, v0
	;; [unrolled: 1-line block ×3, first 2 shown]
	v_min3_f16 v0, v4, v0, v5
	v_min3_f16 v0, v2, v3, v0
	v_cvt_f32_f16_e32 v0, v0
	v_max_f32_e32 v1, v1, v1
	v_min_f32_e32 v0, v1, v0
	v_cvt_f16_f32_e32 v2, v0
	v_lshl_add_u64 v[0:1], v[44:45], 1, v[14:15]
	global_store_short v[0:1], v2, off
	s_endpgm
	.section	.rodata,"a",@progbits
	.p2align	6, 0x0
	.amdhsa_kernel _ZN12_GLOBAL__N_120geam_min_plus_kernelIDF16_Dv2_DF16_S1_Li32ELi8ELi256ELi64ELi4ELi64ELi4ELi4ELi64ELc78ELc78ELb0ELb0ELb1EDF16_KDF16_DF16_EEviiiT16_PT17_ilS5_ilS3_S5_ilPT18_ili26rocblas_geam_ex_operation_
		.amdhsa_group_segment_fixed_size 5120
		.amdhsa_private_segment_fixed_size 0
		.amdhsa_kernarg_size 128
		.amdhsa_user_sgpr_count 2
		.amdhsa_user_sgpr_dispatch_ptr 0
		.amdhsa_user_sgpr_queue_ptr 0
		.amdhsa_user_sgpr_kernarg_segment_ptr 1
		.amdhsa_user_sgpr_dispatch_id 0
		.amdhsa_user_sgpr_kernarg_preload_length 0
		.amdhsa_user_sgpr_kernarg_preload_offset 0
		.amdhsa_user_sgpr_private_segment_size 0
		.amdhsa_uses_dynamic_stack 0
		.amdhsa_enable_private_segment 0
		.amdhsa_system_sgpr_workgroup_id_x 1
		.amdhsa_system_sgpr_workgroup_id_y 0
		.amdhsa_system_sgpr_workgroup_id_z 1
		.amdhsa_system_sgpr_workgroup_info 0
		.amdhsa_system_vgpr_workitem_id 1
		.amdhsa_next_free_vgpr 139
		.amdhsa_next_free_sgpr 30
		.amdhsa_accum_offset 140
		.amdhsa_reserve_vcc 1
		.amdhsa_float_round_mode_32 0
		.amdhsa_float_round_mode_16_64 0
		.amdhsa_float_denorm_mode_32 3
		.amdhsa_float_denorm_mode_16_64 3
		.amdhsa_dx10_clamp 1
		.amdhsa_ieee_mode 1
		.amdhsa_fp16_overflow 0
		.amdhsa_tg_split 0
		.amdhsa_exception_fp_ieee_invalid_op 0
		.amdhsa_exception_fp_denorm_src 0
		.amdhsa_exception_fp_ieee_div_zero 0
		.amdhsa_exception_fp_ieee_overflow 0
		.amdhsa_exception_fp_ieee_underflow 0
		.amdhsa_exception_fp_ieee_inexact 0
		.amdhsa_exception_int_div_zero 0
	.end_amdhsa_kernel
	.section	.text._ZN12_GLOBAL__N_120geam_min_plus_kernelIDF16_Dv2_DF16_S1_Li32ELi8ELi256ELi64ELi4ELi64ELi4ELi4ELi64ELc78ELc78ELb0ELb0ELb1EDF16_KDF16_DF16_EEviiiT16_PT17_ilS5_ilS3_S5_ilPT18_ili26rocblas_geam_ex_operation_,"axG",@progbits,_ZN12_GLOBAL__N_120geam_min_plus_kernelIDF16_Dv2_DF16_S1_Li32ELi8ELi256ELi64ELi4ELi64ELi4ELi4ELi64ELc78ELc78ELb0ELb0ELb1EDF16_KDF16_DF16_EEviiiT16_PT17_ilS5_ilS3_S5_ilPT18_ili26rocblas_geam_ex_operation_,comdat
.Lfunc_end260:
	.size	_ZN12_GLOBAL__N_120geam_min_plus_kernelIDF16_Dv2_DF16_S1_Li32ELi8ELi256ELi64ELi4ELi64ELi4ELi4ELi64ELc78ELc78ELb0ELb0ELb1EDF16_KDF16_DF16_EEviiiT16_PT17_ilS5_ilS3_S5_ilPT18_ili26rocblas_geam_ex_operation_, .Lfunc_end260-_ZN12_GLOBAL__N_120geam_min_plus_kernelIDF16_Dv2_DF16_S1_Li32ELi8ELi256ELi64ELi4ELi64ELi4ELi4ELi64ELc78ELc78ELb0ELb0ELb1EDF16_KDF16_DF16_EEviiiT16_PT17_ilS5_ilS3_S5_ilPT18_ili26rocblas_geam_ex_operation_
                                        ; -- End function
	.set _ZN12_GLOBAL__N_120geam_min_plus_kernelIDF16_Dv2_DF16_S1_Li32ELi8ELi256ELi64ELi4ELi64ELi4ELi4ELi64ELc78ELc78ELb0ELb0ELb1EDF16_KDF16_DF16_EEviiiT16_PT17_ilS5_ilS3_S5_ilPT18_ili26rocblas_geam_ex_operation_.num_vgpr, 139
	.set _ZN12_GLOBAL__N_120geam_min_plus_kernelIDF16_Dv2_DF16_S1_Li32ELi8ELi256ELi64ELi4ELi64ELi4ELi4ELi64ELc78ELc78ELb0ELb0ELb1EDF16_KDF16_DF16_EEviiiT16_PT17_ilS5_ilS3_S5_ilPT18_ili26rocblas_geam_ex_operation_.num_agpr, 0
	.set _ZN12_GLOBAL__N_120geam_min_plus_kernelIDF16_Dv2_DF16_S1_Li32ELi8ELi256ELi64ELi4ELi64ELi4ELi4ELi64ELc78ELc78ELb0ELb0ELb1EDF16_KDF16_DF16_EEviiiT16_PT17_ilS5_ilS3_S5_ilPT18_ili26rocblas_geam_ex_operation_.numbered_sgpr, 30
	.set _ZN12_GLOBAL__N_120geam_min_plus_kernelIDF16_Dv2_DF16_S1_Li32ELi8ELi256ELi64ELi4ELi64ELi4ELi4ELi64ELc78ELc78ELb0ELb0ELb1EDF16_KDF16_DF16_EEviiiT16_PT17_ilS5_ilS3_S5_ilPT18_ili26rocblas_geam_ex_operation_.num_named_barrier, 0
	.set _ZN12_GLOBAL__N_120geam_min_plus_kernelIDF16_Dv2_DF16_S1_Li32ELi8ELi256ELi64ELi4ELi64ELi4ELi4ELi64ELc78ELc78ELb0ELb0ELb1EDF16_KDF16_DF16_EEviiiT16_PT17_ilS5_ilS3_S5_ilPT18_ili26rocblas_geam_ex_operation_.private_seg_size, 0
	.set _ZN12_GLOBAL__N_120geam_min_plus_kernelIDF16_Dv2_DF16_S1_Li32ELi8ELi256ELi64ELi4ELi64ELi4ELi4ELi64ELc78ELc78ELb0ELb0ELb1EDF16_KDF16_DF16_EEviiiT16_PT17_ilS5_ilS3_S5_ilPT18_ili26rocblas_geam_ex_operation_.uses_vcc, 1
	.set _ZN12_GLOBAL__N_120geam_min_plus_kernelIDF16_Dv2_DF16_S1_Li32ELi8ELi256ELi64ELi4ELi64ELi4ELi4ELi64ELc78ELc78ELb0ELb0ELb1EDF16_KDF16_DF16_EEviiiT16_PT17_ilS5_ilS3_S5_ilPT18_ili26rocblas_geam_ex_operation_.uses_flat_scratch, 0
	.set _ZN12_GLOBAL__N_120geam_min_plus_kernelIDF16_Dv2_DF16_S1_Li32ELi8ELi256ELi64ELi4ELi64ELi4ELi4ELi64ELc78ELc78ELb0ELb0ELb1EDF16_KDF16_DF16_EEviiiT16_PT17_ilS5_ilS3_S5_ilPT18_ili26rocblas_geam_ex_operation_.has_dyn_sized_stack, 0
	.set _ZN12_GLOBAL__N_120geam_min_plus_kernelIDF16_Dv2_DF16_S1_Li32ELi8ELi256ELi64ELi4ELi64ELi4ELi4ELi64ELc78ELc78ELb0ELb0ELb1EDF16_KDF16_DF16_EEviiiT16_PT17_ilS5_ilS3_S5_ilPT18_ili26rocblas_geam_ex_operation_.has_recursion, 0
	.set _ZN12_GLOBAL__N_120geam_min_plus_kernelIDF16_Dv2_DF16_S1_Li32ELi8ELi256ELi64ELi4ELi64ELi4ELi4ELi64ELc78ELc78ELb0ELb0ELb1EDF16_KDF16_DF16_EEviiiT16_PT17_ilS5_ilS3_S5_ilPT18_ili26rocblas_geam_ex_operation_.has_indirect_call, 0
	.section	.AMDGPU.csdata,"",@progbits
; Kernel info:
; codeLenInByte = 18256
; TotalNumSgprs: 36
; NumVgprs: 139
; NumAgprs: 0
; TotalNumVgprs: 139
; ScratchSize: 0
; MemoryBound: 0
; FloatMode: 240
; IeeeMode: 1
; LDSByteSize: 5120 bytes/workgroup (compile time only)
; SGPRBlocks: 4
; VGPRBlocks: 17
; NumSGPRsForWavesPerEU: 36
; NumVGPRsForWavesPerEU: 139
; AccumOffset: 140
; Occupancy: 3
; WaveLimiterHint : 1
; COMPUTE_PGM_RSRC2:SCRATCH_EN: 0
; COMPUTE_PGM_RSRC2:USER_SGPR: 2
; COMPUTE_PGM_RSRC2:TRAP_HANDLER: 0
; COMPUTE_PGM_RSRC2:TGID_X_EN: 1
; COMPUTE_PGM_RSRC2:TGID_Y_EN: 0
; COMPUTE_PGM_RSRC2:TGID_Z_EN: 1
; COMPUTE_PGM_RSRC2:TIDIG_COMP_CNT: 1
; COMPUTE_PGM_RSRC3_GFX90A:ACCUM_OFFSET: 34
; COMPUTE_PGM_RSRC3_GFX90A:TG_SPLIT: 0
	.section	.text._ZN12_GLOBAL__N_120geam_min_plus_kernelIDF16_Dv2_DF16_S1_Li32ELi8ELi256ELi64ELi4ELi64ELi4ELi4ELi64ELc78ELc78ELb0ELb1ELb1EPKDF16_S2_DF16_EEviiiT16_PT17_ilS6_ilS4_S6_ilPT18_ili26rocblas_geam_ex_operation_,"axG",@progbits,_ZN12_GLOBAL__N_120geam_min_plus_kernelIDF16_Dv2_DF16_S1_Li32ELi8ELi256ELi64ELi4ELi64ELi4ELi4ELi64ELc78ELc78ELb0ELb1ELb1EPKDF16_S2_DF16_EEviiiT16_PT17_ilS6_ilS4_S6_ilPT18_ili26rocblas_geam_ex_operation_,comdat
	.globl	_ZN12_GLOBAL__N_120geam_min_plus_kernelIDF16_Dv2_DF16_S1_Li32ELi8ELi256ELi64ELi4ELi64ELi4ELi4ELi64ELc78ELc78ELb0ELb1ELb1EPKDF16_S2_DF16_EEviiiT16_PT17_ilS6_ilS4_S6_ilPT18_ili26rocblas_geam_ex_operation_ ; -- Begin function _ZN12_GLOBAL__N_120geam_min_plus_kernelIDF16_Dv2_DF16_S1_Li32ELi8ELi256ELi64ELi4ELi64ELi4ELi4ELi64ELc78ELc78ELb0ELb1ELb1EPKDF16_S2_DF16_EEviiiT16_PT17_ilS6_ilS4_S6_ilPT18_ili26rocblas_geam_ex_operation_
	.p2align	8
	.type	_ZN12_GLOBAL__N_120geam_min_plus_kernelIDF16_Dv2_DF16_S1_Li32ELi8ELi256ELi64ELi4ELi64ELi4ELi4ELi64ELc78ELc78ELb0ELb1ELb1EPKDF16_S2_DF16_EEviiiT16_PT17_ilS6_ilS4_S6_ilPT18_ili26rocblas_geam_ex_operation_,@function
_ZN12_GLOBAL__N_120geam_min_plus_kernelIDF16_Dv2_DF16_S1_Li32ELi8ELi256ELi64ELi4ELi64ELi4ELi4ELi64ELc78ELc78ELb0ELb1ELb1EPKDF16_S2_DF16_EEviiiT16_PT17_ilS6_ilS4_S6_ilPT18_ili26rocblas_geam_ex_operation_: ; @_ZN12_GLOBAL__N_120geam_min_plus_kernelIDF16_Dv2_DF16_S1_Li32ELi8ELi256ELi64ELi4ELi64ELi4ELi4ELi64ELc78ELc78ELb0ELb1ELb1EPKDF16_S2_DF16_EEviiiT16_PT17_ilS6_ilS4_S6_ilPT18_ili26rocblas_geam_ex_operation_
; %bb.0:
	s_load_dwordx4 s[4:7], s[0:1], 0x10
	s_load_dwordx4 s[8:11], s[0:1], 0x28
	;; [unrolled: 1-line block ×3, first 2 shown]
	s_mov_b32 s18, s3
	s_mov_b32 s19, 0
	s_lshl_b64 s[16:17], s[18:19], 1
	s_waitcnt lgkmcnt(0)
	s_add_u32 s4, s4, s16
	s_addc_u32 s5, s5, s17
	v_mov_b32_e32 v1, 0
	global_load_ushort v46, v1, s[4:5]
	s_add_u32 s4, s14, s16
	s_addc_u32 s5, s15, s17
	global_load_ushort v52, v1, s[4:5]
	s_load_dwordx2 s[20:21], s[0:1], 0x50
	s_mov_b64 s[30:31], 0
	s_mov_b64 s[28:29], 0
	s_waitcnt vmcnt(1)
	v_cmp_eq_f16_e32 vcc, 0, v46
	v_cmp_neq_f16_e64 s[4:5], 0, v46
	s_cbranch_vccnz .LBB261_2
; %bb.1:
	s_mul_i32 s3, s9, s18
	s_mul_hi_u32 s9, s8, s18
	s_add_i32 s9, s9, s3
	s_mul_i32 s8, s8, s18
	s_lshl_b64 s[8:9], s[8:9], 1
	s_add_u32 s28, s6, s8
	s_addc_u32 s29, s7, s9
.LBB261_2:
	s_andn2_b64 vcc, exec, s[4:5]
	s_cbranch_vccnz .LBB261_4
; %bb.3:
	s_mul_i32 s3, s13, s18
	s_mul_hi_u32 s4, s12, s18
	s_add_i32 s5, s4, s3
	s_mul_i32 s4, s12, s18
	s_lshl_b64 s[4:5], s[4:5], 1
	s_add_u32 s30, s10, s4
	s_addc_u32 s31, s11, s5
.LBB261_4:
	s_load_dwordx4 s[24:27], s[0:1], 0x60
	s_waitcnt vmcnt(0)
	v_cmp_eq_f16_e32 vcc, 0, v52
	v_cmp_neq_f16_e64 s[16:17], 0, v52
	s_cbranch_vccnz .LBB261_6
; %bb.5:
	s_waitcnt lgkmcnt(0)
	s_mul_i32 s3, s25, s18
	s_mul_hi_u32 s4, s24, s18
	s_add_i32 s5, s4, s3
	s_mul_i32 s4, s24, s18
	s_lshl_b64 s[4:5], s[4:5], 1
	s_add_u32 s24, s20, s4
	s_addc_u32 s25, s21, s5
	s_branch .LBB261_7
.LBB261_6:
	s_waitcnt lgkmcnt(0)
	s_mov_b64 s[24:25], 0
.LBB261_7:
	s_load_dwordx4 s[20:23], s[0:1], 0x0
	v_and_b32_e32 v44, 0x3ff, v0
	v_bfe_u32 v45, v0, 10, 10
	s_waitcnt lgkmcnt(0)
	s_load_dword s23, s[0:1], 0x20
	v_lshl_add_u32 v7, v45, 5, v44
	s_add_i32 s14, s20, -1
	s_ashr_i32 s3, s14, 31
	s_lshr_b32 s3, s3, 24
	s_add_i32 s3, s14, s3
	s_ashr_i32 s3, s3, 8
	s_add_i32 s4, s3, 1
	v_cvt_f32_u32_e32 v1, s4
	s_not_b32 s3, s3
	v_and_b32_e32 v2, 63, v7
	v_lshrrev_b32_e32 v47, 6, v7
	v_rcp_iflag_f32_e32 v0, v1
	v_cmp_le_i32_e64 s[12:13], s22, v47
	v_cmp_eq_f16_e32 vcc, 0, v46
	v_mov_b32_e32 v4, 0x7c00
	v_mul_f32_e32 v0, 0x4f7ffffe, v0
	v_cvt_u32_f32_e32 v0, v0
	s_nop 0
	v_readfirstlane_b32 s5, v0
	s_mul_i32 s3, s3, s5
	s_mul_hi_u32 s3, s5, s3
	s_add_i32 s5, s5, s3
	s_mul_hi_u32 s3, s2, s5
	s_mul_i32 s5, s3, s4
	s_sub_i32 s5, s2, s5
	s_add_i32 s6, s3, 1
	s_sub_i32 s7, s5, s4
	s_cmp_ge_u32 s5, s4
	s_cselect_b32 s3, s6, s3
	s_cselect_b32 s5, s7, s5
	s_add_i32 s6, s3, 1
	s_cmp_ge_u32 s5, s4
	s_cselect_b32 s15, s6, s3
	s_mul_i32 s3, s15, s4
	s_sub_i32 s2, s2, s3
	s_add_i32 s34, s22, -1
	s_lshl_b32 s19, s2, 8
	v_min_i32_e32 v0, s34, v47
	v_or_b32_e32 v32, s19, v2
	s_waitcnt lgkmcnt(0)
	v_mad_i64_i32 v[0:1], s[2:3], s23, v0, 0
	v_cmp_le_i32_e64 s[4:5], s20, v32
	s_or_b64 s[2:3], s[4:5], s[12:13]
	v_lshl_add_u64 v[0:1], v[0:1], 1, s[28:29]
	v_cndmask_b32_e64 v3, 0, v4, s[2:3]
	s_nor_b64 s[6:7], vcc, s[2:3]
	v_ashrrev_i32_e32 v33, 31, v32
	s_and_saveexec_b64 s[2:3], s[6:7]
	s_cbranch_execz .LBB261_9
; %bb.8:
	v_lshl_add_u64 v[8:9], v[32:33], 1, v[0:1]
	global_load_ushort v3, v[8:9], off
	s_waitcnt vmcnt(0)
	v_mul_f16_e32 v3, v46, v3
.LBB261_9:
	s_or_b64 exec, exec, s[2:3]
	v_or_b32_e32 v5, 64, v32
	v_cmp_le_i32_e64 s[6:7], s20, v5
	v_min_i32_e32 v34, s14, v5
	s_or_b64 s[2:3], s[6:7], s[12:13]
	v_cndmask_b32_e64 v4, 0, v4, s[2:3]
	s_nor_b64 s[8:9], s[2:3], vcc
	v_ashrrev_i32_e32 v35, 31, v34
	s_and_saveexec_b64 s[2:3], s[8:9]
	s_cbranch_execz .LBB261_11
; %bb.10:
	v_lshl_add_u64 v[4:5], v[34:35], 1, v[0:1]
	global_load_ushort v4, v[4:5], off
	s_waitcnt vmcnt(0)
	v_mul_f16_e32 v4, v46, v4
.LBB261_11:
	s_or_b64 exec, exec, s[2:3]
	v_or_b32_e32 v5, 0x80, v32
	v_cmp_le_i32_e64 s[8:9], s20, v5
	v_min_i32_e32 v36, s14, v5
	v_mov_b32_e32 v6, 0x7c00
	s_or_b64 s[2:3], s[8:9], s[12:13]
	v_cndmask_b32_e64 v5, 0, v6, s[2:3]
	s_nor_b64 s[10:11], s[2:3], vcc
	v_ashrrev_i32_e32 v37, 31, v36
	s_and_saveexec_b64 s[2:3], s[10:11]
	s_cbranch_execz .LBB261_13
; %bb.12:
	v_lshl_add_u64 v[8:9], v[36:37], 1, v[0:1]
	global_load_ushort v5, v[8:9], off
	s_waitcnt vmcnt(0)
	v_mul_f16_e32 v5, v46, v5
.LBB261_13:
	s_or_b64 exec, exec, s[2:3]
	v_or_b32_e32 v8, 0xc0, v32
	v_cmp_le_i32_e64 s[10:11], s20, v8
	v_min_i32_e32 v38, s14, v8
	s_or_b64 s[2:3], s[10:11], s[12:13]
	v_cndmask_b32_e64 v6, 0, v6, s[2:3]
	s_nor_b64 s[12:13], s[2:3], vcc
	v_ashrrev_i32_e32 v39, 31, v38
	s_and_saveexec_b64 s[2:3], s[12:13]
	s_cbranch_execz .LBB261_15
; %bb.14:
	v_lshl_add_u64 v[0:1], v[38:39], 1, v[0:1]
	global_load_ushort v0, v[0:1], off
	s_waitcnt vmcnt(0)
	v_mul_f16_e32 v6, v46, v0
.LBB261_15:
	s_or_b64 exec, exec, s[2:3]
	s_load_dword s36, s[0:1], 0x38
	v_lshrrev_b32_e32 v7, 2, v7
	s_lshl_b32 s33, s15, 6
	v_and_b32_e32 v50, 3, v44
	v_add_u32_e32 v29, s33, v7
	v_cmp_le_i32_e64 s[2:3], s22, v50
	v_cmp_le_i32_e64 s[12:13], s21, v29
	v_mov_b32_e32 v9, 0x7c00
	s_or_b64 s[2:3], s[2:3], s[12:13]
	v_cndmask_b32_e64 v8, 0, v9, s[2:3]
	s_nor_b64 s[14:15], vcc, s[2:3]
	s_and_saveexec_b64 s[2:3], s[14:15]
	s_cbranch_execz .LBB261_17
; %bb.16:
	s_waitcnt lgkmcnt(0)
	v_mad_i64_i32 v[0:1], s[14:15], v29, s36, 0
	v_min_u32_e32 v8, s34, v50
	v_lshl_add_u64 v[0:1], v[0:1], 1, s[30:31]
	v_lshlrev_b32_e32 v10, 1, v8
	v_mov_b32_e32 v11, 0
	v_lshl_add_u64 v[0:1], v[0:1], 0, v[10:11]
	global_load_ushort v0, v[0:1], off
	s_waitcnt vmcnt(0)
	v_mul_f16_e32 v8, v46, v0
.LBB261_17:
	s_or_b64 exec, exec, s[2:3]
	v_add_u32_e32 v0, 4, v47
	v_cmp_le_i32_e64 s[14:15], s22, v0
	v_min_i32_e32 v0, s34, v0
	v_mad_i64_i32 v[0:1], s[2:3], s23, v0, 0
	s_or_b64 s[2:3], s[4:5], s[14:15]
	v_lshl_add_u64 v[0:1], v[0:1], 1, s[28:29]
	v_cndmask_b32_e64 v30, 0, v9, s[2:3]
	s_nor_b64 s[38:39], vcc, s[2:3]
	s_and_saveexec_b64 s[2:3], s[38:39]
	s_cbranch_execz .LBB261_19
; %bb.18:
	v_lshl_add_u64 v[10:11], v[32:33], 1, v[0:1]
	global_load_ushort v9, v[10:11], off
	s_waitcnt vmcnt(0)
	v_mul_f16_e32 v30, v46, v9
.LBB261_19:
	s_or_b64 exec, exec, s[2:3]
	v_mov_b32_e32 v9, 0x7c00
	s_or_b64 s[2:3], s[6:7], s[14:15]
	v_cndmask_b32_e64 v31, 0, v9, s[2:3]
	s_nor_b64 s[38:39], s[2:3], vcc
	s_and_saveexec_b64 s[2:3], s[38:39]
	s_cbranch_execz .LBB261_21
; %bb.20:
	v_lshl_add_u64 v[10:11], v[34:35], 1, v[0:1]
	global_load_ushort v10, v[10:11], off
	s_waitcnt vmcnt(0)
	v_mul_f16_e32 v31, v46, v10
.LBB261_21:
	s_or_b64 exec, exec, s[2:3]
	s_or_b64 s[2:3], s[8:9], s[14:15]
	v_cndmask_b32_e64 v40, 0, v9, s[2:3]
	s_nor_b64 s[38:39], s[2:3], vcc
	s_and_saveexec_b64 s[2:3], s[38:39]
	s_cbranch_execz .LBB261_23
; %bb.22:
	v_lshl_add_u64 v[10:11], v[36:37], 1, v[0:1]
	global_load_ushort v9, v[10:11], off
	s_waitcnt vmcnt(0)
	v_mul_f16_e32 v40, v46, v9
.LBB261_23:
	s_or_b64 exec, exec, s[2:3]
	v_mov_b32_e32 v9, 0x7c00
	s_or_b64 s[2:3], s[10:11], s[14:15]
	v_cndmask_b32_e64 v41, 0, v9, s[2:3]
	s_nor_b64 s[14:15], s[2:3], vcc
	s_and_saveexec_b64 s[2:3], s[14:15]
	s_cbranch_execz .LBB261_25
; %bb.24:
	v_lshl_add_u64 v[0:1], v[38:39], 1, v[0:1]
	global_load_ushort v0, v[0:1], off
	s_waitcnt vmcnt(0)
	v_mul_f16_e32 v41, v46, v0
.LBB261_25:
	s_or_b64 exec, exec, s[2:3]
	v_or_b32_e32 v0, 4, v50
	v_cmp_le_i32_e64 s[2:3], s22, v0
	s_or_b64 s[2:3], s[2:3], s[12:13]
	s_nor_b64 s[38:39], vcc, s[2:3]
	v_cndmask_b32_e64 v42, 0, v9, s[2:3]
	s_movk_i32 s14, 0x7c00
	s_and_saveexec_b64 s[2:3], s[38:39]
	s_cbranch_execz .LBB261_27
; %bb.26:
	s_waitcnt lgkmcnt(0)
	v_mad_i64_i32 v[10:11], s[38:39], v29, s36, 0
	v_min_u32_e32 v0, s34, v0
	v_lshl_add_u64 v[10:11], v[10:11], 1, s[30:31]
	v_lshlrev_b32_e32 v0, 1, v0
	v_mov_b32_e32 v1, 0
	v_lshl_add_u64 v[0:1], v[10:11], 0, v[0:1]
	global_load_ushort v0, v[0:1], off
	s_waitcnt vmcnt(0)
	v_mul_f16_e32 v42, v46, v0
.LBB261_27:
	s_or_b64 exec, exec, s[2:3]
	v_lshlrev_b32_e32 v0, 3, v2
	v_lshlrev_b32_e32 v28, 1, v50
	;; [unrolled: 1-line block ×3, first 2 shown]
	v_lshl_add_u32 v51, v47, 1, v0
	v_lshl_or_b32 v43, v7, 3, v28
	v_lshlrev_b32_e32 v49, 3, v44
	v_add_u32_e32 v92, 0x1000, v48
	ds_write_b16 v51, v3
	ds_write_b16 v51, v4 offset:512
	ds_write_b16 v51, v5 offset:1024
	;; [unrolled: 1-line block ×4, first 2 shown]
	s_waitcnt lgkmcnt(0)
	s_barrier
	ds_read2_b64 v[16:19], v49 offset1:32
	ds_read2_b64 v[12:15], v49 offset0:64 offset1:96
	ds_read2_b64 v[4:7], v49 offset0:128 offset1:160
	ds_read2_b64 v[54:57], v92 offset1:8
	ds_read2_b64 v[0:3], v49 offset0:192 offset1:224
	ds_read2_b64 v[24:27], v92 offset0:16 offset1:24
	;; [unrolled: 1-line block ×4, first 2 shown]
	s_cmp_lt_i32 s22, 9
	s_waitcnt lgkmcnt(4)
	v_pk_add_f16 v53, v16, v54
	v_pk_add_f16 v58, v18, v54
	;; [unrolled: 1-line block ×6, first 2 shown]
	s_waitcnt lgkmcnt(3)
	v_pk_add_f16 v63, v0, v54
	v_pk_add_f16 v54, v2, v54
	v_pk_add_f16 v64, v16, v56
	v_pk_add_f16 v65, v18, v56
	v_pk_add_f16 v66, v12, v56
	v_pk_add_f16 v67, v14, v56
	v_pk_add_f16 v68, v4, v56
	v_pk_add_f16 v69, v6, v56
	v_pk_add_f16 v70, v0, v56
	v_pk_add_f16 v56, v2, v56
	s_waitcnt lgkmcnt(2)
	v_pk_add_f16 v71, v16, v24
	v_pk_add_f16 v72, v18, v24
	v_pk_add_f16 v73, v12, v24
	v_pk_add_f16 v74, v14, v24
	v_pk_add_f16 v75, v4, v24
	v_pk_add_f16 v76, v6, v24
	v_pk_add_f16 v77, v0, v24
	v_pk_add_f16 v24, v2, v24
	v_pk_add_f16 v78, v16, v26
	v_pk_add_f16 v79, v18, v26
	v_pk_add_f16 v80, v12, v26
	v_pk_add_f16 v81, v14, v26
	v_pk_add_f16 v82, v4, v26
	v_pk_add_f16 v83, v6, v26
	v_pk_add_f16 v84, v0, v26
	v_pk_add_f16 v26, v2, v26
	s_waitcnt lgkmcnt(1)
	v_pk_add_f16 v118, v16, v20
	v_pk_add_f16 v119, v18, v20
	v_pk_add_f16 v120, v12, v20
	v_pk_add_f16 v121, v14, v20
	v_pk_add_f16 v122, v4, v20
	v_pk_add_f16 v123, v6, v20
	;; [unrolled: 17-line block ×3, first 2 shown]
	v_pk_add_f16 v138, v0, v8
	v_pk_add_f16 v8, v2, v8
	;; [unrolled: 1-line block ×11, first 2 shown]
	v_pk_min_f16 v10, v53, s14 op_sel_hi:[1,0]
	v_pk_min_f16 v8, v8, s14 op_sel_hi:[1,0]
	v_pk_min_f16 v117, v10, v2
	v_pk_add_f16 v2, v19, v55
	v_pk_min_f16 v10, v58, s14 op_sel_hi:[1,0]
	v_pk_min_f16 v4, v4, s14 op_sel_hi:[1,0]
	v_pk_min_f16 v116, v10, v2
	v_pk_add_f16 v2, v13, v55
	v_pk_min_f16 v10, v59, s14 op_sel_hi:[1,0]
	v_pk_min_f16 v0, v0, s14 op_sel_hi:[1,0]
	v_pk_min_f16 v115, v10, v2
	v_pk_add_f16 v2, v15, v55
	v_pk_min_f16 v10, v60, s14 op_sel_hi:[1,0]
	ds_write_b16 v51, v30 offset:2048
	ds_write_b16 v51, v31 offset:2560
	;; [unrolled: 1-line block ×5, first 2 shown]
	v_pk_min_f16 v114, v10, v2
	v_pk_add_f16 v2, v5, v55
	v_pk_min_f16 v10, v61, s14 op_sel_hi:[1,0]
	s_waitcnt lgkmcnt(0)
	v_pk_min_f16 v113, v10, v2
	v_pk_add_f16 v2, v7, v55
	v_pk_min_f16 v10, v62, s14 op_sel_hi:[1,0]
	s_barrier
	v_pk_min_f16 v112, v10, v2
	v_pk_add_f16 v2, v1, v55
	v_pk_min_f16 v10, v63, s14 op_sel_hi:[1,0]
	s_nop 0
	v_pk_min_f16 v111, v10, v2
	v_pk_add_f16 v2, v3, v55
	v_pk_min_f16 v10, v54, s14 op_sel_hi:[1,0]
	s_nop 0
	;; [unrolled: 4-line block ×48, first 2 shown]
	v_pk_min_f16 v63, v10, v2
	v_pk_add_f16 v2, v1, v9
	v_pk_min_f16 v10, v138, s14 op_sel_hi:[1,0]
	v_pk_add_f16 v1, v1, v11
	v_pk_min_f16 v62, v10, v2
	v_pk_add_f16 v2, v3, v9
	s_nop 0
	v_pk_min_f16 v61, v8, v2
	v_pk_add_f16 v2, v17, v11
	v_pk_min_f16 v8, v16, s14 op_sel_hi:[1,0]
	s_nop 0
	v_pk_min_f16 v60, v8, v2
	v_pk_add_f16 v2, v19, v11
	v_pk_min_f16 v8, v18, s14 op_sel_hi:[1,0]
	;; [unrolled: 4-line block ×4, first 2 shown]
	s_nop 0
	v_pk_min_f16 v57, v8, v2
	v_pk_add_f16 v2, v5, v11
	s_nop 0
	v_pk_min_f16 v55, v4, v2
	v_pk_add_f16 v2, v7, v11
	v_pk_min_f16 v4, v6, s14 op_sel_hi:[1,0]
	s_nop 0
	v_pk_min_f16 v54, v4, v2
	v_pk_min_f16 v2, v139, s14 op_sel_hi:[1,0]
	s_nop 0
	v_pk_min_f16 v53, v2, v1
	v_pk_add_f16 v1, v3, v11
	s_nop 0
	v_pk_min_f16 v56, v0, v1
	s_cbranch_scc1 .LBB261_50
; %bb.28:
	v_mov_b32_e32 v0, 0x800
	v_lshl_add_u32 v121, v44, 3, v0
	v_mov_b32_e32 v0, 0x1200
	v_lshl_add_u32 v122, v45, 3, v0
	v_mad_i64_i32 v[0:1], s[2:3], s36, v29, 0
	v_mov_b32_e32 v29, 0
	v_lshl_add_u64 v[0:1], v[0:1], 1, v[28:29]
	v_lshl_add_u64 v[0:1], s[30:31], 0, v[0:1]
	v_add_u32_e32 v118, 0x1000, v43
	v_add_u32_e32 v119, 0x800, v51
	;; [unrolled: 1-line block ×3, first 2 shown]
	s_add_i32 s35, s22, -8
	v_lshl_add_u64 v[40:41], v[0:1], 0, 16
	s_mov_b32 s30, 0
	v_mov_b32_e32 v123, 0x7c00
	s_branch .LBB261_30
.LBB261_29:                             ;   in Loop: Header=BB261_30 Depth=1
	s_or_b64 exec, exec, s[2:3]
	v_pk_add_f16 v43, v12, v28
	v_pk_max_f16 v117, v117, v117
	v_pk_max_f16 v116, v116, v116
	v_pk_min_f16 v43, v117, v43
	v_pk_add_f16 v117, v14, v28
	v_pk_max_f16 v115, v115, v115
	v_pk_min_f16 v116, v116, v117
	v_pk_add_f16 v117, v8, v28
	v_pk_max_f16 v114, v114, v114
	v_pk_min_f16 v115, v115, v117
	v_pk_add_f16 v117, v10, v28
	v_pk_max_f16 v113, v113, v113
	v_pk_min_f16 v114, v114, v117
	v_pk_add_f16 v117, v4, v28
	v_pk_max_f16 v112, v112, v112
	v_pk_min_f16 v113, v113, v117
	v_pk_add_f16 v117, v6, v28
	v_pk_max_f16 v110, v110, v110
	v_pk_min_f16 v112, v112, v117
	v_pk_add_f16 v117, v0, v28
	v_pk_add_f16 v28, v2, v28
	v_pk_max_f16 v109, v109, v109
	v_pk_min_f16 v28, v110, v28
	v_pk_add_f16 v110, v12, v30
	v_pk_max_f16 v108, v108, v108
	v_pk_min_f16 v109, v109, v110
	v_pk_add_f16 v110, v14, v30
	v_pk_max_f16 v107, v107, v107
	v_pk_min_f16 v108, v108, v110
	v_pk_add_f16 v110, v8, v30
	v_pk_max_f16 v106, v106, v106
	v_pk_min_f16 v107, v107, v110
	v_pk_add_f16 v110, v10, v30
	v_pk_max_f16 v105, v105, v105
	v_pk_min_f16 v106, v106, v110
	v_pk_add_f16 v110, v4, v30
	v_pk_max_f16 v104, v104, v104
	v_pk_min_f16 v105, v105, v110
	v_pk_add_f16 v110, v6, v30
	v_pk_max_f16 v102, v102, v102
	v_pk_min_f16 v104, v104, v110
	v_pk_add_f16 v110, v0, v30
	v_pk_add_f16 v30, v2, v30
	v_pk_max_f16 v101, v101, v101
	v_pk_min_f16 v30, v102, v30
	v_pk_add_f16 v102, v12, v24
	;; [unrolled: 22-line block ×6, first 2 shown]
	v_pk_max_f16 v67, v67, v67
	v_pk_min_f16 v68, v68, v69
	v_pk_add_f16 v69, v14, v16
	v_pk_max_f16 v66, v66, v66
	v_pk_min_f16 v67, v67, v69
	v_pk_add_f16 v69, v8, v16
	;; [unrolled: 3-line block ×5, first 2 shown]
	v_pk_add_f16 v12, v12, v18
	v_pk_min_f16 v63, v63, v69
	v_pk_add_f16 v69, v0, v16
	v_pk_add_f16 v16, v2, v16
	;; [unrolled: 1-line block ×9, first 2 shown]
	v_pk_max_f16 v18, v56, v56
	v_pk_max_f16 v53, v53, v53
	v_pk_min_f16 v2, v18, v2
	v_pk_add_f16 v18, v13, v29
	v_pk_max_f16 v54, v54, v54
	v_pk_min_f16 v43, v43, v18
	v_pk_add_f16 v18, v15, v29
	v_pk_min_f16 v0, v53, v0
	v_pk_min_f16 v53, v116, v18
	v_pk_add_f16 v18, v9, v29
	v_pk_max_f16 v55, v55, v55
	v_pk_min_f16 v6, v54, v6
	v_pk_min_f16 v54, v115, v18
	v_pk_add_f16 v18, v11, v29
	v_pk_min_f16 v4, v55, v4
	v_pk_min_f16 v55, v114, v18
	v_pk_add_f16 v18, v5, v29
	v_pk_max_f16 v111, v111, v111
	v_pk_max_f16 v57, v57, v57
	v_pk_min_f16 v56, v113, v18
	v_pk_add_f16 v18, v7, v29
	v_pk_min_f16 v111, v111, v117
	v_pk_max_f16 v58, v58, v58
	v_pk_min_f16 v10, v57, v10
	v_pk_min_f16 v57, v112, v18
	v_pk_add_f16 v18, v1, v29
	v_pk_max_f16 v59, v59, v59
	v_pk_min_f16 v8, v58, v8
	v_pk_min_f16 v58, v111, v18
	v_pk_add_f16 v18, v3, v29
	v_pk_max_f16 v60, v60, v60
	v_pk_min_f16 v14, v59, v14
	v_pk_min_f16 v59, v28, v18
	v_pk_add_f16 v18, v13, v31
	v_pk_max_f16 v61, v61, v61
	v_pk_min_f16 v12, v60, v12
	v_pk_min_f16 v60, v109, v18
	v_pk_add_f16 v18, v15, v31
	v_pk_max_f16 v62, v62, v62
	v_pk_min_f16 v16, v61, v16
	v_pk_min_f16 v61, v108, v18
	v_pk_add_f16 v18, v9, v31
	v_pk_max_f16 v70, v70, v70
	v_pk_min_f16 v62, v62, v69
	v_pk_min_f16 v69, v107, v18
	v_pk_add_f16 v18, v11, v31
	v_pk_max_f16 v78, v78, v78
	v_pk_min_f16 v70, v70, v77
	v_pk_min_f16 v77, v106, v18
	v_pk_add_f16 v18, v5, v31
	v_pk_max_f16 v103, v103, v103
	v_pk_max_f16 v86, v86, v86
	v_pk_min_f16 v78, v78, v85
	v_pk_min_f16 v85, v105, v18
	v_pk_add_f16 v18, v7, v31
	v_pk_min_f16 v103, v103, v110
	v_pk_max_f16 v95, v95, v95
	v_pk_min_f16 v86, v86, v94
	v_pk_min_f16 v94, v104, v18
	v_pk_add_f16 v18, v1, v31
	v_pk_min_f16 v95, v95, v102
	v_pk_min_f16 v102, v103, v18
	v_pk_add_f16 v18, v3, v31
	v_pk_max_f16 v43, v43, v43
	v_pk_min_f16 v128, v30, v18
	v_pk_add_f16 v18, v13, v25
	v_pk_max_f16 v53, v53, v53
	;; [unrolled: 3-line block ×6, first 2 shown]
	v_pk_min_f16 v97, v97, v18
	v_pk_add_f16 v18, v7, v25
	s_add_i32 s30, s30, 8
	v_pk_min_f16 v96, v96, v18
	v_pk_add_f16 v18, v1, v25
	s_cmp_ge_i32 s30, s35
	v_pk_min_f16 v95, v95, v18
	v_pk_add_f16 v18, v3, v25
	v_lshl_add_u64 v[40:41], v[40:41], 0, 16
	v_pk_min_f16 v129, v24, v18
	v_pk_add_f16 v18, v13, v27
	s_nop 0
	v_pk_min_f16 v93, v93, v18
	v_pk_add_f16 v18, v15, v27
	s_nop 0
	;; [unrolled: 3-line block ×24, first 2 shown]
	v_pk_min_f16 v132, v22, v18
	v_pk_add_f16 v18, v13, v17
	v_pk_add_f16 v13, v13, v19
	v_pk_min_f16 v68, v68, v18
	v_pk_add_f16 v18, v15, v17
	v_pk_min_f16 v134, v12, v13
	v_pk_min_f16 v67, v67, v18
	v_pk_add_f16 v18, v9, v17
	v_pk_add_f16 v9, v9, v19
	v_pk_min_f16 v66, v66, v18
	v_pk_add_f16 v18, v11, v17
	v_pk_add_f16 v12, v15, v19
	;; [unrolled: 3-line block ×3, first 2 shown]
	v_pk_min_f16 v64, v64, v18
	v_pk_add_f16 v18, v7, v17
	v_pk_min_f16 v136, v8, v9
	v_pk_min_f16 v63, v63, v18
	v_pk_add_f16 v18, v1, v17
	v_pk_add_f16 v1, v1, v19
	;; [unrolled: 1-line block ×4, first 2 shown]
	v_pk_min_f16 v138, v4, v5
	v_pk_add_f16 v4, v7, v19
	v_pk_min_f16 v140, v0, v1
	v_pk_add_f16 v0, v3, v19
	v_pk_min_f16 v62, v62, v18
	v_pk_min_f16 v133, v16, v17
	;; [unrolled: 1-line block ×6, first 2 shown]
	ds_read2_b64 v[16:19], v49 offset1:32
	ds_read2_b64 v[8:11], v49 offset0:64 offset1:96
	ds_read2_b64 v[4:7], v49 offset0:128 offset1:160
	ds_read2_b64 v[24:27], v92 offset1:8
	ds_read2_b64 v[0:3], v49 offset0:192 offset1:224
	ds_read2_b64 v[28:31], v92 offset0:16 offset1:24
	;; [unrolled: 1-line block ×4, first 2 shown]
	s_waitcnt lgkmcnt(4)
	v_pk_add_f16 v103, v16, v24
	v_pk_add_f16 v104, v18, v24
	v_pk_min_f16 v43, v43, v103
	v_pk_add_f16 v103, v17, v25
	v_pk_add_f16 v105, v8, v24
	v_pk_min_f16 v117, v43, v103
	v_pk_min_f16 v53, v53, v104
	v_pk_add_f16 v103, v19, v25
	v_pk_add_f16 v106, v10, v24
	v_pk_min_f16 v116, v53, v103
	;; [unrolled: 4-line block ×4, first 2 shown]
	v_pk_min_f16 v56, v56, v107
	v_pk_add_f16 v103, v5, v25
	v_pk_min_f16 v57, v57, v108
	v_pk_min_f16 v113, v56, v103
	v_pk_add_f16 v103, v7, v25
	s_waitcnt lgkmcnt(3)
	v_pk_add_f16 v109, v0, v24
	v_pk_min_f16 v112, v57, v103
	v_pk_max_f16 v57, v58, v58
	v_pk_add_f16 v58, v1, v25
	v_pk_min_f16 v57, v57, v109
	v_pk_add_f16 v24, v2, v24
	v_pk_min_f16 v111, v57, v58
	v_pk_max_f16 v57, v59, v59
	v_pk_add_f16 v25, v3, v25
	v_pk_min_f16 v24, v57, v24
	;; [unrolled: 5-line block ×7, first 2 shown]
	v_pk_add_f16 v147, v6, v26
	v_pk_min_f16 v105, v24, v25
	v_pk_max_f16 v24, v94, v94
	v_pk_add_f16 v148, v0, v26
	v_pk_add_f16 v26, v2, v26
	s_waitcnt lgkmcnt(2)
	v_pk_add_f16 v149, v16, v28
	v_pk_add_f16 v150, v18, v28
	v_pk_add_f16 v151, v8, v28
	v_pk_add_f16 v152, v10, v28
	v_pk_add_f16 v153, v4, v28
	v_pk_add_f16 v154, v6, v28
	v_pk_add_f16 v155, v0, v28
	v_pk_add_f16 v28, v2, v28
	v_pk_add_f16 v156, v16, v30
	v_pk_add_f16 v157, v18, v30
	v_pk_add_f16 v158, v8, v30
	v_pk_add_f16 v159, v10, v30
	v_pk_add_f16 v160, v4, v30
	v_pk_add_f16 v161, v6, v30
	v_pk_add_f16 v162, v0, v30
	v_pk_add_f16 v30, v2, v30
	s_waitcnt lgkmcnt(1)
	v_pk_add_f16 v163, v16, v20
	v_pk_add_f16 v164, v18, v20
	v_pk_add_f16 v165, v8, v20
	v_pk_add_f16 v166, v10, v20
	v_pk_add_f16 v167, v4, v20
	v_pk_add_f16 v168, v6, v20
	v_pk_add_f16 v169, v0, v20
	v_pk_add_f16 v20, v2, v20
	v_pk_add_f16 v170, v16, v22
	v_pk_add_f16 v171, v18, v22
	v_pk_add_f16 v172, v8, v22
	v_pk_add_f16 v173, v10, v22
	v_pk_add_f16 v174, v4, v22
	v_pk_add_f16 v175, v6, v22
	;; [unrolled: 17-line block ×3, first 2 shown]
	v_pk_add_f16 v0, v0, v14
	v_pk_min_f16 v24, v24, v147
	v_pk_add_f16 v25, v7, v27
	v_pk_add_f16 v2, v2, v14
	v_pk_max_f16 v14, v102, v102
	v_pk_min_f16 v104, v24, v25
	v_pk_min_f16 v14, v14, v148
	v_pk_add_f16 v24, v1, v27
	ds_write_b16 v119, v124
	ds_write_b16 v119, v125 offset:512
	ds_write_b16 v119, v126 offset:1024
	;; [unrolled: 1-line block ×3, first 2 shown]
	ds_write_b16 v120, v42
	v_pk_min_f16 v103, v14, v24
	v_pk_max_f16 v24, v128, v128
	v_pk_add_f16 v14, v3, v27
	v_pk_min_f16 v24, v24, v26
	s_waitcnt lgkmcnt(0)
	v_pk_min_f16 v102, v24, v14
	v_pk_max_f16 v24, v101, v101
	v_pk_add_f16 v14, v17, v29
	v_pk_min_f16 v24, v24, v149
	s_barrier
	v_pk_min_f16 v101, v24, v14
	v_pk_max_f16 v24, v100, v100
	v_pk_add_f16 v14, v19, v29
	v_pk_min_f16 v24, v24, v150
	s_nop 0
	v_pk_min_f16 v100, v24, v14
	v_pk_max_f16 v24, v99, v99
	v_pk_add_f16 v14, v9, v29
	v_pk_min_f16 v24, v24, v151
	s_nop 0
	v_pk_min_f16 v99, v24, v14
	v_pk_max_f16 v24, v98, v98
	v_pk_add_f16 v14, v11, v29
	v_pk_min_f16 v24, v24, v152
	s_nop 0
	v_pk_min_f16 v98, v24, v14
	v_pk_max_f16 v24, v97, v97
	v_pk_add_f16 v14, v5, v29
	v_pk_min_f16 v24, v24, v153
	s_nop 0
	v_pk_min_f16 v97, v24, v14
	v_pk_max_f16 v24, v96, v96
	v_pk_add_f16 v14, v7, v29
	v_pk_min_f16 v24, v24, v154
	s_nop 0
	v_pk_min_f16 v96, v24, v14
	v_pk_max_f16 v24, v95, v95
	v_pk_add_f16 v14, v1, v29
	v_pk_min_f16 v24, v24, v155
	s_nop 0
	v_pk_min_f16 v95, v24, v14
	v_pk_max_f16 v24, v129, v129
	v_pk_add_f16 v14, v3, v29
	v_pk_min_f16 v24, v24, v28
	s_nop 0
	v_pk_min_f16 v94, v24, v14
	v_pk_max_f16 v24, v93, v93
	v_pk_add_f16 v14, v17, v31
	v_pk_min_f16 v24, v24, v156
	s_nop 0
	v_pk_min_f16 v93, v24, v14
	v_pk_max_f16 v24, v91, v91
	v_pk_add_f16 v14, v19, v31
	v_pk_min_f16 v24, v24, v157
	s_nop 0
	v_pk_min_f16 v91, v24, v14
	v_pk_max_f16 v24, v90, v90
	v_pk_add_f16 v14, v9, v31
	v_pk_min_f16 v24, v24, v158
	s_nop 0
	v_pk_min_f16 v90, v24, v14
	v_pk_max_f16 v24, v89, v89
	v_pk_add_f16 v14, v11, v31
	v_pk_min_f16 v24, v24, v159
	s_nop 0
	v_pk_min_f16 v89, v24, v14
	v_pk_max_f16 v24, v88, v88
	v_pk_add_f16 v14, v5, v31
	v_pk_min_f16 v24, v24, v160
	s_nop 0
	v_pk_min_f16 v88, v24, v14
	v_pk_max_f16 v24, v87, v87
	v_pk_add_f16 v14, v7, v31
	v_pk_min_f16 v24, v24, v161
	s_nop 0
	v_pk_min_f16 v87, v24, v14
	v_pk_max_f16 v24, v86, v86
	v_pk_add_f16 v14, v1, v31
	v_pk_min_f16 v24, v24, v162
	s_nop 0
	v_pk_min_f16 v86, v24, v14
	v_pk_max_f16 v24, v130, v130
	v_pk_add_f16 v14, v3, v31
	v_pk_min_f16 v24, v24, v30
	s_nop 0
	v_pk_min_f16 v85, v24, v14
	v_pk_max_f16 v24, v84, v84
	v_pk_add_f16 v14, v17, v21
	v_pk_min_f16 v24, v24, v163
	s_nop 0
	v_pk_min_f16 v84, v24, v14
	v_pk_max_f16 v24, v83, v83
	v_pk_add_f16 v14, v19, v21
	v_pk_min_f16 v24, v24, v164
	s_nop 0
	v_pk_min_f16 v83, v24, v14
	v_pk_max_f16 v24, v82, v82
	v_pk_add_f16 v14, v9, v21
	v_pk_min_f16 v24, v24, v165
	s_nop 0
	v_pk_min_f16 v82, v24, v14
	v_pk_max_f16 v24, v81, v81
	v_pk_add_f16 v14, v11, v21
	v_pk_min_f16 v24, v24, v166
	s_nop 0
	v_pk_min_f16 v81, v24, v14
	v_pk_max_f16 v24, v80, v80
	v_pk_add_f16 v14, v5, v21
	v_pk_min_f16 v24, v24, v167
	s_nop 0
	v_pk_min_f16 v80, v24, v14
	v_pk_max_f16 v24, v79, v79
	v_pk_add_f16 v14, v7, v21
	v_pk_min_f16 v24, v24, v168
	s_nop 0
	v_pk_min_f16 v79, v24, v14
	v_pk_max_f16 v24, v78, v78
	v_pk_add_f16 v14, v1, v21
	v_pk_min_f16 v24, v24, v169
	s_nop 0
	v_pk_min_f16 v78, v24, v14
	v_pk_add_f16 v14, v3, v21
	v_pk_max_f16 v21, v131, v131
	s_nop 0
	v_pk_min_f16 v20, v21, v20
	s_nop 0
	v_pk_min_f16 v77, v20, v14
	v_pk_max_f16 v20, v76, v76
	v_pk_add_f16 v14, v17, v23
	v_pk_min_f16 v20, v20, v170
	s_nop 0
	v_pk_min_f16 v76, v20, v14
	v_pk_max_f16 v20, v75, v75
	v_pk_add_f16 v14, v19, v23
	;; [unrolled: 5-line block ×11, first 2 shown]
	v_pk_min_f16 v20, v20, v43
	v_pk_add_f16 v9, v9, v15
	v_pk_min_f16 v66, v20, v14
	v_pk_max_f16 v20, v65, v65
	v_pk_add_f16 v14, v11, v13
	v_pk_min_f16 v20, v20, v53
	s_nop 0
	v_pk_min_f16 v65, v20, v14
	v_pk_max_f16 v20, v64, v64
	v_pk_add_f16 v14, v5, v13
	v_pk_min_f16 v20, v20, v54
	v_pk_add_f16 v5, v5, v15
	v_pk_min_f16 v64, v20, v14
	v_pk_max_f16 v20, v63, v63
	v_pk_add_f16 v14, v7, v13
	v_pk_min_f16 v20, v20, v55
	s_nop 0
	v_pk_min_f16 v63, v20, v14
	v_pk_max_f16 v20, v62, v62
	v_pk_add_f16 v14, v1, v13
	;; [unrolled: 10-line block ×3, first 2 shown]
	v_pk_min_f16 v13, v13, v16
	s_nop 0
	v_pk_min_f16 v60, v13, v12
	v_pk_max_f16 v13, v135, v135
	v_pk_add_f16 v12, v19, v15
	v_pk_min_f16 v13, v13, v18
	s_nop 0
	v_pk_min_f16 v59, v13, v12
	v_pk_max_f16 v12, v136, v136
	s_nop 0
	v_pk_min_f16 v8, v12, v8
	s_nop 0
	v_pk_min_f16 v58, v8, v9
	v_pk_max_f16 v9, v137, v137
	v_pk_add_f16 v8, v11, v15
	v_pk_min_f16 v9, v9, v10
	s_nop 0
	v_pk_min_f16 v57, v9, v8
	v_pk_max_f16 v8, v138, v138
	s_nop 0
	;; [unrolled: 10-line block ×3, first 2 shown]
	v_pk_min_f16 v0, v4, v0
	s_nop 0
	v_pk_min_f16 v53, v0, v1
	v_pk_max_f16 v1, v141, v141
	v_pk_add_f16 v0, v3, v15
	v_pk_min_f16 v1, v1, v2
	s_nop 0
	v_pk_min_f16 v56, v1, v0
	s_cbranch_scc1 .LBB261_50
.LBB261_30:                             ; =>This Inner Loop Header: Depth=1
	v_add_u32_e32 v42, s30, v47
	v_add_u32_e32 v0, 8, v42
	v_cmp_le_i32_e64 s[14:15], s22, v0
	v_min_i32_e32 v0, s34, v0
	v_mad_i64_i32 v[0:1], s[2:3], v0, s23, 0
	s_or_b64 s[2:3], s[4:5], s[14:15]
	v_lshl_add_u64 v[0:1], v[0:1], 1, s[28:29]
	v_cndmask_b32_e64 v43, 0, v123, s[2:3]
	s_nor_b64 s[36:37], vcc, s[2:3]
	s_and_saveexec_b64 s[2:3], s[36:37]
	s_cbranch_execz .LBB261_32
; %bb.31:                               ;   in Loop: Header=BB261_30 Depth=1
	v_lshl_add_u64 v[2:3], v[32:33], 1, v[0:1]
	global_load_ushort v2, v[2:3], off
	s_waitcnt vmcnt(0)
	v_mul_f16_e32 v43, v46, v2
.LBB261_32:                             ;   in Loop: Header=BB261_30 Depth=1
	s_or_b64 exec, exec, s[2:3]
	s_or_b64 s[2:3], s[6:7], s[14:15]
	v_cndmask_b32_e64 v124, 0, v123, s[2:3]
	s_nor_b64 s[36:37], s[2:3], vcc
	s_and_saveexec_b64 s[2:3], s[36:37]
	s_cbranch_execz .LBB261_34
; %bb.33:                               ;   in Loop: Header=BB261_30 Depth=1
	v_lshl_add_u64 v[2:3], v[34:35], 1, v[0:1]
	global_load_ushort v2, v[2:3], off
	s_waitcnt vmcnt(0)
	v_mul_f16_e32 v124, v46, v2
.LBB261_34:                             ;   in Loop: Header=BB261_30 Depth=1
	s_or_b64 exec, exec, s[2:3]
	s_or_b64 s[2:3], s[8:9], s[14:15]
	v_cndmask_b32_e64 v125, 0, v123, s[2:3]
	s_nor_b64 s[36:37], s[2:3], vcc
	;; [unrolled: 12-line block ×3, first 2 shown]
	s_and_saveexec_b64 s[2:3], s[14:15]
	s_cbranch_execz .LBB261_38
; %bb.37:                               ;   in Loop: Header=BB261_30 Depth=1
	v_lshl_add_u64 v[0:1], v[38:39], 1, v[0:1]
	global_load_ushort v0, v[0:1], off
	s_waitcnt vmcnt(0)
	v_mul_f16_e32 v126, v46, v0
.LBB261_38:                             ;   in Loop: Header=BB261_30 Depth=1
	s_or_b64 exec, exec, s[2:3]
	v_add_u32_e32 v128, s30, v50
	v_add_u32_e32 v0, 8, v128
	v_cmp_le_i32_e64 s[2:3], s22, v0
	s_or_b64 s[2:3], s[2:3], s[12:13]
	s_nor_b64 s[14:15], vcc, s[2:3]
	v_cndmask_b32_e64 v127, 0, v123, s[2:3]
	s_and_saveexec_b64 s[2:3], s[14:15]
	s_cbranch_execz .LBB261_40
; %bb.39:                               ;   in Loop: Header=BB261_30 Depth=1
	global_load_ushort v0, v[40:41], off
	s_waitcnt vmcnt(0)
	v_mul_f16_e32 v127, v46, v0
.LBB261_40:                             ;   in Loop: Header=BB261_30 Depth=1
	s_or_b64 exec, exec, s[2:3]
	ds_read2_b64 v[12:15], v121 offset1:32
	ds_read2_b64 v[8:11], v121 offset0:64 offset1:96
	ds_read2_b64 v[4:7], v121 offset0:128 offset1:160
	;; [unrolled: 1-line block ×3, first 2 shown]
	ds_read2_b64 v[28:31], v122 offset1:8
	ds_read2_b64 v[24:27], v122 offset0:16 offset1:24
	ds_read2_b64 v[20:23], v122 offset0:32 offset1:40
	;; [unrolled: 1-line block ×3, first 2 shown]
	v_add_u32_e32 v42, 12, v42
	v_cmp_le_i32_e64 s[14:15], s22, v42
	v_min_i32_e32 v42, s34, v42
	ds_write_b16 v51, v43
	ds_write_b16 v51, v124 offset:512
	ds_write_b16 v51, v125 offset:1024
	;; [unrolled: 1-line block ×3, first 2 shown]
	ds_write_b16 v118, v127
	v_mad_i64_i32 v[42:43], s[2:3], v42, s23, 0
	s_or_b64 s[2:3], s[4:5], s[14:15]
	v_lshl_add_u64 v[42:43], v[42:43], 1, s[28:29]
	v_cndmask_b32_e64 v124, 0, v123, s[2:3]
	s_nor_b64 s[36:37], vcc, s[2:3]
	s_waitcnt lgkmcnt(0)
	s_barrier
	s_and_saveexec_b64 s[2:3], s[36:37]
	s_cbranch_execz .LBB261_42
; %bb.41:                               ;   in Loop: Header=BB261_30 Depth=1
	v_lshl_add_u64 v[124:125], v[32:33], 1, v[42:43]
	global_load_ushort v124, v[124:125], off
	s_waitcnt vmcnt(0)
	v_mul_f16_e32 v124, v46, v124
.LBB261_42:                             ;   in Loop: Header=BB261_30 Depth=1
	s_or_b64 exec, exec, s[2:3]
	s_or_b64 s[2:3], s[6:7], s[14:15]
	v_cndmask_b32_e64 v125, 0, v123, s[2:3]
	s_nor_b64 s[36:37], s[2:3], vcc
	s_and_saveexec_b64 s[2:3], s[36:37]
	s_cbranch_execz .LBB261_44
; %bb.43:                               ;   in Loop: Header=BB261_30 Depth=1
	v_lshl_add_u64 v[126:127], v[34:35], 1, v[42:43]
	global_load_ushort v125, v[126:127], off
	s_waitcnt vmcnt(0)
	v_mul_f16_e32 v125, v46, v125
.LBB261_44:                             ;   in Loop: Header=BB261_30 Depth=1
	s_or_b64 exec, exec, s[2:3]
	s_or_b64 s[2:3], s[8:9], s[14:15]
	v_cndmask_b32_e64 v126, 0, v123, s[2:3]
	s_nor_b64 s[36:37], s[2:3], vcc
	;; [unrolled: 12-line block ×3, first 2 shown]
	s_and_saveexec_b64 s[2:3], s[14:15]
	s_cbranch_execz .LBB261_48
; %bb.47:                               ;   in Loop: Header=BB261_30 Depth=1
	v_lshl_add_u64 v[42:43], v[38:39], 1, v[42:43]
	global_load_ushort v42, v[42:43], off
	s_waitcnt vmcnt(0)
	v_mul_f16_e32 v127, v46, v42
.LBB261_48:                             ;   in Loop: Header=BB261_30 Depth=1
	s_or_b64 exec, exec, s[2:3]
	v_add_u32_e32 v42, 12, v128
	v_cmp_le_i32_e64 s[2:3], s22, v42
	s_or_b64 s[2:3], s[2:3], s[12:13]
	s_nor_b64 s[14:15], vcc, s[2:3]
	v_cndmask_b32_e64 v42, 0, v123, s[2:3]
	s_and_saveexec_b64 s[2:3], s[14:15]
	s_cbranch_execz .LBB261_29
; %bb.49:                               ;   in Loop: Header=BB261_30 Depth=1
	global_load_ushort v42, v[40:41], off offset:8
	s_waitcnt vmcnt(0)
	v_mul_f16_e32 v42, v46, v42
	s_branch .LBB261_29
.LBB261_50:
	s_load_dwordx2 s[2:3], s[0:1], 0x78
	s_load_dword s29, s[0:1], 0x58
	s_load_dword s28, s[0:1], 0x70
	v_add_u32_e32 v0, 0x800, v49
	v_add_u32_e32 v4, 0x1000, v48
	s_waitcnt lgkmcnt(0)
	s_mul_i32 s1, s3, s18
	s_mul_hi_u32 s3, s2, s18
	s_mul_i32 s0, s2, s18
	s_add_i32 s1, s3, s1
	ds_read2_b64 v[16:19], v0 offset1:32
	ds_read2_b64 v[12:15], v0 offset0:64 offset1:96
	ds_read2_b64 v[8:11], v0 offset0:128 offset1:160
	;; [unrolled: 1-line block ×7, first 2 shown]
	s_lshl_b64 s[0:1], s[0:1], 1
	s_add_u32 s22, s26, s0
	v_add_u32_e32 v92, s33, v45
	s_addc_u32 s23, s27, s1
	v_mad_i64_i32 v[34:35], s[0:1], v92, s29, 0
	v_add_u32_e32 v32, s19, v44
	v_lshl_add_u64 v[50:51], v[34:35], 1, s[24:25]
	v_mad_i64_i32 v[34:35], s[0:1], v92, s28, 0
	v_cmp_gt_i32_e64 s[4:5], s20, v32
	v_cmp_gt_i32_e64 s[18:19], s21, v92
	v_lshl_add_u64 v[48:49], v[34:35], 1, s[22:23]
	v_cndmask_b32_e64 v34, 0, 1, s[16:17]
	v_ashrrev_i32_e32 v33, 31, v32
	s_and_b64 s[6:7], s[4:5], s[18:19]
	v_cmp_ne_u32_e64 s[0:1], 1, v34
	s_and_saveexec_b64 s[2:3], s[6:7]
	s_cbranch_execz .LBB261_55
; %bb.51:
	s_and_b64 vcc, exec, s[0:1]
	s_cbranch_vccnz .LBB261_53
; %bb.52:
	v_lshl_add_u64 v[34:35], v[32:33], 1, v[50:51]
	global_load_ushort v34, v[34:35], off
	s_waitcnt vmcnt(0)
	v_mul_f16_e32 v34, v52, v34
	v_cvt_f32_f16_e32 v34, v34
	s_branch .LBB261_54
.LBB261_53:
	v_mov_b32_e32 v34, 0
.LBB261_54:
	s_waitcnt lgkmcnt(3)
	v_pk_add_f16 v35, v16, v28
	v_max_f16_e32 v36, v117, v117
	v_pk_add_f16 v38, v17, v29
	v_min_f16_e32 v36, v36, v35
	v_lshrrev_b32_e32 v37, 16, v117
	v_lshrrev_b32_e32 v35, 16, v35
	v_lshrrev_b32_e32 v39, 16, v38
	v_min3_f16 v35, v37, v35, v39
	v_min3_f16 v35, v36, v38, v35
	v_cvt_f32_f16_e32 v35, v35
	v_max_f32_e32 v34, v34, v34
	v_min_f32_e32 v34, v34, v35
	v_cvt_f16_f32_e32 v36, v34
	v_lshl_add_u64 v[34:35], v[32:33], 1, v[48:49]
	global_store_short v[34:35], v36, off
.LBB261_55:
	s_or_b64 exec, exec, s[2:3]
	v_add_u32_e32 v34, 32, v32
	v_cmp_gt_i32_e64 s[2:3], s20, v34
	v_ashrrev_i32_e32 v35, 31, v34
	s_and_b64 s[8:9], s[2:3], s[18:19]
	s_and_saveexec_b64 s[6:7], s[8:9]
	s_cbranch_execz .LBB261_60
; %bb.56:
	s_and_b64 vcc, exec, s[0:1]
	s_cbranch_vccnz .LBB261_58
; %bb.57:
	v_lshl_add_u64 v[36:37], v[34:35], 1, v[50:51]
	global_load_ushort v36, v[36:37], off
	s_waitcnt vmcnt(0)
	v_mul_f16_e32 v36, v52, v36
	v_cvt_f32_f16_e32 v36, v36
	s_branch .LBB261_59
.LBB261_58:
	v_mov_b32_e32 v36, 0
.LBB261_59:
	s_waitcnt lgkmcnt(3)
	v_pk_add_f16 v37, v18, v28
	v_max_f16_e32 v38, v116, v116
	v_pk_add_f16 v40, v19, v29
	v_min_f16_e32 v38, v38, v37
	v_lshrrev_b32_e32 v39, 16, v116
	v_lshrrev_b32_e32 v37, 16, v37
	v_lshrrev_b32_e32 v41, 16, v40
	v_min3_f16 v37, v39, v37, v41
	v_min3_f16 v37, v38, v40, v37
	v_cvt_f32_f16_e32 v37, v37
	v_max_f32_e32 v36, v36, v36
	v_min_f32_e32 v36, v36, v37
	v_cvt_f16_f32_e32 v38, v36
	v_lshl_add_u64 v[36:37], v[34:35], 1, v[48:49]
	global_store_short v[36:37], v38, off
.LBB261_60:
	s_or_b64 exec, exec, s[6:7]
	v_add_u32_e32 v36, 64, v32
	v_cmp_gt_i32_e64 s[6:7], s20, v36
	v_ashrrev_i32_e32 v37, 31, v36
	s_and_b64 s[10:11], s[6:7], s[18:19]
	;; [unrolled: 37-line block ×5, first 2 shown]
	s_and_saveexec_b64 s[14:15], s[16:17]
	s_cbranch_execz .LBB261_80
; %bb.76:
	s_and_b64 vcc, exec, s[0:1]
	s_cbranch_vccnz .LBB261_78
; %bb.77:
	v_lshl_add_u64 v[44:45], v[42:43], 1, v[50:51]
	global_load_ushort v44, v[44:45], off
	s_waitcnt vmcnt(0)
	v_mul_f16_e32 v44, v52, v44
	v_cvt_f32_f16_e32 v44, v44
	s_branch .LBB261_79
.LBB261_78:
	v_mov_b32_e32 v44, 0
.LBB261_79:
	s_waitcnt lgkmcnt(3)
	v_pk_add_f16 v45, v10, v28
	v_max_f16_e32 v46, v112, v112
	v_lshrrev_b32_e32 v47, 16, v112
	v_pk_add_f16 v112, v11, v29
	v_min_f16_e32 v46, v46, v45
	v_lshrrev_b32_e32 v45, 16, v45
	v_lshrrev_b32_e32 v113, 16, v112
	v_min3_f16 v45, v47, v45, v113
	v_min3_f16 v45, v46, v112, v45
	v_cvt_f32_f16_e32 v45, v45
	v_max_f32_e32 v44, v44, v44
	v_min_f32_e32 v44, v44, v45
	v_cvt_f16_f32_e32 v46, v44
	v_lshl_add_u64 v[44:45], v[42:43], 1, v[48:49]
	global_store_short v[44:45], v46, off
.LBB261_80:
	s_or_b64 exec, exec, s[14:15]
	v_add_u32_e32 v44, 0xc0, v32
	v_cmp_gt_i32_e64 s[14:15], s20, v44
	v_ashrrev_i32_e32 v45, 31, v44
	s_and_b64 s[26:27], s[14:15], s[18:19]
	s_and_saveexec_b64 s[16:17], s[26:27]
	s_cbranch_execz .LBB261_85
; %bb.81:
	s_and_b64 vcc, exec, s[0:1]
	s_cbranch_vccnz .LBB261_83
; %bb.82:
	v_lshl_add_u64 v[46:47], v[44:45], 1, v[50:51]
	global_load_ushort v46, v[46:47], off
	s_waitcnt vmcnt(0)
	v_mul_f16_e32 v46, v52, v46
	v_cvt_f32_f16_e32 v46, v46
	s_branch .LBB261_84
.LBB261_83:
	v_mov_b32_e32 v46, 0
.LBB261_84:
	s_waitcnt lgkmcnt(3)
	v_pk_add_f16 v47, v0, v28
	v_max_f16_e32 v112, v111, v111
	v_pk_add_f16 v113, v1, v29
	v_min_f16_e32 v112, v112, v47
	v_lshrrev_b32_e32 v111, 16, v111
	v_lshrrev_b32_e32 v47, 16, v47
	;; [unrolled: 1-line block ×3, first 2 shown]
	v_min3_f16 v47, v111, v47, v114
	v_min3_f16 v47, v112, v113, v47
	v_cvt_f32_f16_e32 v47, v47
	v_max_f32_e32 v46, v46, v46
	v_min_f32_e32 v46, v46, v47
	v_cvt_f16_f32_e32 v111, v46
	v_lshl_add_u64 v[46:47], v[44:45], 1, v[48:49]
	global_store_short v[46:47], v111, off
.LBB261_85:
	s_or_b64 exec, exec, s[16:17]
	v_add_u32_e32 v46, 0xe0, v32
	v_cmp_gt_i32_e64 s[16:17], s20, v46
	v_ashrrev_i32_e32 v47, 31, v46
	s_and_b64 s[26:27], s[16:17], s[18:19]
	s_and_saveexec_b64 s[18:19], s[26:27]
	s_cbranch_execz .LBB261_90
; %bb.86:
	s_and_b64 vcc, exec, s[0:1]
	s_cbranch_vccnz .LBB261_88
; %bb.87:
	v_lshl_add_u64 v[50:51], v[46:47], 1, v[50:51]
	global_load_ushort v50, v[50:51], off
	s_waitcnt vmcnt(0)
	v_mul_f16_e32 v50, v52, v50
	v_cvt_f32_f16_e32 v50, v50
	s_branch .LBB261_89
.LBB261_88:
	v_mov_b32_e32 v50, 0
.LBB261_89:
	s_waitcnt lgkmcnt(3)
	v_pk_add_f16 v28, v2, v28
	v_max_f16_e32 v51, v110, v110
	v_pk_add_f16 v29, v3, v29
	v_min_f16_e32 v51, v51, v28
	v_lshrrev_b32_e32 v110, 16, v110
	v_lshrrev_b32_e32 v28, 16, v28
	;; [unrolled: 1-line block ×3, first 2 shown]
	v_min3_f16 v28, v110, v28, v111
	v_min3_f16 v28, v51, v29, v28
	v_cvt_f32_f16_e32 v28, v28
	v_max_f32_e32 v29, v50, v50
	v_min_f32_e32 v28, v29, v28
	v_cvt_f16_f32_e32 v50, v28
	v_lshl_add_u64 v[28:29], v[46:47], 1, v[48:49]
	global_store_short v[28:29], v50, off
.LBB261_90:
	s_or_b64 exec, exec, s[18:19]
	v_add_u32_e32 v50, 8, v92
	s_waitcnt lgkmcnt(3)
	v_mad_i64_i32 v[28:29], s[26:27], v50, s29, 0
	v_cmp_gt_i32_e64 s[18:19], s21, v50
	v_lshl_add_u64 v[48:49], v[28:29], 1, s[24:25]
	v_mad_i64_i32 v[28:29], s[26:27], v50, s28, 0
	v_lshl_add_u64 v[28:29], v[28:29], 1, s[22:23]
	s_and_b64 s[30:31], s[4:5], s[18:19]
	s_and_saveexec_b64 s[26:27], s[30:31]
	s_cbranch_execnz .LBB261_98
; %bb.91:
	s_or_b64 exec, exec, s[26:27]
	s_and_b64 s[30:31], s[2:3], s[18:19]
	s_and_saveexec_b64 s[26:27], s[30:31]
	s_cbranch_execnz .LBB261_102
.LBB261_92:
	s_or_b64 exec, exec, s[26:27]
	s_and_b64 s[30:31], s[6:7], s[18:19]
	s_and_saveexec_b64 s[26:27], s[30:31]
	s_cbranch_execnz .LBB261_106
.LBB261_93:
	s_or_b64 exec, exec, s[26:27]
	s_and_b64 s[30:31], s[8:9], s[18:19]
	s_and_saveexec_b64 s[26:27], s[30:31]
	s_cbranch_execnz .LBB261_110
.LBB261_94:
	s_or_b64 exec, exec, s[26:27]
	s_and_b64 s[30:31], s[10:11], s[18:19]
	s_and_saveexec_b64 s[26:27], s[30:31]
	s_cbranch_execnz .LBB261_114
.LBB261_95:
	s_or_b64 exec, exec, s[26:27]
	s_and_b64 s[30:31], s[12:13], s[18:19]
	s_and_saveexec_b64 s[26:27], s[30:31]
	s_cbranch_execnz .LBB261_118
.LBB261_96:
	s_or_b64 exec, exec, s[26:27]
	s_and_b64 s[30:31], s[14:15], s[18:19]
	s_and_saveexec_b64 s[26:27], s[30:31]
	s_cbranch_execnz .LBB261_122
.LBB261_97:
	s_or_b64 exec, exec, s[26:27]
	s_and_b64 s[26:27], s[16:17], s[18:19]
	s_and_saveexec_b64 s[18:19], s[26:27]
	s_cbranch_execnz .LBB261_126
	s_branch .LBB261_130
.LBB261_98:
	s_and_b64 vcc, exec, s[0:1]
	s_cbranch_vccnz .LBB261_100
; %bb.99:
	v_lshl_add_u64 v[50:51], v[32:33], 1, v[48:49]
	global_load_ushort v50, v[50:51], off
	s_waitcnt vmcnt(0)
	v_mul_f16_e32 v50, v52, v50
	v_cvt_f32_f16_e32 v50, v50
	s_branch .LBB261_101
.LBB261_100:
	v_mov_b32_e32 v50, 0
.LBB261_101:
	v_pk_add_f16 v51, v16, v30
	v_max_f16_e32 v110, v109, v109
	v_pk_add_f16 v111, v17, v31
	v_min_f16_e32 v110, v110, v51
	v_lshrrev_b32_e32 v109, 16, v109
	v_lshrrev_b32_e32 v51, 16, v51
	v_lshrrev_b32_e32 v112, 16, v111
	v_min3_f16 v51, v109, v51, v112
	v_min3_f16 v51, v110, v111, v51
	v_cvt_f32_f16_e32 v51, v51
	v_max_f32_e32 v50, v50, v50
	v_min_f32_e32 v50, v50, v51
	v_cvt_f16_f32_e32 v109, v50
	v_lshl_add_u64 v[50:51], v[32:33], 1, v[28:29]
	global_store_short v[50:51], v109, off
	s_or_b64 exec, exec, s[26:27]
	s_and_b64 s[30:31], s[2:3], s[18:19]
	s_and_saveexec_b64 s[26:27], s[30:31]
	s_cbranch_execz .LBB261_92
.LBB261_102:
	s_and_b64 vcc, exec, s[0:1]
	s_cbranch_vccnz .LBB261_104
; %bb.103:
	v_lshl_add_u64 v[50:51], v[34:35], 1, v[48:49]
	global_load_ushort v50, v[50:51], off
	s_waitcnt vmcnt(0)
	v_mul_f16_e32 v50, v52, v50
	v_cvt_f32_f16_e32 v50, v50
	s_branch .LBB261_105
.LBB261_104:
	v_mov_b32_e32 v50, 0
.LBB261_105:
	v_pk_add_f16 v51, v18, v30
	v_max_f16_e32 v109, v108, v108
	v_pk_add_f16 v110, v19, v31
	v_min_f16_e32 v109, v109, v51
	v_lshrrev_b32_e32 v108, 16, v108
	v_lshrrev_b32_e32 v51, 16, v51
	;; [unrolled: 1-line block ×3, first 2 shown]
	v_min3_f16 v51, v108, v51, v111
	v_min3_f16 v51, v109, v110, v51
	v_cvt_f32_f16_e32 v51, v51
	v_max_f32_e32 v50, v50, v50
	v_min_f32_e32 v50, v50, v51
	v_cvt_f16_f32_e32 v108, v50
	v_lshl_add_u64 v[50:51], v[34:35], 1, v[28:29]
	global_store_short v[50:51], v108, off
	s_or_b64 exec, exec, s[26:27]
	s_and_b64 s[30:31], s[6:7], s[18:19]
	s_and_saveexec_b64 s[26:27], s[30:31]
	s_cbranch_execz .LBB261_93
.LBB261_106:
	s_and_b64 vcc, exec, s[0:1]
	s_cbranch_vccnz .LBB261_108
; %bb.107:
	v_lshl_add_u64 v[50:51], v[36:37], 1, v[48:49]
	global_load_ushort v50, v[50:51], off
	s_waitcnt vmcnt(0)
	v_mul_f16_e32 v50, v52, v50
	v_cvt_f32_f16_e32 v50, v50
	s_branch .LBB261_109
.LBB261_108:
	v_mov_b32_e32 v50, 0
.LBB261_109:
	v_pk_add_f16 v51, v12, v30
	v_max_f16_e32 v108, v107, v107
	v_pk_add_f16 v109, v13, v31
	v_min_f16_e32 v108, v108, v51
	v_lshrrev_b32_e32 v107, 16, v107
	v_lshrrev_b32_e32 v51, 16, v51
	;; [unrolled: 1-line block ×3, first 2 shown]
	v_min3_f16 v51, v107, v51, v110
	v_min3_f16 v51, v108, v109, v51
	v_cvt_f32_f16_e32 v51, v51
	v_max_f32_e32 v50, v50, v50
	v_min_f32_e32 v50, v50, v51
	v_cvt_f16_f32_e32 v107, v50
	v_lshl_add_u64 v[50:51], v[36:37], 1, v[28:29]
	global_store_short v[50:51], v107, off
	s_or_b64 exec, exec, s[26:27]
	s_and_b64 s[30:31], s[8:9], s[18:19]
	s_and_saveexec_b64 s[26:27], s[30:31]
	s_cbranch_execz .LBB261_94
.LBB261_110:
	s_and_b64 vcc, exec, s[0:1]
	s_cbranch_vccnz .LBB261_112
; %bb.111:
	v_lshl_add_u64 v[50:51], v[38:39], 1, v[48:49]
	global_load_ushort v50, v[50:51], off
	s_waitcnt vmcnt(0)
	v_mul_f16_e32 v50, v52, v50
	v_cvt_f32_f16_e32 v50, v50
	s_branch .LBB261_113
.LBB261_112:
	v_mov_b32_e32 v50, 0
.LBB261_113:
	v_pk_add_f16 v51, v14, v30
	v_max_f16_e32 v107, v106, v106
	v_pk_add_f16 v108, v15, v31
	v_min_f16_e32 v107, v107, v51
	v_lshrrev_b32_e32 v106, 16, v106
	v_lshrrev_b32_e32 v51, 16, v51
	;; [unrolled: 1-line block ×3, first 2 shown]
	v_min3_f16 v51, v106, v51, v109
	v_min3_f16 v51, v107, v108, v51
	v_cvt_f32_f16_e32 v51, v51
	v_max_f32_e32 v50, v50, v50
	v_min_f32_e32 v50, v50, v51
	v_cvt_f16_f32_e32 v106, v50
	v_lshl_add_u64 v[50:51], v[38:39], 1, v[28:29]
	global_store_short v[50:51], v106, off
	s_or_b64 exec, exec, s[26:27]
	s_and_b64 s[30:31], s[10:11], s[18:19]
	s_and_saveexec_b64 s[26:27], s[30:31]
	s_cbranch_execz .LBB261_95
.LBB261_114:
	s_and_b64 vcc, exec, s[0:1]
	s_cbranch_vccnz .LBB261_116
; %bb.115:
	v_lshl_add_u64 v[50:51], v[40:41], 1, v[48:49]
	global_load_ushort v50, v[50:51], off
	s_waitcnt vmcnt(0)
	v_mul_f16_e32 v50, v52, v50
	v_cvt_f32_f16_e32 v50, v50
	s_branch .LBB261_117
.LBB261_116:
	v_mov_b32_e32 v50, 0
.LBB261_117:
	v_pk_add_f16 v51, v8, v30
	v_max_f16_e32 v106, v105, v105
	v_pk_add_f16 v107, v9, v31
	v_min_f16_e32 v106, v106, v51
	v_lshrrev_b32_e32 v105, 16, v105
	v_lshrrev_b32_e32 v51, 16, v51
	;; [unrolled: 1-line block ×3, first 2 shown]
	v_min3_f16 v51, v105, v51, v108
	v_min3_f16 v51, v106, v107, v51
	v_cvt_f32_f16_e32 v51, v51
	v_max_f32_e32 v50, v50, v50
	v_min_f32_e32 v50, v50, v51
	v_cvt_f16_f32_e32 v105, v50
	v_lshl_add_u64 v[50:51], v[40:41], 1, v[28:29]
	global_store_short v[50:51], v105, off
	s_or_b64 exec, exec, s[26:27]
	s_and_b64 s[30:31], s[12:13], s[18:19]
	s_and_saveexec_b64 s[26:27], s[30:31]
	s_cbranch_execz .LBB261_96
.LBB261_118:
	s_and_b64 vcc, exec, s[0:1]
	s_cbranch_vccnz .LBB261_120
; %bb.119:
	v_lshl_add_u64 v[50:51], v[42:43], 1, v[48:49]
	global_load_ushort v50, v[50:51], off
	s_waitcnt vmcnt(0)
	v_mul_f16_e32 v50, v52, v50
	v_cvt_f32_f16_e32 v50, v50
	s_branch .LBB261_121
.LBB261_120:
	v_mov_b32_e32 v50, 0
.LBB261_121:
	v_pk_add_f16 v51, v10, v30
	v_max_f16_e32 v105, v104, v104
	v_pk_add_f16 v106, v11, v31
	v_min_f16_e32 v105, v105, v51
	v_lshrrev_b32_e32 v104, 16, v104
	v_lshrrev_b32_e32 v51, 16, v51
	;; [unrolled: 1-line block ×3, first 2 shown]
	v_min3_f16 v51, v104, v51, v107
	v_min3_f16 v51, v105, v106, v51
	v_cvt_f32_f16_e32 v51, v51
	v_max_f32_e32 v50, v50, v50
	v_min_f32_e32 v50, v50, v51
	v_cvt_f16_f32_e32 v104, v50
	v_lshl_add_u64 v[50:51], v[42:43], 1, v[28:29]
	global_store_short v[50:51], v104, off
	s_or_b64 exec, exec, s[26:27]
	s_and_b64 s[30:31], s[14:15], s[18:19]
	s_and_saveexec_b64 s[26:27], s[30:31]
	s_cbranch_execz .LBB261_97
.LBB261_122:
	s_and_b64 vcc, exec, s[0:1]
	s_cbranch_vccnz .LBB261_124
; %bb.123:
	v_lshl_add_u64 v[50:51], v[44:45], 1, v[48:49]
	global_load_ushort v50, v[50:51], off
	s_waitcnt vmcnt(0)
	v_mul_f16_e32 v50, v52, v50
	v_cvt_f32_f16_e32 v50, v50
	s_branch .LBB261_125
.LBB261_124:
	v_mov_b32_e32 v50, 0
.LBB261_125:
	v_pk_add_f16 v51, v0, v30
	v_max_f16_e32 v104, v103, v103
	v_pk_add_f16 v105, v1, v31
	v_min_f16_e32 v104, v104, v51
	v_lshrrev_b32_e32 v103, 16, v103
	v_lshrrev_b32_e32 v51, 16, v51
	;; [unrolled: 1-line block ×3, first 2 shown]
	v_min3_f16 v51, v103, v51, v106
	v_min3_f16 v51, v104, v105, v51
	v_cvt_f32_f16_e32 v51, v51
	v_max_f32_e32 v50, v50, v50
	v_min_f32_e32 v50, v50, v51
	v_cvt_f16_f32_e32 v103, v50
	v_lshl_add_u64 v[50:51], v[44:45], 1, v[28:29]
	global_store_short v[50:51], v103, off
	s_or_b64 exec, exec, s[26:27]
	s_and_b64 s[26:27], s[16:17], s[18:19]
	s_and_saveexec_b64 s[18:19], s[26:27]
	s_cbranch_execz .LBB261_130
.LBB261_126:
	s_and_b64 vcc, exec, s[0:1]
	s_cbranch_vccnz .LBB261_128
; %bb.127:
	v_lshl_add_u64 v[48:49], v[46:47], 1, v[48:49]
	global_load_ushort v48, v[48:49], off
	s_waitcnt vmcnt(0)
	v_mul_f16_e32 v48, v52, v48
	v_cvt_f32_f16_e32 v48, v48
	s_branch .LBB261_129
.LBB261_128:
	v_mov_b32_e32 v48, 0
.LBB261_129:
	v_pk_add_f16 v30, v2, v30
	v_max_f16_e32 v49, v102, v102
	v_pk_add_f16 v31, v3, v31
	v_min_f16_e32 v49, v49, v30
	v_lshrrev_b32_e32 v50, 16, v102
	v_lshrrev_b32_e32 v30, 16, v30
	;; [unrolled: 1-line block ×3, first 2 shown]
	v_min3_f16 v30, v50, v30, v51
	v_min3_f16 v30, v49, v31, v30
	v_cvt_f32_f16_e32 v30, v30
	v_max_f32_e32 v31, v48, v48
	v_lshl_add_u64 v[28:29], v[46:47], 1, v[28:29]
	v_min_f32_e32 v30, v31, v30
	v_cvt_f16_f32_e32 v30, v30
	global_store_short v[28:29], v30, off
.LBB261_130:
	s_or_b64 exec, exec, s[18:19]
	v_add_u32_e32 v48, 16, v92
	v_mad_i64_i32 v[28:29], s[26:27], v48, s29, 0
	v_cmp_gt_i32_e64 s[18:19], s21, v48
	v_lshl_add_u64 v[30:31], v[28:29], 1, s[24:25]
	v_mad_i64_i32 v[28:29], s[26:27], v48, s28, 0
	v_lshl_add_u64 v[28:29], v[28:29], 1, s[22:23]
	s_and_b64 s[30:31], s[4:5], s[18:19]
	s_and_saveexec_b64 s[26:27], s[30:31]
	s_cbranch_execnz .LBB261_138
; %bb.131:
	s_or_b64 exec, exec, s[26:27]
	s_and_b64 s[30:31], s[2:3], s[18:19]
	s_and_saveexec_b64 s[26:27], s[30:31]
	s_cbranch_execnz .LBB261_142
.LBB261_132:
	s_or_b64 exec, exec, s[26:27]
	s_and_b64 s[30:31], s[6:7], s[18:19]
	s_and_saveexec_b64 s[26:27], s[30:31]
	s_cbranch_execnz .LBB261_146
.LBB261_133:
	s_or_b64 exec, exec, s[26:27]
	s_and_b64 s[30:31], s[8:9], s[18:19]
	s_and_saveexec_b64 s[26:27], s[30:31]
	s_cbranch_execnz .LBB261_150
.LBB261_134:
	s_or_b64 exec, exec, s[26:27]
	s_and_b64 s[30:31], s[10:11], s[18:19]
	s_and_saveexec_b64 s[26:27], s[30:31]
	s_cbranch_execnz .LBB261_154
.LBB261_135:
	s_or_b64 exec, exec, s[26:27]
	s_and_b64 s[30:31], s[12:13], s[18:19]
	s_and_saveexec_b64 s[26:27], s[30:31]
	s_cbranch_execnz .LBB261_158
.LBB261_136:
	s_or_b64 exec, exec, s[26:27]
	s_and_b64 s[30:31], s[14:15], s[18:19]
	s_and_saveexec_b64 s[26:27], s[30:31]
	s_cbranch_execnz .LBB261_162
.LBB261_137:
	s_or_b64 exec, exec, s[26:27]
	s_and_b64 s[26:27], s[16:17], s[18:19]
	s_and_saveexec_b64 s[18:19], s[26:27]
	s_cbranch_execnz .LBB261_166
	s_branch .LBB261_170
.LBB261_138:
	s_and_b64 vcc, exec, s[0:1]
	s_cbranch_vccnz .LBB261_140
; %bb.139:
	v_lshl_add_u64 v[48:49], v[32:33], 1, v[30:31]
	global_load_ushort v48, v[48:49], off
	s_waitcnt vmcnt(0)
	v_mul_f16_e32 v48, v52, v48
	v_cvt_f32_f16_e32 v48, v48
	s_branch .LBB261_141
.LBB261_140:
	v_mov_b32_e32 v48, 0
.LBB261_141:
	s_waitcnt lgkmcnt(2)
	v_pk_add_f16 v49, v16, v24
	v_max_f16_e32 v50, v101, v101
	v_lshrrev_b32_e32 v51, 16, v101
	v_pk_add_f16 v101, v17, v25
	v_min_f16_e32 v50, v50, v49
	v_lshrrev_b32_e32 v49, 16, v49
	v_lshrrev_b32_e32 v102, 16, v101
	v_min3_f16 v49, v51, v49, v102
	v_min3_f16 v49, v50, v101, v49
	v_cvt_f32_f16_e32 v49, v49
	v_max_f32_e32 v48, v48, v48
	v_min_f32_e32 v48, v48, v49
	v_cvt_f16_f32_e32 v50, v48
	v_lshl_add_u64 v[48:49], v[32:33], 1, v[28:29]
	global_store_short v[48:49], v50, off
	s_or_b64 exec, exec, s[26:27]
	s_and_b64 s[30:31], s[2:3], s[18:19]
	s_and_saveexec_b64 s[26:27], s[30:31]
	s_cbranch_execz .LBB261_132
.LBB261_142:
	s_and_b64 vcc, exec, s[0:1]
	s_cbranch_vccnz .LBB261_144
; %bb.143:
	v_lshl_add_u64 v[48:49], v[34:35], 1, v[30:31]
	global_load_ushort v48, v[48:49], off
	s_waitcnt vmcnt(0)
	v_mul_f16_e32 v48, v52, v48
	v_cvt_f32_f16_e32 v48, v48
	s_branch .LBB261_145
.LBB261_144:
	v_mov_b32_e32 v48, 0
.LBB261_145:
	s_waitcnt lgkmcnt(2)
	v_pk_add_f16 v49, v18, v24
	v_max_f16_e32 v50, v100, v100
	v_lshrrev_b32_e32 v51, 16, v100
	v_pk_add_f16 v100, v19, v25
	v_min_f16_e32 v50, v50, v49
	v_lshrrev_b32_e32 v49, 16, v49
	v_lshrrev_b32_e32 v101, 16, v100
	v_min3_f16 v49, v51, v49, v101
	v_min3_f16 v49, v50, v100, v49
	v_cvt_f32_f16_e32 v49, v49
	v_max_f32_e32 v48, v48, v48
	v_min_f32_e32 v48, v48, v49
	v_cvt_f16_f32_e32 v50, v48
	v_lshl_add_u64 v[48:49], v[34:35], 1, v[28:29]
	global_store_short v[48:49], v50, off
	s_or_b64 exec, exec, s[26:27]
	s_and_b64 s[30:31], s[6:7], s[18:19]
	s_and_saveexec_b64 s[26:27], s[30:31]
	s_cbranch_execz .LBB261_133
.LBB261_146:
	s_and_b64 vcc, exec, s[0:1]
	s_cbranch_vccnz .LBB261_148
; %bb.147:
	v_lshl_add_u64 v[48:49], v[36:37], 1, v[30:31]
	global_load_ushort v48, v[48:49], off
	s_waitcnt vmcnt(0)
	v_mul_f16_e32 v48, v52, v48
	v_cvt_f32_f16_e32 v48, v48
	s_branch .LBB261_149
.LBB261_148:
	v_mov_b32_e32 v48, 0
.LBB261_149:
	s_waitcnt lgkmcnt(2)
	v_pk_add_f16 v49, v12, v24
	v_max_f16_e32 v50, v99, v99
	v_lshrrev_b32_e32 v51, 16, v99
	v_pk_add_f16 v99, v13, v25
	v_min_f16_e32 v50, v50, v49
	v_lshrrev_b32_e32 v49, 16, v49
	v_lshrrev_b32_e32 v100, 16, v99
	v_min3_f16 v49, v51, v49, v100
	v_min3_f16 v49, v50, v99, v49
	v_cvt_f32_f16_e32 v49, v49
	v_max_f32_e32 v48, v48, v48
	v_min_f32_e32 v48, v48, v49
	v_cvt_f16_f32_e32 v50, v48
	v_lshl_add_u64 v[48:49], v[36:37], 1, v[28:29]
	global_store_short v[48:49], v50, off
	s_or_b64 exec, exec, s[26:27]
	s_and_b64 s[30:31], s[8:9], s[18:19]
	s_and_saveexec_b64 s[26:27], s[30:31]
	s_cbranch_execz .LBB261_134
.LBB261_150:
	s_and_b64 vcc, exec, s[0:1]
	s_cbranch_vccnz .LBB261_152
; %bb.151:
	v_lshl_add_u64 v[48:49], v[38:39], 1, v[30:31]
	global_load_ushort v48, v[48:49], off
	s_waitcnt vmcnt(0)
	v_mul_f16_e32 v48, v52, v48
	v_cvt_f32_f16_e32 v48, v48
	s_branch .LBB261_153
.LBB261_152:
	v_mov_b32_e32 v48, 0
.LBB261_153:
	s_waitcnt lgkmcnt(2)
	v_pk_add_f16 v49, v14, v24
	v_max_f16_e32 v50, v98, v98
	v_lshrrev_b32_e32 v51, 16, v98
	v_pk_add_f16 v98, v15, v25
	v_min_f16_e32 v50, v50, v49
	v_lshrrev_b32_e32 v49, 16, v49
	v_lshrrev_b32_e32 v99, 16, v98
	v_min3_f16 v49, v51, v49, v99
	v_min3_f16 v49, v50, v98, v49
	v_cvt_f32_f16_e32 v49, v49
	v_max_f32_e32 v48, v48, v48
	v_min_f32_e32 v48, v48, v49
	v_cvt_f16_f32_e32 v50, v48
	v_lshl_add_u64 v[48:49], v[38:39], 1, v[28:29]
	global_store_short v[48:49], v50, off
	s_or_b64 exec, exec, s[26:27]
	s_and_b64 s[30:31], s[10:11], s[18:19]
	s_and_saveexec_b64 s[26:27], s[30:31]
	s_cbranch_execz .LBB261_135
.LBB261_154:
	s_and_b64 vcc, exec, s[0:1]
	s_cbranch_vccnz .LBB261_156
; %bb.155:
	v_lshl_add_u64 v[48:49], v[40:41], 1, v[30:31]
	global_load_ushort v48, v[48:49], off
	s_waitcnt vmcnt(0)
	v_mul_f16_e32 v48, v52, v48
	v_cvt_f32_f16_e32 v48, v48
	s_branch .LBB261_157
.LBB261_156:
	v_mov_b32_e32 v48, 0
.LBB261_157:
	s_waitcnt lgkmcnt(2)
	v_pk_add_f16 v49, v8, v24
	v_max_f16_e32 v50, v97, v97
	v_lshrrev_b32_e32 v51, 16, v97
	v_pk_add_f16 v97, v9, v25
	v_min_f16_e32 v50, v50, v49
	v_lshrrev_b32_e32 v49, 16, v49
	v_lshrrev_b32_e32 v98, 16, v97
	v_min3_f16 v49, v51, v49, v98
	v_min3_f16 v49, v50, v97, v49
	v_cvt_f32_f16_e32 v49, v49
	v_max_f32_e32 v48, v48, v48
	v_min_f32_e32 v48, v48, v49
	v_cvt_f16_f32_e32 v50, v48
	v_lshl_add_u64 v[48:49], v[40:41], 1, v[28:29]
	global_store_short v[48:49], v50, off
	s_or_b64 exec, exec, s[26:27]
	s_and_b64 s[30:31], s[12:13], s[18:19]
	s_and_saveexec_b64 s[26:27], s[30:31]
	s_cbranch_execz .LBB261_136
.LBB261_158:
	s_and_b64 vcc, exec, s[0:1]
	s_cbranch_vccnz .LBB261_160
; %bb.159:
	v_lshl_add_u64 v[48:49], v[42:43], 1, v[30:31]
	global_load_ushort v48, v[48:49], off
	s_waitcnt vmcnt(0)
	v_mul_f16_e32 v48, v52, v48
	v_cvt_f32_f16_e32 v48, v48
	s_branch .LBB261_161
.LBB261_160:
	v_mov_b32_e32 v48, 0
.LBB261_161:
	s_waitcnt lgkmcnt(2)
	v_pk_add_f16 v49, v10, v24
	v_max_f16_e32 v50, v96, v96
	v_lshrrev_b32_e32 v51, 16, v96
	v_pk_add_f16 v96, v11, v25
	v_min_f16_e32 v50, v50, v49
	v_lshrrev_b32_e32 v49, 16, v49
	v_lshrrev_b32_e32 v97, 16, v96
	v_min3_f16 v49, v51, v49, v97
	v_min3_f16 v49, v50, v96, v49
	v_cvt_f32_f16_e32 v49, v49
	v_max_f32_e32 v48, v48, v48
	v_min_f32_e32 v48, v48, v49
	v_cvt_f16_f32_e32 v50, v48
	v_lshl_add_u64 v[48:49], v[42:43], 1, v[28:29]
	global_store_short v[48:49], v50, off
	s_or_b64 exec, exec, s[26:27]
	s_and_b64 s[30:31], s[14:15], s[18:19]
	s_and_saveexec_b64 s[26:27], s[30:31]
	s_cbranch_execz .LBB261_137
.LBB261_162:
	s_and_b64 vcc, exec, s[0:1]
	s_cbranch_vccnz .LBB261_164
; %bb.163:
	v_lshl_add_u64 v[48:49], v[44:45], 1, v[30:31]
	global_load_ushort v48, v[48:49], off
	s_waitcnt vmcnt(0)
	v_mul_f16_e32 v48, v52, v48
	v_cvt_f32_f16_e32 v48, v48
	s_branch .LBB261_165
.LBB261_164:
	v_mov_b32_e32 v48, 0
.LBB261_165:
	s_waitcnt lgkmcnt(2)
	v_pk_add_f16 v49, v0, v24
	v_max_f16_e32 v50, v95, v95
	v_lshrrev_b32_e32 v51, 16, v95
	v_pk_add_f16 v95, v1, v25
	v_min_f16_e32 v50, v50, v49
	v_lshrrev_b32_e32 v49, 16, v49
	v_lshrrev_b32_e32 v96, 16, v95
	v_min3_f16 v49, v51, v49, v96
	v_min3_f16 v49, v50, v95, v49
	v_cvt_f32_f16_e32 v49, v49
	v_max_f32_e32 v48, v48, v48
	v_min_f32_e32 v48, v48, v49
	v_cvt_f16_f32_e32 v50, v48
	v_lshl_add_u64 v[48:49], v[44:45], 1, v[28:29]
	global_store_short v[48:49], v50, off
	s_or_b64 exec, exec, s[26:27]
	s_and_b64 s[26:27], s[16:17], s[18:19]
	s_and_saveexec_b64 s[18:19], s[26:27]
	s_cbranch_execz .LBB261_170
.LBB261_166:
	s_and_b64 vcc, exec, s[0:1]
	s_cbranch_vccnz .LBB261_168
; %bb.167:
	v_lshl_add_u64 v[30:31], v[46:47], 1, v[30:31]
	global_load_ushort v30, v[30:31], off
	s_waitcnt vmcnt(0)
	v_mul_f16_e32 v30, v52, v30
	v_cvt_f32_f16_e32 v30, v30
	s_branch .LBB261_169
.LBB261_168:
	v_mov_b32_e32 v30, 0
.LBB261_169:
	s_waitcnt lgkmcnt(2)
	v_pk_add_f16 v24, v2, v24
	v_max_f16_e32 v31, v94, v94
	v_pk_add_f16 v25, v3, v25
	v_min_f16_e32 v31, v31, v24
	v_lshrrev_b32_e32 v48, 16, v94
	v_lshrrev_b32_e32 v24, 16, v24
	;; [unrolled: 1-line block ×3, first 2 shown]
	v_min3_f16 v24, v48, v24, v49
	v_min3_f16 v24, v31, v25, v24
	v_cvt_f32_f16_e32 v24, v24
	v_max_f32_e32 v25, v30, v30
	v_min_f32_e32 v24, v25, v24
	v_cvt_f16_f32_e32 v30, v24
	v_lshl_add_u64 v[24:25], v[46:47], 1, v[28:29]
	global_store_short v[24:25], v30, off
.LBB261_170:
	s_or_b64 exec, exec, s[18:19]
	v_add_u32_e32 v30, 24, v92
	s_waitcnt lgkmcnt(2)
	v_mad_i64_i32 v[24:25], s[26:27], v30, s29, 0
	v_cmp_gt_i32_e64 s[18:19], s21, v30
	v_lshl_add_u64 v[28:29], v[24:25], 1, s[24:25]
	v_mad_i64_i32 v[24:25], s[26:27], v30, s28, 0
	v_lshl_add_u64 v[24:25], v[24:25], 1, s[22:23]
	s_and_b64 s[30:31], s[4:5], s[18:19]
	s_and_saveexec_b64 s[26:27], s[30:31]
	s_cbranch_execnz .LBB261_178
; %bb.171:
	s_or_b64 exec, exec, s[26:27]
	s_and_b64 s[30:31], s[2:3], s[18:19]
	s_and_saveexec_b64 s[26:27], s[30:31]
	s_cbranch_execnz .LBB261_182
.LBB261_172:
	s_or_b64 exec, exec, s[26:27]
	s_and_b64 s[30:31], s[6:7], s[18:19]
	s_and_saveexec_b64 s[26:27], s[30:31]
	s_cbranch_execnz .LBB261_186
.LBB261_173:
	s_or_b64 exec, exec, s[26:27]
	s_and_b64 s[30:31], s[8:9], s[18:19]
	s_and_saveexec_b64 s[26:27], s[30:31]
	s_cbranch_execnz .LBB261_190
.LBB261_174:
	s_or_b64 exec, exec, s[26:27]
	s_and_b64 s[30:31], s[10:11], s[18:19]
	s_and_saveexec_b64 s[26:27], s[30:31]
	s_cbranch_execnz .LBB261_194
.LBB261_175:
	s_or_b64 exec, exec, s[26:27]
	s_and_b64 s[30:31], s[12:13], s[18:19]
	s_and_saveexec_b64 s[26:27], s[30:31]
	s_cbranch_execnz .LBB261_198
.LBB261_176:
	s_or_b64 exec, exec, s[26:27]
	s_and_b64 s[30:31], s[14:15], s[18:19]
	s_and_saveexec_b64 s[26:27], s[30:31]
	s_cbranch_execnz .LBB261_202
.LBB261_177:
	s_or_b64 exec, exec, s[26:27]
	s_and_b64 s[26:27], s[16:17], s[18:19]
	s_and_saveexec_b64 s[18:19], s[26:27]
	s_cbranch_execnz .LBB261_206
	s_branch .LBB261_210
.LBB261_178:
	s_and_b64 vcc, exec, s[0:1]
	s_cbranch_vccnz .LBB261_180
; %bb.179:
	v_lshl_add_u64 v[30:31], v[32:33], 1, v[28:29]
	global_load_ushort v30, v[30:31], off
	s_waitcnt vmcnt(0)
	v_mul_f16_e32 v30, v52, v30
	v_cvt_f32_f16_e32 v30, v30
	s_branch .LBB261_181
.LBB261_180:
	v_mov_b32_e32 v30, 0
.LBB261_181:
	v_pk_add_f16 v31, v16, v26
	v_max_f16_e32 v48, v93, v93
	v_pk_add_f16 v50, v17, v27
	v_min_f16_e32 v48, v48, v31
	v_lshrrev_b32_e32 v49, 16, v93
	v_lshrrev_b32_e32 v31, 16, v31
	;; [unrolled: 1-line block ×3, first 2 shown]
	v_min3_f16 v31, v49, v31, v51
	v_min3_f16 v31, v48, v50, v31
	v_cvt_f32_f16_e32 v31, v31
	v_max_f32_e32 v30, v30, v30
	v_min_f32_e32 v30, v30, v31
	v_cvt_f16_f32_e32 v48, v30
	v_lshl_add_u64 v[30:31], v[32:33], 1, v[24:25]
	global_store_short v[30:31], v48, off
	s_or_b64 exec, exec, s[26:27]
	s_and_b64 s[30:31], s[2:3], s[18:19]
	s_and_saveexec_b64 s[26:27], s[30:31]
	s_cbranch_execz .LBB261_172
.LBB261_182:
	s_and_b64 vcc, exec, s[0:1]
	s_cbranch_vccnz .LBB261_184
; %bb.183:
	v_lshl_add_u64 v[30:31], v[34:35], 1, v[28:29]
	global_load_ushort v30, v[30:31], off
	s_waitcnt vmcnt(0)
	v_mul_f16_e32 v30, v52, v30
	v_cvt_f32_f16_e32 v30, v30
	s_branch .LBB261_185
.LBB261_184:
	v_mov_b32_e32 v30, 0
.LBB261_185:
	v_pk_add_f16 v31, v18, v26
	v_max_f16_e32 v48, v91, v91
	v_pk_add_f16 v50, v19, v27
	v_min_f16_e32 v48, v48, v31
	v_lshrrev_b32_e32 v49, 16, v91
	v_lshrrev_b32_e32 v31, 16, v31
	;; [unrolled: 1-line block ×3, first 2 shown]
	v_min3_f16 v31, v49, v31, v51
	v_min3_f16 v31, v48, v50, v31
	v_cvt_f32_f16_e32 v31, v31
	v_max_f32_e32 v30, v30, v30
	v_min_f32_e32 v30, v30, v31
	v_cvt_f16_f32_e32 v48, v30
	v_lshl_add_u64 v[30:31], v[34:35], 1, v[24:25]
	global_store_short v[30:31], v48, off
	s_or_b64 exec, exec, s[26:27]
	s_and_b64 s[30:31], s[6:7], s[18:19]
	s_and_saveexec_b64 s[26:27], s[30:31]
	s_cbranch_execz .LBB261_173
.LBB261_186:
	s_and_b64 vcc, exec, s[0:1]
	s_cbranch_vccnz .LBB261_188
; %bb.187:
	v_lshl_add_u64 v[30:31], v[36:37], 1, v[28:29]
	global_load_ushort v30, v[30:31], off
	s_waitcnt vmcnt(0)
	v_mul_f16_e32 v30, v52, v30
	v_cvt_f32_f16_e32 v30, v30
	s_branch .LBB261_189
.LBB261_188:
	v_mov_b32_e32 v30, 0
.LBB261_189:
	v_pk_add_f16 v31, v12, v26
	v_max_f16_e32 v48, v90, v90
	v_pk_add_f16 v50, v13, v27
	v_min_f16_e32 v48, v48, v31
	v_lshrrev_b32_e32 v49, 16, v90
	v_lshrrev_b32_e32 v31, 16, v31
	;; [unrolled: 1-line block ×3, first 2 shown]
	v_min3_f16 v31, v49, v31, v51
	v_min3_f16 v31, v48, v50, v31
	v_cvt_f32_f16_e32 v31, v31
	v_max_f32_e32 v30, v30, v30
	v_min_f32_e32 v30, v30, v31
	v_cvt_f16_f32_e32 v48, v30
	v_lshl_add_u64 v[30:31], v[36:37], 1, v[24:25]
	global_store_short v[30:31], v48, off
	s_or_b64 exec, exec, s[26:27]
	s_and_b64 s[30:31], s[8:9], s[18:19]
	s_and_saveexec_b64 s[26:27], s[30:31]
	s_cbranch_execz .LBB261_174
.LBB261_190:
	s_and_b64 vcc, exec, s[0:1]
	s_cbranch_vccnz .LBB261_192
; %bb.191:
	v_lshl_add_u64 v[30:31], v[38:39], 1, v[28:29]
	global_load_ushort v30, v[30:31], off
	s_waitcnt vmcnt(0)
	v_mul_f16_e32 v30, v52, v30
	v_cvt_f32_f16_e32 v30, v30
	s_branch .LBB261_193
.LBB261_192:
	v_mov_b32_e32 v30, 0
.LBB261_193:
	v_pk_add_f16 v31, v14, v26
	v_max_f16_e32 v48, v89, v89
	v_pk_add_f16 v50, v15, v27
	v_min_f16_e32 v48, v48, v31
	v_lshrrev_b32_e32 v49, 16, v89
	v_lshrrev_b32_e32 v31, 16, v31
	;; [unrolled: 1-line block ×3, first 2 shown]
	v_min3_f16 v31, v49, v31, v51
	v_min3_f16 v31, v48, v50, v31
	v_cvt_f32_f16_e32 v31, v31
	v_max_f32_e32 v30, v30, v30
	v_min_f32_e32 v30, v30, v31
	v_cvt_f16_f32_e32 v48, v30
	v_lshl_add_u64 v[30:31], v[38:39], 1, v[24:25]
	global_store_short v[30:31], v48, off
	s_or_b64 exec, exec, s[26:27]
	s_and_b64 s[30:31], s[10:11], s[18:19]
	s_and_saveexec_b64 s[26:27], s[30:31]
	s_cbranch_execz .LBB261_175
.LBB261_194:
	s_and_b64 vcc, exec, s[0:1]
	s_cbranch_vccnz .LBB261_196
; %bb.195:
	v_lshl_add_u64 v[30:31], v[40:41], 1, v[28:29]
	global_load_ushort v30, v[30:31], off
	s_waitcnt vmcnt(0)
	v_mul_f16_e32 v30, v52, v30
	v_cvt_f32_f16_e32 v30, v30
	s_branch .LBB261_197
.LBB261_196:
	v_mov_b32_e32 v30, 0
.LBB261_197:
	v_pk_add_f16 v31, v8, v26
	v_max_f16_e32 v48, v88, v88
	v_pk_add_f16 v50, v9, v27
	v_min_f16_e32 v48, v48, v31
	v_lshrrev_b32_e32 v49, 16, v88
	v_lshrrev_b32_e32 v31, 16, v31
	;; [unrolled: 1-line block ×3, first 2 shown]
	v_min3_f16 v31, v49, v31, v51
	v_min3_f16 v31, v48, v50, v31
	v_cvt_f32_f16_e32 v31, v31
	v_max_f32_e32 v30, v30, v30
	v_min_f32_e32 v30, v30, v31
	v_cvt_f16_f32_e32 v48, v30
	v_lshl_add_u64 v[30:31], v[40:41], 1, v[24:25]
	global_store_short v[30:31], v48, off
	s_or_b64 exec, exec, s[26:27]
	s_and_b64 s[30:31], s[12:13], s[18:19]
	s_and_saveexec_b64 s[26:27], s[30:31]
	s_cbranch_execz .LBB261_176
.LBB261_198:
	s_and_b64 vcc, exec, s[0:1]
	s_cbranch_vccnz .LBB261_200
; %bb.199:
	v_lshl_add_u64 v[30:31], v[42:43], 1, v[28:29]
	global_load_ushort v30, v[30:31], off
	s_waitcnt vmcnt(0)
	v_mul_f16_e32 v30, v52, v30
	v_cvt_f32_f16_e32 v30, v30
	s_branch .LBB261_201
.LBB261_200:
	v_mov_b32_e32 v30, 0
.LBB261_201:
	v_pk_add_f16 v31, v10, v26
	v_max_f16_e32 v48, v87, v87
	v_pk_add_f16 v50, v11, v27
	v_min_f16_e32 v48, v48, v31
	v_lshrrev_b32_e32 v49, 16, v87
	v_lshrrev_b32_e32 v31, 16, v31
	;; [unrolled: 1-line block ×3, first 2 shown]
	v_min3_f16 v31, v49, v31, v51
	v_min3_f16 v31, v48, v50, v31
	v_cvt_f32_f16_e32 v31, v31
	v_max_f32_e32 v30, v30, v30
	v_min_f32_e32 v30, v30, v31
	v_cvt_f16_f32_e32 v48, v30
	v_lshl_add_u64 v[30:31], v[42:43], 1, v[24:25]
	global_store_short v[30:31], v48, off
	s_or_b64 exec, exec, s[26:27]
	s_and_b64 s[30:31], s[14:15], s[18:19]
	s_and_saveexec_b64 s[26:27], s[30:31]
	s_cbranch_execz .LBB261_177
.LBB261_202:
	s_and_b64 vcc, exec, s[0:1]
	s_cbranch_vccnz .LBB261_204
; %bb.203:
	v_lshl_add_u64 v[30:31], v[44:45], 1, v[28:29]
	global_load_ushort v30, v[30:31], off
	s_waitcnt vmcnt(0)
	v_mul_f16_e32 v30, v52, v30
	v_cvt_f32_f16_e32 v30, v30
	s_branch .LBB261_205
.LBB261_204:
	v_mov_b32_e32 v30, 0
.LBB261_205:
	v_pk_add_f16 v31, v0, v26
	v_max_f16_e32 v48, v86, v86
	v_pk_add_f16 v50, v1, v27
	v_min_f16_e32 v48, v48, v31
	v_lshrrev_b32_e32 v49, 16, v86
	v_lshrrev_b32_e32 v31, 16, v31
	;; [unrolled: 1-line block ×3, first 2 shown]
	v_min3_f16 v31, v49, v31, v51
	v_min3_f16 v31, v48, v50, v31
	v_cvt_f32_f16_e32 v31, v31
	v_max_f32_e32 v30, v30, v30
	v_min_f32_e32 v30, v30, v31
	v_cvt_f16_f32_e32 v48, v30
	v_lshl_add_u64 v[30:31], v[44:45], 1, v[24:25]
	global_store_short v[30:31], v48, off
	s_or_b64 exec, exec, s[26:27]
	s_and_b64 s[26:27], s[16:17], s[18:19]
	s_and_saveexec_b64 s[18:19], s[26:27]
	s_cbranch_execz .LBB261_210
.LBB261_206:
	s_and_b64 vcc, exec, s[0:1]
	s_cbranch_vccnz .LBB261_208
; %bb.207:
	v_lshl_add_u64 v[28:29], v[46:47], 1, v[28:29]
	global_load_ushort v28, v[28:29], off
	s_waitcnt vmcnt(0)
	v_mul_f16_e32 v28, v52, v28
	v_cvt_f32_f16_e32 v28, v28
	s_branch .LBB261_209
.LBB261_208:
	v_mov_b32_e32 v28, 0
.LBB261_209:
	v_pk_add_f16 v26, v2, v26
	v_max_f16_e32 v29, v85, v85
	v_pk_add_f16 v27, v3, v27
	v_min_f16_e32 v29, v29, v26
	v_lshrrev_b32_e32 v30, 16, v85
	v_lshrrev_b32_e32 v26, 16, v26
	;; [unrolled: 1-line block ×3, first 2 shown]
	v_min3_f16 v26, v30, v26, v31
	v_min3_f16 v26, v29, v27, v26
	v_cvt_f32_f16_e32 v26, v26
	v_max_f32_e32 v27, v28, v28
	v_lshl_add_u64 v[24:25], v[46:47], 1, v[24:25]
	v_min_f32_e32 v26, v27, v26
	v_cvt_f16_f32_e32 v26, v26
	global_store_short v[24:25], v26, off
.LBB261_210:
	s_or_b64 exec, exec, s[18:19]
	v_add_u32_e32 v28, 32, v92
	v_mad_i64_i32 v[24:25], s[26:27], v28, s29, 0
	v_cmp_gt_i32_e64 s[18:19], s21, v28
	v_lshl_add_u64 v[26:27], v[24:25], 1, s[24:25]
	v_mad_i64_i32 v[24:25], s[26:27], v28, s28, 0
	v_lshl_add_u64 v[24:25], v[24:25], 1, s[22:23]
	s_and_b64 s[30:31], s[4:5], s[18:19]
	s_and_saveexec_b64 s[26:27], s[30:31]
	s_cbranch_execnz .LBB261_218
; %bb.211:
	s_or_b64 exec, exec, s[26:27]
	s_and_b64 s[30:31], s[2:3], s[18:19]
	s_and_saveexec_b64 s[26:27], s[30:31]
	s_cbranch_execnz .LBB261_222
.LBB261_212:
	s_or_b64 exec, exec, s[26:27]
	s_and_b64 s[30:31], s[6:7], s[18:19]
	s_and_saveexec_b64 s[26:27], s[30:31]
	s_cbranch_execnz .LBB261_226
.LBB261_213:
	s_or_b64 exec, exec, s[26:27]
	s_and_b64 s[30:31], s[8:9], s[18:19]
	s_and_saveexec_b64 s[26:27], s[30:31]
	s_cbranch_execnz .LBB261_230
.LBB261_214:
	s_or_b64 exec, exec, s[26:27]
	s_and_b64 s[30:31], s[10:11], s[18:19]
	s_and_saveexec_b64 s[26:27], s[30:31]
	s_cbranch_execnz .LBB261_234
.LBB261_215:
	s_or_b64 exec, exec, s[26:27]
	s_and_b64 s[30:31], s[12:13], s[18:19]
	s_and_saveexec_b64 s[26:27], s[30:31]
	s_cbranch_execnz .LBB261_238
.LBB261_216:
	s_or_b64 exec, exec, s[26:27]
	s_and_b64 s[30:31], s[14:15], s[18:19]
	s_and_saveexec_b64 s[26:27], s[30:31]
	s_cbranch_execnz .LBB261_242
.LBB261_217:
	s_or_b64 exec, exec, s[26:27]
	s_and_b64 s[26:27], s[16:17], s[18:19]
	s_and_saveexec_b64 s[18:19], s[26:27]
	s_cbranch_execnz .LBB261_246
	s_branch .LBB261_250
.LBB261_218:
	s_and_b64 vcc, exec, s[0:1]
	s_cbranch_vccnz .LBB261_220
; %bb.219:
	v_lshl_add_u64 v[28:29], v[32:33], 1, v[26:27]
	global_load_ushort v28, v[28:29], off
	s_waitcnt vmcnt(0)
	v_mul_f16_e32 v28, v52, v28
	v_cvt_f32_f16_e32 v28, v28
	s_branch .LBB261_221
.LBB261_220:
	v_mov_b32_e32 v28, 0
.LBB261_221:
	s_waitcnt lgkmcnt(1)
	v_pk_add_f16 v29, v16, v20
	v_max_f16_e32 v30, v84, v84
	v_pk_add_f16 v48, v17, v21
	v_min_f16_e32 v30, v30, v29
	v_lshrrev_b32_e32 v31, 16, v84
	v_lshrrev_b32_e32 v29, 16, v29
	;; [unrolled: 1-line block ×3, first 2 shown]
	v_min3_f16 v29, v31, v29, v49
	v_min3_f16 v29, v30, v48, v29
	v_cvt_f32_f16_e32 v29, v29
	v_max_f32_e32 v28, v28, v28
	v_min_f32_e32 v28, v28, v29
	v_cvt_f16_f32_e32 v30, v28
	v_lshl_add_u64 v[28:29], v[32:33], 1, v[24:25]
	global_store_short v[28:29], v30, off
	s_or_b64 exec, exec, s[26:27]
	s_and_b64 s[30:31], s[2:3], s[18:19]
	s_and_saveexec_b64 s[26:27], s[30:31]
	s_cbranch_execz .LBB261_212
.LBB261_222:
	s_and_b64 vcc, exec, s[0:1]
	s_cbranch_vccnz .LBB261_224
; %bb.223:
	v_lshl_add_u64 v[28:29], v[34:35], 1, v[26:27]
	global_load_ushort v28, v[28:29], off
	s_waitcnt vmcnt(0)
	v_mul_f16_e32 v28, v52, v28
	v_cvt_f32_f16_e32 v28, v28
	s_branch .LBB261_225
.LBB261_224:
	v_mov_b32_e32 v28, 0
.LBB261_225:
	s_waitcnt lgkmcnt(1)
	v_pk_add_f16 v29, v18, v20
	v_max_f16_e32 v30, v83, v83
	v_pk_add_f16 v48, v19, v21
	v_min_f16_e32 v30, v30, v29
	v_lshrrev_b32_e32 v31, 16, v83
	v_lshrrev_b32_e32 v29, 16, v29
	;; [unrolled: 1-line block ×3, first 2 shown]
	v_min3_f16 v29, v31, v29, v49
	v_min3_f16 v29, v30, v48, v29
	v_cvt_f32_f16_e32 v29, v29
	v_max_f32_e32 v28, v28, v28
	v_min_f32_e32 v28, v28, v29
	v_cvt_f16_f32_e32 v30, v28
	v_lshl_add_u64 v[28:29], v[34:35], 1, v[24:25]
	global_store_short v[28:29], v30, off
	s_or_b64 exec, exec, s[26:27]
	s_and_b64 s[30:31], s[6:7], s[18:19]
	s_and_saveexec_b64 s[26:27], s[30:31]
	s_cbranch_execz .LBB261_213
.LBB261_226:
	s_and_b64 vcc, exec, s[0:1]
	s_cbranch_vccnz .LBB261_228
; %bb.227:
	v_lshl_add_u64 v[28:29], v[36:37], 1, v[26:27]
	global_load_ushort v28, v[28:29], off
	s_waitcnt vmcnt(0)
	v_mul_f16_e32 v28, v52, v28
	v_cvt_f32_f16_e32 v28, v28
	s_branch .LBB261_229
.LBB261_228:
	v_mov_b32_e32 v28, 0
.LBB261_229:
	s_waitcnt lgkmcnt(1)
	v_pk_add_f16 v29, v12, v20
	v_max_f16_e32 v30, v82, v82
	v_pk_add_f16 v48, v13, v21
	v_min_f16_e32 v30, v30, v29
	v_lshrrev_b32_e32 v31, 16, v82
	v_lshrrev_b32_e32 v29, 16, v29
	;; [unrolled: 1-line block ×3, first 2 shown]
	v_min3_f16 v29, v31, v29, v49
	v_min3_f16 v29, v30, v48, v29
	v_cvt_f32_f16_e32 v29, v29
	v_max_f32_e32 v28, v28, v28
	v_min_f32_e32 v28, v28, v29
	v_cvt_f16_f32_e32 v30, v28
	v_lshl_add_u64 v[28:29], v[36:37], 1, v[24:25]
	global_store_short v[28:29], v30, off
	s_or_b64 exec, exec, s[26:27]
	s_and_b64 s[30:31], s[8:9], s[18:19]
	s_and_saveexec_b64 s[26:27], s[30:31]
	s_cbranch_execz .LBB261_214
.LBB261_230:
	s_and_b64 vcc, exec, s[0:1]
	s_cbranch_vccnz .LBB261_232
; %bb.231:
	v_lshl_add_u64 v[28:29], v[38:39], 1, v[26:27]
	global_load_ushort v28, v[28:29], off
	s_waitcnt vmcnt(0)
	v_mul_f16_e32 v28, v52, v28
	v_cvt_f32_f16_e32 v28, v28
	s_branch .LBB261_233
.LBB261_232:
	v_mov_b32_e32 v28, 0
.LBB261_233:
	s_waitcnt lgkmcnt(1)
	v_pk_add_f16 v29, v14, v20
	v_max_f16_e32 v30, v81, v81
	v_pk_add_f16 v48, v15, v21
	v_min_f16_e32 v30, v30, v29
	v_lshrrev_b32_e32 v31, 16, v81
	v_lshrrev_b32_e32 v29, 16, v29
	;; [unrolled: 1-line block ×3, first 2 shown]
	v_min3_f16 v29, v31, v29, v49
	v_min3_f16 v29, v30, v48, v29
	v_cvt_f32_f16_e32 v29, v29
	v_max_f32_e32 v28, v28, v28
	v_min_f32_e32 v28, v28, v29
	v_cvt_f16_f32_e32 v30, v28
	v_lshl_add_u64 v[28:29], v[38:39], 1, v[24:25]
	global_store_short v[28:29], v30, off
	s_or_b64 exec, exec, s[26:27]
	s_and_b64 s[30:31], s[10:11], s[18:19]
	s_and_saveexec_b64 s[26:27], s[30:31]
	s_cbranch_execz .LBB261_215
.LBB261_234:
	s_and_b64 vcc, exec, s[0:1]
	s_cbranch_vccnz .LBB261_236
; %bb.235:
	v_lshl_add_u64 v[28:29], v[40:41], 1, v[26:27]
	global_load_ushort v28, v[28:29], off
	s_waitcnt vmcnt(0)
	v_mul_f16_e32 v28, v52, v28
	v_cvt_f32_f16_e32 v28, v28
	s_branch .LBB261_237
.LBB261_236:
	v_mov_b32_e32 v28, 0
.LBB261_237:
	s_waitcnt lgkmcnt(1)
	v_pk_add_f16 v29, v8, v20
	v_max_f16_e32 v30, v80, v80
	v_pk_add_f16 v48, v9, v21
	v_min_f16_e32 v30, v30, v29
	v_lshrrev_b32_e32 v31, 16, v80
	v_lshrrev_b32_e32 v29, 16, v29
	v_lshrrev_b32_e32 v49, 16, v48
	v_min3_f16 v29, v31, v29, v49
	v_min3_f16 v29, v30, v48, v29
	v_cvt_f32_f16_e32 v29, v29
	v_max_f32_e32 v28, v28, v28
	v_min_f32_e32 v28, v28, v29
	v_cvt_f16_f32_e32 v30, v28
	v_lshl_add_u64 v[28:29], v[40:41], 1, v[24:25]
	global_store_short v[28:29], v30, off
	s_or_b64 exec, exec, s[26:27]
	s_and_b64 s[30:31], s[12:13], s[18:19]
	s_and_saveexec_b64 s[26:27], s[30:31]
	s_cbranch_execz .LBB261_216
.LBB261_238:
	s_and_b64 vcc, exec, s[0:1]
	s_cbranch_vccnz .LBB261_240
; %bb.239:
	v_lshl_add_u64 v[28:29], v[42:43], 1, v[26:27]
	global_load_ushort v28, v[28:29], off
	s_waitcnt vmcnt(0)
	v_mul_f16_e32 v28, v52, v28
	v_cvt_f32_f16_e32 v28, v28
	s_branch .LBB261_241
.LBB261_240:
	v_mov_b32_e32 v28, 0
.LBB261_241:
	s_waitcnt lgkmcnt(1)
	v_pk_add_f16 v29, v10, v20
	v_max_f16_e32 v30, v79, v79
	v_pk_add_f16 v48, v11, v21
	v_min_f16_e32 v30, v30, v29
	v_lshrrev_b32_e32 v31, 16, v79
	v_lshrrev_b32_e32 v29, 16, v29
	;; [unrolled: 1-line block ×3, first 2 shown]
	v_min3_f16 v29, v31, v29, v49
	v_min3_f16 v29, v30, v48, v29
	v_cvt_f32_f16_e32 v29, v29
	v_max_f32_e32 v28, v28, v28
	v_min_f32_e32 v28, v28, v29
	v_cvt_f16_f32_e32 v30, v28
	v_lshl_add_u64 v[28:29], v[42:43], 1, v[24:25]
	global_store_short v[28:29], v30, off
	s_or_b64 exec, exec, s[26:27]
	s_and_b64 s[30:31], s[14:15], s[18:19]
	s_and_saveexec_b64 s[26:27], s[30:31]
	s_cbranch_execz .LBB261_217
.LBB261_242:
	s_and_b64 vcc, exec, s[0:1]
	s_cbranch_vccnz .LBB261_244
; %bb.243:
	v_lshl_add_u64 v[28:29], v[44:45], 1, v[26:27]
	global_load_ushort v28, v[28:29], off
	s_waitcnt vmcnt(0)
	v_mul_f16_e32 v28, v52, v28
	v_cvt_f32_f16_e32 v28, v28
	s_branch .LBB261_245
.LBB261_244:
	v_mov_b32_e32 v28, 0
.LBB261_245:
	s_waitcnt lgkmcnt(1)
	v_pk_add_f16 v29, v0, v20
	v_max_f16_e32 v30, v78, v78
	v_pk_add_f16 v48, v1, v21
	v_min_f16_e32 v30, v30, v29
	v_lshrrev_b32_e32 v31, 16, v78
	v_lshrrev_b32_e32 v29, 16, v29
	;; [unrolled: 1-line block ×3, first 2 shown]
	v_min3_f16 v29, v31, v29, v49
	v_min3_f16 v29, v30, v48, v29
	v_cvt_f32_f16_e32 v29, v29
	v_max_f32_e32 v28, v28, v28
	v_min_f32_e32 v28, v28, v29
	v_cvt_f16_f32_e32 v30, v28
	v_lshl_add_u64 v[28:29], v[44:45], 1, v[24:25]
	global_store_short v[28:29], v30, off
	s_or_b64 exec, exec, s[26:27]
	s_and_b64 s[26:27], s[16:17], s[18:19]
	s_and_saveexec_b64 s[18:19], s[26:27]
	s_cbranch_execz .LBB261_250
.LBB261_246:
	s_and_b64 vcc, exec, s[0:1]
	s_cbranch_vccnz .LBB261_248
; %bb.247:
	v_lshl_add_u64 v[26:27], v[46:47], 1, v[26:27]
	global_load_ushort v26, v[26:27], off
	s_waitcnt vmcnt(0)
	v_mul_f16_e32 v26, v52, v26
	v_cvt_f32_f16_e32 v26, v26
	s_branch .LBB261_249
.LBB261_248:
	v_mov_b32_e32 v26, 0
.LBB261_249:
	s_waitcnt lgkmcnt(1)
	v_pk_add_f16 v20, v2, v20
	v_max_f16_e32 v27, v77, v77
	v_pk_add_f16 v21, v3, v21
	v_min_f16_e32 v27, v27, v20
	v_lshrrev_b32_e32 v28, 16, v77
	v_lshrrev_b32_e32 v20, 16, v20
	;; [unrolled: 1-line block ×3, first 2 shown]
	v_min3_f16 v20, v28, v20, v29
	v_min3_f16 v20, v27, v21, v20
	v_cvt_f32_f16_e32 v20, v20
	v_max_f32_e32 v21, v26, v26
	v_min_f32_e32 v20, v21, v20
	v_cvt_f16_f32_e32 v26, v20
	v_lshl_add_u64 v[20:21], v[46:47], 1, v[24:25]
	global_store_short v[20:21], v26, off
.LBB261_250:
	s_or_b64 exec, exec, s[18:19]
	v_add_u32_e32 v26, 40, v92
	s_waitcnt lgkmcnt(1)
	v_mad_i64_i32 v[20:21], s[26:27], v26, s29, 0
	v_cmp_gt_i32_e64 s[18:19], s21, v26
	v_lshl_add_u64 v[24:25], v[20:21], 1, s[24:25]
	v_mad_i64_i32 v[20:21], s[26:27], v26, s28, 0
	v_lshl_add_u64 v[20:21], v[20:21], 1, s[22:23]
	s_and_b64 s[30:31], s[4:5], s[18:19]
	s_and_saveexec_b64 s[26:27], s[30:31]
	s_cbranch_execnz .LBB261_258
; %bb.251:
	s_or_b64 exec, exec, s[26:27]
	s_and_b64 s[30:31], s[2:3], s[18:19]
	s_and_saveexec_b64 s[26:27], s[30:31]
	s_cbranch_execnz .LBB261_262
.LBB261_252:
	s_or_b64 exec, exec, s[26:27]
	s_and_b64 s[30:31], s[6:7], s[18:19]
	s_and_saveexec_b64 s[26:27], s[30:31]
	s_cbranch_execnz .LBB261_266
.LBB261_253:
	s_or_b64 exec, exec, s[26:27]
	s_and_b64 s[30:31], s[8:9], s[18:19]
	s_and_saveexec_b64 s[26:27], s[30:31]
	s_cbranch_execnz .LBB261_270
.LBB261_254:
	s_or_b64 exec, exec, s[26:27]
	s_and_b64 s[30:31], s[10:11], s[18:19]
	s_and_saveexec_b64 s[26:27], s[30:31]
	s_cbranch_execnz .LBB261_274
.LBB261_255:
	s_or_b64 exec, exec, s[26:27]
	s_and_b64 s[30:31], s[12:13], s[18:19]
	s_and_saveexec_b64 s[26:27], s[30:31]
	s_cbranch_execnz .LBB261_278
.LBB261_256:
	s_or_b64 exec, exec, s[26:27]
	s_and_b64 s[30:31], s[14:15], s[18:19]
	s_and_saveexec_b64 s[26:27], s[30:31]
	s_cbranch_execnz .LBB261_282
.LBB261_257:
	s_or_b64 exec, exec, s[26:27]
	s_and_b64 s[26:27], s[16:17], s[18:19]
	s_and_saveexec_b64 s[18:19], s[26:27]
	s_cbranch_execnz .LBB261_286
	s_branch .LBB261_290
.LBB261_258:
	s_and_b64 vcc, exec, s[0:1]
	s_cbranch_vccnz .LBB261_260
; %bb.259:
	v_lshl_add_u64 v[26:27], v[32:33], 1, v[24:25]
	global_load_ushort v26, v[26:27], off
	s_waitcnt vmcnt(0)
	v_mul_f16_e32 v26, v52, v26
	v_cvt_f32_f16_e32 v26, v26
	s_branch .LBB261_261
.LBB261_260:
	v_mov_b32_e32 v26, 0
.LBB261_261:
	v_pk_add_f16 v27, v16, v22
	v_max_f16_e32 v28, v76, v76
	v_pk_add_f16 v30, v17, v23
	v_min_f16_e32 v28, v28, v27
	v_lshrrev_b32_e32 v29, 16, v76
	v_lshrrev_b32_e32 v27, 16, v27
	;; [unrolled: 1-line block ×3, first 2 shown]
	v_min3_f16 v27, v29, v27, v31
	v_min3_f16 v27, v28, v30, v27
	v_cvt_f32_f16_e32 v27, v27
	v_max_f32_e32 v26, v26, v26
	v_min_f32_e32 v26, v26, v27
	v_cvt_f16_f32_e32 v28, v26
	v_lshl_add_u64 v[26:27], v[32:33], 1, v[20:21]
	global_store_short v[26:27], v28, off
	s_or_b64 exec, exec, s[26:27]
	s_and_b64 s[30:31], s[2:3], s[18:19]
	s_and_saveexec_b64 s[26:27], s[30:31]
	s_cbranch_execz .LBB261_252
.LBB261_262:
	s_and_b64 vcc, exec, s[0:1]
	s_cbranch_vccnz .LBB261_264
; %bb.263:
	v_lshl_add_u64 v[26:27], v[34:35], 1, v[24:25]
	global_load_ushort v26, v[26:27], off
	s_waitcnt vmcnt(0)
	v_mul_f16_e32 v26, v52, v26
	v_cvt_f32_f16_e32 v26, v26
	s_branch .LBB261_265
.LBB261_264:
	v_mov_b32_e32 v26, 0
.LBB261_265:
	v_pk_add_f16 v27, v18, v22
	v_max_f16_e32 v28, v75, v75
	v_pk_add_f16 v30, v19, v23
	v_min_f16_e32 v28, v28, v27
	v_lshrrev_b32_e32 v29, 16, v75
	v_lshrrev_b32_e32 v27, 16, v27
	v_lshrrev_b32_e32 v31, 16, v30
	v_min3_f16 v27, v29, v27, v31
	v_min3_f16 v27, v28, v30, v27
	v_cvt_f32_f16_e32 v27, v27
	v_max_f32_e32 v26, v26, v26
	v_min_f32_e32 v26, v26, v27
	v_cvt_f16_f32_e32 v28, v26
	v_lshl_add_u64 v[26:27], v[34:35], 1, v[20:21]
	global_store_short v[26:27], v28, off
	s_or_b64 exec, exec, s[26:27]
	s_and_b64 s[30:31], s[6:7], s[18:19]
	s_and_saveexec_b64 s[26:27], s[30:31]
	s_cbranch_execz .LBB261_253
.LBB261_266:
	s_and_b64 vcc, exec, s[0:1]
	s_cbranch_vccnz .LBB261_268
; %bb.267:
	v_lshl_add_u64 v[26:27], v[36:37], 1, v[24:25]
	global_load_ushort v26, v[26:27], off
	s_waitcnt vmcnt(0)
	v_mul_f16_e32 v26, v52, v26
	v_cvt_f32_f16_e32 v26, v26
	s_branch .LBB261_269
.LBB261_268:
	v_mov_b32_e32 v26, 0
.LBB261_269:
	v_pk_add_f16 v27, v12, v22
	v_max_f16_e32 v28, v74, v74
	v_pk_add_f16 v30, v13, v23
	v_min_f16_e32 v28, v28, v27
	v_lshrrev_b32_e32 v29, 16, v74
	v_lshrrev_b32_e32 v27, 16, v27
	;; [unrolled: 1-line block ×3, first 2 shown]
	v_min3_f16 v27, v29, v27, v31
	v_min3_f16 v27, v28, v30, v27
	v_cvt_f32_f16_e32 v27, v27
	v_max_f32_e32 v26, v26, v26
	v_min_f32_e32 v26, v26, v27
	v_cvt_f16_f32_e32 v28, v26
	v_lshl_add_u64 v[26:27], v[36:37], 1, v[20:21]
	global_store_short v[26:27], v28, off
	s_or_b64 exec, exec, s[26:27]
	s_and_b64 s[30:31], s[8:9], s[18:19]
	s_and_saveexec_b64 s[26:27], s[30:31]
	s_cbranch_execz .LBB261_254
.LBB261_270:
	s_and_b64 vcc, exec, s[0:1]
	s_cbranch_vccnz .LBB261_272
; %bb.271:
	v_lshl_add_u64 v[26:27], v[38:39], 1, v[24:25]
	global_load_ushort v26, v[26:27], off
	s_waitcnt vmcnt(0)
	v_mul_f16_e32 v26, v52, v26
	v_cvt_f32_f16_e32 v26, v26
	s_branch .LBB261_273
.LBB261_272:
	v_mov_b32_e32 v26, 0
.LBB261_273:
	v_pk_add_f16 v27, v14, v22
	v_max_f16_e32 v28, v73, v73
	v_pk_add_f16 v30, v15, v23
	v_min_f16_e32 v28, v28, v27
	v_lshrrev_b32_e32 v29, 16, v73
	v_lshrrev_b32_e32 v27, 16, v27
	;; [unrolled: 1-line block ×3, first 2 shown]
	v_min3_f16 v27, v29, v27, v31
	v_min3_f16 v27, v28, v30, v27
	v_cvt_f32_f16_e32 v27, v27
	v_max_f32_e32 v26, v26, v26
	v_min_f32_e32 v26, v26, v27
	v_cvt_f16_f32_e32 v28, v26
	v_lshl_add_u64 v[26:27], v[38:39], 1, v[20:21]
	global_store_short v[26:27], v28, off
	s_or_b64 exec, exec, s[26:27]
	s_and_b64 s[30:31], s[10:11], s[18:19]
	s_and_saveexec_b64 s[26:27], s[30:31]
	s_cbranch_execz .LBB261_255
.LBB261_274:
	s_and_b64 vcc, exec, s[0:1]
	s_cbranch_vccnz .LBB261_276
; %bb.275:
	v_lshl_add_u64 v[26:27], v[40:41], 1, v[24:25]
	global_load_ushort v26, v[26:27], off
	s_waitcnt vmcnt(0)
	v_mul_f16_e32 v26, v52, v26
	v_cvt_f32_f16_e32 v26, v26
	s_branch .LBB261_277
.LBB261_276:
	v_mov_b32_e32 v26, 0
.LBB261_277:
	v_pk_add_f16 v27, v8, v22
	v_max_f16_e32 v28, v72, v72
	v_pk_add_f16 v30, v9, v23
	v_min_f16_e32 v28, v28, v27
	v_lshrrev_b32_e32 v29, 16, v72
	v_lshrrev_b32_e32 v27, 16, v27
	;; [unrolled: 1-line block ×3, first 2 shown]
	v_min3_f16 v27, v29, v27, v31
	v_min3_f16 v27, v28, v30, v27
	v_cvt_f32_f16_e32 v27, v27
	v_max_f32_e32 v26, v26, v26
	v_min_f32_e32 v26, v26, v27
	v_cvt_f16_f32_e32 v28, v26
	v_lshl_add_u64 v[26:27], v[40:41], 1, v[20:21]
	global_store_short v[26:27], v28, off
	s_or_b64 exec, exec, s[26:27]
	s_and_b64 s[30:31], s[12:13], s[18:19]
	s_and_saveexec_b64 s[26:27], s[30:31]
	s_cbranch_execz .LBB261_256
.LBB261_278:
	s_and_b64 vcc, exec, s[0:1]
	s_cbranch_vccnz .LBB261_280
; %bb.279:
	v_lshl_add_u64 v[26:27], v[42:43], 1, v[24:25]
	global_load_ushort v26, v[26:27], off
	s_waitcnt vmcnt(0)
	v_mul_f16_e32 v26, v52, v26
	v_cvt_f32_f16_e32 v26, v26
	s_branch .LBB261_281
.LBB261_280:
	v_mov_b32_e32 v26, 0
.LBB261_281:
	v_pk_add_f16 v27, v10, v22
	v_max_f16_e32 v28, v71, v71
	v_pk_add_f16 v30, v11, v23
	v_min_f16_e32 v28, v28, v27
	v_lshrrev_b32_e32 v29, 16, v71
	v_lshrrev_b32_e32 v27, 16, v27
	;; [unrolled: 1-line block ×3, first 2 shown]
	v_min3_f16 v27, v29, v27, v31
	v_min3_f16 v27, v28, v30, v27
	v_cvt_f32_f16_e32 v27, v27
	v_max_f32_e32 v26, v26, v26
	v_min_f32_e32 v26, v26, v27
	v_cvt_f16_f32_e32 v28, v26
	v_lshl_add_u64 v[26:27], v[42:43], 1, v[20:21]
	global_store_short v[26:27], v28, off
	s_or_b64 exec, exec, s[26:27]
	s_and_b64 s[30:31], s[14:15], s[18:19]
	s_and_saveexec_b64 s[26:27], s[30:31]
	s_cbranch_execz .LBB261_257
.LBB261_282:
	s_and_b64 vcc, exec, s[0:1]
	s_cbranch_vccnz .LBB261_284
; %bb.283:
	v_lshl_add_u64 v[26:27], v[44:45], 1, v[24:25]
	global_load_ushort v26, v[26:27], off
	s_waitcnt vmcnt(0)
	v_mul_f16_e32 v26, v52, v26
	v_cvt_f32_f16_e32 v26, v26
	s_branch .LBB261_285
.LBB261_284:
	v_mov_b32_e32 v26, 0
.LBB261_285:
	v_pk_add_f16 v27, v0, v22
	v_max_f16_e32 v28, v70, v70
	v_pk_add_f16 v30, v1, v23
	v_min_f16_e32 v28, v28, v27
	v_lshrrev_b32_e32 v29, 16, v70
	v_lshrrev_b32_e32 v27, 16, v27
	;; [unrolled: 1-line block ×3, first 2 shown]
	v_min3_f16 v27, v29, v27, v31
	v_min3_f16 v27, v28, v30, v27
	v_cvt_f32_f16_e32 v27, v27
	v_max_f32_e32 v26, v26, v26
	v_min_f32_e32 v26, v26, v27
	v_cvt_f16_f32_e32 v28, v26
	v_lshl_add_u64 v[26:27], v[44:45], 1, v[20:21]
	global_store_short v[26:27], v28, off
	s_or_b64 exec, exec, s[26:27]
	s_and_b64 s[26:27], s[16:17], s[18:19]
	s_and_saveexec_b64 s[18:19], s[26:27]
	s_cbranch_execz .LBB261_290
.LBB261_286:
	s_and_b64 vcc, exec, s[0:1]
	s_cbranch_vccnz .LBB261_288
; %bb.287:
	v_lshl_add_u64 v[24:25], v[46:47], 1, v[24:25]
	global_load_ushort v24, v[24:25], off
	s_waitcnt vmcnt(0)
	v_mul_f16_e32 v24, v52, v24
	v_cvt_f32_f16_e32 v24, v24
	s_branch .LBB261_289
.LBB261_288:
	v_mov_b32_e32 v24, 0
.LBB261_289:
	v_pk_add_f16 v22, v2, v22
	v_max_f16_e32 v25, v69, v69
	v_pk_add_f16 v23, v3, v23
	v_min_f16_e32 v25, v25, v22
	v_lshrrev_b32_e32 v26, 16, v69
	v_lshrrev_b32_e32 v22, 16, v22
	;; [unrolled: 1-line block ×3, first 2 shown]
	v_min3_f16 v22, v26, v22, v27
	v_min3_f16 v22, v25, v23, v22
	v_cvt_f32_f16_e32 v22, v22
	v_max_f32_e32 v23, v24, v24
	v_lshl_add_u64 v[20:21], v[46:47], 1, v[20:21]
	v_min_f32_e32 v22, v23, v22
	v_cvt_f16_f32_e32 v22, v22
	global_store_short v[20:21], v22, off
.LBB261_290:
	s_or_b64 exec, exec, s[18:19]
	v_add_u32_e32 v24, 48, v92
	v_mad_i64_i32 v[20:21], s[26:27], v24, s29, 0
	v_cmp_gt_i32_e64 s[18:19], s21, v24
	v_lshl_add_u64 v[22:23], v[20:21], 1, s[24:25]
	v_mad_i64_i32 v[20:21], s[26:27], v24, s28, 0
	v_lshl_add_u64 v[20:21], v[20:21], 1, s[22:23]
	s_and_b64 s[30:31], s[4:5], s[18:19]
	s_and_saveexec_b64 s[26:27], s[30:31]
	s_cbranch_execnz .LBB261_298
; %bb.291:
	s_or_b64 exec, exec, s[26:27]
	s_and_b64 s[30:31], s[2:3], s[18:19]
	s_and_saveexec_b64 s[26:27], s[30:31]
	s_cbranch_execnz .LBB261_302
.LBB261_292:
	s_or_b64 exec, exec, s[26:27]
	s_and_b64 s[30:31], s[6:7], s[18:19]
	s_and_saveexec_b64 s[26:27], s[30:31]
	s_cbranch_execnz .LBB261_306
.LBB261_293:
	s_or_b64 exec, exec, s[26:27]
	s_and_b64 s[30:31], s[8:9], s[18:19]
	s_and_saveexec_b64 s[26:27], s[30:31]
	s_cbranch_execnz .LBB261_310
.LBB261_294:
	s_or_b64 exec, exec, s[26:27]
	s_and_b64 s[30:31], s[10:11], s[18:19]
	s_and_saveexec_b64 s[26:27], s[30:31]
	s_cbranch_execnz .LBB261_314
.LBB261_295:
	s_or_b64 exec, exec, s[26:27]
	s_and_b64 s[30:31], s[12:13], s[18:19]
	s_and_saveexec_b64 s[26:27], s[30:31]
	s_cbranch_execnz .LBB261_318
.LBB261_296:
	s_or_b64 exec, exec, s[26:27]
	s_and_b64 s[30:31], s[14:15], s[18:19]
	s_and_saveexec_b64 s[26:27], s[30:31]
	s_cbranch_execnz .LBB261_322
.LBB261_297:
	s_or_b64 exec, exec, s[26:27]
	s_and_b64 s[26:27], s[16:17], s[18:19]
	s_and_saveexec_b64 s[18:19], s[26:27]
	s_cbranch_execnz .LBB261_326
	s_branch .LBB261_330
.LBB261_298:
	s_and_b64 vcc, exec, s[0:1]
	s_cbranch_vccnz .LBB261_300
; %bb.299:
	v_lshl_add_u64 v[24:25], v[32:33], 1, v[22:23]
	global_load_ushort v24, v[24:25], off
	s_waitcnt vmcnt(0)
	v_mul_f16_e32 v24, v52, v24
	v_cvt_f32_f16_e32 v24, v24
	s_branch .LBB261_301
.LBB261_300:
	v_mov_b32_e32 v24, 0
.LBB261_301:
	s_waitcnt lgkmcnt(0)
	v_pk_add_f16 v25, v16, v4
	v_max_f16_e32 v26, v68, v68
	v_pk_add_f16 v28, v17, v5
	v_min_f16_e32 v26, v26, v25
	v_lshrrev_b32_e32 v27, 16, v68
	v_lshrrev_b32_e32 v25, 16, v25
	;; [unrolled: 1-line block ×3, first 2 shown]
	v_min3_f16 v25, v27, v25, v29
	v_min3_f16 v25, v26, v28, v25
	v_cvt_f32_f16_e32 v25, v25
	v_max_f32_e32 v24, v24, v24
	v_min_f32_e32 v24, v24, v25
	v_cvt_f16_f32_e32 v26, v24
	v_lshl_add_u64 v[24:25], v[32:33], 1, v[20:21]
	global_store_short v[24:25], v26, off
	s_or_b64 exec, exec, s[26:27]
	s_and_b64 s[30:31], s[2:3], s[18:19]
	s_and_saveexec_b64 s[26:27], s[30:31]
	s_cbranch_execz .LBB261_292
.LBB261_302:
	s_and_b64 vcc, exec, s[0:1]
	s_cbranch_vccnz .LBB261_304
; %bb.303:
	v_lshl_add_u64 v[24:25], v[34:35], 1, v[22:23]
	global_load_ushort v24, v[24:25], off
	s_waitcnt vmcnt(0)
	v_mul_f16_e32 v24, v52, v24
	v_cvt_f32_f16_e32 v24, v24
	s_branch .LBB261_305
.LBB261_304:
	v_mov_b32_e32 v24, 0
.LBB261_305:
	s_waitcnt lgkmcnt(0)
	v_pk_add_f16 v25, v18, v4
	v_max_f16_e32 v26, v67, v67
	v_pk_add_f16 v28, v19, v5
	v_min_f16_e32 v26, v26, v25
	v_lshrrev_b32_e32 v27, 16, v67
	v_lshrrev_b32_e32 v25, 16, v25
	;; [unrolled: 1-line block ×3, first 2 shown]
	v_min3_f16 v25, v27, v25, v29
	v_min3_f16 v25, v26, v28, v25
	v_cvt_f32_f16_e32 v25, v25
	v_max_f32_e32 v24, v24, v24
	v_min_f32_e32 v24, v24, v25
	v_cvt_f16_f32_e32 v26, v24
	v_lshl_add_u64 v[24:25], v[34:35], 1, v[20:21]
	global_store_short v[24:25], v26, off
	s_or_b64 exec, exec, s[26:27]
	s_and_b64 s[30:31], s[6:7], s[18:19]
	s_and_saveexec_b64 s[26:27], s[30:31]
	s_cbranch_execz .LBB261_293
.LBB261_306:
	s_and_b64 vcc, exec, s[0:1]
	s_cbranch_vccnz .LBB261_308
; %bb.307:
	v_lshl_add_u64 v[24:25], v[36:37], 1, v[22:23]
	global_load_ushort v24, v[24:25], off
	s_waitcnt vmcnt(0)
	v_mul_f16_e32 v24, v52, v24
	v_cvt_f32_f16_e32 v24, v24
	s_branch .LBB261_309
.LBB261_308:
	v_mov_b32_e32 v24, 0
.LBB261_309:
	s_waitcnt lgkmcnt(0)
	v_pk_add_f16 v25, v12, v4
	v_max_f16_e32 v26, v66, v66
	v_pk_add_f16 v28, v13, v5
	v_min_f16_e32 v26, v26, v25
	v_lshrrev_b32_e32 v27, 16, v66
	v_lshrrev_b32_e32 v25, 16, v25
	v_lshrrev_b32_e32 v29, 16, v28
	v_min3_f16 v25, v27, v25, v29
	v_min3_f16 v25, v26, v28, v25
	v_cvt_f32_f16_e32 v25, v25
	v_max_f32_e32 v24, v24, v24
	v_min_f32_e32 v24, v24, v25
	v_cvt_f16_f32_e32 v26, v24
	v_lshl_add_u64 v[24:25], v[36:37], 1, v[20:21]
	global_store_short v[24:25], v26, off
	s_or_b64 exec, exec, s[26:27]
	s_and_b64 s[30:31], s[8:9], s[18:19]
	s_and_saveexec_b64 s[26:27], s[30:31]
	s_cbranch_execz .LBB261_294
.LBB261_310:
	s_and_b64 vcc, exec, s[0:1]
	s_cbranch_vccnz .LBB261_312
; %bb.311:
	v_lshl_add_u64 v[24:25], v[38:39], 1, v[22:23]
	global_load_ushort v24, v[24:25], off
	s_waitcnt vmcnt(0)
	v_mul_f16_e32 v24, v52, v24
	v_cvt_f32_f16_e32 v24, v24
	s_branch .LBB261_313
.LBB261_312:
	v_mov_b32_e32 v24, 0
.LBB261_313:
	s_waitcnt lgkmcnt(0)
	v_pk_add_f16 v25, v14, v4
	v_max_f16_e32 v26, v65, v65
	v_pk_add_f16 v28, v15, v5
	v_min_f16_e32 v26, v26, v25
	v_lshrrev_b32_e32 v27, 16, v65
	v_lshrrev_b32_e32 v25, 16, v25
	;; [unrolled: 1-line block ×3, first 2 shown]
	v_min3_f16 v25, v27, v25, v29
	v_min3_f16 v25, v26, v28, v25
	v_cvt_f32_f16_e32 v25, v25
	v_max_f32_e32 v24, v24, v24
	v_min_f32_e32 v24, v24, v25
	v_cvt_f16_f32_e32 v26, v24
	v_lshl_add_u64 v[24:25], v[38:39], 1, v[20:21]
	global_store_short v[24:25], v26, off
	s_or_b64 exec, exec, s[26:27]
	s_and_b64 s[30:31], s[10:11], s[18:19]
	s_and_saveexec_b64 s[26:27], s[30:31]
	s_cbranch_execz .LBB261_295
.LBB261_314:
	s_and_b64 vcc, exec, s[0:1]
	s_cbranch_vccnz .LBB261_316
; %bb.315:
	v_lshl_add_u64 v[24:25], v[40:41], 1, v[22:23]
	global_load_ushort v24, v[24:25], off
	s_waitcnt vmcnt(0)
	v_mul_f16_e32 v24, v52, v24
	v_cvt_f32_f16_e32 v24, v24
	s_branch .LBB261_317
.LBB261_316:
	v_mov_b32_e32 v24, 0
.LBB261_317:
	s_waitcnt lgkmcnt(0)
	v_pk_add_f16 v25, v8, v4
	v_max_f16_e32 v26, v64, v64
	v_pk_add_f16 v28, v9, v5
	v_min_f16_e32 v26, v26, v25
	v_lshrrev_b32_e32 v27, 16, v64
	v_lshrrev_b32_e32 v25, 16, v25
	;; [unrolled: 1-line block ×3, first 2 shown]
	v_min3_f16 v25, v27, v25, v29
	v_min3_f16 v25, v26, v28, v25
	v_cvt_f32_f16_e32 v25, v25
	v_max_f32_e32 v24, v24, v24
	v_min_f32_e32 v24, v24, v25
	v_cvt_f16_f32_e32 v26, v24
	v_lshl_add_u64 v[24:25], v[40:41], 1, v[20:21]
	global_store_short v[24:25], v26, off
	s_or_b64 exec, exec, s[26:27]
	s_and_b64 s[30:31], s[12:13], s[18:19]
	s_and_saveexec_b64 s[26:27], s[30:31]
	s_cbranch_execz .LBB261_296
.LBB261_318:
	s_and_b64 vcc, exec, s[0:1]
	s_cbranch_vccnz .LBB261_320
; %bb.319:
	v_lshl_add_u64 v[24:25], v[42:43], 1, v[22:23]
	global_load_ushort v24, v[24:25], off
	s_waitcnt vmcnt(0)
	v_mul_f16_e32 v24, v52, v24
	v_cvt_f32_f16_e32 v24, v24
	s_branch .LBB261_321
.LBB261_320:
	v_mov_b32_e32 v24, 0
.LBB261_321:
	s_waitcnt lgkmcnt(0)
	v_pk_add_f16 v25, v10, v4
	v_max_f16_e32 v26, v63, v63
	v_pk_add_f16 v28, v11, v5
	v_min_f16_e32 v26, v26, v25
	v_lshrrev_b32_e32 v27, 16, v63
	v_lshrrev_b32_e32 v25, 16, v25
	;; [unrolled: 1-line block ×3, first 2 shown]
	v_min3_f16 v25, v27, v25, v29
	v_min3_f16 v25, v26, v28, v25
	v_cvt_f32_f16_e32 v25, v25
	v_max_f32_e32 v24, v24, v24
	v_min_f32_e32 v24, v24, v25
	v_cvt_f16_f32_e32 v26, v24
	v_lshl_add_u64 v[24:25], v[42:43], 1, v[20:21]
	global_store_short v[24:25], v26, off
	s_or_b64 exec, exec, s[26:27]
	s_and_b64 s[30:31], s[14:15], s[18:19]
	s_and_saveexec_b64 s[26:27], s[30:31]
	s_cbranch_execz .LBB261_297
.LBB261_322:
	s_and_b64 vcc, exec, s[0:1]
	s_cbranch_vccnz .LBB261_324
; %bb.323:
	v_lshl_add_u64 v[24:25], v[44:45], 1, v[22:23]
	global_load_ushort v24, v[24:25], off
	s_waitcnt vmcnt(0)
	v_mul_f16_e32 v24, v52, v24
	v_cvt_f32_f16_e32 v24, v24
	s_branch .LBB261_325
.LBB261_324:
	v_mov_b32_e32 v24, 0
.LBB261_325:
	s_waitcnt lgkmcnt(0)
	v_pk_add_f16 v25, v0, v4
	v_max_f16_e32 v26, v62, v62
	v_pk_add_f16 v28, v1, v5
	v_min_f16_e32 v26, v26, v25
	v_lshrrev_b32_e32 v27, 16, v62
	v_lshrrev_b32_e32 v25, 16, v25
	;; [unrolled: 1-line block ×3, first 2 shown]
	v_min3_f16 v25, v27, v25, v29
	v_min3_f16 v25, v26, v28, v25
	v_cvt_f32_f16_e32 v25, v25
	v_max_f32_e32 v24, v24, v24
	v_min_f32_e32 v24, v24, v25
	v_cvt_f16_f32_e32 v26, v24
	v_lshl_add_u64 v[24:25], v[44:45], 1, v[20:21]
	global_store_short v[24:25], v26, off
	s_or_b64 exec, exec, s[26:27]
	s_and_b64 s[26:27], s[16:17], s[18:19]
	s_and_saveexec_b64 s[18:19], s[26:27]
	s_cbranch_execz .LBB261_330
.LBB261_326:
	s_and_b64 vcc, exec, s[0:1]
	s_cbranch_vccnz .LBB261_328
; %bb.327:
	v_lshl_add_u64 v[22:23], v[46:47], 1, v[22:23]
	global_load_ushort v22, v[22:23], off
	s_waitcnt vmcnt(0)
	v_mul_f16_e32 v22, v52, v22
	v_cvt_f32_f16_e32 v22, v22
	s_branch .LBB261_329
.LBB261_328:
	v_mov_b32_e32 v22, 0
.LBB261_329:
	s_waitcnt lgkmcnt(0)
	v_pk_add_f16 v4, v2, v4
	v_max_f16_e32 v23, v61, v61
	v_pk_add_f16 v5, v3, v5
	v_min_f16_e32 v23, v23, v4
	v_lshrrev_b32_e32 v24, 16, v61
	v_lshrrev_b32_e32 v4, 16, v4
	v_lshrrev_b32_e32 v25, 16, v5
	v_min3_f16 v4, v24, v4, v25
	v_min3_f16 v4, v23, v5, v4
	v_cvt_f32_f16_e32 v4, v4
	v_max_f32_e32 v5, v22, v22
	v_min_f32_e32 v4, v5, v4
	v_cvt_f16_f32_e32 v22, v4
	v_lshl_add_u64 v[4:5], v[46:47], 1, v[20:21]
	global_store_short v[4:5], v22, off
.LBB261_330:
	s_or_b64 exec, exec, s[18:19]
	v_add_u32_e32 v22, 56, v92
	v_cmp_gt_i32_e64 s[18:19], s21, v22
	s_waitcnt lgkmcnt(0)
	v_mad_i64_i32 v[4:5], s[20:21], v22, s29, 0
	v_lshl_add_u64 v[20:21], v[4:5], 1, s[24:25]
	v_mad_i64_i32 v[4:5], s[20:21], v22, s28, 0
	v_lshl_add_u64 v[4:5], v[4:5], 1, s[22:23]
	s_and_b64 s[20:21], s[4:5], s[18:19]
	s_and_saveexec_b64 s[4:5], s[20:21]
	s_cbranch_execnz .LBB261_339
; %bb.331:
	s_or_b64 exec, exec, s[4:5]
	s_and_b64 s[4:5], s[2:3], s[18:19]
	s_and_saveexec_b64 s[2:3], s[4:5]
	s_cbranch_execnz .LBB261_343
.LBB261_332:
	s_or_b64 exec, exec, s[2:3]
	s_and_b64 s[4:5], s[6:7], s[18:19]
	s_and_saveexec_b64 s[2:3], s[4:5]
	s_cbranch_execnz .LBB261_347
.LBB261_333:
	s_or_b64 exec, exec, s[2:3]
	s_and_b64 s[4:5], s[8:9], s[18:19]
	s_and_saveexec_b64 s[2:3], s[4:5]
	s_cbranch_execnz .LBB261_351
.LBB261_334:
	s_or_b64 exec, exec, s[2:3]
	s_and_b64 s[4:5], s[10:11], s[18:19]
	s_and_saveexec_b64 s[2:3], s[4:5]
	s_cbranch_execnz .LBB261_355
.LBB261_335:
	s_or_b64 exec, exec, s[2:3]
	s_and_b64 s[4:5], s[12:13], s[18:19]
	s_and_saveexec_b64 s[2:3], s[4:5]
	s_cbranch_execnz .LBB261_359
.LBB261_336:
	s_or_b64 exec, exec, s[2:3]
	s_and_b64 s[4:5], s[14:15], s[18:19]
	s_and_saveexec_b64 s[2:3], s[4:5]
	s_cbranch_execnz .LBB261_363
.LBB261_337:
	s_or_b64 exec, exec, s[2:3]
	s_and_b64 s[2:3], s[16:17], s[18:19]
	s_and_saveexec_b64 s[4:5], s[2:3]
	s_cbranch_execnz .LBB261_367
.LBB261_338:
	s_endpgm
.LBB261_339:
	s_and_b64 vcc, exec, s[0:1]
	s_cbranch_vccnz .LBB261_341
; %bb.340:
	v_lshl_add_u64 v[22:23], v[32:33], 1, v[20:21]
	global_load_ushort v22, v[22:23], off
	s_waitcnt vmcnt(0)
	v_mul_f16_e32 v22, v52, v22
	v_cvt_f32_f16_e32 v22, v22
	s_branch .LBB261_342
.LBB261_341:
	v_mov_b32_e32 v22, 0
.LBB261_342:
	v_pk_add_f16 v16, v16, v6
	v_max_f16_e32 v23, v60, v60
	v_pk_add_f16 v17, v17, v7
	v_min_f16_e32 v23, v23, v16
	v_lshrrev_b32_e32 v24, 16, v60
	v_lshrrev_b32_e32 v16, 16, v16
	;; [unrolled: 1-line block ×3, first 2 shown]
	v_min3_f16 v16, v24, v16, v25
	v_min3_f16 v16, v23, v17, v16
	v_cvt_f32_f16_e32 v16, v16
	v_max_f32_e32 v17, v22, v22
	v_min_f32_e32 v16, v17, v16
	v_cvt_f16_f32_e32 v22, v16
	v_lshl_add_u64 v[16:17], v[32:33], 1, v[4:5]
	global_store_short v[16:17], v22, off
	s_or_b64 exec, exec, s[4:5]
	s_and_b64 s[4:5], s[2:3], s[18:19]
	s_and_saveexec_b64 s[2:3], s[4:5]
	s_cbranch_execz .LBB261_332
.LBB261_343:
	s_and_b64 vcc, exec, s[0:1]
	s_cbranch_vccnz .LBB261_345
; %bb.344:
	v_lshl_add_u64 v[16:17], v[34:35], 1, v[20:21]
	global_load_ushort v16, v[16:17], off
	s_waitcnt vmcnt(0)
	v_mul_f16_e32 v16, v52, v16
	v_cvt_f32_f16_e32 v16, v16
	s_branch .LBB261_346
.LBB261_345:
	v_mov_b32_e32 v16, 0
.LBB261_346:
	v_pk_add_f16 v17, v18, v6
	v_max_f16_e32 v18, v59, v59
	v_pk_add_f16 v19, v19, v7
	v_min_f16_e32 v18, v18, v17
	v_lshrrev_b32_e32 v22, 16, v59
	v_lshrrev_b32_e32 v17, 16, v17
	;; [unrolled: 1-line block ×3, first 2 shown]
	v_min3_f16 v17, v22, v17, v23
	v_min3_f16 v17, v18, v19, v17
	v_cvt_f32_f16_e32 v17, v17
	v_max_f32_e32 v16, v16, v16
	v_min_f32_e32 v16, v16, v17
	v_cvt_f16_f32_e32 v18, v16
	v_lshl_add_u64 v[16:17], v[34:35], 1, v[4:5]
	global_store_short v[16:17], v18, off
	s_or_b64 exec, exec, s[2:3]
	s_and_b64 s[4:5], s[6:7], s[18:19]
	s_and_saveexec_b64 s[2:3], s[4:5]
	s_cbranch_execz .LBB261_333
.LBB261_347:
	s_and_b64 vcc, exec, s[0:1]
	s_cbranch_vccnz .LBB261_349
; %bb.348:
	v_lshl_add_u64 v[16:17], v[36:37], 1, v[20:21]
	global_load_ushort v16, v[16:17], off
	s_waitcnt vmcnt(0)
	v_mul_f16_e32 v16, v52, v16
	v_cvt_f32_f16_e32 v16, v16
	s_branch .LBB261_350
.LBB261_349:
	v_mov_b32_e32 v16, 0
.LBB261_350:
	v_pk_add_f16 v12, v12, v6
	v_max_f16_e32 v17, v58, v58
	v_pk_add_f16 v13, v13, v7
	v_min_f16_e32 v17, v17, v12
	v_lshrrev_b32_e32 v18, 16, v58
	v_lshrrev_b32_e32 v12, 16, v12
	;; [unrolled: 1-line block ×3, first 2 shown]
	v_min3_f16 v12, v18, v12, v19
	v_min3_f16 v12, v17, v13, v12
	v_cvt_f32_f16_e32 v12, v12
	v_max_f32_e32 v13, v16, v16
	v_min_f32_e32 v12, v13, v12
	v_cvt_f16_f32_e32 v16, v12
	v_lshl_add_u64 v[12:13], v[36:37], 1, v[4:5]
	global_store_short v[12:13], v16, off
	s_or_b64 exec, exec, s[2:3]
	s_and_b64 s[4:5], s[8:9], s[18:19]
	s_and_saveexec_b64 s[2:3], s[4:5]
	s_cbranch_execz .LBB261_334
.LBB261_351:
	s_and_b64 vcc, exec, s[0:1]
	s_cbranch_vccnz .LBB261_353
; %bb.352:
	v_lshl_add_u64 v[12:13], v[38:39], 1, v[20:21]
	global_load_ushort v12, v[12:13], off
	s_waitcnt vmcnt(0)
	v_mul_f16_e32 v12, v52, v12
	v_cvt_f32_f16_e32 v12, v12
	s_branch .LBB261_354
.LBB261_353:
	v_mov_b32_e32 v12, 0
.LBB261_354:
	v_pk_add_f16 v13, v14, v6
	v_max_f16_e32 v14, v57, v57
	v_pk_add_f16 v15, v15, v7
	v_min_f16_e32 v14, v14, v13
	v_lshrrev_b32_e32 v16, 16, v57
	v_lshrrev_b32_e32 v13, 16, v13
	;; [unrolled: 1-line block ×3, first 2 shown]
	v_min3_f16 v13, v16, v13, v17
	v_min3_f16 v13, v14, v15, v13
	v_cvt_f32_f16_e32 v13, v13
	v_max_f32_e32 v12, v12, v12
	v_min_f32_e32 v12, v12, v13
	v_cvt_f16_f32_e32 v14, v12
	v_lshl_add_u64 v[12:13], v[38:39], 1, v[4:5]
	global_store_short v[12:13], v14, off
	s_or_b64 exec, exec, s[2:3]
	s_and_b64 s[4:5], s[10:11], s[18:19]
	s_and_saveexec_b64 s[2:3], s[4:5]
	s_cbranch_execz .LBB261_335
.LBB261_355:
	s_and_b64 vcc, exec, s[0:1]
	s_cbranch_vccnz .LBB261_357
; %bb.356:
	v_lshl_add_u64 v[12:13], v[40:41], 1, v[20:21]
	global_load_ushort v12, v[12:13], off
	s_waitcnt vmcnt(0)
	v_mul_f16_e32 v12, v52, v12
	v_cvt_f32_f16_e32 v12, v12
	s_branch .LBB261_358
.LBB261_357:
	v_mov_b32_e32 v12, 0
.LBB261_358:
	v_pk_add_f16 v8, v8, v6
	v_max_f16_e32 v13, v55, v55
	v_pk_add_f16 v9, v9, v7
	v_min_f16_e32 v13, v13, v8
	v_lshrrev_b32_e32 v14, 16, v55
	v_lshrrev_b32_e32 v8, 16, v8
	;; [unrolled: 1-line block ×3, first 2 shown]
	v_min3_f16 v8, v14, v8, v15
	v_min3_f16 v8, v13, v9, v8
	v_cvt_f32_f16_e32 v8, v8
	v_max_f32_e32 v9, v12, v12
	v_min_f32_e32 v8, v9, v8
	v_cvt_f16_f32_e32 v12, v8
	v_lshl_add_u64 v[8:9], v[40:41], 1, v[4:5]
	global_store_short v[8:9], v12, off
	s_or_b64 exec, exec, s[2:3]
	s_and_b64 s[4:5], s[12:13], s[18:19]
	s_and_saveexec_b64 s[2:3], s[4:5]
	s_cbranch_execz .LBB261_336
.LBB261_359:
	s_and_b64 vcc, exec, s[0:1]
	s_cbranch_vccnz .LBB261_361
; %bb.360:
	v_lshl_add_u64 v[8:9], v[42:43], 1, v[20:21]
	global_load_ushort v8, v[8:9], off
	s_waitcnt vmcnt(0)
	v_mul_f16_e32 v8, v52, v8
	v_cvt_f32_f16_e32 v8, v8
	s_branch .LBB261_362
.LBB261_361:
	v_mov_b32_e32 v8, 0
.LBB261_362:
	v_pk_add_f16 v9, v10, v6
	v_max_f16_e32 v10, v54, v54
	v_pk_add_f16 v11, v11, v7
	v_min_f16_e32 v10, v10, v9
	v_lshrrev_b32_e32 v12, 16, v54
	v_lshrrev_b32_e32 v9, 16, v9
	v_lshrrev_b32_e32 v13, 16, v11
	v_min3_f16 v9, v12, v9, v13
	v_min3_f16 v9, v10, v11, v9
	v_cvt_f32_f16_e32 v9, v9
	v_max_f32_e32 v8, v8, v8
	v_min_f32_e32 v8, v8, v9
	v_cvt_f16_f32_e32 v10, v8
	v_lshl_add_u64 v[8:9], v[42:43], 1, v[4:5]
	global_store_short v[8:9], v10, off
	s_or_b64 exec, exec, s[2:3]
	s_and_b64 s[4:5], s[14:15], s[18:19]
	s_and_saveexec_b64 s[2:3], s[4:5]
	s_cbranch_execz .LBB261_337
.LBB261_363:
	s_and_b64 vcc, exec, s[0:1]
	s_cbranch_vccnz .LBB261_365
; %bb.364:
	v_lshl_add_u64 v[8:9], v[44:45], 1, v[20:21]
	global_load_ushort v8, v[8:9], off
	s_waitcnt vmcnt(0)
	v_mul_f16_e32 v8, v52, v8
	v_cvt_f32_f16_e32 v8, v8
	s_branch .LBB261_366
.LBB261_365:
	v_mov_b32_e32 v8, 0
.LBB261_366:
	v_pk_add_f16 v0, v0, v6
	v_max_f16_e32 v9, v53, v53
	v_pk_add_f16 v1, v1, v7
	v_min_f16_e32 v9, v9, v0
	v_lshrrev_b32_e32 v10, 16, v53
	v_lshrrev_b32_e32 v0, 16, v0
	v_lshrrev_b32_e32 v11, 16, v1
	v_min3_f16 v0, v10, v0, v11
	v_min3_f16 v0, v9, v1, v0
	v_cvt_f32_f16_e32 v0, v0
	v_max_f32_e32 v1, v8, v8
	v_min_f32_e32 v0, v1, v0
	v_cvt_f16_f32_e32 v8, v0
	v_lshl_add_u64 v[0:1], v[44:45], 1, v[4:5]
	global_store_short v[0:1], v8, off
	s_or_b64 exec, exec, s[2:3]
	s_and_b64 s[2:3], s[16:17], s[18:19]
	s_and_saveexec_b64 s[4:5], s[2:3]
	s_cbranch_execz .LBB261_338
.LBB261_367:
	s_and_b64 vcc, exec, s[0:1]
	s_cbranch_vccnz .LBB261_369
; %bb.368:
	v_lshl_add_u64 v[0:1], v[46:47], 1, v[20:21]
	global_load_ushort v0, v[0:1], off
	s_waitcnt vmcnt(0)
	v_mul_f16_e32 v0, v52, v0
	v_cvt_f32_f16_e32 v0, v0
	s_branch .LBB261_370
.LBB261_369:
	v_mov_b32_e32 v0, 0
.LBB261_370:
	v_pk_add_f16 v1, v2, v6
	v_max_f16_e32 v2, v56, v56
	v_pk_add_f16 v3, v3, v7
	v_min_f16_e32 v2, v2, v1
	v_lshrrev_b32_e32 v6, 16, v56
	v_lshrrev_b32_e32 v1, 16, v1
	;; [unrolled: 1-line block ×3, first 2 shown]
	v_min3_f16 v1, v6, v1, v7
	v_min3_f16 v1, v2, v3, v1
	v_cvt_f32_f16_e32 v1, v1
	v_max_f32_e32 v0, v0, v0
	v_min_f32_e32 v0, v0, v1
	v_cvt_f16_f32_e32 v2, v0
	v_lshl_add_u64 v[0:1], v[46:47], 1, v[4:5]
	global_store_short v[0:1], v2, off
	s_endpgm
	.section	.rodata,"a",@progbits
	.p2align	6, 0x0
	.amdhsa_kernel _ZN12_GLOBAL__N_120geam_min_plus_kernelIDF16_Dv2_DF16_S1_Li32ELi8ELi256ELi64ELi4ELi64ELi4ELi4ELi64ELc78ELc78ELb0ELb1ELb1EPKDF16_S2_DF16_EEviiiT16_PT17_ilS6_ilS4_S6_ilPT18_ili26rocblas_geam_ex_operation_
		.amdhsa_group_segment_fixed_size 5120
		.amdhsa_private_segment_fixed_size 0
		.amdhsa_kernarg_size 136
		.amdhsa_user_sgpr_count 2
		.amdhsa_user_sgpr_dispatch_ptr 0
		.amdhsa_user_sgpr_queue_ptr 0
		.amdhsa_user_sgpr_kernarg_segment_ptr 1
		.amdhsa_user_sgpr_dispatch_id 0
		.amdhsa_user_sgpr_kernarg_preload_length 0
		.amdhsa_user_sgpr_kernarg_preload_offset 0
		.amdhsa_user_sgpr_private_segment_size 0
		.amdhsa_uses_dynamic_stack 0
		.amdhsa_enable_private_segment 0
		.amdhsa_system_sgpr_workgroup_id_x 1
		.amdhsa_system_sgpr_workgroup_id_y 0
		.amdhsa_system_sgpr_workgroup_id_z 1
		.amdhsa_system_sgpr_workgroup_info 0
		.amdhsa_system_vgpr_workitem_id 1
		.amdhsa_next_free_vgpr 179
		.amdhsa_next_free_sgpr 40
		.amdhsa_accum_offset 180
		.amdhsa_reserve_vcc 1
		.amdhsa_float_round_mode_32 0
		.amdhsa_float_round_mode_16_64 0
		.amdhsa_float_denorm_mode_32 3
		.amdhsa_float_denorm_mode_16_64 3
		.amdhsa_dx10_clamp 1
		.amdhsa_ieee_mode 1
		.amdhsa_fp16_overflow 0
		.amdhsa_tg_split 0
		.amdhsa_exception_fp_ieee_invalid_op 0
		.amdhsa_exception_fp_denorm_src 0
		.amdhsa_exception_fp_ieee_div_zero 0
		.amdhsa_exception_fp_ieee_overflow 0
		.amdhsa_exception_fp_ieee_underflow 0
		.amdhsa_exception_fp_ieee_inexact 0
		.amdhsa_exception_int_div_zero 0
	.end_amdhsa_kernel
	.section	.text._ZN12_GLOBAL__N_120geam_min_plus_kernelIDF16_Dv2_DF16_S1_Li32ELi8ELi256ELi64ELi4ELi64ELi4ELi4ELi64ELc78ELc78ELb0ELb1ELb1EPKDF16_S2_DF16_EEviiiT16_PT17_ilS6_ilS4_S6_ilPT18_ili26rocblas_geam_ex_operation_,"axG",@progbits,_ZN12_GLOBAL__N_120geam_min_plus_kernelIDF16_Dv2_DF16_S1_Li32ELi8ELi256ELi64ELi4ELi64ELi4ELi4ELi64ELc78ELc78ELb0ELb1ELb1EPKDF16_S2_DF16_EEviiiT16_PT17_ilS6_ilS4_S6_ilPT18_ili26rocblas_geam_ex_operation_,comdat
.Lfunc_end261:
	.size	_ZN12_GLOBAL__N_120geam_min_plus_kernelIDF16_Dv2_DF16_S1_Li32ELi8ELi256ELi64ELi4ELi64ELi4ELi4ELi64ELc78ELc78ELb0ELb1ELb1EPKDF16_S2_DF16_EEviiiT16_PT17_ilS6_ilS4_S6_ilPT18_ili26rocblas_geam_ex_operation_, .Lfunc_end261-_ZN12_GLOBAL__N_120geam_min_plus_kernelIDF16_Dv2_DF16_S1_Li32ELi8ELi256ELi64ELi4ELi64ELi4ELi4ELi64ELc78ELc78ELb0ELb1ELb1EPKDF16_S2_DF16_EEviiiT16_PT17_ilS6_ilS4_S6_ilPT18_ili26rocblas_geam_ex_operation_
                                        ; -- End function
	.set _ZN12_GLOBAL__N_120geam_min_plus_kernelIDF16_Dv2_DF16_S1_Li32ELi8ELi256ELi64ELi4ELi64ELi4ELi4ELi64ELc78ELc78ELb0ELb1ELb1EPKDF16_S2_DF16_EEviiiT16_PT17_ilS6_ilS4_S6_ilPT18_ili26rocblas_geam_ex_operation_.num_vgpr, 179
	.set _ZN12_GLOBAL__N_120geam_min_plus_kernelIDF16_Dv2_DF16_S1_Li32ELi8ELi256ELi64ELi4ELi64ELi4ELi4ELi64ELc78ELc78ELb0ELb1ELb1EPKDF16_S2_DF16_EEviiiT16_PT17_ilS6_ilS4_S6_ilPT18_ili26rocblas_geam_ex_operation_.num_agpr, 0
	.set _ZN12_GLOBAL__N_120geam_min_plus_kernelIDF16_Dv2_DF16_S1_Li32ELi8ELi256ELi64ELi4ELi64ELi4ELi4ELi64ELc78ELc78ELb0ELb1ELb1EPKDF16_S2_DF16_EEviiiT16_PT17_ilS6_ilS4_S6_ilPT18_ili26rocblas_geam_ex_operation_.numbered_sgpr, 40
	.set _ZN12_GLOBAL__N_120geam_min_plus_kernelIDF16_Dv2_DF16_S1_Li32ELi8ELi256ELi64ELi4ELi64ELi4ELi4ELi64ELc78ELc78ELb0ELb1ELb1EPKDF16_S2_DF16_EEviiiT16_PT17_ilS6_ilS4_S6_ilPT18_ili26rocblas_geam_ex_operation_.num_named_barrier, 0
	.set _ZN12_GLOBAL__N_120geam_min_plus_kernelIDF16_Dv2_DF16_S1_Li32ELi8ELi256ELi64ELi4ELi64ELi4ELi4ELi64ELc78ELc78ELb0ELb1ELb1EPKDF16_S2_DF16_EEviiiT16_PT17_ilS6_ilS4_S6_ilPT18_ili26rocblas_geam_ex_operation_.private_seg_size, 0
	.set _ZN12_GLOBAL__N_120geam_min_plus_kernelIDF16_Dv2_DF16_S1_Li32ELi8ELi256ELi64ELi4ELi64ELi4ELi4ELi64ELc78ELc78ELb0ELb1ELb1EPKDF16_S2_DF16_EEviiiT16_PT17_ilS6_ilS4_S6_ilPT18_ili26rocblas_geam_ex_operation_.uses_vcc, 1
	.set _ZN12_GLOBAL__N_120geam_min_plus_kernelIDF16_Dv2_DF16_S1_Li32ELi8ELi256ELi64ELi4ELi64ELi4ELi4ELi64ELc78ELc78ELb0ELb1ELb1EPKDF16_S2_DF16_EEviiiT16_PT17_ilS6_ilS4_S6_ilPT18_ili26rocblas_geam_ex_operation_.uses_flat_scratch, 0
	.set _ZN12_GLOBAL__N_120geam_min_plus_kernelIDF16_Dv2_DF16_S1_Li32ELi8ELi256ELi64ELi4ELi64ELi4ELi4ELi64ELc78ELc78ELb0ELb1ELb1EPKDF16_S2_DF16_EEviiiT16_PT17_ilS6_ilS4_S6_ilPT18_ili26rocblas_geam_ex_operation_.has_dyn_sized_stack, 0
	.set _ZN12_GLOBAL__N_120geam_min_plus_kernelIDF16_Dv2_DF16_S1_Li32ELi8ELi256ELi64ELi4ELi64ELi4ELi4ELi64ELc78ELc78ELb0ELb1ELb1EPKDF16_S2_DF16_EEviiiT16_PT17_ilS6_ilS4_S6_ilPT18_ili26rocblas_geam_ex_operation_.has_recursion, 0
	.set _ZN12_GLOBAL__N_120geam_min_plus_kernelIDF16_Dv2_DF16_S1_Li32ELi8ELi256ELi64ELi4ELi64ELi4ELi4ELi64ELc78ELc78ELb0ELb1ELb1EPKDF16_S2_DF16_EEviiiT16_PT17_ilS6_ilS4_S6_ilPT18_ili26rocblas_geam_ex_operation_.has_indirect_call, 0
	.section	.AMDGPU.csdata,"",@progbits
; Kernel info:
; codeLenInByte = 20976
; TotalNumSgprs: 46
; NumVgprs: 179
; NumAgprs: 0
; TotalNumVgprs: 179
; ScratchSize: 0
; MemoryBound: 0
; FloatMode: 240
; IeeeMode: 1
; LDSByteSize: 5120 bytes/workgroup (compile time only)
; SGPRBlocks: 5
; VGPRBlocks: 22
; NumSGPRsForWavesPerEU: 46
; NumVGPRsForWavesPerEU: 179
; AccumOffset: 180
; Occupancy: 2
; WaveLimiterHint : 0
; COMPUTE_PGM_RSRC2:SCRATCH_EN: 0
; COMPUTE_PGM_RSRC2:USER_SGPR: 2
; COMPUTE_PGM_RSRC2:TRAP_HANDLER: 0
; COMPUTE_PGM_RSRC2:TGID_X_EN: 1
; COMPUTE_PGM_RSRC2:TGID_Y_EN: 0
; COMPUTE_PGM_RSRC2:TGID_Z_EN: 1
; COMPUTE_PGM_RSRC2:TIDIG_COMP_CNT: 1
; COMPUTE_PGM_RSRC3_GFX90A:ACCUM_OFFSET: 44
; COMPUTE_PGM_RSRC3_GFX90A:TG_SPLIT: 0
	.section	.text._ZN12_GLOBAL__N_120geam_min_plus_kernelIDF16_Dv2_DF16_S1_Li32ELi8ELi256ELi64ELi4ELi64ELi4ELi4ELi64ELc78ELc78ELb1ELb1ELb1EDF16_KDF16_DF16_EEviiiT16_PT17_ilS5_ilS3_S5_ilPT18_ili26rocblas_geam_ex_operation_,"axG",@progbits,_ZN12_GLOBAL__N_120geam_min_plus_kernelIDF16_Dv2_DF16_S1_Li32ELi8ELi256ELi64ELi4ELi64ELi4ELi4ELi64ELc78ELc78ELb1ELb1ELb1EDF16_KDF16_DF16_EEviiiT16_PT17_ilS5_ilS3_S5_ilPT18_ili26rocblas_geam_ex_operation_,comdat
	.globl	_ZN12_GLOBAL__N_120geam_min_plus_kernelIDF16_Dv2_DF16_S1_Li32ELi8ELi256ELi64ELi4ELi64ELi4ELi4ELi64ELc78ELc78ELb1ELb1ELb1EDF16_KDF16_DF16_EEviiiT16_PT17_ilS5_ilS3_S5_ilPT18_ili26rocblas_geam_ex_operation_ ; -- Begin function _ZN12_GLOBAL__N_120geam_min_plus_kernelIDF16_Dv2_DF16_S1_Li32ELi8ELi256ELi64ELi4ELi64ELi4ELi4ELi64ELc78ELc78ELb1ELb1ELb1EDF16_KDF16_DF16_EEviiiT16_PT17_ilS5_ilS3_S5_ilPT18_ili26rocblas_geam_ex_operation_
	.p2align	8
	.type	_ZN12_GLOBAL__N_120geam_min_plus_kernelIDF16_Dv2_DF16_S1_Li32ELi8ELi256ELi64ELi4ELi64ELi4ELi4ELi64ELc78ELc78ELb1ELb1ELb1EDF16_KDF16_DF16_EEviiiT16_PT17_ilS5_ilS3_S5_ilPT18_ili26rocblas_geam_ex_operation_,@function
_ZN12_GLOBAL__N_120geam_min_plus_kernelIDF16_Dv2_DF16_S1_Li32ELi8ELi256ELi64ELi4ELi64ELi4ELi4ELi64ELc78ELc78ELb1ELb1ELb1EDF16_KDF16_DF16_EEviiiT16_PT17_ilS5_ilS3_S5_ilPT18_ili26rocblas_geam_ex_operation_: ; @_ZN12_GLOBAL__N_120geam_min_plus_kernelIDF16_Dv2_DF16_S1_Li32ELi8ELi256ELi64ELi4ELi64ELi4ELi4ELi64ELc78ELc78ELb1ELb1ELb1EDF16_KDF16_DF16_EEviiiT16_PT17_ilS5_ilS3_S5_ilPT18_ili26rocblas_geam_ex_operation_
; %bb.0:
	s_load_dwordx4 s[20:23], s[0:1], 0x0
	s_load_dwordx4 s[4:7], s[0:1], 0x20
	s_waitcnt lgkmcnt(0)
	v_cmp_eq_f16_e64 s[8:9], s23, 0
	s_and_b64 vcc, exec, s[8:9]
	s_cbranch_vccnz .LBB262_53
; %bb.1:
	s_load_dwordx2 s[10:11], s[0:1], 0x10
	s_mul_i32 s5, s5, s3
	s_mul_hi_u32 s12, s4, s3
	s_add_i32 s5, s12, s5
	s_mul_i32 s4, s4, s3
	s_lshl_b64 s[4:5], s[4:5], 1
	s_waitcnt lgkmcnt(0)
	s_add_u32 s28, s10, s4
	s_addc_u32 s29, s11, s5
	s_andn2_b64 vcc, exec, s[8:9]
	s_mov_b64 s[4:5], -1
	s_cbranch_vccnz .LBB262_3
.LBB262_2:
	s_mov_b64 s[4:5], 0
.LBB262_3:
	s_mov_b64 s[24:25], 0
	s_andn2_b64 vcc, exec, s[4:5]
	s_mov_b64 s[30:31], 0
	s_cbranch_vccnz .LBB262_5
; %bb.4:
	s_load_dwordx2 s[4:5], s[0:1], 0x38
	s_waitcnt lgkmcnt(0)
	s_mul_i32 s5, s5, s3
	s_mul_hi_u32 s8, s4, s3
	s_add_i32 s5, s8, s5
	s_mul_i32 s4, s4, s3
	s_lshl_b64 s[4:5], s[4:5], 1
	s_add_u32 s30, s6, s4
	s_addc_u32 s31, s7, s5
.LBB262_5:
	s_load_dword s33, s[0:1], 0x40
	s_load_dwordx4 s[16:19], s[0:1], 0x58
	s_waitcnt lgkmcnt(0)
	v_cmp_eq_f16_e64 s[4:5], s33, 0
	v_cmp_neq_f16_e64 s[26:27], s33, 0
	s_and_b64 vcc, exec, s[4:5]
	s_cbranch_vccnz .LBB262_7
; %bb.6:
	s_load_dwordx2 s[4:5], s[0:1], 0x48
	s_mul_i32 s6, s17, s3
	s_mul_hi_u32 s7, s16, s3
	s_add_i32 s7, s7, s6
	s_mul_i32 s6, s16, s3
	s_lshl_b64 s[6:7], s[6:7], 1
	s_waitcnt lgkmcnt(0)
	s_add_u32 s24, s4, s6
	s_addc_u32 s25, s5, s7
.LBB262_7:
	s_add_i32 s4, s20, -1
	s_ashr_i32 s5, s4, 31
	s_lshr_b32 s5, s5, 24
	s_add_i32 s4, s4, s5
	s_ashr_i32 s4, s4, 8
	s_add_i32 s5, s4, 1
	v_cvt_f32_u32_e32 v1, s5
	v_and_b32_e32 v42, 0x3ff, v0
	v_bfe_u32 v43, v0, 10, 10
	s_not_b32 s4, s4
	v_rcp_iflag_f32_e32 v1, v1
	s_load_dword s16, s[0:1], 0x18
	v_lshl_add_u32 v7, v43, 5, v42
	v_and_b32_e32 v2, 63, v7
	v_mul_f32_e32 v0, 0x4f7ffffe, v1
	v_cvt_u32_f32_e32 v0, v0
	v_lshrrev_b32_e32 v44, 6, v7
	v_mov_b32_e32 v3, 0x7c00
	v_mov_b32_e32 v4, 0x7c00
	v_readfirstlane_b32 s6, v0
	s_mul_i32 s4, s4, s6
	s_mul_hi_u32 s4, s6, s4
	s_add_i32 s6, s6, s4
	s_mul_hi_u32 s4, s2, s6
	s_mul_i32 s6, s4, s5
	s_sub_i32 s6, s2, s6
	s_add_i32 s7, s4, 1
	s_sub_i32 s8, s6, s5
	s_cmp_ge_u32 s6, s5
	s_cselect_b32 s4, s7, s4
	s_cselect_b32 s6, s8, s6
	s_add_i32 s7, s4, 1
	s_cmp_ge_u32 s6, s5
	s_cselect_b32 s10, s7, s4
	s_mul_i32 s4, s10, s5
	s_sub_i32 s2, s2, s4
	s_lshl_b32 s2, s2, 8
	v_or_b32_e32 v28, s2, v2
	v_cmp_le_i32_e64 s[8:9], s22, v44
	s_waitcnt lgkmcnt(0)
	v_mad_i64_i32 v[0:1], s[4:5], s16, v44, 0
	v_cmp_le_i32_e32 vcc, s20, v28
	v_lshl_add_u64 v[0:1], v[0:1], 1, s[28:29]
	s_nor_b64 s[6:7], vcc, s[8:9]
	v_ashrrev_i32_e32 v29, 31, v28
	s_and_saveexec_b64 s[4:5], s[6:7]
	s_cbranch_execz .LBB262_9
; %bb.8:
	v_lshl_add_u64 v[4:5], v[28:29], 1, v[0:1]
	global_load_ushort v4, v[4:5], off
.LBB262_9:
	s_or_b64 exec, exec, s[4:5]
	v_or_b32_e32 v5, 64, v28
	v_cmp_le_i32_e64 s[12:13], s20, v5
	s_nor_b64 s[6:7], s[12:13], s[8:9]
	s_and_saveexec_b64 s[4:5], s[6:7]
	s_cbranch_execz .LBB262_11
; %bb.10:
	v_lshl_add_u64 v[8:9], v[28:29], 1, v[0:1]
	global_load_ushort v3, v[8:9], off offset:128
.LBB262_11:
	s_or_b64 exec, exec, s[4:5]
	v_or_b32_e32 v5, 0x80, v28
	v_cmp_le_i32_e64 s[4:5], s20, v5
	s_ashr_i32 s17, s16, 31
	s_nor_b64 s[14:15], s[4:5], s[8:9]
	v_mov_b32_e32 v5, 0x7c00
	v_mov_b32_e32 v6, 0x7c00
	s_and_saveexec_b64 s[6:7], s[14:15]
	s_cbranch_execz .LBB262_13
; %bb.12:
	v_lshl_add_u64 v[8:9], v[28:29], 1, v[0:1]
	global_load_ushort v6, v[8:9], off offset:256
.LBB262_13:
	s_or_b64 exec, exec, s[6:7]
	v_or_b32_e32 v8, 0xc0, v28
	v_cmp_le_i32_e64 s[6:7], s20, v8
	s_nor_b64 s[14:15], s[6:7], s[8:9]
	s_and_saveexec_b64 s[8:9], s[14:15]
	s_cbranch_execz .LBB262_15
; %bb.14:
	v_lshl_add_u64 v[0:1], v[28:29], 1, v[0:1]
	global_load_ushort v5, v[0:1], off offset:384
.LBB262_15:
	s_or_b64 exec, exec, s[8:9]
	s_load_dword s35, s[0:1], 0x30
	v_lshrrev_b32_e32 v7, 2, v7
	s_lshl_b32 s34, s10, 6
	v_and_b32_e32 v47, 3, v42
	v_add_u32_e32 v32, s34, v7
	v_cmp_gt_i32_e64 s[10:11], s22, v47
	v_cmp_gt_i32_e64 s[14:15], s21, v32
	v_cmp_le_i32_e64 s[8:9], s21, v32
	s_and_b64 s[14:15], s[10:11], s[14:15]
	v_mov_b32_e32 v33, 0x7c00
	v_lshlrev_b32_e32 v30, 1, v47
	v_mov_b32_e32 v8, 0x7c00
	s_and_saveexec_b64 s[10:11], s[14:15]
	s_cbranch_execz .LBB262_17
; %bb.16:
	s_waitcnt lgkmcnt(0)
	v_mad_i64_i32 v[0:1], s[14:15], v32, s35, 0
	v_lshl_add_u64 v[0:1], v[0:1], 1, s[30:31]
	v_mov_b32_e32 v31, 0
	v_lshl_add_u64 v[0:1], v[0:1], 0, v[30:31]
	global_load_ushort v8, v[0:1], off
.LBB262_17:
	s_or_b64 exec, exec, s[10:11]
	v_add_u32_e32 v0, 4, v44
	v_cmp_le_i32_e64 s[10:11], s22, v0
	v_mad_i64_i32 v[0:1], s[14:15], s16, v0, 0
	v_lshl_add_u64 v[0:1], v[0:1], 1, s[28:29]
	s_nor_b64 s[36:37], vcc, s[10:11]
	s_and_saveexec_b64 s[14:15], s[36:37]
	s_cbranch_execz .LBB262_19
; %bb.18:
	v_lshl_add_u64 v[10:11], v[28:29], 1, v[0:1]
	global_load_ushort v33, v[10:11], off
.LBB262_19:
	s_or_b64 exec, exec, s[14:15]
	s_nor_b64 s[36:37], s[12:13], s[10:11]
	v_mov_b32_e32 v34, 0x7c00
	v_mov_b32_e32 v35, 0x7c00
	s_and_saveexec_b64 s[14:15], s[36:37]
	s_cbranch_execz .LBB262_21
; %bb.20:
	v_lshl_add_u64 v[10:11], v[28:29], 1, v[0:1]
	global_load_ushort v35, v[10:11], off offset:128
.LBB262_21:
	s_or_b64 exec, exec, s[14:15]
	s_nor_b64 s[36:37], s[4:5], s[10:11]
	s_and_saveexec_b64 s[14:15], s[36:37]
	s_cbranch_execz .LBB262_23
; %bb.22:
	v_lshl_add_u64 v[10:11], v[28:29], 1, v[0:1]
	global_load_ushort v34, v[10:11], off offset:256
.LBB262_23:
	s_or_b64 exec, exec, s[14:15]
	s_nor_b64 s[14:15], s[6:7], s[10:11]
	v_mov_b32_e32 v31, 0x7c00
	v_mov_b32_e32 v36, 0x7c00
	s_and_saveexec_b64 s[10:11], s[14:15]
	s_cbranch_execz .LBB262_25
; %bb.24:
	v_lshl_add_u64 v[0:1], v[28:29], 1, v[0:1]
	global_load_ushort v36, v[0:1], off offset:384
.LBB262_25:
	s_or_b64 exec, exec, s[10:11]
	v_or_b32_e32 v0, 4, v47
	v_cmp_gt_i32_e64 s[10:11], s22, v0
	s_xor_b64 s[14:15], s[8:9], -1
	s_and_b64 s[10:11], s[10:11], s[14:15]
	s_and_saveexec_b64 s[8:9], s[10:11]
	s_cbranch_execz .LBB262_27
; %bb.26:
	s_waitcnt lgkmcnt(0)
	v_mad_i64_i32 v[0:1], s[10:11], v32, s35, 0
	v_lshl_add_u64 v[0:1], v[0:1], 1, s[30:31]
	v_mov_b32_e32 v31, 0
	v_lshl_add_u64 v[0:1], v[0:1], 0, v[30:31]
	global_load_ushort v31, v[0:1], off offset:8
.LBB262_27:
	s_or_b64 exec, exec, s[8:9]
	v_lshlrev_b32_e32 v0, 3, v2
	v_lshlrev_b32_e32 v45, 3, v43
	v_lshl_add_u32 v48, v44, 1, v0
	v_lshl_or_b32 v37, v7, 3, v30
	v_lshlrev_b32_e32 v46, 3, v42
	v_add_u32_e32 v49, 0x1000, v45
	s_waitcnt vmcnt(0)
	ds_write_b16 v48, v4
	ds_write_b16 v48, v3 offset:512
	ds_write_b16 v48, v6 offset:1024
	ds_write_b16 v48, v5 offset:1536
	ds_write_b16 v37, v8 offset:4096
	s_waitcnt lgkmcnt(0)
	s_barrier
	ds_read2_b64 v[16:19], v46 offset1:32
	ds_read2_b64 v[12:15], v46 offset0:64 offset1:96
	ds_read2_b64 v[4:7], v46 offset0:128 offset1:160
	ds_read2_b64 v[38:41], v49 offset1:8
	ds_read2_b64 v[0:3], v46 offset0:192 offset1:224
	ds_read2_b64 v[24:27], v49 offset0:16 offset1:24
	;; [unrolled: 1-line block ×4, first 2 shown]
	s_movk_i32 s8, 0x7c00
	s_waitcnt lgkmcnt(4)
	v_pk_add_f16 v50, v16, v38
	v_pk_add_f16 v51, v18, v38
	;; [unrolled: 1-line block ×6, first 2 shown]
	s_waitcnt lgkmcnt(3)
	v_pk_add_f16 v56, v0, v38
	v_pk_add_f16 v38, v2, v38
	v_pk_add_f16 v57, v16, v40
	v_pk_add_f16 v58, v18, v40
	v_pk_add_f16 v59, v12, v40
	v_pk_add_f16 v60, v14, v40
	v_pk_add_f16 v61, v4, v40
	v_pk_add_f16 v62, v6, v40
	v_pk_add_f16 v63, v0, v40
	v_pk_add_f16 v40, v2, v40
	s_waitcnt lgkmcnt(2)
	v_pk_add_f16 v64, v16, v24
	v_pk_add_f16 v65, v18, v24
	v_pk_add_f16 v66, v12, v24
	v_pk_add_f16 v67, v14, v24
	v_pk_add_f16 v68, v4, v24
	v_pk_add_f16 v69, v6, v24
	v_pk_add_f16 v70, v0, v24
	v_pk_add_f16 v24, v2, v24
	v_pk_add_f16 v71, v16, v26
	v_pk_add_f16 v72, v18, v26
	v_pk_add_f16 v73, v12, v26
	v_pk_add_f16 v74, v14, v26
	v_pk_add_f16 v75, v4, v26
	v_pk_add_f16 v76, v6, v26
	v_pk_add_f16 v77, v0, v26
	v_pk_add_f16 v26, v2, v26
	s_waitcnt lgkmcnt(1)
	v_pk_add_f16 v78, v16, v20
	v_pk_add_f16 v79, v18, v20
	v_pk_add_f16 v80, v12, v20
	v_pk_add_f16 v104, v14, v20
	v_pk_add_f16 v117, v4, v20
	v_pk_add_f16 v118, v6, v20
	;; [unrolled: 17-line block ×3, first 2 shown]
	v_pk_add_f16 v133, v0, v8
	v_pk_add_f16 v8, v2, v8
	;; [unrolled: 1-line block ×11, first 2 shown]
	v_pk_min_f16 v10, v50, s8 op_sel_hi:[1,0]
	v_pk_min_f16 v8, v8, s8 op_sel_hi:[1,0]
	v_pk_min_f16 v116, v10, v2
	v_pk_add_f16 v2, v19, v39
	v_pk_min_f16 v10, v51, s8 op_sel_hi:[1,0]
	v_pk_min_f16 v4, v4, s8 op_sel_hi:[1,0]
	v_pk_min_f16 v115, v10, v2
	v_pk_add_f16 v2, v13, v39
	;; [unrolled: 4-line block ×3, first 2 shown]
	v_pk_min_f16 v10, v53, s8 op_sel_hi:[1,0]
	s_cmp_lt_i32 s22, 9
	v_pk_min_f16 v113, v10, v2
	v_pk_add_f16 v2, v5, v39
	v_pk_min_f16 v10, v54, s8 op_sel_hi:[1,0]
	ds_write_b16 v48, v33 offset:2048
	ds_write_b16 v48, v35 offset:2560
	;; [unrolled: 1-line block ×5, first 2 shown]
	v_pk_min_f16 v112, v10, v2
	v_pk_add_f16 v2, v7, v39
	v_pk_min_f16 v10, v55, s8 op_sel_hi:[1,0]
	s_waitcnt lgkmcnt(0)
	v_pk_min_f16 v111, v10, v2
	v_pk_add_f16 v2, v1, v39
	v_pk_min_f16 v10, v56, s8 op_sel_hi:[1,0]
	s_barrier
	v_pk_min_f16 v110, v10, v2
	v_pk_add_f16 v2, v3, v39
	v_pk_min_f16 v10, v38, s8 op_sel_hi:[1,0]
	s_nop 0
	v_pk_min_f16 v109, v10, v2
	v_pk_add_f16 v2, v17, v41
	v_pk_min_f16 v10, v57, s8 op_sel_hi:[1,0]
	s_nop 0
	;; [unrolled: 4-line block ×47, first 2 shown]
	v_pk_min_f16 v62, v10, v2
	v_pk_add_f16 v2, v1, v9
	v_pk_min_f16 v10, v133, s8 op_sel_hi:[1,0]
	v_pk_add_f16 v1, v1, v11
	v_pk_min_f16 v61, v10, v2
	v_pk_add_f16 v2, v3, v9
	s_nop 0
	v_pk_min_f16 v60, v8, v2
	v_pk_add_f16 v2, v17, v11
	v_pk_min_f16 v8, v16, s8 op_sel_hi:[1,0]
	s_nop 0
	v_pk_min_f16 v59, v8, v2
	v_pk_add_f16 v2, v19, v11
	v_pk_min_f16 v8, v18, s8 op_sel_hi:[1,0]
	;; [unrolled: 4-line block ×4, first 2 shown]
	s_nop 0
	v_pk_min_f16 v56, v8, v2
	v_pk_add_f16 v2, v5, v11
	s_nop 0
	v_pk_min_f16 v54, v4, v2
	v_pk_add_f16 v2, v7, v11
	v_pk_min_f16 v4, v6, s8 op_sel_hi:[1,0]
	s_nop 0
	v_pk_min_f16 v53, v4, v2
	v_pk_min_f16 v2, v134, s8 op_sel_hi:[1,0]
	s_nop 0
	v_pk_min_f16 v52, v2, v1
	v_pk_add_f16 v1, v3, v11
	s_nop 0
	v_pk_min_f16 v55, v0, v1
	s_cbranch_scc1 .LBB262_50
; %bb.28:
	v_mov_b32_e32 v0, 0x800
	v_lshl_add_u32 v117, v42, 3, v0
	v_mov_b32_e32 v0, 0x1200
	v_lshl_add_u32 v118, v43, 3, v0
	v_mad_i64_i32 v[0:1], s[8:9], s35, v32, 0
	v_mov_b32_e32 v31, 0
	v_lshl_add_u64 v[0:1], v[0:1], 1, v[30:31]
	v_lshl_add_u64 v[0:1], s[30:31], 0, v[0:1]
	;; [unrolled: 1-line block ×3, first 2 shown]
	v_add_u32_e32 v0, 8, v44
	v_mad_i64_i32 v[0:1], s[8:9], v0, s16, 0
	v_add_u32_e32 v50, 0x1000, v37
	v_add_u32_e32 v104, 0x1200, v37
	v_lshl_add_u64 v[36:37], v[0:1], 1, s[28:29]
	v_add_u32_e32 v0, 12, v44
	v_mad_i64_i32 v[0:1], s[8:9], v0, s16, 0
	v_add_u32_e32 v51, 0x800, v48
	s_add_i32 s23, s22, -8
	v_lshlrev_b64 v[34:35], 1, v[28:29]
	s_lshl_b64 s[10:11], s[16:17], 4
	v_lshl_add_u64 v[38:39], v[0:1], 1, s[28:29]
	s_mov_b32 s28, 0
	s_branch .LBB262_30
.LBB262_29:                             ;   in Loop: Header=BB262_30 Depth=1
	s_or_b64 exec, exec, s[8:9]
	v_pk_add_f16 v40, v16, v28
	v_pk_max_f16 v41, v116, v116
	v_pk_max_f16 v115, v115, v115
	v_pk_min_f16 v40, v41, v40
	v_pk_add_f16 v41, v18, v28
	v_pk_max_f16 v114, v114, v114
	v_pk_min_f16 v41, v115, v41
	v_pk_add_f16 v115, v12, v28
	v_pk_max_f16 v113, v113, v113
	v_pk_min_f16 v114, v114, v115
	v_pk_add_f16 v115, v14, v28
	v_pk_max_f16 v112, v112, v112
	v_pk_min_f16 v113, v113, v115
	v_pk_add_f16 v115, v4, v28
	v_pk_max_f16 v111, v111, v111
	v_pk_min_f16 v112, v112, v115
	v_pk_add_f16 v115, v6, v28
	v_pk_max_f16 v109, v109, v109
	v_pk_min_f16 v111, v111, v115
	v_pk_add_f16 v115, v0, v28
	v_pk_add_f16 v28, v2, v28
	v_pk_max_f16 v108, v108, v108
	v_pk_min_f16 v28, v109, v28
	v_pk_add_f16 v109, v16, v30
	v_pk_max_f16 v107, v107, v107
	v_pk_min_f16 v108, v108, v109
	v_pk_add_f16 v109, v18, v30
	v_pk_max_f16 v106, v106, v106
	v_pk_min_f16 v107, v107, v109
	v_pk_add_f16 v109, v12, v30
	v_pk_max_f16 v105, v105, v105
	v_pk_min_f16 v106, v106, v109
	v_pk_add_f16 v109, v14, v30
	v_pk_max_f16 v102, v102, v102
	v_pk_min_f16 v105, v105, v109
	v_pk_add_f16 v109, v4, v30
	v_pk_max_f16 v100, v100, v100
	v_pk_min_f16 v102, v102, v109
	v_pk_add_f16 v109, v6, v30
	v_pk_max_f16 v96, v96, v96
	v_pk_min_f16 v100, v100, v109
	v_pk_add_f16 v109, v0, v30
	v_pk_add_f16 v30, v2, v30
	v_pk_max_f16 v95, v95, v95
	v_pk_min_f16 v30, v96, v30
	v_pk_add_f16 v96, v16, v24
	;; [unrolled: 22-line block ×4, first 2 shown]
	v_pk_max_f16 v82, v82, v82
	v_pk_min_f16 v83, v83, v84
	v_pk_add_f16 v84, v18, v20
	v_pk_max_f16 v81, v81, v81
	v_pk_min_f16 v82, v82, v84
	v_pk_add_f16 v84, v12, v20
	;; [unrolled: 3-line block ×4, first 2 shown]
	v_pk_max_f16 v79, v79, v79
	v_pk_max_f16 v101, v101, v101
	v_pk_min_f16 v85, v85, v99
	v_pk_min_f16 v99, v79, v80
	v_pk_add_f16 v79, v6, v20
	v_pk_max_f16 v78, v78, v78
	v_pk_min_f16 v101, v101, v103
	v_pk_min_f16 v103, v78, v79
	v_pk_add_f16 v78, v0, v20
	v_pk_add_f16 v20, v2, v20
	v_pk_max_f16 v76, v76, v76
	v_pk_max_f16 v110, v110, v110
	v_pk_min_f16 v20, v76, v20
	v_pk_add_f16 v76, v16, v22
	v_pk_max_f16 v75, v75, v75
	v_pk_min_f16 v110, v110, v115
	v_pk_min_f16 v115, v75, v76
	v_pk_add_f16 v75, v18, v22
	v_pk_max_f16 v74, v74, v74
	v_pk_max_f16 v73, v73, v73
	v_pk_min_f16 v116, v74, v75
	v_pk_add_f16 v74, v12, v22
	v_pk_max_f16 v72, v72, v72
	v_pk_min_f16 v124, v73, v74
	v_pk_add_f16 v73, v14, v22
	;; [unrolled: 3-line block ×5, first 2 shown]
	v_pk_add_f16 v22, v2, v22
	v_pk_min_f16 v128, v68, v70
	v_pk_max_f16 v68, v69, v69
	v_pk_max_f16 v67, v67, v67
	v_pk_min_f16 v22, v68, v22
	v_pk_add_f16 v68, v16, v8
	v_pk_max_f16 v66, v66, v66
	v_pk_min_f16 v129, v67, v68
	v_pk_add_f16 v67, v18, v8
	v_pk_max_f16 v65, v65, v65
	v_pk_min_f16 v130, v66, v67
	v_pk_add_f16 v66, v12, v8
	v_pk_max_f16 v64, v64, v64
	v_pk_min_f16 v131, v65, v66
	v_pk_add_f16 v65, v14, v8
	v_pk_max_f16 v63, v63, v63
	v_pk_min_f16 v132, v64, v65
	v_pk_add_f16 v64, v4, v8
	v_pk_max_f16 v62, v62, v62
	v_pk_min_f16 v133, v63, v64
	v_pk_add_f16 v63, v6, v8
	v_pk_add_f16 v16, v16, v10
	v_pk_min_f16 v134, v62, v63
	v_pk_add_f16 v62, v0, v8
	v_pk_add_f16 v8, v2, v8
	;; [unrolled: 1-line block ×9, first 2 shown]
	v_pk_max_f16 v10, v55, v55
	v_pk_max_f16 v98, v98, v98
	v_pk_min_f16 v2, v10, v2
	v_pk_add_f16 v10, v17, v29
	v_pk_min_f16 v98, v98, v109
	v_pk_min_f16 v136, v40, v10
	v_pk_add_f16 v10, v19, v29
	v_pk_max_f16 v77, v77, v77
	v_pk_min_f16 v137, v41, v10
	v_pk_add_f16 v10, v13, v29
	v_pk_min_f16 v109, v77, v78
	v_pk_min_f16 v114, v114, v10
	v_pk_add_f16 v10, v15, v29
	;; [unrolled: 6-line block ×11, first 2 shown]
	s_add_i32 s28, s28, 8
	v_pk_min_f16 v140, v96, v10
	v_pk_add_f16 v10, v1, v25
	v_lshl_add_u64 v[32:33], v[32:33], 0, 16
	v_pk_min_f16 v80, v101, v10
	v_pk_add_f16 v10, v3, v25
	v_pk_max_f16 v80, v80, v80
	v_pk_min_f16 v79, v24, v10
	v_pk_add_f16 v10, v17, v27
	v_pk_max_f16 v79, v79, v79
	;; [unrolled: 3-line block ×10, first 2 shown]
	v_pk_min_f16 v72, v83, v10
	v_pk_add_f16 v10, v19, v21
	v_lshl_add_u64 v[36:37], v[36:37], 0, s[10:11]
	v_pk_min_f16 v71, v82, v10
	v_pk_add_f16 v10, v13, v21
	s_cmp_ge_i32 s28, s23
	v_pk_min_f16 v69, v81, v10
	v_pk_add_f16 v10, v15, v21
	v_lshl_add_u64 v[38:39], v[38:39], 0, s[10:11]
	v_pk_min_f16 v67, v84, v10
	v_pk_add_f16 v10, v5, v21
	v_pk_max_f16 v67, v67, v67
	v_pk_min_f16 v66, v99, v10
	v_pk_add_f16 v10, v7, v21
	v_pk_max_f16 v66, v66, v66
	;; [unrolled: 3-line block ×6, first 2 shown]
	v_pk_min_f16 v61, v116, v10
	v_pk_add_f16 v10, v13, v23
	s_nop 0
	v_pk_min_f16 v60, v124, v10
	v_pk_add_f16 v10, v15, v23
	s_nop 0
	;; [unrolled: 3-line block ×10, first 2 shown]
	v_pk_min_f16 v28, v132, v10
	v_pk_add_f16 v10, v5, v9
	v_pk_add_f16 v5, v5, v11
	v_pk_min_f16 v27, v133, v10
	v_pk_add_f16 v10, v7, v9
	v_pk_min_f16 v124, v4, v5
	v_pk_min_f16 v26, v134, v10
	v_pk_add_f16 v10, v1, v9
	v_pk_add_f16 v9, v3, v9
	;; [unrolled: 1-line block ×3, first 2 shown]
	v_pk_min_f16 v24, v8, v9
	v_pk_add_f16 v8, v17, v11
	v_pk_add_f16 v4, v7, v11
	v_pk_min_f16 v40, v16, v8
	v_pk_add_f16 v8, v19, v11
	v_pk_min_f16 v126, v0, v1
	v_pk_min_f16 v31, v18, v8
	v_pk_add_f16 v8, v13, v11
	v_pk_add_f16 v0, v3, v11
	v_pk_min_f16 v54, v12, v8
	v_pk_add_f16 v8, v15, v11
	v_pk_min_f16 v25, v135, v10
	v_pk_min_f16 v53, v14, v8
	;; [unrolled: 1-line block ×4, first 2 shown]
	ds_read2_b64 v[12:15], v46 offset1:32
	ds_read2_b64 v[4:7], v46 offset0:64 offset1:96
	ds_read2_b64 v[82:85], v49 offset1:8
	ds_read2_b64 v[8:11], v46 offset0:128 offset1:160
	ds_read2_b64 v[0:3], v46 offset0:192 offset1:224
	;; [unrolled: 1-line block ×4, first 2 shown]
	s_waitcnt lgkmcnt(4)
	v_pk_add_f16 v81, v12, v82
	v_pk_add_f16 v87, v14, v82
	v_pk_min_f16 v81, v109, v81
	v_pk_add_f16 v109, v13, v83
	v_pk_add_f16 v89, v4, v82
	v_pk_min_f16 v116, v81, v109
	v_pk_max_f16 v109, v137, v137
	v_pk_add_f16 v91, v6, v82
	v_pk_min_f16 v87, v109, v87
	v_pk_add_f16 v109, v15, v83
	s_waitcnt lgkmcnt(3)
	v_pk_add_f16 v93, v8, v82
	v_pk_min_f16 v115, v87, v109
	v_pk_max_f16 v109, v114, v114
	v_pk_add_f16 v94, v10, v82
	v_pk_min_f16 v89, v109, v89
	v_pk_add_f16 v109, v5, v83
	s_waitcnt lgkmcnt(2)
	;; [unrolled: 7-line block ×3, first 2 shown]
	v_pk_add_f16 v130, v12, v20
	v_pk_min_f16 v113, v91, v109
	v_pk_max_f16 v109, v112, v112
	v_pk_add_f16 v81, v14, v20
	v_pk_min_f16 v93, v109, v93
	v_pk_add_f16 v109, v9, v83
	v_pk_add_f16 v87, v4, v20
	v_pk_min_f16 v112, v93, v109
	v_pk_max_f16 v109, v111, v111
	v_pk_add_f16 v89, v6, v20
	v_pk_min_f16 v94, v109, v94
	v_pk_add_f16 v109, v11, v83
	v_pk_add_f16 v91, v8, v20
	;; [unrolled: 1-line block ×3, first 2 shown]
	v_pk_min_f16 v111, v94, v109
	v_pk_add_f16 v94, v0, v20
	v_pk_max_f16 v109, v110, v110
	v_pk_add_f16 v131, v2, v20
	v_pk_max_f16 v20, v138, v138
	v_pk_min_f16 v96, v109, v96
	v_pk_add_f16 v109, v1, v83
	v_pk_min_f16 v20, v20, v82
	v_pk_add_f16 v82, v3, v83
	v_pk_add_f16 v97, v12, v84
	v_pk_min_f16 v110, v96, v109
	v_pk_min_f16 v109, v20, v82
	v_pk_max_f16 v20, v108, v108
	v_pk_add_f16 v83, v13, v85
	v_pk_min_f16 v20, v20, v97
	v_pk_add_f16 v99, v14, v84
	v_pk_min_f16 v108, v20, v83
	v_pk_max_f16 v20, v107, v107
	v_pk_add_f16 v96, v15, v85
	v_pk_min_f16 v20, v20, v99
	v_pk_add_f16 v101, v4, v84
	;; [unrolled: 5-line block ×6, first 2 shown]
	v_pk_min_f16 v100, v20, v96
	v_pk_max_f16 v20, v98, v98
	v_pk_add_f16 v84, v2, v84
	v_pk_add_f16 v82, v12, v22
	;; [unrolled: 1-line block ×8, first 2 shown]
	v_pk_min_f16 v20, v20, v129
	v_pk_add_f16 v96, v1, v85
	v_pk_add_f16 v129, v2, v22
	v_pk_max_f16 v22, v139, v139
	v_pk_min_f16 v98, v20, v96
	v_pk_add_f16 v20, v3, v85
	v_pk_min_f16 v22, v22, v84
	v_pk_add_f16 v138, v3, v23
	v_pk_min_f16 v96, v22, v20
	v_pk_max_f16 v22, v95, v95
	v_pk_add_f16 v20, v13, v21
	v_pk_min_f16 v22, v22, v130
	v_pk_min_f16 v68, v68, v129
	;; [unrolled: 1-line block ×3, first 2 shown]
	v_pk_max_f16 v22, v92, v92
	v_pk_add_f16 v20, v15, v21
	v_pk_min_f16 v22, v22, v81
	v_pk_add_f16 v81, v11, v21
	v_pk_min_f16 v92, v22, v20
	v_pk_max_f16 v22, v90, v90
	v_pk_add_f16 v20, v5, v21
	v_pk_min_f16 v22, v22, v87
	v_pk_add_f16 v85, v1, v21
	v_pk_min_f16 v90, v22, v20
	;; [unrolled: 5-line block ×3, first 2 shown]
	v_pk_max_f16 v22, v86, v86
	v_pk_add_f16 v20, v9, v21
	v_pk_min_f16 v22, v22, v91
	v_pk_min_f16 v80, v80, v94
	;; [unrolled: 1-line block ×3, first 2 shown]
	v_pk_max_f16 v20, v140, v140
	v_pk_min_f16 v70, v70, v128
	v_pk_min_f16 v84, v20, v93
	;; [unrolled: 1-line block ×4, first 2 shown]
	s_waitcnt lgkmcnt(0)
	v_pk_add_f16 v81, v12, v16
	v_pk_min_f16 v84, v68, v138
	v_pk_max_f16 v68, v72, v72
	v_pk_min_f16 v85, v70, v137
	v_pk_min_f16 v68, v68, v81
	v_pk_add_f16 v70, v13, v17
	v_pk_add_f16 v139, v14, v16
	v_pk_min_f16 v77, v77, v83
	v_pk_min_f16 v83, v68, v70
	v_pk_max_f16 v68, v71, v71
	v_pk_add_f16 v70, v15, v17
	v_pk_min_f16 v68, v68, v139
	v_pk_add_f16 v80, v4, v16
	v_pk_min_f16 v78, v78, v82
	v_pk_min_f16 v82, v68, v70
	v_pk_max_f16 v68, v69, v69
	v_pk_add_f16 v87, v3, v21
	v_pk_min_f16 v79, v79, v131
	v_pk_add_f16 v131, v6, v16
	v_pk_min_f16 v68, v68, v80
	;; [unrolled: 2-line block ×4, first 2 shown]
	v_pk_min_f16 v67, v67, v131
	v_pk_add_f16 v68, v7, v17
	v_pk_add_f16 v140, v10, v16
	v_pk_min_f16 v80, v67, v68
	v_pk_min_f16 v66, v66, v79
	v_pk_add_f16 v67, v9, v17
	v_pk_add_f16 v89, v13, v23
	;; [unrolled: 1-line block ×4, first 2 shown]
	v_pk_min_f16 v79, v66, v67
	v_pk_min_f16 v65, v65, v140
	v_pk_add_f16 v66, v11, v17
	v_pk_add_f16 v93, v5, v23
	v_pk_min_f16 v97, v78, v89
	v_pk_min_f16 v76, v76, v132
	;; [unrolled: 1-line block ×3, first 2 shown]
	v_pk_add_f16 v65, v1, v17
	v_pk_min_f16 v16, v63, v16
	v_pk_add_f16 v17, v3, v17
	v_pk_add_f16 v142, v12, v18
	v_pk_min_f16 v93, v76, v93
	v_pk_min_f16 v76, v16, v17
	v_pk_max_f16 v16, v62, v62
	v_pk_add_f16 v91, v15, v23
	v_pk_add_f16 v130, v7, v23
	v_pk_min_f16 v75, v75, v133
	v_pk_min_f16 v16, v16, v142
	v_pk_add_f16 v17, v13, v19
	v_pk_min_f16 v94, v77, v91
	v_pk_add_f16 v132, v14, v18
	v_pk_min_f16 v91, v75, v130
	v_pk_min_f16 v75, v16, v17
	v_pk_max_f16 v16, v61, v61
	v_pk_add_f16 v135, v9, v23
	v_pk_min_f16 v74, v74, v134
	v_pk_min_f16 v16, v16, v132
	v_pk_add_f16 v17, v15, v19
	v_pk_add_f16 v143, v4, v18
	v_pk_min_f16 v89, v74, v135
	v_pk_min_f16 v74, v16, v17
	v_pk_max_f16 v16, v60, v60
	v_pk_add_f16 v136, v11, v23
	v_pk_min_f16 v73, v73, v127
	v_pk_min_f16 v16, v16, v143
	v_pk_add_f16 v17, v5, v19
	v_pk_add_f16 v133, v6, v18
	v_pk_min_f16 v87, v73, v136
	v_pk_min_f16 v73, v16, v17
	v_pk_max_f16 v16, v59, v59
	v_pk_add_f16 v17, v7, v19
	v_pk_min_f16 v16, v16, v133
	v_pk_add_f16 v130, v8, v18
	v_pk_min_f16 v72, v16, v17
	v_pk_max_f16 v17, v58, v58
	v_pk_add_f16 v16, v9, v19
	v_pk_min_f16 v17, v17, v130
	v_pk_add_f16 v134, v10, v18
	v_pk_min_f16 v71, v17, v16
	v_pk_max_f16 v17, v57, v57
	ds_read2_b64 v[20:23], v49 offset0:48 offset1:56
	v_pk_add_f16 v16, v11, v19
	v_pk_min_f16 v17, v17, v134
	v_pk_add_f16 v135, v0, v18
	v_pk_min_f16 v70, v17, v16
	v_pk_max_f16 v17, v56, v56
	v_pk_add_f16 v16, v1, v19
	v_pk_min_f16 v17, v17, v135
	v_pk_add_f16 v18, v2, v18
	v_pk_min_f16 v68, v17, v16
	v_pk_max_f16 v17, v29, v29
	v_pk_add_f16 v16, v3, v19
	v_pk_min_f16 v17, v17, v18
	s_waitcnt lgkmcnt(0)
	v_pk_add_f16 v127, v12, v20
	v_pk_min_f16 v69, v17, v16
	v_pk_max_f16 v17, v52, v52
	v_pk_add_f16 v16, v13, v21
	v_pk_min_f16 v17, v17, v127
	v_pk_add_f16 v128, v14, v20
	v_pk_min_f16 v67, v17, v16
	v_pk_max_f16 v17, v41, v41
	v_pk_add_f16 v16, v15, v21
	v_pk_min_f16 v17, v17, v128
	v_pk_add_f16 v136, v4, v20
	v_pk_min_f16 v66, v17, v16
	v_pk_max_f16 v17, v30, v30
	v_pk_min_f16 v64, v64, v141
	v_pk_add_f16 v16, v5, v21
	v_pk_min_f16 v17, v17, v136
	v_pk_add_f16 v129, v6, v20
	v_pk_min_f16 v77, v64, v65
	v_pk_min_f16 v65, v17, v16
	v_pk_max_f16 v17, v28, v28
	v_pk_add_f16 v16, v7, v21
	v_pk_min_f16 v17, v17, v129
	v_pk_add_f16 v137, v8, v20
	v_pk_min_f16 v64, v17, v16
	v_pk_max_f16 v17, v27, v27
	v_pk_add_f16 v16, v9, v21
	v_pk_min_f16 v17, v17, v137
	v_pk_add_f16 v138, v10, v20
	v_pk_min_f16 v63, v17, v16
	v_pk_max_f16 v17, v26, v26
	v_pk_add_f16 v16, v11, v21
	v_pk_min_f16 v17, v17, v138
	v_pk_add_f16 v139, v0, v20
	v_pk_min_f16 v62, v17, v16
	v_pk_max_f16 v17, v25, v25
	v_pk_add_f16 v16, v1, v21
	v_pk_min_f16 v17, v17, v139
	v_pk_add_f16 v20, v2, v20
	v_pk_min_f16 v61, v17, v16
	v_pk_max_f16 v17, v24, v24
	v_pk_add_f16 v16, v3, v21
	v_pk_min_f16 v17, v17, v20
	v_pk_add_f16 v12, v12, v22
	v_pk_min_f16 v60, v17, v16
	v_pk_max_f16 v16, v40, v40
	v_pk_add_f16 v13, v13, v23
	v_pk_min_f16 v12, v16, v12
	v_pk_add_f16 v14, v14, v22
	v_pk_min_f16 v59, v12, v13
	v_pk_max_f16 v13, v31, v31
	v_pk_add_f16 v12, v15, v23
	v_pk_min_f16 v13, v13, v14
	v_pk_add_f16 v4, v4, v22
	v_pk_min_f16 v58, v13, v12
	v_pk_max_f16 v12, v54, v54
	v_pk_add_f16 v5, v5, v23
	v_pk_min_f16 v4, v12, v4
	v_pk_add_f16 v6, v6, v22
	v_pk_min_f16 v57, v4, v5
	v_pk_max_f16 v5, v53, v53
	v_pk_add_f16 v4, v7, v23
	v_pk_min_f16 v5, v5, v6
	v_pk_add_f16 v8, v8, v22
	v_pk_min_f16 v56, v5, v4
	v_pk_max_f16 v5, v124, v124
	v_pk_add_f16 v4, v9, v23
	v_pk_min_f16 v5, v5, v8
	v_pk_add_f16 v10, v10, v22
	v_pk_min_f16 v54, v5, v4
	v_pk_max_f16 v5, v55, v55
	v_pk_add_f16 v4, v11, v23
	v_pk_min_f16 v5, v5, v10
	v_pk_add_f16 v0, v0, v22
	v_pk_min_f16 v53, v5, v4
	v_pk_max_f16 v4, v126, v126
	v_pk_add_f16 v1, v1, v23
	v_pk_min_f16 v0, v4, v0
	v_pk_add_f16 v2, v2, v22
	v_pk_min_f16 v52, v0, v1
	v_pk_max_f16 v1, v125, v125
	v_pk_add_f16 v0, v3, v23
	v_pk_min_f16 v1, v1, v2
	s_waitcnt vmcnt(0)
	ds_write_b16 v51, v119
	ds_write_b16 v51, v121 offset:512
	ds_write_b16 v51, v120 offset:1024
	;; [unrolled: 1-line block ×3, first 2 shown]
	ds_write_b16 v104, v122
	v_pk_min_f16 v55, v1, v0
	s_waitcnt lgkmcnt(0)
	s_barrier
	s_cbranch_scc1 .LBB262_50
.LBB262_30:                             ; =>This Inner Loop Header: Depth=1
	v_add_u32_e32 v40, s28, v44
	v_add_u32_e32 v0, 8, v40
	v_cmp_le_i32_e64 s[8:9], s22, v0
	s_nor_b64 s[30:31], vcc, s[8:9]
	v_mov_b32_e32 v41, 0x7c00
	v_lshl_add_u64 v[0:1], v[36:37], 0, v[34:35]
	v_mov_b32_e32 v120, 0x7c00
	s_and_saveexec_b64 s[16:17], s[30:31]
	s_cbranch_execz .LBB262_32
; %bb.31:                               ;   in Loop: Header=BB262_30 Depth=1
	global_load_ushort v120, v[0:1], off
.LBB262_32:                             ;   in Loop: Header=BB262_30 Depth=1
	s_or_b64 exec, exec, s[16:17]
	s_nor_b64 s[30:31], s[12:13], s[8:9]
	s_and_saveexec_b64 s[16:17], s[30:31]
	s_cbranch_execz .LBB262_34
; %bb.33:                               ;   in Loop: Header=BB262_30 Depth=1
	global_load_ushort v41, v[0:1], off offset:128
.LBB262_34:                             ;   in Loop: Header=BB262_30 Depth=1
	s_or_b64 exec, exec, s[16:17]
	s_nor_b64 s[30:31], s[4:5], s[8:9]
	v_mov_b32_e32 v121, 0x7c00
	v_mov_b32_e32 v122, 0x7c00
	s_and_saveexec_b64 s[16:17], s[30:31]
	s_cbranch_execz .LBB262_36
; %bb.35:                               ;   in Loop: Header=BB262_30 Depth=1
	global_load_ushort v122, v[0:1], off offset:256
.LBB262_36:                             ;   in Loop: Header=BB262_30 Depth=1
	s_or_b64 exec, exec, s[16:17]
	s_nor_b64 s[16:17], s[6:7], s[8:9]
	s_and_saveexec_b64 s[8:9], s[16:17]
	s_cbranch_execz .LBB262_38
; %bb.37:                               ;   in Loop: Header=BB262_30 Depth=1
	global_load_ushort v121, v[0:1], off offset:384
.LBB262_38:                             ;   in Loop: Header=BB262_30 Depth=1
	s_or_b64 exec, exec, s[8:9]
	v_add_u32_e32 v124, s28, v47
	v_add_u32_e32 v0, 8, v124
	v_cmp_gt_i32_e64 s[8:9], s22, v0
	s_and_b64 s[16:17], s[8:9], s[14:15]
	v_mov_b32_e32 v119, 0x7c00
	v_mov_b32_e32 v123, 0x7c00
	s_and_saveexec_b64 s[8:9], s[16:17]
	s_cbranch_execz .LBB262_40
; %bb.39:                               ;   in Loop: Header=BB262_30 Depth=1
	global_load_ushort v123, v[32:33], off
.LBB262_40:                             ;   in Loop: Header=BB262_30 Depth=1
	s_or_b64 exec, exec, s[8:9]
	ds_read2_b64 v[16:19], v117 offset1:32
	ds_read2_b64 v[12:15], v117 offset0:64 offset1:96
	ds_read2_b64 v[4:7], v117 offset0:128 offset1:160
	;; [unrolled: 1-line block ×3, first 2 shown]
	ds_read2_b64 v[28:31], v118 offset1:8
	ds_read2_b64 v[24:27], v118 offset0:16 offset1:24
	ds_read2_b64 v[20:23], v118 offset0:32 offset1:40
	;; [unrolled: 1-line block ×3, first 2 shown]
	v_add_u32_e32 v40, 12, v40
	v_cmp_le_i32_e64 s[8:9], s22, v40
	s_waitcnt vmcnt(0)
	ds_write_b16 v48, v120
	ds_write_b16 v48, v41 offset:512
	ds_write_b16 v48, v122 offset:1024
	;; [unrolled: 1-line block ×3, first 2 shown]
	ds_write_b16 v50, v123
	s_nor_b64 s[30:31], vcc, s[8:9]
	v_lshl_add_u64 v[40:41], v[38:39], 0, v[34:35]
	s_waitcnt lgkmcnt(0)
	s_barrier
	s_and_saveexec_b64 s[16:17], s[30:31]
	s_cbranch_execz .LBB262_42
; %bb.41:                               ;   in Loop: Header=BB262_30 Depth=1
	global_load_ushort v119, v[40:41], off
.LBB262_42:                             ;   in Loop: Header=BB262_30 Depth=1
	s_or_b64 exec, exec, s[16:17]
	s_nor_b64 s[30:31], s[12:13], s[8:9]
	v_mov_b32_e32 v120, 0x7c00
	v_mov_b32_e32 v121, 0x7c00
	s_and_saveexec_b64 s[16:17], s[30:31]
	s_cbranch_execz .LBB262_44
; %bb.43:                               ;   in Loop: Header=BB262_30 Depth=1
	global_load_ushort v121, v[40:41], off offset:128
.LBB262_44:                             ;   in Loop: Header=BB262_30 Depth=1
	s_or_b64 exec, exec, s[16:17]
	s_nor_b64 s[30:31], s[4:5], s[8:9]
	s_and_saveexec_b64 s[16:17], s[30:31]
	s_cbranch_execz .LBB262_46
; %bb.45:                               ;   in Loop: Header=BB262_30 Depth=1
	global_load_ushort v120, v[40:41], off offset:256
.LBB262_46:                             ;   in Loop: Header=BB262_30 Depth=1
	s_or_b64 exec, exec, s[16:17]
	s_nor_b64 s[16:17], s[6:7], s[8:9]
	v_mov_b32_e32 v122, 0x7c00
	v_mov_b32_e32 v123, 0x7c00
	s_and_saveexec_b64 s[8:9], s[16:17]
	s_cbranch_execz .LBB262_48
; %bb.47:                               ;   in Loop: Header=BB262_30 Depth=1
	global_load_ushort v123, v[40:41], off offset:384
.LBB262_48:                             ;   in Loop: Header=BB262_30 Depth=1
	s_or_b64 exec, exec, s[8:9]
	v_add_u32_e32 v40, 12, v124
	v_cmp_gt_i32_e64 s[8:9], s22, v40
	s_and_b64 s[16:17], s[8:9], s[14:15]
	s_and_saveexec_b64 s[8:9], s[16:17]
	s_cbranch_execz .LBB262_29
; %bb.49:                               ;   in Loop: Header=BB262_30 Depth=1
	global_load_ushort v122, v[32:33], off offset:8
	s_branch .LBB262_29
.LBB262_50:
	s_load_dwordx2 s[4:5], s[0:1], 0x70
	s_load_dword s29, s[0:1], 0x50
	s_load_dword s28, s[0:1], 0x68
	v_add_u32_e32 v0, 0x800, v46
	v_add_u32_e32 v4, 0x1000, v45
	s_waitcnt lgkmcnt(0)
	s_mul_i32 s1, s5, s3
	s_mul_hi_u32 s5, s4, s3
	s_mul_i32 s0, s4, s3
	s_add_i32 s1, s5, s1
	ds_read2_b64 v[16:19], v0 offset1:32
	ds_read2_b64 v[12:15], v0 offset0:64 offset1:96
	ds_read2_b64 v[8:11], v0 offset0:128 offset1:160
	;; [unrolled: 1-line block ×7, first 2 shown]
	s_lshl_b64 s[0:1], s[0:1], 1
	s_add_u32 s22, s18, s0
	v_add_u32_e32 v104, s34, v43
	s_addc_u32 s23, s19, s1
	v_mad_i64_i32 v[34:35], s[0:1], v104, s29, 0
	v_add_u32_e32 v32, s2, v42
	v_lshl_add_u64 v[50:51], v[34:35], 1, s[24:25]
	v_mad_i64_i32 v[34:35], s[0:1], v104, s28, 0
	v_cmp_gt_i32_e64 s[2:3], s20, v32
	v_cmp_gt_i32_e64 s[18:19], s21, v104
	v_lshl_add_u64 v[48:49], v[34:35], 1, s[22:23]
	v_cndmask_b32_e64 v34, 0, 1, s[26:27]
	v_ashrrev_i32_e32 v33, 31, v32
	s_and_b64 s[6:7], s[2:3], s[18:19]
	v_cmp_ne_u32_e64 s[0:1], 1, v34
	s_and_saveexec_b64 s[4:5], s[6:7]
	s_cbranch_execz .LBB262_56
; %bb.51:
	s_and_b64 vcc, exec, s[0:1]
	s_cbranch_vccnz .LBB262_54
; %bb.52:
	v_lshl_add_u64 v[34:35], v[32:33], 1, v[50:51]
	global_load_ushort v34, v[34:35], off
	s_waitcnt vmcnt(0)
	v_mul_f16_e32 v34, s33, v34
	v_cvt_f32_f16_e32 v34, v34
	s_branch .LBB262_55
.LBB262_53:
	s_mov_b64 s[28:29], 0
	s_andn2_b64 vcc, exec, s[8:9]
	s_mov_b64 s[4:5], -1
	s_cbranch_vccz .LBB262_2
	s_branch .LBB262_3
.LBB262_54:
	v_mov_b32_e32 v34, 0
.LBB262_55:
	s_waitcnt lgkmcnt(3)
	v_pk_add_f16 v35, v16, v28
	v_max_f16_e32 v36, v116, v116
	v_pk_add_f16 v38, v17, v29
	v_min_f16_e32 v36, v36, v35
	v_lshrrev_b32_e32 v37, 16, v116
	v_lshrrev_b32_e32 v35, 16, v35
	;; [unrolled: 1-line block ×3, first 2 shown]
	v_min3_f16 v35, v37, v35, v39
	v_min3_f16 v35, v36, v38, v35
	v_cvt_f32_f16_e32 v35, v35
	v_max_f32_e32 v34, v34, v34
	v_min_f32_e32 v34, v34, v35
	v_cvt_f16_f32_e32 v36, v34
	v_lshl_add_u64 v[34:35], v[32:33], 1, v[48:49]
	global_store_short v[34:35], v36, off
.LBB262_56:
	s_or_b64 exec, exec, s[4:5]
	v_add_u32_e32 v34, 32, v32
	v_cmp_gt_i32_e64 s[4:5], s20, v34
	v_ashrrev_i32_e32 v35, 31, v34
	s_and_b64 s[8:9], s[4:5], s[18:19]
	s_and_saveexec_b64 s[6:7], s[8:9]
	s_cbranch_execz .LBB262_61
; %bb.57:
	s_and_b64 vcc, exec, s[0:1]
	s_cbranch_vccnz .LBB262_59
; %bb.58:
	v_lshl_add_u64 v[36:37], v[34:35], 1, v[50:51]
	global_load_ushort v36, v[36:37], off
	s_waitcnt vmcnt(0)
	v_mul_f16_e32 v36, s33, v36
	v_cvt_f32_f16_e32 v36, v36
	s_branch .LBB262_60
.LBB262_59:
	v_mov_b32_e32 v36, 0
.LBB262_60:
	s_waitcnt lgkmcnt(3)
	v_pk_add_f16 v37, v18, v28
	v_max_f16_e32 v38, v115, v115
	v_pk_add_f16 v40, v19, v29
	v_min_f16_e32 v38, v38, v37
	v_lshrrev_b32_e32 v39, 16, v115
	v_lshrrev_b32_e32 v37, 16, v37
	v_lshrrev_b32_e32 v41, 16, v40
	v_min3_f16 v37, v39, v37, v41
	v_min3_f16 v37, v38, v40, v37
	v_cvt_f32_f16_e32 v37, v37
	v_max_f32_e32 v36, v36, v36
	v_min_f32_e32 v36, v36, v37
	v_cvt_f16_f32_e32 v38, v36
	v_lshl_add_u64 v[36:37], v[34:35], 1, v[48:49]
	global_store_short v[36:37], v38, off
.LBB262_61:
	s_or_b64 exec, exec, s[6:7]
	v_add_u32_e32 v36, 64, v32
	v_cmp_gt_i32_e64 s[6:7], s20, v36
	v_ashrrev_i32_e32 v37, 31, v36
	s_and_b64 s[10:11], s[6:7], s[18:19]
	s_and_saveexec_b64 s[8:9], s[10:11]
	s_cbranch_execz .LBB262_66
; %bb.62:
	s_and_b64 vcc, exec, s[0:1]
	s_cbranch_vccnz .LBB262_64
; %bb.63:
	v_lshl_add_u64 v[38:39], v[36:37], 1, v[50:51]
	global_load_ushort v38, v[38:39], off
	s_waitcnt vmcnt(0)
	v_mul_f16_e32 v38, s33, v38
	v_cvt_f32_f16_e32 v38, v38
	s_branch .LBB262_65
.LBB262_64:
	v_mov_b32_e32 v38, 0
.LBB262_65:
	s_waitcnt lgkmcnt(3)
	v_pk_add_f16 v39, v12, v28
	v_max_f16_e32 v40, v114, v114
	v_pk_add_f16 v42, v13, v29
	v_min_f16_e32 v40, v40, v39
	v_lshrrev_b32_e32 v41, 16, v114
	v_lshrrev_b32_e32 v39, 16, v39
	v_lshrrev_b32_e32 v43, 16, v42
	v_min3_f16 v39, v41, v39, v43
	v_min3_f16 v39, v40, v42, v39
	v_cvt_f32_f16_e32 v39, v39
	v_max_f32_e32 v38, v38, v38
	v_min_f32_e32 v38, v38, v39
	v_cvt_f16_f32_e32 v40, v38
	v_lshl_add_u64 v[38:39], v[36:37], 1, v[48:49]
	global_store_short v[38:39], v40, off
.LBB262_66:
	s_or_b64 exec, exec, s[8:9]
	v_add_u32_e32 v38, 0x60, v32
	v_cmp_gt_i32_e64 s[8:9], s20, v38
	v_ashrrev_i32_e32 v39, 31, v38
	s_and_b64 s[12:13], s[8:9], s[18:19]
	s_and_saveexec_b64 s[10:11], s[12:13]
	s_cbranch_execz .LBB262_71
; %bb.67:
	s_and_b64 vcc, exec, s[0:1]
	s_cbranch_vccnz .LBB262_69
; %bb.68:
	v_lshl_add_u64 v[40:41], v[38:39], 1, v[50:51]
	global_load_ushort v40, v[40:41], off
	s_waitcnt vmcnt(0)
	v_mul_f16_e32 v40, s33, v40
	v_cvt_f32_f16_e32 v40, v40
	s_branch .LBB262_70
.LBB262_69:
	v_mov_b32_e32 v40, 0
.LBB262_70:
	s_waitcnt lgkmcnt(3)
	v_pk_add_f16 v41, v14, v28
	v_max_f16_e32 v42, v113, v113
	v_pk_add_f16 v44, v15, v29
	v_min_f16_e32 v42, v42, v41
	v_lshrrev_b32_e32 v43, 16, v113
	v_lshrrev_b32_e32 v41, 16, v41
	v_lshrrev_b32_e32 v45, 16, v44
	v_min3_f16 v41, v43, v41, v45
	v_min3_f16 v41, v42, v44, v41
	v_cvt_f32_f16_e32 v41, v41
	v_max_f32_e32 v40, v40, v40
	v_min_f32_e32 v40, v40, v41
	v_cvt_f16_f32_e32 v42, v40
	v_lshl_add_u64 v[40:41], v[38:39], 1, v[48:49]
	global_store_short v[40:41], v42, off
.LBB262_71:
	s_or_b64 exec, exec, s[10:11]
	v_add_u32_e32 v40, 0x80, v32
	v_cmp_gt_i32_e64 s[10:11], s20, v40
	v_ashrrev_i32_e32 v41, 31, v40
	s_and_b64 s[14:15], s[10:11], s[18:19]
	s_and_saveexec_b64 s[12:13], s[14:15]
	s_cbranch_execz .LBB262_76
; %bb.72:
	s_and_b64 vcc, exec, s[0:1]
	s_cbranch_vccnz .LBB262_74
; %bb.73:
	v_lshl_add_u64 v[42:43], v[40:41], 1, v[50:51]
	global_load_ushort v42, v[42:43], off
	s_waitcnt vmcnt(0)
	v_mul_f16_e32 v42, s33, v42
	v_cvt_f32_f16_e32 v42, v42
	s_branch .LBB262_75
.LBB262_74:
	v_mov_b32_e32 v42, 0
.LBB262_75:
	s_waitcnt lgkmcnt(3)
	v_pk_add_f16 v43, v8, v28
	v_max_f16_e32 v44, v112, v112
	v_pk_add_f16 v46, v9, v29
	v_min_f16_e32 v44, v44, v43
	v_lshrrev_b32_e32 v45, 16, v112
	v_lshrrev_b32_e32 v43, 16, v43
	v_lshrrev_b32_e32 v47, 16, v46
	v_min3_f16 v43, v45, v43, v47
	v_min3_f16 v43, v44, v46, v43
	v_cvt_f32_f16_e32 v43, v43
	v_max_f32_e32 v42, v42, v42
	v_min_f32_e32 v42, v42, v43
	v_cvt_f16_f32_e32 v44, v42
	v_lshl_add_u64 v[42:43], v[40:41], 1, v[48:49]
	global_store_short v[42:43], v44, off
.LBB262_76:
	s_or_b64 exec, exec, s[12:13]
	v_add_u32_e32 v42, 0xa0, v32
	v_cmp_gt_i32_e64 s[12:13], s20, v42
	v_ashrrev_i32_e32 v43, 31, v42
	s_and_b64 s[16:17], s[12:13], s[18:19]
	s_and_saveexec_b64 s[14:15], s[16:17]
	s_cbranch_execz .LBB262_81
; %bb.77:
	s_and_b64 vcc, exec, s[0:1]
	s_cbranch_vccnz .LBB262_79
; %bb.78:
	v_lshl_add_u64 v[44:45], v[42:43], 1, v[50:51]
	global_load_ushort v44, v[44:45], off
	s_waitcnt vmcnt(0)
	v_mul_f16_e32 v44, s33, v44
	v_cvt_f32_f16_e32 v44, v44
	s_branch .LBB262_80
.LBB262_79:
	v_mov_b32_e32 v44, 0
.LBB262_80:
	s_waitcnt lgkmcnt(3)
	v_pk_add_f16 v45, v10, v28
	v_max_f16_e32 v46, v111, v111
	v_lshrrev_b32_e32 v47, 16, v111
	v_pk_add_f16 v111, v11, v29
	v_min_f16_e32 v46, v46, v45
	v_lshrrev_b32_e32 v45, 16, v45
	v_lshrrev_b32_e32 v112, 16, v111
	v_min3_f16 v45, v47, v45, v112
	v_min3_f16 v45, v46, v111, v45
	v_cvt_f32_f16_e32 v45, v45
	v_max_f32_e32 v44, v44, v44
	v_min_f32_e32 v44, v44, v45
	v_cvt_f16_f32_e32 v46, v44
	v_lshl_add_u64 v[44:45], v[42:43], 1, v[48:49]
	global_store_short v[44:45], v46, off
.LBB262_81:
	s_or_b64 exec, exec, s[14:15]
	v_add_u32_e32 v44, 0xc0, v32
	v_cmp_gt_i32_e64 s[14:15], s20, v44
	v_ashrrev_i32_e32 v45, 31, v44
	s_and_b64 s[26:27], s[14:15], s[18:19]
	s_and_saveexec_b64 s[16:17], s[26:27]
	s_cbranch_execz .LBB262_86
; %bb.82:
	s_and_b64 vcc, exec, s[0:1]
	s_cbranch_vccnz .LBB262_84
; %bb.83:
	v_lshl_add_u64 v[46:47], v[44:45], 1, v[50:51]
	global_load_ushort v46, v[46:47], off
	s_waitcnt vmcnt(0)
	v_mul_f16_e32 v46, s33, v46
	v_cvt_f32_f16_e32 v46, v46
	s_branch .LBB262_85
.LBB262_84:
	v_mov_b32_e32 v46, 0
.LBB262_85:
	s_waitcnt lgkmcnt(3)
	v_pk_add_f16 v47, v0, v28
	v_max_f16_e32 v111, v110, v110
	v_pk_add_f16 v112, v1, v29
	v_min_f16_e32 v111, v111, v47
	v_lshrrev_b32_e32 v110, 16, v110
	v_lshrrev_b32_e32 v47, 16, v47
	;; [unrolled: 1-line block ×3, first 2 shown]
	v_min3_f16 v47, v110, v47, v113
	v_min3_f16 v47, v111, v112, v47
	v_cvt_f32_f16_e32 v47, v47
	v_max_f32_e32 v46, v46, v46
	v_min_f32_e32 v46, v46, v47
	v_cvt_f16_f32_e32 v110, v46
	v_lshl_add_u64 v[46:47], v[44:45], 1, v[48:49]
	global_store_short v[46:47], v110, off
.LBB262_86:
	s_or_b64 exec, exec, s[16:17]
	v_add_u32_e32 v46, 0xe0, v32
	v_cmp_gt_i32_e64 s[16:17], s20, v46
	v_ashrrev_i32_e32 v47, 31, v46
	s_and_b64 s[26:27], s[16:17], s[18:19]
	s_and_saveexec_b64 s[18:19], s[26:27]
	s_cbranch_execz .LBB262_91
; %bb.87:
	s_and_b64 vcc, exec, s[0:1]
	s_cbranch_vccnz .LBB262_89
; %bb.88:
	v_lshl_add_u64 v[50:51], v[46:47], 1, v[50:51]
	global_load_ushort v50, v[50:51], off
	s_waitcnt vmcnt(0)
	v_mul_f16_e32 v50, s33, v50
	v_cvt_f32_f16_e32 v50, v50
	s_branch .LBB262_90
.LBB262_89:
	v_mov_b32_e32 v50, 0
.LBB262_90:
	s_waitcnt lgkmcnt(3)
	v_pk_add_f16 v28, v2, v28
	v_max_f16_e32 v51, v109, v109
	v_pk_add_f16 v29, v3, v29
	v_min_f16_e32 v51, v51, v28
	v_lshrrev_b32_e32 v109, 16, v109
	v_lshrrev_b32_e32 v28, 16, v28
	;; [unrolled: 1-line block ×3, first 2 shown]
	v_min3_f16 v28, v109, v28, v110
	v_min3_f16 v28, v51, v29, v28
	v_cvt_f32_f16_e32 v28, v28
	v_max_f32_e32 v29, v50, v50
	v_min_f32_e32 v28, v29, v28
	v_cvt_f16_f32_e32 v50, v28
	v_lshl_add_u64 v[28:29], v[46:47], 1, v[48:49]
	global_store_short v[28:29], v50, off
.LBB262_91:
	s_or_b64 exec, exec, s[18:19]
	v_add_u32_e32 v50, 8, v104
	s_waitcnt lgkmcnt(3)
	v_mad_i64_i32 v[28:29], s[26:27], v50, s29, 0
	v_cmp_gt_i32_e64 s[18:19], s21, v50
	v_lshl_add_u64 v[48:49], v[28:29], 1, s[24:25]
	v_mad_i64_i32 v[28:29], s[26:27], v50, s28, 0
	v_lshl_add_u64 v[28:29], v[28:29], 1, s[22:23]
	s_and_b64 s[30:31], s[2:3], s[18:19]
	s_and_saveexec_b64 s[26:27], s[30:31]
	s_cbranch_execnz .LBB262_99
; %bb.92:
	s_or_b64 exec, exec, s[26:27]
	s_and_b64 s[30:31], s[4:5], s[18:19]
	s_and_saveexec_b64 s[26:27], s[30:31]
	s_cbranch_execnz .LBB262_103
.LBB262_93:
	s_or_b64 exec, exec, s[26:27]
	s_and_b64 s[30:31], s[6:7], s[18:19]
	s_and_saveexec_b64 s[26:27], s[30:31]
	s_cbranch_execnz .LBB262_107
.LBB262_94:
	s_or_b64 exec, exec, s[26:27]
	s_and_b64 s[30:31], s[8:9], s[18:19]
	s_and_saveexec_b64 s[26:27], s[30:31]
	s_cbranch_execnz .LBB262_111
.LBB262_95:
	s_or_b64 exec, exec, s[26:27]
	s_and_b64 s[30:31], s[10:11], s[18:19]
	s_and_saveexec_b64 s[26:27], s[30:31]
	s_cbranch_execnz .LBB262_115
.LBB262_96:
	s_or_b64 exec, exec, s[26:27]
	s_and_b64 s[30:31], s[12:13], s[18:19]
	s_and_saveexec_b64 s[26:27], s[30:31]
	s_cbranch_execnz .LBB262_119
.LBB262_97:
	s_or_b64 exec, exec, s[26:27]
	s_and_b64 s[30:31], s[14:15], s[18:19]
	s_and_saveexec_b64 s[26:27], s[30:31]
	s_cbranch_execnz .LBB262_123
.LBB262_98:
	s_or_b64 exec, exec, s[26:27]
	s_and_b64 s[26:27], s[16:17], s[18:19]
	s_and_saveexec_b64 s[18:19], s[26:27]
	s_cbranch_execnz .LBB262_127
	s_branch .LBB262_131
.LBB262_99:
	s_and_b64 vcc, exec, s[0:1]
	s_cbranch_vccnz .LBB262_101
; %bb.100:
	v_lshl_add_u64 v[50:51], v[32:33], 1, v[48:49]
	global_load_ushort v50, v[50:51], off
	s_waitcnt vmcnt(0)
	v_mul_f16_e32 v50, s33, v50
	v_cvt_f32_f16_e32 v50, v50
	s_branch .LBB262_102
.LBB262_101:
	v_mov_b32_e32 v50, 0
.LBB262_102:
	v_pk_add_f16 v51, v16, v30
	v_max_f16_e32 v109, v108, v108
	v_pk_add_f16 v110, v17, v31
	v_min_f16_e32 v109, v109, v51
	v_lshrrev_b32_e32 v108, 16, v108
	v_lshrrev_b32_e32 v51, 16, v51
	;; [unrolled: 1-line block ×3, first 2 shown]
	v_min3_f16 v51, v108, v51, v111
	v_min3_f16 v51, v109, v110, v51
	v_cvt_f32_f16_e32 v51, v51
	v_max_f32_e32 v50, v50, v50
	v_min_f32_e32 v50, v50, v51
	v_cvt_f16_f32_e32 v108, v50
	v_lshl_add_u64 v[50:51], v[32:33], 1, v[28:29]
	global_store_short v[50:51], v108, off
	s_or_b64 exec, exec, s[26:27]
	s_and_b64 s[30:31], s[4:5], s[18:19]
	s_and_saveexec_b64 s[26:27], s[30:31]
	s_cbranch_execz .LBB262_93
.LBB262_103:
	s_and_b64 vcc, exec, s[0:1]
	s_cbranch_vccnz .LBB262_105
; %bb.104:
	v_lshl_add_u64 v[50:51], v[34:35], 1, v[48:49]
	global_load_ushort v50, v[50:51], off
	s_waitcnt vmcnt(0)
	v_mul_f16_e32 v50, s33, v50
	v_cvt_f32_f16_e32 v50, v50
	s_branch .LBB262_106
.LBB262_105:
	v_mov_b32_e32 v50, 0
.LBB262_106:
	v_pk_add_f16 v51, v18, v30
	v_max_f16_e32 v108, v107, v107
	v_pk_add_f16 v109, v19, v31
	v_min_f16_e32 v108, v108, v51
	v_lshrrev_b32_e32 v107, 16, v107
	v_lshrrev_b32_e32 v51, 16, v51
	;; [unrolled: 1-line block ×3, first 2 shown]
	v_min3_f16 v51, v107, v51, v110
	v_min3_f16 v51, v108, v109, v51
	v_cvt_f32_f16_e32 v51, v51
	v_max_f32_e32 v50, v50, v50
	v_min_f32_e32 v50, v50, v51
	v_cvt_f16_f32_e32 v107, v50
	v_lshl_add_u64 v[50:51], v[34:35], 1, v[28:29]
	global_store_short v[50:51], v107, off
	s_or_b64 exec, exec, s[26:27]
	s_and_b64 s[30:31], s[6:7], s[18:19]
	s_and_saveexec_b64 s[26:27], s[30:31]
	s_cbranch_execz .LBB262_94
.LBB262_107:
	s_and_b64 vcc, exec, s[0:1]
	s_cbranch_vccnz .LBB262_109
; %bb.108:
	v_lshl_add_u64 v[50:51], v[36:37], 1, v[48:49]
	global_load_ushort v50, v[50:51], off
	s_waitcnt vmcnt(0)
	v_mul_f16_e32 v50, s33, v50
	v_cvt_f32_f16_e32 v50, v50
	s_branch .LBB262_110
.LBB262_109:
	v_mov_b32_e32 v50, 0
.LBB262_110:
	v_pk_add_f16 v51, v12, v30
	v_max_f16_e32 v107, v106, v106
	v_pk_add_f16 v108, v13, v31
	v_min_f16_e32 v107, v107, v51
	v_lshrrev_b32_e32 v106, 16, v106
	v_lshrrev_b32_e32 v51, 16, v51
	;; [unrolled: 1-line block ×3, first 2 shown]
	v_min3_f16 v51, v106, v51, v109
	v_min3_f16 v51, v107, v108, v51
	v_cvt_f32_f16_e32 v51, v51
	v_max_f32_e32 v50, v50, v50
	v_min_f32_e32 v50, v50, v51
	v_cvt_f16_f32_e32 v106, v50
	v_lshl_add_u64 v[50:51], v[36:37], 1, v[28:29]
	global_store_short v[50:51], v106, off
	s_or_b64 exec, exec, s[26:27]
	s_and_b64 s[30:31], s[8:9], s[18:19]
	s_and_saveexec_b64 s[26:27], s[30:31]
	s_cbranch_execz .LBB262_95
.LBB262_111:
	s_and_b64 vcc, exec, s[0:1]
	s_cbranch_vccnz .LBB262_113
; %bb.112:
	v_lshl_add_u64 v[50:51], v[38:39], 1, v[48:49]
	global_load_ushort v50, v[50:51], off
	s_waitcnt vmcnt(0)
	v_mul_f16_e32 v50, s33, v50
	v_cvt_f32_f16_e32 v50, v50
	s_branch .LBB262_114
.LBB262_113:
	v_mov_b32_e32 v50, 0
.LBB262_114:
	v_pk_add_f16 v51, v14, v30
	v_max_f16_e32 v106, v105, v105
	v_pk_add_f16 v107, v15, v31
	v_min_f16_e32 v106, v106, v51
	v_lshrrev_b32_e32 v105, 16, v105
	v_lshrrev_b32_e32 v51, 16, v51
	;; [unrolled: 1-line block ×3, first 2 shown]
	v_min3_f16 v51, v105, v51, v108
	v_min3_f16 v51, v106, v107, v51
	v_cvt_f32_f16_e32 v51, v51
	v_max_f32_e32 v50, v50, v50
	v_min_f32_e32 v50, v50, v51
	v_cvt_f16_f32_e32 v105, v50
	v_lshl_add_u64 v[50:51], v[38:39], 1, v[28:29]
	global_store_short v[50:51], v105, off
	s_or_b64 exec, exec, s[26:27]
	s_and_b64 s[30:31], s[10:11], s[18:19]
	s_and_saveexec_b64 s[26:27], s[30:31]
	s_cbranch_execz .LBB262_96
.LBB262_115:
	s_and_b64 vcc, exec, s[0:1]
	s_cbranch_vccnz .LBB262_117
; %bb.116:
	v_lshl_add_u64 v[50:51], v[40:41], 1, v[48:49]
	global_load_ushort v50, v[50:51], off
	s_waitcnt vmcnt(0)
	v_mul_f16_e32 v50, s33, v50
	v_cvt_f32_f16_e32 v50, v50
	s_branch .LBB262_118
.LBB262_117:
	v_mov_b32_e32 v50, 0
.LBB262_118:
	v_pk_add_f16 v51, v8, v30
	v_max_f16_e32 v105, v102, v102
	v_pk_add_f16 v106, v9, v31
	v_min_f16_e32 v105, v105, v51
	v_lshrrev_b32_e32 v102, 16, v102
	v_lshrrev_b32_e32 v51, 16, v51
	;; [unrolled: 1-line block ×3, first 2 shown]
	v_min3_f16 v51, v102, v51, v107
	v_min3_f16 v51, v105, v106, v51
	v_cvt_f32_f16_e32 v51, v51
	v_max_f32_e32 v50, v50, v50
	v_min_f32_e32 v50, v50, v51
	v_cvt_f16_f32_e32 v102, v50
	v_lshl_add_u64 v[50:51], v[40:41], 1, v[28:29]
	global_store_short v[50:51], v102, off
	s_or_b64 exec, exec, s[26:27]
	s_and_b64 s[30:31], s[12:13], s[18:19]
	s_and_saveexec_b64 s[26:27], s[30:31]
	s_cbranch_execz .LBB262_97
.LBB262_119:
	s_and_b64 vcc, exec, s[0:1]
	s_cbranch_vccnz .LBB262_121
; %bb.120:
	v_lshl_add_u64 v[50:51], v[42:43], 1, v[48:49]
	global_load_ushort v50, v[50:51], off
	s_waitcnt vmcnt(0)
	v_mul_f16_e32 v50, s33, v50
	v_cvt_f32_f16_e32 v50, v50
	s_branch .LBB262_122
.LBB262_121:
	v_mov_b32_e32 v50, 0
.LBB262_122:
	v_pk_add_f16 v51, v10, v30
	v_max_f16_e32 v102, v100, v100
	v_pk_add_f16 v105, v11, v31
	v_min_f16_e32 v102, v102, v51
	v_lshrrev_b32_e32 v100, 16, v100
	v_lshrrev_b32_e32 v51, 16, v51
	;; [unrolled: 1-line block ×3, first 2 shown]
	v_min3_f16 v51, v100, v51, v106
	v_min3_f16 v51, v102, v105, v51
	v_cvt_f32_f16_e32 v51, v51
	v_max_f32_e32 v50, v50, v50
	v_min_f32_e32 v50, v50, v51
	v_cvt_f16_f32_e32 v100, v50
	v_lshl_add_u64 v[50:51], v[42:43], 1, v[28:29]
	global_store_short v[50:51], v100, off
	s_or_b64 exec, exec, s[26:27]
	s_and_b64 s[30:31], s[14:15], s[18:19]
	s_and_saveexec_b64 s[26:27], s[30:31]
	s_cbranch_execz .LBB262_98
.LBB262_123:
	s_and_b64 vcc, exec, s[0:1]
	s_cbranch_vccnz .LBB262_125
; %bb.124:
	v_lshl_add_u64 v[50:51], v[44:45], 1, v[48:49]
	global_load_ushort v50, v[50:51], off
	s_waitcnt vmcnt(0)
	v_mul_f16_e32 v50, s33, v50
	v_cvt_f32_f16_e32 v50, v50
	s_branch .LBB262_126
.LBB262_125:
	v_mov_b32_e32 v50, 0
.LBB262_126:
	v_pk_add_f16 v51, v0, v30
	v_max_f16_e32 v100, v98, v98
	v_pk_add_f16 v102, v1, v31
	v_min_f16_e32 v100, v100, v51
	v_lshrrev_b32_e32 v98, 16, v98
	v_lshrrev_b32_e32 v51, 16, v51
	v_lshrrev_b32_e32 v105, 16, v102
	v_min3_f16 v51, v98, v51, v105
	v_min3_f16 v51, v100, v102, v51
	v_cvt_f32_f16_e32 v51, v51
	v_max_f32_e32 v50, v50, v50
	v_min_f32_e32 v50, v50, v51
	v_cvt_f16_f32_e32 v98, v50
	v_lshl_add_u64 v[50:51], v[44:45], 1, v[28:29]
	global_store_short v[50:51], v98, off
	s_or_b64 exec, exec, s[26:27]
	s_and_b64 s[26:27], s[16:17], s[18:19]
	s_and_saveexec_b64 s[18:19], s[26:27]
	s_cbranch_execz .LBB262_131
.LBB262_127:
	s_and_b64 vcc, exec, s[0:1]
	s_cbranch_vccnz .LBB262_129
; %bb.128:
	v_lshl_add_u64 v[48:49], v[46:47], 1, v[48:49]
	global_load_ushort v48, v[48:49], off
	s_waitcnt vmcnt(0)
	v_mul_f16_e32 v48, s33, v48
	v_cvt_f32_f16_e32 v48, v48
	s_branch .LBB262_130
.LBB262_129:
	v_mov_b32_e32 v48, 0
.LBB262_130:
	v_pk_add_f16 v30, v2, v30
	v_max_f16_e32 v49, v96, v96
	v_pk_add_f16 v31, v3, v31
	v_min_f16_e32 v49, v49, v30
	v_lshrrev_b32_e32 v50, 16, v96
	v_lshrrev_b32_e32 v30, 16, v30
	;; [unrolled: 1-line block ×3, first 2 shown]
	v_min3_f16 v30, v50, v30, v51
	v_min3_f16 v30, v49, v31, v30
	v_cvt_f32_f16_e32 v30, v30
	v_max_f32_e32 v31, v48, v48
	v_lshl_add_u64 v[28:29], v[46:47], 1, v[28:29]
	v_min_f32_e32 v30, v31, v30
	v_cvt_f16_f32_e32 v30, v30
	global_store_short v[28:29], v30, off
.LBB262_131:
	s_or_b64 exec, exec, s[18:19]
	v_add_u32_e32 v48, 16, v104
	v_mad_i64_i32 v[28:29], s[26:27], v48, s29, 0
	v_cmp_gt_i32_e64 s[18:19], s21, v48
	v_lshl_add_u64 v[30:31], v[28:29], 1, s[24:25]
	v_mad_i64_i32 v[28:29], s[26:27], v48, s28, 0
	v_lshl_add_u64 v[28:29], v[28:29], 1, s[22:23]
	s_and_b64 s[30:31], s[2:3], s[18:19]
	s_and_saveexec_b64 s[26:27], s[30:31]
	s_cbranch_execnz .LBB262_139
; %bb.132:
	s_or_b64 exec, exec, s[26:27]
	s_and_b64 s[30:31], s[4:5], s[18:19]
	s_and_saveexec_b64 s[26:27], s[30:31]
	s_cbranch_execnz .LBB262_143
.LBB262_133:
	s_or_b64 exec, exec, s[26:27]
	s_and_b64 s[30:31], s[6:7], s[18:19]
	s_and_saveexec_b64 s[26:27], s[30:31]
	s_cbranch_execnz .LBB262_147
.LBB262_134:
	s_or_b64 exec, exec, s[26:27]
	s_and_b64 s[30:31], s[8:9], s[18:19]
	s_and_saveexec_b64 s[26:27], s[30:31]
	s_cbranch_execnz .LBB262_151
.LBB262_135:
	s_or_b64 exec, exec, s[26:27]
	s_and_b64 s[30:31], s[10:11], s[18:19]
	s_and_saveexec_b64 s[26:27], s[30:31]
	s_cbranch_execnz .LBB262_155
.LBB262_136:
	s_or_b64 exec, exec, s[26:27]
	s_and_b64 s[30:31], s[12:13], s[18:19]
	s_and_saveexec_b64 s[26:27], s[30:31]
	s_cbranch_execnz .LBB262_159
.LBB262_137:
	s_or_b64 exec, exec, s[26:27]
	s_and_b64 s[30:31], s[14:15], s[18:19]
	s_and_saveexec_b64 s[26:27], s[30:31]
	s_cbranch_execnz .LBB262_163
.LBB262_138:
	s_or_b64 exec, exec, s[26:27]
	s_and_b64 s[26:27], s[16:17], s[18:19]
	s_and_saveexec_b64 s[18:19], s[26:27]
	s_cbranch_execnz .LBB262_167
	s_branch .LBB262_171
.LBB262_139:
	s_and_b64 vcc, exec, s[0:1]
	s_cbranch_vccnz .LBB262_141
; %bb.140:
	v_lshl_add_u64 v[48:49], v[32:33], 1, v[30:31]
	global_load_ushort v48, v[48:49], off
	s_waitcnt vmcnt(0)
	v_mul_f16_e32 v48, s33, v48
	v_cvt_f32_f16_e32 v48, v48
	s_branch .LBB262_142
.LBB262_141:
	v_mov_b32_e32 v48, 0
.LBB262_142:
	s_waitcnt lgkmcnt(2)
	v_pk_add_f16 v49, v16, v24
	v_max_f16_e32 v50, v95, v95
	v_lshrrev_b32_e32 v51, 16, v95
	v_pk_add_f16 v95, v17, v25
	v_min_f16_e32 v50, v50, v49
	v_lshrrev_b32_e32 v49, 16, v49
	v_lshrrev_b32_e32 v96, 16, v95
	v_min3_f16 v49, v51, v49, v96
	v_min3_f16 v49, v50, v95, v49
	v_cvt_f32_f16_e32 v49, v49
	v_max_f32_e32 v48, v48, v48
	v_min_f32_e32 v48, v48, v49
	v_cvt_f16_f32_e32 v50, v48
	v_lshl_add_u64 v[48:49], v[32:33], 1, v[28:29]
	global_store_short v[48:49], v50, off
	s_or_b64 exec, exec, s[26:27]
	s_and_b64 s[30:31], s[4:5], s[18:19]
	s_and_saveexec_b64 s[26:27], s[30:31]
	s_cbranch_execz .LBB262_133
.LBB262_143:
	s_and_b64 vcc, exec, s[0:1]
	s_cbranch_vccnz .LBB262_145
; %bb.144:
	v_lshl_add_u64 v[48:49], v[34:35], 1, v[30:31]
	global_load_ushort v48, v[48:49], off
	s_waitcnt vmcnt(0)
	v_mul_f16_e32 v48, s33, v48
	v_cvt_f32_f16_e32 v48, v48
	s_branch .LBB262_146
.LBB262_145:
	v_mov_b32_e32 v48, 0
.LBB262_146:
	s_waitcnt lgkmcnt(2)
	v_pk_add_f16 v49, v18, v24
	v_max_f16_e32 v50, v92, v92
	v_lshrrev_b32_e32 v51, 16, v92
	v_pk_add_f16 v92, v19, v25
	v_min_f16_e32 v50, v50, v49
	v_lshrrev_b32_e32 v49, 16, v49
	v_lshrrev_b32_e32 v95, 16, v92
	v_min3_f16 v49, v51, v49, v95
	v_min3_f16 v49, v50, v92, v49
	v_cvt_f32_f16_e32 v49, v49
	v_max_f32_e32 v48, v48, v48
	v_min_f32_e32 v48, v48, v49
	v_cvt_f16_f32_e32 v50, v48
	v_lshl_add_u64 v[48:49], v[34:35], 1, v[28:29]
	global_store_short v[48:49], v50, off
	s_or_b64 exec, exec, s[26:27]
	s_and_b64 s[30:31], s[6:7], s[18:19]
	s_and_saveexec_b64 s[26:27], s[30:31]
	s_cbranch_execz .LBB262_134
.LBB262_147:
	s_and_b64 vcc, exec, s[0:1]
	s_cbranch_vccnz .LBB262_149
; %bb.148:
	v_lshl_add_u64 v[48:49], v[36:37], 1, v[30:31]
	global_load_ushort v48, v[48:49], off
	s_waitcnt vmcnt(0)
	v_mul_f16_e32 v48, s33, v48
	v_cvt_f32_f16_e32 v48, v48
	s_branch .LBB262_150
.LBB262_149:
	v_mov_b32_e32 v48, 0
.LBB262_150:
	s_waitcnt lgkmcnt(2)
	v_pk_add_f16 v49, v12, v24
	v_max_f16_e32 v50, v90, v90
	v_lshrrev_b32_e32 v51, 16, v90
	v_pk_add_f16 v90, v13, v25
	v_min_f16_e32 v50, v50, v49
	v_lshrrev_b32_e32 v49, 16, v49
	v_lshrrev_b32_e32 v92, 16, v90
	v_min3_f16 v49, v51, v49, v92
	v_min3_f16 v49, v50, v90, v49
	v_cvt_f32_f16_e32 v49, v49
	v_max_f32_e32 v48, v48, v48
	v_min_f32_e32 v48, v48, v49
	v_cvt_f16_f32_e32 v50, v48
	v_lshl_add_u64 v[48:49], v[36:37], 1, v[28:29]
	global_store_short v[48:49], v50, off
	s_or_b64 exec, exec, s[26:27]
	s_and_b64 s[30:31], s[8:9], s[18:19]
	s_and_saveexec_b64 s[26:27], s[30:31]
	s_cbranch_execz .LBB262_135
.LBB262_151:
	s_and_b64 vcc, exec, s[0:1]
	s_cbranch_vccnz .LBB262_153
; %bb.152:
	v_lshl_add_u64 v[48:49], v[38:39], 1, v[30:31]
	global_load_ushort v48, v[48:49], off
	s_waitcnt vmcnt(0)
	v_mul_f16_e32 v48, s33, v48
	v_cvt_f32_f16_e32 v48, v48
	s_branch .LBB262_154
.LBB262_153:
	v_mov_b32_e32 v48, 0
.LBB262_154:
	s_waitcnt lgkmcnt(2)
	v_pk_add_f16 v49, v14, v24
	v_max_f16_e32 v50, v88, v88
	v_lshrrev_b32_e32 v51, 16, v88
	v_pk_add_f16 v88, v15, v25
	v_min_f16_e32 v50, v50, v49
	v_lshrrev_b32_e32 v49, 16, v49
	v_lshrrev_b32_e32 v90, 16, v88
	v_min3_f16 v49, v51, v49, v90
	v_min3_f16 v49, v50, v88, v49
	v_cvt_f32_f16_e32 v49, v49
	v_max_f32_e32 v48, v48, v48
	v_min_f32_e32 v48, v48, v49
	v_cvt_f16_f32_e32 v50, v48
	v_lshl_add_u64 v[48:49], v[38:39], 1, v[28:29]
	global_store_short v[48:49], v50, off
	s_or_b64 exec, exec, s[26:27]
	s_and_b64 s[30:31], s[10:11], s[18:19]
	s_and_saveexec_b64 s[26:27], s[30:31]
	s_cbranch_execz .LBB262_136
.LBB262_155:
	s_and_b64 vcc, exec, s[0:1]
	s_cbranch_vccnz .LBB262_157
; %bb.156:
	v_lshl_add_u64 v[48:49], v[40:41], 1, v[30:31]
	global_load_ushort v48, v[48:49], off
	s_waitcnt vmcnt(0)
	v_mul_f16_e32 v48, s33, v48
	v_cvt_f32_f16_e32 v48, v48
	s_branch .LBB262_158
.LBB262_157:
	v_mov_b32_e32 v48, 0
.LBB262_158:
	s_waitcnt lgkmcnt(2)
	v_pk_add_f16 v49, v8, v24
	v_max_f16_e32 v50, v86, v86
	v_lshrrev_b32_e32 v51, 16, v86
	v_pk_add_f16 v86, v9, v25
	v_min_f16_e32 v50, v50, v49
	v_lshrrev_b32_e32 v49, 16, v49
	v_lshrrev_b32_e32 v88, 16, v86
	v_min3_f16 v49, v51, v49, v88
	v_min3_f16 v49, v50, v86, v49
	v_cvt_f32_f16_e32 v49, v49
	v_max_f32_e32 v48, v48, v48
	v_min_f32_e32 v48, v48, v49
	v_cvt_f16_f32_e32 v50, v48
	v_lshl_add_u64 v[48:49], v[40:41], 1, v[28:29]
	global_store_short v[48:49], v50, off
	s_or_b64 exec, exec, s[26:27]
	s_and_b64 s[30:31], s[12:13], s[18:19]
	s_and_saveexec_b64 s[26:27], s[30:31]
	s_cbranch_execz .LBB262_137
.LBB262_159:
	s_and_b64 vcc, exec, s[0:1]
	s_cbranch_vccnz .LBB262_161
; %bb.160:
	v_lshl_add_u64 v[48:49], v[42:43], 1, v[30:31]
	global_load_ushort v48, v[48:49], off
	s_waitcnt vmcnt(0)
	v_mul_f16_e32 v48, s33, v48
	v_cvt_f32_f16_e32 v48, v48
	s_branch .LBB262_162
.LBB262_161:
	v_mov_b32_e32 v48, 0
.LBB262_162:
	s_waitcnt lgkmcnt(2)
	v_pk_add_f16 v49, v10, v24
	v_max_f16_e32 v50, v103, v103
	v_pk_add_f16 v86, v11, v25
	v_min_f16_e32 v50, v50, v49
	v_lshrrev_b32_e32 v51, 16, v103
	v_lshrrev_b32_e32 v49, 16, v49
	;; [unrolled: 1-line block ×3, first 2 shown]
	v_min3_f16 v49, v51, v49, v88
	v_min3_f16 v49, v50, v86, v49
	v_cvt_f32_f16_e32 v49, v49
	v_max_f32_e32 v48, v48, v48
	v_min_f32_e32 v48, v48, v49
	v_cvt_f16_f32_e32 v50, v48
	v_lshl_add_u64 v[48:49], v[42:43], 1, v[28:29]
	global_store_short v[48:49], v50, off
	s_or_b64 exec, exec, s[26:27]
	s_and_b64 s[30:31], s[14:15], s[18:19]
	s_and_saveexec_b64 s[26:27], s[30:31]
	s_cbranch_execz .LBB262_138
.LBB262_163:
	s_and_b64 vcc, exec, s[0:1]
	s_cbranch_vccnz .LBB262_165
; %bb.164:
	v_lshl_add_u64 v[48:49], v[44:45], 1, v[30:31]
	global_load_ushort v48, v[48:49], off
	s_waitcnt vmcnt(0)
	v_mul_f16_e32 v48, s33, v48
	v_cvt_f32_f16_e32 v48, v48
	s_branch .LBB262_166
.LBB262_165:
	v_mov_b32_e32 v48, 0
.LBB262_166:
	s_waitcnt lgkmcnt(2)
	v_pk_add_f16 v49, v0, v24
	v_max_f16_e32 v50, v101, v101
	v_pk_add_f16 v86, v1, v25
	v_min_f16_e32 v50, v50, v49
	v_lshrrev_b32_e32 v51, 16, v101
	v_lshrrev_b32_e32 v49, 16, v49
	;; [unrolled: 1-line block ×3, first 2 shown]
	v_min3_f16 v49, v51, v49, v88
	v_min3_f16 v49, v50, v86, v49
	v_cvt_f32_f16_e32 v49, v49
	v_max_f32_e32 v48, v48, v48
	v_min_f32_e32 v48, v48, v49
	v_cvt_f16_f32_e32 v50, v48
	v_lshl_add_u64 v[48:49], v[44:45], 1, v[28:29]
	global_store_short v[48:49], v50, off
	s_or_b64 exec, exec, s[26:27]
	s_and_b64 s[26:27], s[16:17], s[18:19]
	s_and_saveexec_b64 s[18:19], s[26:27]
	s_cbranch_execz .LBB262_171
.LBB262_167:
	s_and_b64 vcc, exec, s[0:1]
	s_cbranch_vccnz .LBB262_169
; %bb.168:
	v_lshl_add_u64 v[30:31], v[46:47], 1, v[30:31]
	global_load_ushort v30, v[30:31], off
	s_waitcnt vmcnt(0)
	v_mul_f16_e32 v30, s33, v30
	v_cvt_f32_f16_e32 v30, v30
	s_branch .LBB262_170
.LBB262_169:
	v_mov_b32_e32 v30, 0
.LBB262_170:
	s_waitcnt lgkmcnt(2)
	v_pk_add_f16 v24, v2, v24
	v_max_f16_e32 v31, v99, v99
	v_pk_add_f16 v25, v3, v25
	v_min_f16_e32 v31, v31, v24
	v_lshrrev_b32_e32 v48, 16, v99
	v_lshrrev_b32_e32 v24, 16, v24
	;; [unrolled: 1-line block ×3, first 2 shown]
	v_min3_f16 v24, v48, v24, v49
	v_min3_f16 v24, v31, v25, v24
	v_cvt_f32_f16_e32 v24, v24
	v_max_f32_e32 v25, v30, v30
	v_min_f32_e32 v24, v25, v24
	v_cvt_f16_f32_e32 v30, v24
	v_lshl_add_u64 v[24:25], v[46:47], 1, v[28:29]
	global_store_short v[24:25], v30, off
.LBB262_171:
	s_or_b64 exec, exec, s[18:19]
	v_add_u32_e32 v30, 24, v104
	s_waitcnt lgkmcnt(2)
	v_mad_i64_i32 v[24:25], s[26:27], v30, s29, 0
	v_cmp_gt_i32_e64 s[18:19], s21, v30
	v_lshl_add_u64 v[28:29], v[24:25], 1, s[24:25]
	v_mad_i64_i32 v[24:25], s[26:27], v30, s28, 0
	v_lshl_add_u64 v[24:25], v[24:25], 1, s[22:23]
	s_and_b64 s[30:31], s[2:3], s[18:19]
	s_and_saveexec_b64 s[26:27], s[30:31]
	s_cbranch_execnz .LBB262_179
; %bb.172:
	s_or_b64 exec, exec, s[26:27]
	s_and_b64 s[30:31], s[4:5], s[18:19]
	s_and_saveexec_b64 s[26:27], s[30:31]
	s_cbranch_execnz .LBB262_183
.LBB262_173:
	s_or_b64 exec, exec, s[26:27]
	s_and_b64 s[30:31], s[6:7], s[18:19]
	s_and_saveexec_b64 s[26:27], s[30:31]
	s_cbranch_execnz .LBB262_187
.LBB262_174:
	s_or_b64 exec, exec, s[26:27]
	s_and_b64 s[30:31], s[8:9], s[18:19]
	s_and_saveexec_b64 s[26:27], s[30:31]
	s_cbranch_execnz .LBB262_191
.LBB262_175:
	s_or_b64 exec, exec, s[26:27]
	s_and_b64 s[30:31], s[10:11], s[18:19]
	s_and_saveexec_b64 s[26:27], s[30:31]
	s_cbranch_execnz .LBB262_195
.LBB262_176:
	s_or_b64 exec, exec, s[26:27]
	s_and_b64 s[30:31], s[12:13], s[18:19]
	s_and_saveexec_b64 s[26:27], s[30:31]
	s_cbranch_execnz .LBB262_199
.LBB262_177:
	s_or_b64 exec, exec, s[26:27]
	s_and_b64 s[30:31], s[14:15], s[18:19]
	s_and_saveexec_b64 s[26:27], s[30:31]
	s_cbranch_execnz .LBB262_203
.LBB262_178:
	s_or_b64 exec, exec, s[26:27]
	s_and_b64 s[26:27], s[16:17], s[18:19]
	s_and_saveexec_b64 s[18:19], s[26:27]
	s_cbranch_execnz .LBB262_207
	s_branch .LBB262_211
.LBB262_179:
	s_and_b64 vcc, exec, s[0:1]
	s_cbranch_vccnz .LBB262_181
; %bb.180:
	v_lshl_add_u64 v[30:31], v[32:33], 1, v[28:29]
	global_load_ushort v30, v[30:31], off
	s_waitcnt vmcnt(0)
	v_mul_f16_e32 v30, s33, v30
	v_cvt_f32_f16_e32 v30, v30
	s_branch .LBB262_182
.LBB262_181:
	v_mov_b32_e32 v30, 0
.LBB262_182:
	v_pk_add_f16 v31, v16, v26
	v_max_f16_e32 v48, v97, v97
	v_pk_add_f16 v50, v17, v27
	v_min_f16_e32 v48, v48, v31
	v_lshrrev_b32_e32 v49, 16, v97
	v_lshrrev_b32_e32 v31, 16, v31
	;; [unrolled: 1-line block ×3, first 2 shown]
	v_min3_f16 v31, v49, v31, v51
	v_min3_f16 v31, v48, v50, v31
	v_cvt_f32_f16_e32 v31, v31
	v_max_f32_e32 v30, v30, v30
	v_min_f32_e32 v30, v30, v31
	v_cvt_f16_f32_e32 v48, v30
	v_lshl_add_u64 v[30:31], v[32:33], 1, v[24:25]
	global_store_short v[30:31], v48, off
	s_or_b64 exec, exec, s[26:27]
	s_and_b64 s[30:31], s[4:5], s[18:19]
	s_and_saveexec_b64 s[26:27], s[30:31]
	s_cbranch_execz .LBB262_173
.LBB262_183:
	s_and_b64 vcc, exec, s[0:1]
	s_cbranch_vccnz .LBB262_185
; %bb.184:
	v_lshl_add_u64 v[30:31], v[34:35], 1, v[28:29]
	global_load_ushort v30, v[30:31], off
	s_waitcnt vmcnt(0)
	v_mul_f16_e32 v30, s33, v30
	v_cvt_f32_f16_e32 v30, v30
	s_branch .LBB262_186
.LBB262_185:
	v_mov_b32_e32 v30, 0
.LBB262_186:
	v_pk_add_f16 v31, v18, v26
	v_max_f16_e32 v48, v94, v94
	v_pk_add_f16 v50, v19, v27
	v_min_f16_e32 v48, v48, v31
	v_lshrrev_b32_e32 v49, 16, v94
	v_lshrrev_b32_e32 v31, 16, v31
	;; [unrolled: 1-line block ×3, first 2 shown]
	v_min3_f16 v31, v49, v31, v51
	v_min3_f16 v31, v48, v50, v31
	v_cvt_f32_f16_e32 v31, v31
	v_max_f32_e32 v30, v30, v30
	v_min_f32_e32 v30, v30, v31
	v_cvt_f16_f32_e32 v48, v30
	v_lshl_add_u64 v[30:31], v[34:35], 1, v[24:25]
	global_store_short v[30:31], v48, off
	s_or_b64 exec, exec, s[26:27]
	s_and_b64 s[30:31], s[6:7], s[18:19]
	s_and_saveexec_b64 s[26:27], s[30:31]
	s_cbranch_execz .LBB262_174
.LBB262_187:
	s_and_b64 vcc, exec, s[0:1]
	s_cbranch_vccnz .LBB262_189
; %bb.188:
	v_lshl_add_u64 v[30:31], v[36:37], 1, v[28:29]
	global_load_ushort v30, v[30:31], off
	s_waitcnt vmcnt(0)
	v_mul_f16_e32 v30, s33, v30
	v_cvt_f32_f16_e32 v30, v30
	s_branch .LBB262_190
.LBB262_189:
	v_mov_b32_e32 v30, 0
.LBB262_190:
	v_pk_add_f16 v31, v12, v26
	v_max_f16_e32 v48, v93, v93
	v_pk_add_f16 v50, v13, v27
	v_min_f16_e32 v48, v48, v31
	v_lshrrev_b32_e32 v49, 16, v93
	v_lshrrev_b32_e32 v31, 16, v31
	;; [unrolled: 1-line block ×3, first 2 shown]
	v_min3_f16 v31, v49, v31, v51
	v_min3_f16 v31, v48, v50, v31
	v_cvt_f32_f16_e32 v31, v31
	v_max_f32_e32 v30, v30, v30
	v_min_f32_e32 v30, v30, v31
	v_cvt_f16_f32_e32 v48, v30
	v_lshl_add_u64 v[30:31], v[36:37], 1, v[24:25]
	global_store_short v[30:31], v48, off
	s_or_b64 exec, exec, s[26:27]
	s_and_b64 s[30:31], s[8:9], s[18:19]
	s_and_saveexec_b64 s[26:27], s[30:31]
	s_cbranch_execz .LBB262_175
.LBB262_191:
	s_and_b64 vcc, exec, s[0:1]
	s_cbranch_vccnz .LBB262_193
; %bb.192:
	v_lshl_add_u64 v[30:31], v[38:39], 1, v[28:29]
	global_load_ushort v30, v[30:31], off
	s_waitcnt vmcnt(0)
	v_mul_f16_e32 v30, s33, v30
	v_cvt_f32_f16_e32 v30, v30
	s_branch .LBB262_194
.LBB262_193:
	v_mov_b32_e32 v30, 0
.LBB262_194:
	v_pk_add_f16 v31, v14, v26
	v_max_f16_e32 v48, v91, v91
	v_pk_add_f16 v50, v15, v27
	v_min_f16_e32 v48, v48, v31
	v_lshrrev_b32_e32 v49, 16, v91
	v_lshrrev_b32_e32 v31, 16, v31
	;; [unrolled: 1-line block ×3, first 2 shown]
	v_min3_f16 v31, v49, v31, v51
	v_min3_f16 v31, v48, v50, v31
	v_cvt_f32_f16_e32 v31, v31
	v_max_f32_e32 v30, v30, v30
	v_min_f32_e32 v30, v30, v31
	v_cvt_f16_f32_e32 v48, v30
	v_lshl_add_u64 v[30:31], v[38:39], 1, v[24:25]
	global_store_short v[30:31], v48, off
	s_or_b64 exec, exec, s[26:27]
	s_and_b64 s[30:31], s[10:11], s[18:19]
	s_and_saveexec_b64 s[26:27], s[30:31]
	s_cbranch_execz .LBB262_176
.LBB262_195:
	s_and_b64 vcc, exec, s[0:1]
	s_cbranch_vccnz .LBB262_197
; %bb.196:
	v_lshl_add_u64 v[30:31], v[40:41], 1, v[28:29]
	global_load_ushort v30, v[30:31], off
	s_waitcnt vmcnt(0)
	v_mul_f16_e32 v30, s33, v30
	v_cvt_f32_f16_e32 v30, v30
	s_branch .LBB262_198
.LBB262_197:
	v_mov_b32_e32 v30, 0
.LBB262_198:
	v_pk_add_f16 v31, v8, v26
	v_max_f16_e32 v48, v89, v89
	v_pk_add_f16 v50, v9, v27
	v_min_f16_e32 v48, v48, v31
	v_lshrrev_b32_e32 v49, 16, v89
	v_lshrrev_b32_e32 v31, 16, v31
	;; [unrolled: 1-line block ×3, first 2 shown]
	v_min3_f16 v31, v49, v31, v51
	v_min3_f16 v31, v48, v50, v31
	v_cvt_f32_f16_e32 v31, v31
	v_max_f32_e32 v30, v30, v30
	v_min_f32_e32 v30, v30, v31
	v_cvt_f16_f32_e32 v48, v30
	v_lshl_add_u64 v[30:31], v[40:41], 1, v[24:25]
	global_store_short v[30:31], v48, off
	s_or_b64 exec, exec, s[26:27]
	s_and_b64 s[30:31], s[12:13], s[18:19]
	s_and_saveexec_b64 s[26:27], s[30:31]
	s_cbranch_execz .LBB262_177
.LBB262_199:
	s_and_b64 vcc, exec, s[0:1]
	s_cbranch_vccnz .LBB262_201
; %bb.200:
	v_lshl_add_u64 v[30:31], v[42:43], 1, v[28:29]
	global_load_ushort v30, v[30:31], off
	s_waitcnt vmcnt(0)
	v_mul_f16_e32 v30, s33, v30
	v_cvt_f32_f16_e32 v30, v30
	s_branch .LBB262_202
.LBB262_201:
	v_mov_b32_e32 v30, 0
.LBB262_202:
	v_pk_add_f16 v31, v10, v26
	v_max_f16_e32 v48, v87, v87
	v_pk_add_f16 v50, v11, v27
	v_min_f16_e32 v48, v48, v31
	v_lshrrev_b32_e32 v49, 16, v87
	v_lshrrev_b32_e32 v31, 16, v31
	v_lshrrev_b32_e32 v51, 16, v50
	v_min3_f16 v31, v49, v31, v51
	v_min3_f16 v31, v48, v50, v31
	v_cvt_f32_f16_e32 v31, v31
	v_max_f32_e32 v30, v30, v30
	v_min_f32_e32 v30, v30, v31
	v_cvt_f16_f32_e32 v48, v30
	v_lshl_add_u64 v[30:31], v[42:43], 1, v[24:25]
	global_store_short v[30:31], v48, off
	s_or_b64 exec, exec, s[26:27]
	s_and_b64 s[30:31], s[14:15], s[18:19]
	s_and_saveexec_b64 s[26:27], s[30:31]
	s_cbranch_execz .LBB262_178
.LBB262_203:
	s_and_b64 vcc, exec, s[0:1]
	s_cbranch_vccnz .LBB262_205
; %bb.204:
	v_lshl_add_u64 v[30:31], v[44:45], 1, v[28:29]
	global_load_ushort v30, v[30:31], off
	s_waitcnt vmcnt(0)
	v_mul_f16_e32 v30, s33, v30
	v_cvt_f32_f16_e32 v30, v30
	s_branch .LBB262_206
.LBB262_205:
	v_mov_b32_e32 v30, 0
.LBB262_206:
	v_pk_add_f16 v31, v0, v26
	v_max_f16_e32 v48, v85, v85
	v_pk_add_f16 v50, v1, v27
	v_min_f16_e32 v48, v48, v31
	v_lshrrev_b32_e32 v49, 16, v85
	v_lshrrev_b32_e32 v31, 16, v31
	v_lshrrev_b32_e32 v51, 16, v50
	v_min3_f16 v31, v49, v31, v51
	v_min3_f16 v31, v48, v50, v31
	v_cvt_f32_f16_e32 v31, v31
	v_max_f32_e32 v30, v30, v30
	v_min_f32_e32 v30, v30, v31
	v_cvt_f16_f32_e32 v48, v30
	v_lshl_add_u64 v[30:31], v[44:45], 1, v[24:25]
	global_store_short v[30:31], v48, off
	s_or_b64 exec, exec, s[26:27]
	s_and_b64 s[26:27], s[16:17], s[18:19]
	s_and_saveexec_b64 s[18:19], s[26:27]
	s_cbranch_execz .LBB262_211
.LBB262_207:
	s_and_b64 vcc, exec, s[0:1]
	s_cbranch_vccnz .LBB262_209
; %bb.208:
	v_lshl_add_u64 v[28:29], v[46:47], 1, v[28:29]
	global_load_ushort v28, v[28:29], off
	s_waitcnt vmcnt(0)
	v_mul_f16_e32 v28, s33, v28
	v_cvt_f32_f16_e32 v28, v28
	s_branch .LBB262_210
.LBB262_209:
	v_mov_b32_e32 v28, 0
.LBB262_210:
	v_pk_add_f16 v26, v2, v26
	v_max_f16_e32 v29, v84, v84
	v_pk_add_f16 v27, v3, v27
	v_min_f16_e32 v29, v29, v26
	v_lshrrev_b32_e32 v30, 16, v84
	v_lshrrev_b32_e32 v26, 16, v26
	v_lshrrev_b32_e32 v31, 16, v27
	v_min3_f16 v26, v30, v26, v31
	v_min3_f16 v26, v29, v27, v26
	v_cvt_f32_f16_e32 v26, v26
	v_max_f32_e32 v27, v28, v28
	v_lshl_add_u64 v[24:25], v[46:47], 1, v[24:25]
	v_min_f32_e32 v26, v27, v26
	v_cvt_f16_f32_e32 v26, v26
	global_store_short v[24:25], v26, off
.LBB262_211:
	s_or_b64 exec, exec, s[18:19]
	v_add_u32_e32 v28, 32, v104
	v_mad_i64_i32 v[24:25], s[26:27], v28, s29, 0
	v_cmp_gt_i32_e64 s[18:19], s21, v28
	v_lshl_add_u64 v[26:27], v[24:25], 1, s[24:25]
	v_mad_i64_i32 v[24:25], s[26:27], v28, s28, 0
	v_lshl_add_u64 v[24:25], v[24:25], 1, s[22:23]
	s_and_b64 s[30:31], s[2:3], s[18:19]
	s_and_saveexec_b64 s[26:27], s[30:31]
	s_cbranch_execnz .LBB262_219
; %bb.212:
	s_or_b64 exec, exec, s[26:27]
	s_and_b64 s[30:31], s[4:5], s[18:19]
	s_and_saveexec_b64 s[26:27], s[30:31]
	s_cbranch_execnz .LBB262_223
.LBB262_213:
	s_or_b64 exec, exec, s[26:27]
	s_and_b64 s[30:31], s[6:7], s[18:19]
	s_and_saveexec_b64 s[26:27], s[30:31]
	s_cbranch_execnz .LBB262_227
.LBB262_214:
	s_or_b64 exec, exec, s[26:27]
	s_and_b64 s[30:31], s[8:9], s[18:19]
	s_and_saveexec_b64 s[26:27], s[30:31]
	s_cbranch_execnz .LBB262_231
.LBB262_215:
	s_or_b64 exec, exec, s[26:27]
	s_and_b64 s[30:31], s[10:11], s[18:19]
	s_and_saveexec_b64 s[26:27], s[30:31]
	s_cbranch_execnz .LBB262_235
.LBB262_216:
	s_or_b64 exec, exec, s[26:27]
	s_and_b64 s[30:31], s[12:13], s[18:19]
	s_and_saveexec_b64 s[26:27], s[30:31]
	s_cbranch_execnz .LBB262_239
.LBB262_217:
	s_or_b64 exec, exec, s[26:27]
	s_and_b64 s[30:31], s[14:15], s[18:19]
	s_and_saveexec_b64 s[26:27], s[30:31]
	s_cbranch_execnz .LBB262_243
.LBB262_218:
	s_or_b64 exec, exec, s[26:27]
	s_and_b64 s[26:27], s[16:17], s[18:19]
	s_and_saveexec_b64 s[18:19], s[26:27]
	s_cbranch_execnz .LBB262_247
	s_branch .LBB262_251
.LBB262_219:
	s_and_b64 vcc, exec, s[0:1]
	s_cbranch_vccnz .LBB262_221
; %bb.220:
	v_lshl_add_u64 v[28:29], v[32:33], 1, v[26:27]
	global_load_ushort v28, v[28:29], off
	s_waitcnt vmcnt(0)
	v_mul_f16_e32 v28, s33, v28
	v_cvt_f32_f16_e32 v28, v28
	s_branch .LBB262_222
.LBB262_221:
	v_mov_b32_e32 v28, 0
.LBB262_222:
	s_waitcnt lgkmcnt(1)
	v_pk_add_f16 v29, v16, v20
	v_max_f16_e32 v30, v83, v83
	v_pk_add_f16 v48, v17, v21
	v_min_f16_e32 v30, v30, v29
	v_lshrrev_b32_e32 v31, 16, v83
	v_lshrrev_b32_e32 v29, 16, v29
	;; [unrolled: 1-line block ×3, first 2 shown]
	v_min3_f16 v29, v31, v29, v49
	v_min3_f16 v29, v30, v48, v29
	v_cvt_f32_f16_e32 v29, v29
	v_max_f32_e32 v28, v28, v28
	v_min_f32_e32 v28, v28, v29
	v_cvt_f16_f32_e32 v30, v28
	v_lshl_add_u64 v[28:29], v[32:33], 1, v[24:25]
	global_store_short v[28:29], v30, off
	s_or_b64 exec, exec, s[26:27]
	s_and_b64 s[30:31], s[4:5], s[18:19]
	s_and_saveexec_b64 s[26:27], s[30:31]
	s_cbranch_execz .LBB262_213
.LBB262_223:
	s_and_b64 vcc, exec, s[0:1]
	s_cbranch_vccnz .LBB262_225
; %bb.224:
	v_lshl_add_u64 v[28:29], v[34:35], 1, v[26:27]
	global_load_ushort v28, v[28:29], off
	s_waitcnt vmcnt(0)
	v_mul_f16_e32 v28, s33, v28
	v_cvt_f32_f16_e32 v28, v28
	s_branch .LBB262_226
.LBB262_225:
	v_mov_b32_e32 v28, 0
.LBB262_226:
	s_waitcnt lgkmcnt(1)
	v_pk_add_f16 v29, v18, v20
	v_max_f16_e32 v30, v82, v82
	v_pk_add_f16 v48, v19, v21
	v_min_f16_e32 v30, v30, v29
	v_lshrrev_b32_e32 v31, 16, v82
	v_lshrrev_b32_e32 v29, 16, v29
	v_lshrrev_b32_e32 v49, 16, v48
	v_min3_f16 v29, v31, v29, v49
	v_min3_f16 v29, v30, v48, v29
	v_cvt_f32_f16_e32 v29, v29
	v_max_f32_e32 v28, v28, v28
	v_min_f32_e32 v28, v28, v29
	v_cvt_f16_f32_e32 v30, v28
	v_lshl_add_u64 v[28:29], v[34:35], 1, v[24:25]
	global_store_short v[28:29], v30, off
	s_or_b64 exec, exec, s[26:27]
	s_and_b64 s[30:31], s[6:7], s[18:19]
	s_and_saveexec_b64 s[26:27], s[30:31]
	s_cbranch_execz .LBB262_214
.LBB262_227:
	s_and_b64 vcc, exec, s[0:1]
	s_cbranch_vccnz .LBB262_229
; %bb.228:
	v_lshl_add_u64 v[28:29], v[36:37], 1, v[26:27]
	global_load_ushort v28, v[28:29], off
	s_waitcnt vmcnt(0)
	v_mul_f16_e32 v28, s33, v28
	v_cvt_f32_f16_e32 v28, v28
	s_branch .LBB262_230
.LBB262_229:
	v_mov_b32_e32 v28, 0
.LBB262_230:
	s_waitcnt lgkmcnt(1)
	v_pk_add_f16 v29, v12, v20
	v_max_f16_e32 v30, v81, v81
	v_pk_add_f16 v48, v13, v21
	v_min_f16_e32 v30, v30, v29
	v_lshrrev_b32_e32 v31, 16, v81
	v_lshrrev_b32_e32 v29, 16, v29
	;; [unrolled: 1-line block ×3, first 2 shown]
	v_min3_f16 v29, v31, v29, v49
	v_min3_f16 v29, v30, v48, v29
	v_cvt_f32_f16_e32 v29, v29
	v_max_f32_e32 v28, v28, v28
	v_min_f32_e32 v28, v28, v29
	v_cvt_f16_f32_e32 v30, v28
	v_lshl_add_u64 v[28:29], v[36:37], 1, v[24:25]
	global_store_short v[28:29], v30, off
	s_or_b64 exec, exec, s[26:27]
	s_and_b64 s[30:31], s[8:9], s[18:19]
	s_and_saveexec_b64 s[26:27], s[30:31]
	s_cbranch_execz .LBB262_215
.LBB262_231:
	s_and_b64 vcc, exec, s[0:1]
	s_cbranch_vccnz .LBB262_233
; %bb.232:
	v_lshl_add_u64 v[28:29], v[38:39], 1, v[26:27]
	global_load_ushort v28, v[28:29], off
	s_waitcnt vmcnt(0)
	v_mul_f16_e32 v28, s33, v28
	v_cvt_f32_f16_e32 v28, v28
	s_branch .LBB262_234
.LBB262_233:
	v_mov_b32_e32 v28, 0
.LBB262_234:
	s_waitcnt lgkmcnt(1)
	v_pk_add_f16 v29, v14, v20
	v_max_f16_e32 v30, v80, v80
	v_pk_add_f16 v48, v15, v21
	v_min_f16_e32 v30, v30, v29
	v_lshrrev_b32_e32 v31, 16, v80
	v_lshrrev_b32_e32 v29, 16, v29
	;; [unrolled: 1-line block ×3, first 2 shown]
	v_min3_f16 v29, v31, v29, v49
	v_min3_f16 v29, v30, v48, v29
	v_cvt_f32_f16_e32 v29, v29
	v_max_f32_e32 v28, v28, v28
	v_min_f32_e32 v28, v28, v29
	v_cvt_f16_f32_e32 v30, v28
	v_lshl_add_u64 v[28:29], v[38:39], 1, v[24:25]
	global_store_short v[28:29], v30, off
	s_or_b64 exec, exec, s[26:27]
	s_and_b64 s[30:31], s[10:11], s[18:19]
	s_and_saveexec_b64 s[26:27], s[30:31]
	s_cbranch_execz .LBB262_216
.LBB262_235:
	s_and_b64 vcc, exec, s[0:1]
	s_cbranch_vccnz .LBB262_237
; %bb.236:
	v_lshl_add_u64 v[28:29], v[40:41], 1, v[26:27]
	global_load_ushort v28, v[28:29], off
	s_waitcnt vmcnt(0)
	v_mul_f16_e32 v28, s33, v28
	v_cvt_f32_f16_e32 v28, v28
	s_branch .LBB262_238
.LBB262_237:
	v_mov_b32_e32 v28, 0
.LBB262_238:
	s_waitcnt lgkmcnt(1)
	v_pk_add_f16 v29, v8, v20
	v_max_f16_e32 v30, v79, v79
	v_pk_add_f16 v48, v9, v21
	v_min_f16_e32 v30, v30, v29
	v_lshrrev_b32_e32 v31, 16, v79
	v_lshrrev_b32_e32 v29, 16, v29
	;; [unrolled: 1-line block ×3, first 2 shown]
	v_min3_f16 v29, v31, v29, v49
	v_min3_f16 v29, v30, v48, v29
	v_cvt_f32_f16_e32 v29, v29
	v_max_f32_e32 v28, v28, v28
	v_min_f32_e32 v28, v28, v29
	v_cvt_f16_f32_e32 v30, v28
	v_lshl_add_u64 v[28:29], v[40:41], 1, v[24:25]
	global_store_short v[28:29], v30, off
	s_or_b64 exec, exec, s[26:27]
	s_and_b64 s[30:31], s[12:13], s[18:19]
	s_and_saveexec_b64 s[26:27], s[30:31]
	s_cbranch_execz .LBB262_217
.LBB262_239:
	s_and_b64 vcc, exec, s[0:1]
	s_cbranch_vccnz .LBB262_241
; %bb.240:
	v_lshl_add_u64 v[28:29], v[42:43], 1, v[26:27]
	global_load_ushort v28, v[28:29], off
	s_waitcnt vmcnt(0)
	v_mul_f16_e32 v28, s33, v28
	v_cvt_f32_f16_e32 v28, v28
	s_branch .LBB262_242
.LBB262_241:
	v_mov_b32_e32 v28, 0
.LBB262_242:
	s_waitcnt lgkmcnt(1)
	v_pk_add_f16 v29, v10, v20
	v_max_f16_e32 v30, v78, v78
	v_pk_add_f16 v48, v11, v21
	v_min_f16_e32 v30, v30, v29
	v_lshrrev_b32_e32 v31, 16, v78
	v_lshrrev_b32_e32 v29, 16, v29
	;; [unrolled: 1-line block ×3, first 2 shown]
	v_min3_f16 v29, v31, v29, v49
	v_min3_f16 v29, v30, v48, v29
	v_cvt_f32_f16_e32 v29, v29
	v_max_f32_e32 v28, v28, v28
	v_min_f32_e32 v28, v28, v29
	v_cvt_f16_f32_e32 v30, v28
	v_lshl_add_u64 v[28:29], v[42:43], 1, v[24:25]
	global_store_short v[28:29], v30, off
	s_or_b64 exec, exec, s[26:27]
	s_and_b64 s[30:31], s[14:15], s[18:19]
	s_and_saveexec_b64 s[26:27], s[30:31]
	s_cbranch_execz .LBB262_218
.LBB262_243:
	s_and_b64 vcc, exec, s[0:1]
	s_cbranch_vccnz .LBB262_245
; %bb.244:
	v_lshl_add_u64 v[28:29], v[44:45], 1, v[26:27]
	global_load_ushort v28, v[28:29], off
	s_waitcnt vmcnt(0)
	v_mul_f16_e32 v28, s33, v28
	v_cvt_f32_f16_e32 v28, v28
	s_branch .LBB262_246
.LBB262_245:
	v_mov_b32_e32 v28, 0
.LBB262_246:
	s_waitcnt lgkmcnt(1)
	v_pk_add_f16 v29, v0, v20
	v_max_f16_e32 v30, v77, v77
	v_pk_add_f16 v48, v1, v21
	v_min_f16_e32 v30, v30, v29
	v_lshrrev_b32_e32 v31, 16, v77
	v_lshrrev_b32_e32 v29, 16, v29
	;; [unrolled: 1-line block ×3, first 2 shown]
	v_min3_f16 v29, v31, v29, v49
	v_min3_f16 v29, v30, v48, v29
	v_cvt_f32_f16_e32 v29, v29
	v_max_f32_e32 v28, v28, v28
	v_min_f32_e32 v28, v28, v29
	v_cvt_f16_f32_e32 v30, v28
	v_lshl_add_u64 v[28:29], v[44:45], 1, v[24:25]
	global_store_short v[28:29], v30, off
	s_or_b64 exec, exec, s[26:27]
	s_and_b64 s[26:27], s[16:17], s[18:19]
	s_and_saveexec_b64 s[18:19], s[26:27]
	s_cbranch_execz .LBB262_251
.LBB262_247:
	s_and_b64 vcc, exec, s[0:1]
	s_cbranch_vccnz .LBB262_249
; %bb.248:
	v_lshl_add_u64 v[26:27], v[46:47], 1, v[26:27]
	global_load_ushort v26, v[26:27], off
	s_waitcnt vmcnt(0)
	v_mul_f16_e32 v26, s33, v26
	v_cvt_f32_f16_e32 v26, v26
	s_branch .LBB262_250
.LBB262_249:
	v_mov_b32_e32 v26, 0
.LBB262_250:
	s_waitcnt lgkmcnt(1)
	v_pk_add_f16 v20, v2, v20
	v_max_f16_e32 v27, v76, v76
	v_pk_add_f16 v21, v3, v21
	v_min_f16_e32 v27, v27, v20
	v_lshrrev_b32_e32 v28, 16, v76
	v_lshrrev_b32_e32 v20, 16, v20
	v_lshrrev_b32_e32 v29, 16, v21
	v_min3_f16 v20, v28, v20, v29
	v_min3_f16 v20, v27, v21, v20
	v_cvt_f32_f16_e32 v20, v20
	v_max_f32_e32 v21, v26, v26
	v_min_f32_e32 v20, v21, v20
	v_cvt_f16_f32_e32 v26, v20
	v_lshl_add_u64 v[20:21], v[46:47], 1, v[24:25]
	global_store_short v[20:21], v26, off
.LBB262_251:
	s_or_b64 exec, exec, s[18:19]
	v_add_u32_e32 v26, 40, v104
	s_waitcnt lgkmcnt(1)
	v_mad_i64_i32 v[20:21], s[26:27], v26, s29, 0
	v_cmp_gt_i32_e64 s[18:19], s21, v26
	v_lshl_add_u64 v[24:25], v[20:21], 1, s[24:25]
	v_mad_i64_i32 v[20:21], s[26:27], v26, s28, 0
	v_lshl_add_u64 v[20:21], v[20:21], 1, s[22:23]
	s_and_b64 s[30:31], s[2:3], s[18:19]
	s_and_saveexec_b64 s[26:27], s[30:31]
	s_cbranch_execnz .LBB262_259
; %bb.252:
	s_or_b64 exec, exec, s[26:27]
	s_and_b64 s[30:31], s[4:5], s[18:19]
	s_and_saveexec_b64 s[26:27], s[30:31]
	s_cbranch_execnz .LBB262_263
.LBB262_253:
	s_or_b64 exec, exec, s[26:27]
	s_and_b64 s[30:31], s[6:7], s[18:19]
	s_and_saveexec_b64 s[26:27], s[30:31]
	s_cbranch_execnz .LBB262_267
.LBB262_254:
	s_or_b64 exec, exec, s[26:27]
	s_and_b64 s[30:31], s[8:9], s[18:19]
	s_and_saveexec_b64 s[26:27], s[30:31]
	s_cbranch_execnz .LBB262_271
.LBB262_255:
	s_or_b64 exec, exec, s[26:27]
	s_and_b64 s[30:31], s[10:11], s[18:19]
	s_and_saveexec_b64 s[26:27], s[30:31]
	s_cbranch_execnz .LBB262_275
.LBB262_256:
	s_or_b64 exec, exec, s[26:27]
	s_and_b64 s[30:31], s[12:13], s[18:19]
	s_and_saveexec_b64 s[26:27], s[30:31]
	s_cbranch_execnz .LBB262_279
.LBB262_257:
	s_or_b64 exec, exec, s[26:27]
	s_and_b64 s[30:31], s[14:15], s[18:19]
	s_and_saveexec_b64 s[26:27], s[30:31]
	s_cbranch_execnz .LBB262_283
.LBB262_258:
	s_or_b64 exec, exec, s[26:27]
	s_and_b64 s[26:27], s[16:17], s[18:19]
	s_and_saveexec_b64 s[18:19], s[26:27]
	s_cbranch_execnz .LBB262_287
	s_branch .LBB262_291
.LBB262_259:
	s_and_b64 vcc, exec, s[0:1]
	s_cbranch_vccnz .LBB262_261
; %bb.260:
	v_lshl_add_u64 v[26:27], v[32:33], 1, v[24:25]
	global_load_ushort v26, v[26:27], off
	s_waitcnt vmcnt(0)
	v_mul_f16_e32 v26, s33, v26
	v_cvt_f32_f16_e32 v26, v26
	s_branch .LBB262_262
.LBB262_261:
	v_mov_b32_e32 v26, 0
.LBB262_262:
	v_pk_add_f16 v27, v16, v22
	v_max_f16_e32 v28, v75, v75
	v_pk_add_f16 v30, v17, v23
	v_min_f16_e32 v28, v28, v27
	v_lshrrev_b32_e32 v29, 16, v75
	v_lshrrev_b32_e32 v27, 16, v27
	;; [unrolled: 1-line block ×3, first 2 shown]
	v_min3_f16 v27, v29, v27, v31
	v_min3_f16 v27, v28, v30, v27
	v_cvt_f32_f16_e32 v27, v27
	v_max_f32_e32 v26, v26, v26
	v_min_f32_e32 v26, v26, v27
	v_cvt_f16_f32_e32 v28, v26
	v_lshl_add_u64 v[26:27], v[32:33], 1, v[20:21]
	global_store_short v[26:27], v28, off
	s_or_b64 exec, exec, s[26:27]
	s_and_b64 s[30:31], s[4:5], s[18:19]
	s_and_saveexec_b64 s[26:27], s[30:31]
	s_cbranch_execz .LBB262_253
.LBB262_263:
	s_and_b64 vcc, exec, s[0:1]
	s_cbranch_vccnz .LBB262_265
; %bb.264:
	v_lshl_add_u64 v[26:27], v[34:35], 1, v[24:25]
	global_load_ushort v26, v[26:27], off
	s_waitcnt vmcnt(0)
	v_mul_f16_e32 v26, s33, v26
	v_cvt_f32_f16_e32 v26, v26
	s_branch .LBB262_266
.LBB262_265:
	v_mov_b32_e32 v26, 0
.LBB262_266:
	v_pk_add_f16 v27, v18, v22
	v_max_f16_e32 v28, v74, v74
	v_pk_add_f16 v30, v19, v23
	v_min_f16_e32 v28, v28, v27
	v_lshrrev_b32_e32 v29, 16, v74
	v_lshrrev_b32_e32 v27, 16, v27
	;; [unrolled: 1-line block ×3, first 2 shown]
	v_min3_f16 v27, v29, v27, v31
	v_min3_f16 v27, v28, v30, v27
	v_cvt_f32_f16_e32 v27, v27
	v_max_f32_e32 v26, v26, v26
	v_min_f32_e32 v26, v26, v27
	v_cvt_f16_f32_e32 v28, v26
	v_lshl_add_u64 v[26:27], v[34:35], 1, v[20:21]
	global_store_short v[26:27], v28, off
	s_or_b64 exec, exec, s[26:27]
	s_and_b64 s[30:31], s[6:7], s[18:19]
	s_and_saveexec_b64 s[26:27], s[30:31]
	s_cbranch_execz .LBB262_254
.LBB262_267:
	s_and_b64 vcc, exec, s[0:1]
	s_cbranch_vccnz .LBB262_269
; %bb.268:
	v_lshl_add_u64 v[26:27], v[36:37], 1, v[24:25]
	global_load_ushort v26, v[26:27], off
	s_waitcnt vmcnt(0)
	v_mul_f16_e32 v26, s33, v26
	v_cvt_f32_f16_e32 v26, v26
	s_branch .LBB262_270
.LBB262_269:
	v_mov_b32_e32 v26, 0
.LBB262_270:
	v_pk_add_f16 v27, v12, v22
	v_max_f16_e32 v28, v73, v73
	v_pk_add_f16 v30, v13, v23
	v_min_f16_e32 v28, v28, v27
	v_lshrrev_b32_e32 v29, 16, v73
	v_lshrrev_b32_e32 v27, 16, v27
	;; [unrolled: 1-line block ×3, first 2 shown]
	v_min3_f16 v27, v29, v27, v31
	v_min3_f16 v27, v28, v30, v27
	v_cvt_f32_f16_e32 v27, v27
	v_max_f32_e32 v26, v26, v26
	v_min_f32_e32 v26, v26, v27
	v_cvt_f16_f32_e32 v28, v26
	v_lshl_add_u64 v[26:27], v[36:37], 1, v[20:21]
	global_store_short v[26:27], v28, off
	s_or_b64 exec, exec, s[26:27]
	s_and_b64 s[30:31], s[8:9], s[18:19]
	s_and_saveexec_b64 s[26:27], s[30:31]
	s_cbranch_execz .LBB262_255
.LBB262_271:
	s_and_b64 vcc, exec, s[0:1]
	s_cbranch_vccnz .LBB262_273
; %bb.272:
	v_lshl_add_u64 v[26:27], v[38:39], 1, v[24:25]
	global_load_ushort v26, v[26:27], off
	s_waitcnt vmcnt(0)
	v_mul_f16_e32 v26, s33, v26
	v_cvt_f32_f16_e32 v26, v26
	s_branch .LBB262_274
.LBB262_273:
	v_mov_b32_e32 v26, 0
.LBB262_274:
	v_pk_add_f16 v27, v14, v22
	v_max_f16_e32 v28, v72, v72
	v_pk_add_f16 v30, v15, v23
	v_min_f16_e32 v28, v28, v27
	v_lshrrev_b32_e32 v29, 16, v72
	v_lshrrev_b32_e32 v27, 16, v27
	;; [unrolled: 1-line block ×3, first 2 shown]
	v_min3_f16 v27, v29, v27, v31
	v_min3_f16 v27, v28, v30, v27
	v_cvt_f32_f16_e32 v27, v27
	v_max_f32_e32 v26, v26, v26
	v_min_f32_e32 v26, v26, v27
	v_cvt_f16_f32_e32 v28, v26
	v_lshl_add_u64 v[26:27], v[38:39], 1, v[20:21]
	global_store_short v[26:27], v28, off
	s_or_b64 exec, exec, s[26:27]
	s_and_b64 s[30:31], s[10:11], s[18:19]
	s_and_saveexec_b64 s[26:27], s[30:31]
	s_cbranch_execz .LBB262_256
.LBB262_275:
	s_and_b64 vcc, exec, s[0:1]
	s_cbranch_vccnz .LBB262_277
; %bb.276:
	v_lshl_add_u64 v[26:27], v[40:41], 1, v[24:25]
	global_load_ushort v26, v[26:27], off
	s_waitcnt vmcnt(0)
	v_mul_f16_e32 v26, s33, v26
	v_cvt_f32_f16_e32 v26, v26
	s_branch .LBB262_278
.LBB262_277:
	v_mov_b32_e32 v26, 0
.LBB262_278:
	v_pk_add_f16 v27, v8, v22
	v_max_f16_e32 v28, v71, v71
	v_pk_add_f16 v30, v9, v23
	v_min_f16_e32 v28, v28, v27
	v_lshrrev_b32_e32 v29, 16, v71
	v_lshrrev_b32_e32 v27, 16, v27
	;; [unrolled: 1-line block ×3, first 2 shown]
	v_min3_f16 v27, v29, v27, v31
	v_min3_f16 v27, v28, v30, v27
	v_cvt_f32_f16_e32 v27, v27
	v_max_f32_e32 v26, v26, v26
	v_min_f32_e32 v26, v26, v27
	v_cvt_f16_f32_e32 v28, v26
	v_lshl_add_u64 v[26:27], v[40:41], 1, v[20:21]
	global_store_short v[26:27], v28, off
	s_or_b64 exec, exec, s[26:27]
	s_and_b64 s[30:31], s[12:13], s[18:19]
	s_and_saveexec_b64 s[26:27], s[30:31]
	s_cbranch_execz .LBB262_257
.LBB262_279:
	s_and_b64 vcc, exec, s[0:1]
	s_cbranch_vccnz .LBB262_281
; %bb.280:
	v_lshl_add_u64 v[26:27], v[42:43], 1, v[24:25]
	global_load_ushort v26, v[26:27], off
	s_waitcnt vmcnt(0)
	v_mul_f16_e32 v26, s33, v26
	v_cvt_f32_f16_e32 v26, v26
	s_branch .LBB262_282
.LBB262_281:
	v_mov_b32_e32 v26, 0
.LBB262_282:
	v_pk_add_f16 v27, v10, v22
	v_max_f16_e32 v28, v70, v70
	v_pk_add_f16 v30, v11, v23
	v_min_f16_e32 v28, v28, v27
	v_lshrrev_b32_e32 v29, 16, v70
	v_lshrrev_b32_e32 v27, 16, v27
	;; [unrolled: 1-line block ×3, first 2 shown]
	v_min3_f16 v27, v29, v27, v31
	v_min3_f16 v27, v28, v30, v27
	v_cvt_f32_f16_e32 v27, v27
	v_max_f32_e32 v26, v26, v26
	v_min_f32_e32 v26, v26, v27
	v_cvt_f16_f32_e32 v28, v26
	v_lshl_add_u64 v[26:27], v[42:43], 1, v[20:21]
	global_store_short v[26:27], v28, off
	s_or_b64 exec, exec, s[26:27]
	s_and_b64 s[30:31], s[14:15], s[18:19]
	s_and_saveexec_b64 s[26:27], s[30:31]
	s_cbranch_execz .LBB262_258
.LBB262_283:
	s_and_b64 vcc, exec, s[0:1]
	s_cbranch_vccnz .LBB262_285
; %bb.284:
	v_lshl_add_u64 v[26:27], v[44:45], 1, v[24:25]
	global_load_ushort v26, v[26:27], off
	s_waitcnt vmcnt(0)
	v_mul_f16_e32 v26, s33, v26
	v_cvt_f32_f16_e32 v26, v26
	s_branch .LBB262_286
.LBB262_285:
	v_mov_b32_e32 v26, 0
.LBB262_286:
	v_pk_add_f16 v27, v0, v22
	v_max_f16_e32 v28, v68, v68
	v_pk_add_f16 v30, v1, v23
	v_min_f16_e32 v28, v28, v27
	v_lshrrev_b32_e32 v29, 16, v68
	v_lshrrev_b32_e32 v27, 16, v27
	;; [unrolled: 1-line block ×3, first 2 shown]
	v_min3_f16 v27, v29, v27, v31
	v_min3_f16 v27, v28, v30, v27
	v_cvt_f32_f16_e32 v27, v27
	v_max_f32_e32 v26, v26, v26
	v_min_f32_e32 v26, v26, v27
	v_cvt_f16_f32_e32 v28, v26
	v_lshl_add_u64 v[26:27], v[44:45], 1, v[20:21]
	global_store_short v[26:27], v28, off
	s_or_b64 exec, exec, s[26:27]
	s_and_b64 s[26:27], s[16:17], s[18:19]
	s_and_saveexec_b64 s[18:19], s[26:27]
	s_cbranch_execz .LBB262_291
.LBB262_287:
	s_and_b64 vcc, exec, s[0:1]
	s_cbranch_vccnz .LBB262_289
; %bb.288:
	v_lshl_add_u64 v[24:25], v[46:47], 1, v[24:25]
	global_load_ushort v24, v[24:25], off
	s_waitcnt vmcnt(0)
	v_mul_f16_e32 v24, s33, v24
	v_cvt_f32_f16_e32 v24, v24
	s_branch .LBB262_290
.LBB262_289:
	v_mov_b32_e32 v24, 0
.LBB262_290:
	v_pk_add_f16 v22, v2, v22
	v_max_f16_e32 v25, v69, v69
	v_pk_add_f16 v23, v3, v23
	v_min_f16_e32 v25, v25, v22
	v_lshrrev_b32_e32 v26, 16, v69
	v_lshrrev_b32_e32 v22, 16, v22
	;; [unrolled: 1-line block ×3, first 2 shown]
	v_min3_f16 v22, v26, v22, v27
	v_min3_f16 v22, v25, v23, v22
	v_cvt_f32_f16_e32 v22, v22
	v_max_f32_e32 v23, v24, v24
	v_lshl_add_u64 v[20:21], v[46:47], 1, v[20:21]
	v_min_f32_e32 v22, v23, v22
	v_cvt_f16_f32_e32 v22, v22
	global_store_short v[20:21], v22, off
.LBB262_291:
	s_or_b64 exec, exec, s[18:19]
	v_add_u32_e32 v24, 48, v104
	v_mad_i64_i32 v[20:21], s[26:27], v24, s29, 0
	v_cmp_gt_i32_e64 s[18:19], s21, v24
	v_lshl_add_u64 v[22:23], v[20:21], 1, s[24:25]
	v_mad_i64_i32 v[20:21], s[26:27], v24, s28, 0
	v_lshl_add_u64 v[20:21], v[20:21], 1, s[22:23]
	s_and_b64 s[30:31], s[2:3], s[18:19]
	s_and_saveexec_b64 s[26:27], s[30:31]
	s_cbranch_execnz .LBB262_299
; %bb.292:
	s_or_b64 exec, exec, s[26:27]
	s_and_b64 s[30:31], s[4:5], s[18:19]
	s_and_saveexec_b64 s[26:27], s[30:31]
	s_cbranch_execnz .LBB262_303
.LBB262_293:
	s_or_b64 exec, exec, s[26:27]
	s_and_b64 s[30:31], s[6:7], s[18:19]
	s_and_saveexec_b64 s[26:27], s[30:31]
	s_cbranch_execnz .LBB262_307
.LBB262_294:
	s_or_b64 exec, exec, s[26:27]
	s_and_b64 s[30:31], s[8:9], s[18:19]
	s_and_saveexec_b64 s[26:27], s[30:31]
	s_cbranch_execnz .LBB262_311
.LBB262_295:
	s_or_b64 exec, exec, s[26:27]
	s_and_b64 s[30:31], s[10:11], s[18:19]
	s_and_saveexec_b64 s[26:27], s[30:31]
	s_cbranch_execnz .LBB262_315
.LBB262_296:
	s_or_b64 exec, exec, s[26:27]
	s_and_b64 s[30:31], s[12:13], s[18:19]
	s_and_saveexec_b64 s[26:27], s[30:31]
	s_cbranch_execnz .LBB262_319
.LBB262_297:
	s_or_b64 exec, exec, s[26:27]
	s_and_b64 s[30:31], s[14:15], s[18:19]
	s_and_saveexec_b64 s[26:27], s[30:31]
	s_cbranch_execnz .LBB262_323
.LBB262_298:
	s_or_b64 exec, exec, s[26:27]
	s_and_b64 s[26:27], s[16:17], s[18:19]
	s_and_saveexec_b64 s[18:19], s[26:27]
	s_cbranch_execnz .LBB262_327
	s_branch .LBB262_331
.LBB262_299:
	s_and_b64 vcc, exec, s[0:1]
	s_cbranch_vccnz .LBB262_301
; %bb.300:
	v_lshl_add_u64 v[24:25], v[32:33], 1, v[22:23]
	global_load_ushort v24, v[24:25], off
	s_waitcnt vmcnt(0)
	v_mul_f16_e32 v24, s33, v24
	v_cvt_f32_f16_e32 v24, v24
	s_branch .LBB262_302
.LBB262_301:
	v_mov_b32_e32 v24, 0
.LBB262_302:
	s_waitcnt lgkmcnt(0)
	v_pk_add_f16 v25, v16, v4
	v_max_f16_e32 v26, v67, v67
	v_pk_add_f16 v28, v17, v5
	v_min_f16_e32 v26, v26, v25
	v_lshrrev_b32_e32 v27, 16, v67
	v_lshrrev_b32_e32 v25, 16, v25
	;; [unrolled: 1-line block ×3, first 2 shown]
	v_min3_f16 v25, v27, v25, v29
	v_min3_f16 v25, v26, v28, v25
	v_cvt_f32_f16_e32 v25, v25
	v_max_f32_e32 v24, v24, v24
	v_min_f32_e32 v24, v24, v25
	v_cvt_f16_f32_e32 v26, v24
	v_lshl_add_u64 v[24:25], v[32:33], 1, v[20:21]
	global_store_short v[24:25], v26, off
	s_or_b64 exec, exec, s[26:27]
	s_and_b64 s[30:31], s[4:5], s[18:19]
	s_and_saveexec_b64 s[26:27], s[30:31]
	s_cbranch_execz .LBB262_293
.LBB262_303:
	s_and_b64 vcc, exec, s[0:1]
	s_cbranch_vccnz .LBB262_305
; %bb.304:
	v_lshl_add_u64 v[24:25], v[34:35], 1, v[22:23]
	global_load_ushort v24, v[24:25], off
	s_waitcnt vmcnt(0)
	v_mul_f16_e32 v24, s33, v24
	v_cvt_f32_f16_e32 v24, v24
	s_branch .LBB262_306
.LBB262_305:
	v_mov_b32_e32 v24, 0
.LBB262_306:
	s_waitcnt lgkmcnt(0)
	v_pk_add_f16 v25, v18, v4
	v_max_f16_e32 v26, v66, v66
	v_pk_add_f16 v28, v19, v5
	v_min_f16_e32 v26, v26, v25
	v_lshrrev_b32_e32 v27, 16, v66
	v_lshrrev_b32_e32 v25, 16, v25
	;; [unrolled: 1-line block ×3, first 2 shown]
	v_min3_f16 v25, v27, v25, v29
	v_min3_f16 v25, v26, v28, v25
	v_cvt_f32_f16_e32 v25, v25
	v_max_f32_e32 v24, v24, v24
	v_min_f32_e32 v24, v24, v25
	v_cvt_f16_f32_e32 v26, v24
	v_lshl_add_u64 v[24:25], v[34:35], 1, v[20:21]
	global_store_short v[24:25], v26, off
	s_or_b64 exec, exec, s[26:27]
	s_and_b64 s[30:31], s[6:7], s[18:19]
	s_and_saveexec_b64 s[26:27], s[30:31]
	s_cbranch_execz .LBB262_294
.LBB262_307:
	s_and_b64 vcc, exec, s[0:1]
	s_cbranch_vccnz .LBB262_309
; %bb.308:
	v_lshl_add_u64 v[24:25], v[36:37], 1, v[22:23]
	global_load_ushort v24, v[24:25], off
	s_waitcnt vmcnt(0)
	v_mul_f16_e32 v24, s33, v24
	v_cvt_f32_f16_e32 v24, v24
	s_branch .LBB262_310
.LBB262_309:
	v_mov_b32_e32 v24, 0
.LBB262_310:
	s_waitcnt lgkmcnt(0)
	v_pk_add_f16 v25, v12, v4
	v_max_f16_e32 v26, v65, v65
	v_pk_add_f16 v28, v13, v5
	v_min_f16_e32 v26, v26, v25
	v_lshrrev_b32_e32 v27, 16, v65
	v_lshrrev_b32_e32 v25, 16, v25
	;; [unrolled: 1-line block ×3, first 2 shown]
	v_min3_f16 v25, v27, v25, v29
	v_min3_f16 v25, v26, v28, v25
	v_cvt_f32_f16_e32 v25, v25
	v_max_f32_e32 v24, v24, v24
	v_min_f32_e32 v24, v24, v25
	v_cvt_f16_f32_e32 v26, v24
	v_lshl_add_u64 v[24:25], v[36:37], 1, v[20:21]
	global_store_short v[24:25], v26, off
	s_or_b64 exec, exec, s[26:27]
	s_and_b64 s[30:31], s[8:9], s[18:19]
	s_and_saveexec_b64 s[26:27], s[30:31]
	s_cbranch_execz .LBB262_295
.LBB262_311:
	s_and_b64 vcc, exec, s[0:1]
	s_cbranch_vccnz .LBB262_313
; %bb.312:
	v_lshl_add_u64 v[24:25], v[38:39], 1, v[22:23]
	global_load_ushort v24, v[24:25], off
	s_waitcnt vmcnt(0)
	v_mul_f16_e32 v24, s33, v24
	v_cvt_f32_f16_e32 v24, v24
	s_branch .LBB262_314
.LBB262_313:
	v_mov_b32_e32 v24, 0
.LBB262_314:
	s_waitcnt lgkmcnt(0)
	v_pk_add_f16 v25, v14, v4
	v_max_f16_e32 v26, v64, v64
	v_pk_add_f16 v28, v15, v5
	v_min_f16_e32 v26, v26, v25
	v_lshrrev_b32_e32 v27, 16, v64
	v_lshrrev_b32_e32 v25, 16, v25
	;; [unrolled: 1-line block ×3, first 2 shown]
	v_min3_f16 v25, v27, v25, v29
	v_min3_f16 v25, v26, v28, v25
	v_cvt_f32_f16_e32 v25, v25
	v_max_f32_e32 v24, v24, v24
	v_min_f32_e32 v24, v24, v25
	v_cvt_f16_f32_e32 v26, v24
	v_lshl_add_u64 v[24:25], v[38:39], 1, v[20:21]
	global_store_short v[24:25], v26, off
	s_or_b64 exec, exec, s[26:27]
	s_and_b64 s[30:31], s[10:11], s[18:19]
	s_and_saveexec_b64 s[26:27], s[30:31]
	s_cbranch_execz .LBB262_296
.LBB262_315:
	s_and_b64 vcc, exec, s[0:1]
	s_cbranch_vccnz .LBB262_317
; %bb.316:
	v_lshl_add_u64 v[24:25], v[40:41], 1, v[22:23]
	global_load_ushort v24, v[24:25], off
	s_waitcnt vmcnt(0)
	v_mul_f16_e32 v24, s33, v24
	v_cvt_f32_f16_e32 v24, v24
	s_branch .LBB262_318
.LBB262_317:
	v_mov_b32_e32 v24, 0
.LBB262_318:
	s_waitcnt lgkmcnt(0)
	v_pk_add_f16 v25, v8, v4
	v_max_f16_e32 v26, v63, v63
	v_pk_add_f16 v28, v9, v5
	v_min_f16_e32 v26, v26, v25
	v_lshrrev_b32_e32 v27, 16, v63
	v_lshrrev_b32_e32 v25, 16, v25
	;; [unrolled: 1-line block ×3, first 2 shown]
	v_min3_f16 v25, v27, v25, v29
	v_min3_f16 v25, v26, v28, v25
	v_cvt_f32_f16_e32 v25, v25
	v_max_f32_e32 v24, v24, v24
	v_min_f32_e32 v24, v24, v25
	v_cvt_f16_f32_e32 v26, v24
	v_lshl_add_u64 v[24:25], v[40:41], 1, v[20:21]
	global_store_short v[24:25], v26, off
	s_or_b64 exec, exec, s[26:27]
	s_and_b64 s[30:31], s[12:13], s[18:19]
	s_and_saveexec_b64 s[26:27], s[30:31]
	s_cbranch_execz .LBB262_297
.LBB262_319:
	s_and_b64 vcc, exec, s[0:1]
	s_cbranch_vccnz .LBB262_321
; %bb.320:
	v_lshl_add_u64 v[24:25], v[42:43], 1, v[22:23]
	global_load_ushort v24, v[24:25], off
	s_waitcnt vmcnt(0)
	v_mul_f16_e32 v24, s33, v24
	v_cvt_f32_f16_e32 v24, v24
	s_branch .LBB262_322
.LBB262_321:
	v_mov_b32_e32 v24, 0
.LBB262_322:
	s_waitcnt lgkmcnt(0)
	v_pk_add_f16 v25, v10, v4
	v_max_f16_e32 v26, v62, v62
	v_pk_add_f16 v28, v11, v5
	v_min_f16_e32 v26, v26, v25
	v_lshrrev_b32_e32 v27, 16, v62
	v_lshrrev_b32_e32 v25, 16, v25
	;; [unrolled: 1-line block ×3, first 2 shown]
	v_min3_f16 v25, v27, v25, v29
	v_min3_f16 v25, v26, v28, v25
	v_cvt_f32_f16_e32 v25, v25
	v_max_f32_e32 v24, v24, v24
	v_min_f32_e32 v24, v24, v25
	v_cvt_f16_f32_e32 v26, v24
	v_lshl_add_u64 v[24:25], v[42:43], 1, v[20:21]
	global_store_short v[24:25], v26, off
	s_or_b64 exec, exec, s[26:27]
	s_and_b64 s[30:31], s[14:15], s[18:19]
	s_and_saveexec_b64 s[26:27], s[30:31]
	s_cbranch_execz .LBB262_298
.LBB262_323:
	s_and_b64 vcc, exec, s[0:1]
	s_cbranch_vccnz .LBB262_325
; %bb.324:
	v_lshl_add_u64 v[24:25], v[44:45], 1, v[22:23]
	global_load_ushort v24, v[24:25], off
	s_waitcnt vmcnt(0)
	v_mul_f16_e32 v24, s33, v24
	v_cvt_f32_f16_e32 v24, v24
	s_branch .LBB262_326
.LBB262_325:
	v_mov_b32_e32 v24, 0
.LBB262_326:
	s_waitcnt lgkmcnt(0)
	v_pk_add_f16 v25, v0, v4
	v_max_f16_e32 v26, v61, v61
	v_pk_add_f16 v28, v1, v5
	v_min_f16_e32 v26, v26, v25
	v_lshrrev_b32_e32 v27, 16, v61
	v_lshrrev_b32_e32 v25, 16, v25
	;; [unrolled: 1-line block ×3, first 2 shown]
	v_min3_f16 v25, v27, v25, v29
	v_min3_f16 v25, v26, v28, v25
	v_cvt_f32_f16_e32 v25, v25
	v_max_f32_e32 v24, v24, v24
	v_min_f32_e32 v24, v24, v25
	v_cvt_f16_f32_e32 v26, v24
	v_lshl_add_u64 v[24:25], v[44:45], 1, v[20:21]
	global_store_short v[24:25], v26, off
	s_or_b64 exec, exec, s[26:27]
	s_and_b64 s[26:27], s[16:17], s[18:19]
	s_and_saveexec_b64 s[18:19], s[26:27]
	s_cbranch_execz .LBB262_331
.LBB262_327:
	s_and_b64 vcc, exec, s[0:1]
	s_cbranch_vccnz .LBB262_329
; %bb.328:
	v_lshl_add_u64 v[22:23], v[46:47], 1, v[22:23]
	global_load_ushort v22, v[22:23], off
	s_waitcnt vmcnt(0)
	v_mul_f16_e32 v22, s33, v22
	v_cvt_f32_f16_e32 v22, v22
	s_branch .LBB262_330
.LBB262_329:
	v_mov_b32_e32 v22, 0
.LBB262_330:
	s_waitcnt lgkmcnt(0)
	v_pk_add_f16 v4, v2, v4
	v_max_f16_e32 v23, v60, v60
	v_pk_add_f16 v5, v3, v5
	v_min_f16_e32 v23, v23, v4
	v_lshrrev_b32_e32 v24, 16, v60
	v_lshrrev_b32_e32 v4, 16, v4
	;; [unrolled: 1-line block ×3, first 2 shown]
	v_min3_f16 v4, v24, v4, v25
	v_min3_f16 v4, v23, v5, v4
	v_cvt_f32_f16_e32 v4, v4
	v_max_f32_e32 v5, v22, v22
	v_min_f32_e32 v4, v5, v4
	v_cvt_f16_f32_e32 v22, v4
	v_lshl_add_u64 v[4:5], v[46:47], 1, v[20:21]
	global_store_short v[4:5], v22, off
.LBB262_331:
	s_or_b64 exec, exec, s[18:19]
	v_add_u32_e32 v22, 56, v104
	v_cmp_gt_i32_e64 s[18:19], s21, v22
	s_waitcnt lgkmcnt(0)
	v_mad_i64_i32 v[4:5], s[20:21], v22, s29, 0
	v_lshl_add_u64 v[20:21], v[4:5], 1, s[24:25]
	v_mad_i64_i32 v[4:5], s[20:21], v22, s28, 0
	v_lshl_add_u64 v[4:5], v[4:5], 1, s[22:23]
	s_and_b64 s[20:21], s[2:3], s[18:19]
	s_and_saveexec_b64 s[2:3], s[20:21]
	s_cbranch_execnz .LBB262_340
; %bb.332:
	s_or_b64 exec, exec, s[2:3]
	s_and_b64 s[4:5], s[4:5], s[18:19]
	s_and_saveexec_b64 s[2:3], s[4:5]
	s_cbranch_execnz .LBB262_344
.LBB262_333:
	s_or_b64 exec, exec, s[2:3]
	s_and_b64 s[4:5], s[6:7], s[18:19]
	s_and_saveexec_b64 s[2:3], s[4:5]
	s_cbranch_execnz .LBB262_348
.LBB262_334:
	s_or_b64 exec, exec, s[2:3]
	s_and_b64 s[4:5], s[8:9], s[18:19]
	s_and_saveexec_b64 s[2:3], s[4:5]
	s_cbranch_execnz .LBB262_352
.LBB262_335:
	s_or_b64 exec, exec, s[2:3]
	s_and_b64 s[4:5], s[10:11], s[18:19]
	s_and_saveexec_b64 s[2:3], s[4:5]
	s_cbranch_execnz .LBB262_356
.LBB262_336:
	s_or_b64 exec, exec, s[2:3]
	s_and_b64 s[4:5], s[12:13], s[18:19]
	s_and_saveexec_b64 s[2:3], s[4:5]
	s_cbranch_execnz .LBB262_360
.LBB262_337:
	s_or_b64 exec, exec, s[2:3]
	s_and_b64 s[4:5], s[14:15], s[18:19]
	s_and_saveexec_b64 s[2:3], s[4:5]
	s_cbranch_execnz .LBB262_364
.LBB262_338:
	s_or_b64 exec, exec, s[2:3]
	s_and_b64 s[2:3], s[16:17], s[18:19]
	s_and_saveexec_b64 s[4:5], s[2:3]
	s_cbranch_execnz .LBB262_368
.LBB262_339:
	s_endpgm
.LBB262_340:
	s_and_b64 vcc, exec, s[0:1]
	s_cbranch_vccnz .LBB262_342
; %bb.341:
	v_lshl_add_u64 v[22:23], v[32:33], 1, v[20:21]
	global_load_ushort v22, v[22:23], off
	s_waitcnt vmcnt(0)
	v_mul_f16_e32 v22, s33, v22
	v_cvt_f32_f16_e32 v22, v22
	s_branch .LBB262_343
.LBB262_342:
	v_mov_b32_e32 v22, 0
.LBB262_343:
	v_pk_add_f16 v16, v16, v6
	v_max_f16_e32 v23, v59, v59
	v_pk_add_f16 v17, v17, v7
	v_min_f16_e32 v23, v23, v16
	v_lshrrev_b32_e32 v24, 16, v59
	v_lshrrev_b32_e32 v16, 16, v16
	;; [unrolled: 1-line block ×3, first 2 shown]
	v_min3_f16 v16, v24, v16, v25
	v_min3_f16 v16, v23, v17, v16
	v_cvt_f32_f16_e32 v16, v16
	v_max_f32_e32 v17, v22, v22
	v_min_f32_e32 v16, v17, v16
	v_cvt_f16_f32_e32 v22, v16
	v_lshl_add_u64 v[16:17], v[32:33], 1, v[4:5]
	global_store_short v[16:17], v22, off
	s_or_b64 exec, exec, s[2:3]
	s_and_b64 s[4:5], s[4:5], s[18:19]
	s_and_saveexec_b64 s[2:3], s[4:5]
	s_cbranch_execz .LBB262_333
.LBB262_344:
	s_and_b64 vcc, exec, s[0:1]
	s_cbranch_vccnz .LBB262_346
; %bb.345:
	v_lshl_add_u64 v[16:17], v[34:35], 1, v[20:21]
	global_load_ushort v16, v[16:17], off
	s_waitcnt vmcnt(0)
	v_mul_f16_e32 v16, s33, v16
	v_cvt_f32_f16_e32 v16, v16
	s_branch .LBB262_347
.LBB262_346:
	v_mov_b32_e32 v16, 0
.LBB262_347:
	v_pk_add_f16 v17, v18, v6
	v_max_f16_e32 v18, v58, v58
	v_pk_add_f16 v19, v19, v7
	v_min_f16_e32 v18, v18, v17
	v_lshrrev_b32_e32 v22, 16, v58
	v_lshrrev_b32_e32 v17, 16, v17
	;; [unrolled: 1-line block ×3, first 2 shown]
	v_min3_f16 v17, v22, v17, v23
	v_min3_f16 v17, v18, v19, v17
	v_cvt_f32_f16_e32 v17, v17
	v_max_f32_e32 v16, v16, v16
	v_min_f32_e32 v16, v16, v17
	v_cvt_f16_f32_e32 v18, v16
	v_lshl_add_u64 v[16:17], v[34:35], 1, v[4:5]
	global_store_short v[16:17], v18, off
	s_or_b64 exec, exec, s[2:3]
	s_and_b64 s[4:5], s[6:7], s[18:19]
	s_and_saveexec_b64 s[2:3], s[4:5]
	s_cbranch_execz .LBB262_334
.LBB262_348:
	s_and_b64 vcc, exec, s[0:1]
	s_cbranch_vccnz .LBB262_350
; %bb.349:
	v_lshl_add_u64 v[16:17], v[36:37], 1, v[20:21]
	global_load_ushort v16, v[16:17], off
	s_waitcnt vmcnt(0)
	v_mul_f16_e32 v16, s33, v16
	v_cvt_f32_f16_e32 v16, v16
	s_branch .LBB262_351
.LBB262_350:
	v_mov_b32_e32 v16, 0
.LBB262_351:
	v_pk_add_f16 v12, v12, v6
	v_max_f16_e32 v17, v57, v57
	v_pk_add_f16 v13, v13, v7
	v_min_f16_e32 v17, v17, v12
	v_lshrrev_b32_e32 v18, 16, v57
	v_lshrrev_b32_e32 v12, 16, v12
	;; [unrolled: 1-line block ×3, first 2 shown]
	v_min3_f16 v12, v18, v12, v19
	v_min3_f16 v12, v17, v13, v12
	v_cvt_f32_f16_e32 v12, v12
	v_max_f32_e32 v13, v16, v16
	v_min_f32_e32 v12, v13, v12
	v_cvt_f16_f32_e32 v16, v12
	v_lshl_add_u64 v[12:13], v[36:37], 1, v[4:5]
	global_store_short v[12:13], v16, off
	s_or_b64 exec, exec, s[2:3]
	s_and_b64 s[4:5], s[8:9], s[18:19]
	s_and_saveexec_b64 s[2:3], s[4:5]
	s_cbranch_execz .LBB262_335
.LBB262_352:
	s_and_b64 vcc, exec, s[0:1]
	s_cbranch_vccnz .LBB262_354
; %bb.353:
	v_lshl_add_u64 v[12:13], v[38:39], 1, v[20:21]
	global_load_ushort v12, v[12:13], off
	s_waitcnt vmcnt(0)
	v_mul_f16_e32 v12, s33, v12
	v_cvt_f32_f16_e32 v12, v12
	s_branch .LBB262_355
.LBB262_354:
	v_mov_b32_e32 v12, 0
.LBB262_355:
	v_pk_add_f16 v13, v14, v6
	v_max_f16_e32 v14, v56, v56
	v_pk_add_f16 v15, v15, v7
	v_min_f16_e32 v14, v14, v13
	v_lshrrev_b32_e32 v16, 16, v56
	v_lshrrev_b32_e32 v13, 16, v13
	;; [unrolled: 1-line block ×3, first 2 shown]
	v_min3_f16 v13, v16, v13, v17
	v_min3_f16 v13, v14, v15, v13
	v_cvt_f32_f16_e32 v13, v13
	v_max_f32_e32 v12, v12, v12
	v_min_f32_e32 v12, v12, v13
	v_cvt_f16_f32_e32 v14, v12
	v_lshl_add_u64 v[12:13], v[38:39], 1, v[4:5]
	global_store_short v[12:13], v14, off
	s_or_b64 exec, exec, s[2:3]
	s_and_b64 s[4:5], s[10:11], s[18:19]
	s_and_saveexec_b64 s[2:3], s[4:5]
	s_cbranch_execz .LBB262_336
.LBB262_356:
	s_and_b64 vcc, exec, s[0:1]
	s_cbranch_vccnz .LBB262_358
; %bb.357:
	v_lshl_add_u64 v[12:13], v[40:41], 1, v[20:21]
	global_load_ushort v12, v[12:13], off
	s_waitcnt vmcnt(0)
	v_mul_f16_e32 v12, s33, v12
	v_cvt_f32_f16_e32 v12, v12
	s_branch .LBB262_359
.LBB262_358:
	v_mov_b32_e32 v12, 0
.LBB262_359:
	v_pk_add_f16 v8, v8, v6
	v_max_f16_e32 v13, v54, v54
	v_pk_add_f16 v9, v9, v7
	v_min_f16_e32 v13, v13, v8
	v_lshrrev_b32_e32 v14, 16, v54
	v_lshrrev_b32_e32 v8, 16, v8
	;; [unrolled: 1-line block ×3, first 2 shown]
	v_min3_f16 v8, v14, v8, v15
	v_min3_f16 v8, v13, v9, v8
	v_cvt_f32_f16_e32 v8, v8
	v_max_f32_e32 v9, v12, v12
	v_min_f32_e32 v8, v9, v8
	v_cvt_f16_f32_e32 v12, v8
	v_lshl_add_u64 v[8:9], v[40:41], 1, v[4:5]
	global_store_short v[8:9], v12, off
	s_or_b64 exec, exec, s[2:3]
	s_and_b64 s[4:5], s[12:13], s[18:19]
	s_and_saveexec_b64 s[2:3], s[4:5]
	s_cbranch_execz .LBB262_337
.LBB262_360:
	s_and_b64 vcc, exec, s[0:1]
	s_cbranch_vccnz .LBB262_362
; %bb.361:
	v_lshl_add_u64 v[8:9], v[42:43], 1, v[20:21]
	global_load_ushort v8, v[8:9], off
	s_waitcnt vmcnt(0)
	v_mul_f16_e32 v8, s33, v8
	v_cvt_f32_f16_e32 v8, v8
	s_branch .LBB262_363
.LBB262_362:
	v_mov_b32_e32 v8, 0
.LBB262_363:
	v_pk_add_f16 v9, v10, v6
	v_max_f16_e32 v10, v53, v53
	v_pk_add_f16 v11, v11, v7
	v_min_f16_e32 v10, v10, v9
	v_lshrrev_b32_e32 v12, 16, v53
	v_lshrrev_b32_e32 v9, 16, v9
	;; [unrolled: 1-line block ×3, first 2 shown]
	v_min3_f16 v9, v12, v9, v13
	v_min3_f16 v9, v10, v11, v9
	v_cvt_f32_f16_e32 v9, v9
	v_max_f32_e32 v8, v8, v8
	v_min_f32_e32 v8, v8, v9
	v_cvt_f16_f32_e32 v10, v8
	v_lshl_add_u64 v[8:9], v[42:43], 1, v[4:5]
	global_store_short v[8:9], v10, off
	s_or_b64 exec, exec, s[2:3]
	s_and_b64 s[4:5], s[14:15], s[18:19]
	s_and_saveexec_b64 s[2:3], s[4:5]
	s_cbranch_execz .LBB262_338
.LBB262_364:
	s_and_b64 vcc, exec, s[0:1]
	s_cbranch_vccnz .LBB262_366
; %bb.365:
	v_lshl_add_u64 v[8:9], v[44:45], 1, v[20:21]
	global_load_ushort v8, v[8:9], off
	s_waitcnt vmcnt(0)
	v_mul_f16_e32 v8, s33, v8
	v_cvt_f32_f16_e32 v8, v8
	s_branch .LBB262_367
.LBB262_366:
	v_mov_b32_e32 v8, 0
.LBB262_367:
	v_pk_add_f16 v0, v0, v6
	v_max_f16_e32 v9, v52, v52
	v_pk_add_f16 v1, v1, v7
	v_min_f16_e32 v9, v9, v0
	v_lshrrev_b32_e32 v10, 16, v52
	v_lshrrev_b32_e32 v0, 16, v0
	;; [unrolled: 1-line block ×3, first 2 shown]
	v_min3_f16 v0, v10, v0, v11
	v_min3_f16 v0, v9, v1, v0
	v_cvt_f32_f16_e32 v0, v0
	v_max_f32_e32 v1, v8, v8
	v_min_f32_e32 v0, v1, v0
	v_cvt_f16_f32_e32 v8, v0
	v_lshl_add_u64 v[0:1], v[44:45], 1, v[4:5]
	global_store_short v[0:1], v8, off
	s_or_b64 exec, exec, s[2:3]
	s_and_b64 s[2:3], s[16:17], s[18:19]
	s_and_saveexec_b64 s[4:5], s[2:3]
	s_cbranch_execz .LBB262_339
.LBB262_368:
	s_and_b64 vcc, exec, s[0:1]
	s_cbranch_vccnz .LBB262_370
; %bb.369:
	v_lshl_add_u64 v[0:1], v[46:47], 1, v[20:21]
	global_load_ushort v0, v[0:1], off
	s_waitcnt vmcnt(0)
	v_mul_f16_e32 v0, s33, v0
	v_cvt_f32_f16_e32 v0, v0
	s_branch .LBB262_371
.LBB262_370:
	v_mov_b32_e32 v0, 0
.LBB262_371:
	v_pk_add_f16 v1, v2, v6
	v_max_f16_e32 v2, v55, v55
	v_pk_add_f16 v3, v3, v7
	v_min_f16_e32 v2, v2, v1
	v_lshrrev_b32_e32 v6, 16, v55
	v_lshrrev_b32_e32 v1, 16, v1
	;; [unrolled: 1-line block ×3, first 2 shown]
	v_min3_f16 v1, v6, v1, v7
	v_min3_f16 v1, v2, v3, v1
	v_cvt_f32_f16_e32 v1, v1
	v_max_f32_e32 v0, v0, v0
	v_min_f32_e32 v0, v0, v1
	v_cvt_f16_f32_e32 v2, v0
	v_lshl_add_u64 v[0:1], v[46:47], 1, v[4:5]
	global_store_short v[0:1], v2, off
	s_endpgm
	.section	.rodata,"a",@progbits
	.p2align	6, 0x0
	.amdhsa_kernel _ZN12_GLOBAL__N_120geam_min_plus_kernelIDF16_Dv2_DF16_S1_Li32ELi8ELi256ELi64ELi4ELi64ELi4ELi4ELi64ELc78ELc78ELb1ELb1ELb1EDF16_KDF16_DF16_EEviiiT16_PT17_ilS5_ilS3_S5_ilPT18_ili26rocblas_geam_ex_operation_
		.amdhsa_group_segment_fixed_size 5120
		.amdhsa_private_segment_fixed_size 0
		.amdhsa_kernarg_size 128
		.amdhsa_user_sgpr_count 2
		.amdhsa_user_sgpr_dispatch_ptr 0
		.amdhsa_user_sgpr_queue_ptr 0
		.amdhsa_user_sgpr_kernarg_segment_ptr 1
		.amdhsa_user_sgpr_dispatch_id 0
		.amdhsa_user_sgpr_kernarg_preload_length 0
		.amdhsa_user_sgpr_kernarg_preload_offset 0
		.amdhsa_user_sgpr_private_segment_size 0
		.amdhsa_uses_dynamic_stack 0
		.amdhsa_enable_private_segment 0
		.amdhsa_system_sgpr_workgroup_id_x 1
		.amdhsa_system_sgpr_workgroup_id_y 0
		.amdhsa_system_sgpr_workgroup_id_z 1
		.amdhsa_system_sgpr_workgroup_info 0
		.amdhsa_system_vgpr_workitem_id 1
		.amdhsa_next_free_vgpr 144
		.amdhsa_next_free_sgpr 38
		.amdhsa_accum_offset 144
		.amdhsa_reserve_vcc 1
		.amdhsa_float_round_mode_32 0
		.amdhsa_float_round_mode_16_64 0
		.amdhsa_float_denorm_mode_32 3
		.amdhsa_float_denorm_mode_16_64 3
		.amdhsa_dx10_clamp 1
		.amdhsa_ieee_mode 1
		.amdhsa_fp16_overflow 0
		.amdhsa_tg_split 0
		.amdhsa_exception_fp_ieee_invalid_op 0
		.amdhsa_exception_fp_denorm_src 0
		.amdhsa_exception_fp_ieee_div_zero 0
		.amdhsa_exception_fp_ieee_overflow 0
		.amdhsa_exception_fp_ieee_underflow 0
		.amdhsa_exception_fp_ieee_inexact 0
		.amdhsa_exception_int_div_zero 0
	.end_amdhsa_kernel
	.section	.text._ZN12_GLOBAL__N_120geam_min_plus_kernelIDF16_Dv2_DF16_S1_Li32ELi8ELi256ELi64ELi4ELi64ELi4ELi4ELi64ELc78ELc78ELb1ELb1ELb1EDF16_KDF16_DF16_EEviiiT16_PT17_ilS5_ilS3_S5_ilPT18_ili26rocblas_geam_ex_operation_,"axG",@progbits,_ZN12_GLOBAL__N_120geam_min_plus_kernelIDF16_Dv2_DF16_S1_Li32ELi8ELi256ELi64ELi4ELi64ELi4ELi4ELi64ELc78ELc78ELb1ELb1ELb1EDF16_KDF16_DF16_EEviiiT16_PT17_ilS5_ilS3_S5_ilPT18_ili26rocblas_geam_ex_operation_,comdat
.Lfunc_end262:
	.size	_ZN12_GLOBAL__N_120geam_min_plus_kernelIDF16_Dv2_DF16_S1_Li32ELi8ELi256ELi64ELi4ELi64ELi4ELi4ELi64ELc78ELc78ELb1ELb1ELb1EDF16_KDF16_DF16_EEviiiT16_PT17_ilS5_ilS3_S5_ilPT18_ili26rocblas_geam_ex_operation_, .Lfunc_end262-_ZN12_GLOBAL__N_120geam_min_plus_kernelIDF16_Dv2_DF16_S1_Li32ELi8ELi256ELi64ELi4ELi64ELi4ELi4ELi64ELc78ELc78ELb1ELb1ELb1EDF16_KDF16_DF16_EEviiiT16_PT17_ilS5_ilS3_S5_ilPT18_ili26rocblas_geam_ex_operation_
                                        ; -- End function
	.set _ZN12_GLOBAL__N_120geam_min_plus_kernelIDF16_Dv2_DF16_S1_Li32ELi8ELi256ELi64ELi4ELi64ELi4ELi4ELi64ELc78ELc78ELb1ELb1ELb1EDF16_KDF16_DF16_EEviiiT16_PT17_ilS5_ilS3_S5_ilPT18_ili26rocblas_geam_ex_operation_.num_vgpr, 144
	.set _ZN12_GLOBAL__N_120geam_min_plus_kernelIDF16_Dv2_DF16_S1_Li32ELi8ELi256ELi64ELi4ELi64ELi4ELi4ELi64ELc78ELc78ELb1ELb1ELb1EDF16_KDF16_DF16_EEviiiT16_PT17_ilS5_ilS3_S5_ilPT18_ili26rocblas_geam_ex_operation_.num_agpr, 0
	.set _ZN12_GLOBAL__N_120geam_min_plus_kernelIDF16_Dv2_DF16_S1_Li32ELi8ELi256ELi64ELi4ELi64ELi4ELi4ELi64ELc78ELc78ELb1ELb1ELb1EDF16_KDF16_DF16_EEviiiT16_PT17_ilS5_ilS3_S5_ilPT18_ili26rocblas_geam_ex_operation_.numbered_sgpr, 38
	.set _ZN12_GLOBAL__N_120geam_min_plus_kernelIDF16_Dv2_DF16_S1_Li32ELi8ELi256ELi64ELi4ELi64ELi4ELi4ELi64ELc78ELc78ELb1ELb1ELb1EDF16_KDF16_DF16_EEviiiT16_PT17_ilS5_ilS3_S5_ilPT18_ili26rocblas_geam_ex_operation_.num_named_barrier, 0
	.set _ZN12_GLOBAL__N_120geam_min_plus_kernelIDF16_Dv2_DF16_S1_Li32ELi8ELi256ELi64ELi4ELi64ELi4ELi4ELi64ELc78ELc78ELb1ELb1ELb1EDF16_KDF16_DF16_EEviiiT16_PT17_ilS5_ilS3_S5_ilPT18_ili26rocblas_geam_ex_operation_.private_seg_size, 0
	.set _ZN12_GLOBAL__N_120geam_min_plus_kernelIDF16_Dv2_DF16_S1_Li32ELi8ELi256ELi64ELi4ELi64ELi4ELi4ELi64ELc78ELc78ELb1ELb1ELb1EDF16_KDF16_DF16_EEviiiT16_PT17_ilS5_ilS3_S5_ilPT18_ili26rocblas_geam_ex_operation_.uses_vcc, 1
	.set _ZN12_GLOBAL__N_120geam_min_plus_kernelIDF16_Dv2_DF16_S1_Li32ELi8ELi256ELi64ELi4ELi64ELi4ELi4ELi64ELc78ELc78ELb1ELb1ELb1EDF16_KDF16_DF16_EEviiiT16_PT17_ilS5_ilS3_S5_ilPT18_ili26rocblas_geam_ex_operation_.uses_flat_scratch, 0
	.set _ZN12_GLOBAL__N_120geam_min_plus_kernelIDF16_Dv2_DF16_S1_Li32ELi8ELi256ELi64ELi4ELi64ELi4ELi4ELi64ELc78ELc78ELb1ELb1ELb1EDF16_KDF16_DF16_EEviiiT16_PT17_ilS5_ilS3_S5_ilPT18_ili26rocblas_geam_ex_operation_.has_dyn_sized_stack, 0
	.set _ZN12_GLOBAL__N_120geam_min_plus_kernelIDF16_Dv2_DF16_S1_Li32ELi8ELi256ELi64ELi4ELi64ELi4ELi4ELi64ELc78ELc78ELb1ELb1ELb1EDF16_KDF16_DF16_EEviiiT16_PT17_ilS5_ilS3_S5_ilPT18_ili26rocblas_geam_ex_operation_.has_recursion, 0
	.set _ZN12_GLOBAL__N_120geam_min_plus_kernelIDF16_Dv2_DF16_S1_Li32ELi8ELi256ELi64ELi4ELi64ELi4ELi4ELi64ELc78ELc78ELb1ELb1ELb1EDF16_KDF16_DF16_EEviiiT16_PT17_ilS5_ilS3_S5_ilPT18_ili26rocblas_geam_ex_operation_.has_indirect_call, 0
	.section	.AMDGPU.csdata,"",@progbits
; Kernel info:
; codeLenInByte = 20376
; TotalNumSgprs: 44
; NumVgprs: 144
; NumAgprs: 0
; TotalNumVgprs: 144
; ScratchSize: 0
; MemoryBound: 0
; FloatMode: 240
; IeeeMode: 1
; LDSByteSize: 5120 bytes/workgroup (compile time only)
; SGPRBlocks: 5
; VGPRBlocks: 17
; NumSGPRsForWavesPerEU: 44
; NumVGPRsForWavesPerEU: 144
; AccumOffset: 144
; Occupancy: 3
; WaveLimiterHint : 0
; COMPUTE_PGM_RSRC2:SCRATCH_EN: 0
; COMPUTE_PGM_RSRC2:USER_SGPR: 2
; COMPUTE_PGM_RSRC2:TRAP_HANDLER: 0
; COMPUTE_PGM_RSRC2:TGID_X_EN: 1
; COMPUTE_PGM_RSRC2:TGID_Y_EN: 0
; COMPUTE_PGM_RSRC2:TGID_Z_EN: 1
; COMPUTE_PGM_RSRC2:TIDIG_COMP_CNT: 1
; COMPUTE_PGM_RSRC3_GFX90A:ACCUM_OFFSET: 35
; COMPUTE_PGM_RSRC3_GFX90A:TG_SPLIT: 0
	.section	.text._ZN12_GLOBAL__N_120geam_min_plus_kernelIDF16_Dv2_DF16_S1_Li32ELi8ELi256ELi64ELi4ELi64ELi4ELi4ELi64ELc78ELc78ELb0ELb1ELb1EDF16_KDF16_DF16_EEviiiT16_PT17_ilS5_ilS3_S5_ilPT18_ili26rocblas_geam_ex_operation_,"axG",@progbits,_ZN12_GLOBAL__N_120geam_min_plus_kernelIDF16_Dv2_DF16_S1_Li32ELi8ELi256ELi64ELi4ELi64ELi4ELi4ELi64ELc78ELc78ELb0ELb1ELb1EDF16_KDF16_DF16_EEviiiT16_PT17_ilS5_ilS3_S5_ilPT18_ili26rocblas_geam_ex_operation_,comdat
	.globl	_ZN12_GLOBAL__N_120geam_min_plus_kernelIDF16_Dv2_DF16_S1_Li32ELi8ELi256ELi64ELi4ELi64ELi4ELi4ELi64ELc78ELc78ELb0ELb1ELb1EDF16_KDF16_DF16_EEviiiT16_PT17_ilS5_ilS3_S5_ilPT18_ili26rocblas_geam_ex_operation_ ; -- Begin function _ZN12_GLOBAL__N_120geam_min_plus_kernelIDF16_Dv2_DF16_S1_Li32ELi8ELi256ELi64ELi4ELi64ELi4ELi4ELi64ELc78ELc78ELb0ELb1ELb1EDF16_KDF16_DF16_EEviiiT16_PT17_ilS5_ilS3_S5_ilPT18_ili26rocblas_geam_ex_operation_
	.p2align	8
	.type	_ZN12_GLOBAL__N_120geam_min_plus_kernelIDF16_Dv2_DF16_S1_Li32ELi8ELi256ELi64ELi4ELi64ELi4ELi4ELi64ELc78ELc78ELb0ELb1ELb1EDF16_KDF16_DF16_EEviiiT16_PT17_ilS5_ilS3_S5_ilPT18_ili26rocblas_geam_ex_operation_,@function
_ZN12_GLOBAL__N_120geam_min_plus_kernelIDF16_Dv2_DF16_S1_Li32ELi8ELi256ELi64ELi4ELi64ELi4ELi4ELi64ELc78ELc78ELb0ELb1ELb1EDF16_KDF16_DF16_EEviiiT16_PT17_ilS5_ilS3_S5_ilPT18_ili26rocblas_geam_ex_operation_: ; @_ZN12_GLOBAL__N_120geam_min_plus_kernelIDF16_Dv2_DF16_S1_Li32ELi8ELi256ELi64ELi4ELi64ELi4ELi4ELi64ELc78ELc78ELb0ELb1ELb1EDF16_KDF16_DF16_EEviiiT16_PT17_ilS5_ilS3_S5_ilPT18_ili26rocblas_geam_ex_operation_
; %bb.0:
	s_load_dwordx4 s[20:23], s[0:1], 0x0
	s_load_dwordx4 s[4:7], s[0:1], 0x20
	s_waitcnt lgkmcnt(0)
	v_cmp_eq_f16_e64 s[8:9], s23, 0
	s_and_b64 vcc, exec, s[8:9]
	s_cbranch_vccnz .LBB263_53
; %bb.1:
	s_load_dwordx2 s[10:11], s[0:1], 0x10
	s_mul_i32 s5, s5, s3
	s_mul_hi_u32 s12, s4, s3
	s_add_i32 s5, s12, s5
	s_mul_i32 s4, s4, s3
	s_lshl_b64 s[4:5], s[4:5], 1
	s_waitcnt lgkmcnt(0)
	s_add_u32 s28, s10, s4
	s_addc_u32 s29, s11, s5
	s_andn2_b64 vcc, exec, s[8:9]
	s_mov_b64 s[4:5], -1
	s_cbranch_vccnz .LBB263_3
.LBB263_2:
	s_mov_b64 s[4:5], 0
.LBB263_3:
	s_mov_b64 s[24:25], 0
	s_andn2_b64 vcc, exec, s[4:5]
	s_mov_b64 s[30:31], 0
	s_cbranch_vccnz .LBB263_5
; %bb.4:
	s_load_dwordx2 s[4:5], s[0:1], 0x38
	s_waitcnt lgkmcnt(0)
	s_mul_i32 s5, s5, s3
	s_mul_hi_u32 s8, s4, s3
	s_add_i32 s5, s8, s5
	s_mul_i32 s4, s4, s3
	s_lshl_b64 s[4:5], s[4:5], 1
	s_add_u32 s30, s6, s4
	s_addc_u32 s31, s7, s5
.LBB263_5:
	s_load_dword s33, s[0:1], 0x40
	s_load_dwordx4 s[16:19], s[0:1], 0x58
	s_waitcnt lgkmcnt(0)
	v_cmp_eq_f16_e64 s[4:5], s33, 0
	v_cmp_neq_f16_e64 s[26:27], s33, 0
	s_and_b64 vcc, exec, s[4:5]
	s_cbranch_vccnz .LBB263_7
; %bb.6:
	s_load_dwordx2 s[4:5], s[0:1], 0x48
	s_mul_i32 s6, s17, s3
	s_mul_hi_u32 s7, s16, s3
	s_add_i32 s7, s7, s6
	s_mul_i32 s6, s16, s3
	s_lshl_b64 s[6:7], s[6:7], 1
	s_waitcnt lgkmcnt(0)
	s_add_u32 s24, s4, s6
	s_addc_u32 s25, s5, s7
.LBB263_7:
	s_add_i32 s10, s20, -1
	s_ashr_i32 s4, s10, 31
	s_lshr_b32 s4, s4, 24
	s_add_i32 s4, s10, s4
	s_ashr_i32 s4, s4, 8
	s_add_i32 s5, s4, 1
	v_cvt_f32_u32_e32 v1, s5
	v_and_b32_e32 v44, 0x3ff, v0
	v_bfe_u32 v45, v0, 10, 10
	s_not_b32 s4, s4
	v_rcp_iflag_f32_e32 v1, v1
	s_load_dword s35, s[0:1], 0x18
	v_lshl_add_u32 v7, v45, 5, v44
	v_and_b32_e32 v2, 63, v7
	v_mul_f32_e32 v0, 0x4f7ffffe, v1
	v_cvt_u32_f32_e32 v0, v0
	v_lshrrev_b32_e32 v46, 6, v7
	v_cmp_eq_f16_e64 s[16:17], s23, 0
	v_mov_b32_e32 v4, 0x7c00
	v_readfirstlane_b32 s6, v0
	s_mul_i32 s4, s4, s6
	s_mul_hi_u32 s4, s6, s4
	s_add_i32 s6, s6, s4
	s_mul_hi_u32 s4, s2, s6
	s_mul_i32 s6, s4, s5
	s_sub_i32 s6, s2, s6
	s_add_i32 s7, s4, 1
	s_sub_i32 s8, s6, s5
	s_cmp_ge_u32 s6, s5
	s_cselect_b32 s4, s7, s4
	s_cselect_b32 s6, s8, s6
	s_add_i32 s7, s4, 1
	s_cmp_ge_u32 s6, s5
	s_cselect_b32 s11, s7, s4
	s_mul_i32 s4, s11, s5
	s_sub_i32 s2, s2, s4
	s_lshl_b32 s2, s2, 8
	s_add_i32 s36, s22, -1
	v_or_b32_e32 v32, s2, v2
	v_min_i32_e32 v0, s36, v46
	v_cmp_le_i32_e64 s[8:9], s22, v46
	s_waitcnt lgkmcnt(0)
	v_mad_i64_i32 v[0:1], s[4:5], s35, v0, 0
	v_cmp_le_i32_e32 vcc, s20, v32
	s_or_b64 s[4:5], vcc, s[8:9]
	v_lshl_add_u64 v[0:1], v[0:1], 1, s[28:29]
	v_cndmask_b32_e64 v3, 0, v4, s[4:5]
	s_nor_b64 s[6:7], s[16:17], s[4:5]
	v_ashrrev_i32_e32 v33, 31, v32
	s_and_saveexec_b64 s[4:5], s[6:7]
	s_cbranch_execz .LBB263_9
; %bb.8:
	v_lshl_add_u64 v[8:9], v[32:33], 1, v[0:1]
	global_load_ushort v3, v[8:9], off
	s_waitcnt vmcnt(0)
	v_mul_f16_e32 v3, s23, v3
.LBB263_9:
	s_or_b64 exec, exec, s[4:5]
	v_or_b32_e32 v5, 64, v32
	v_cmp_le_i32_e64 s[12:13], s20, v5
	v_min_i32_e32 v34, s10, v5
	s_or_b64 s[4:5], s[12:13], s[8:9]
	v_cndmask_b32_e64 v4, 0, v4, s[4:5]
	s_nor_b64 s[6:7], s[4:5], s[16:17]
	v_ashrrev_i32_e32 v35, 31, v34
	s_and_saveexec_b64 s[4:5], s[6:7]
	s_cbranch_execz .LBB263_11
; %bb.10:
	v_lshl_add_u64 v[4:5], v[34:35], 1, v[0:1]
	global_load_ushort v4, v[4:5], off
	s_waitcnt vmcnt(0)
	v_mul_f16_e32 v4, s23, v4
.LBB263_11:
	s_or_b64 exec, exec, s[4:5]
	v_or_b32_e32 v5, 0x80, v32
	v_cmp_le_i32_e64 s[4:5], s20, v5
	v_min_i32_e32 v36, s10, v5
	v_mov_b32_e32 v6, 0x7c00
	s_or_b64 s[6:7], s[4:5], s[8:9]
	v_cndmask_b32_e64 v5, 0, v6, s[6:7]
	s_nor_b64 s[14:15], s[6:7], s[16:17]
	v_ashrrev_i32_e32 v37, 31, v36
	s_and_saveexec_b64 s[6:7], s[14:15]
	s_cbranch_execz .LBB263_13
; %bb.12:
	v_lshl_add_u64 v[8:9], v[36:37], 1, v[0:1]
	global_load_ushort v5, v[8:9], off
	s_waitcnt vmcnt(0)
	v_mul_f16_e32 v5, s23, v5
.LBB263_13:
	s_or_b64 exec, exec, s[6:7]
	v_or_b32_e32 v8, 0xc0, v32
	v_cmp_le_i32_e64 s[6:7], s20, v8
	v_min_i32_e32 v38, s10, v8
	s_or_b64 s[8:9], s[6:7], s[8:9]
	v_cndmask_b32_e64 v6, 0, v6, s[8:9]
	s_nor_b64 s[14:15], s[8:9], s[16:17]
	v_ashrrev_i32_e32 v39, 31, v38
	s_and_saveexec_b64 s[8:9], s[14:15]
	s_cbranch_execz .LBB263_15
; %bb.14:
	v_lshl_add_u64 v[0:1], v[38:39], 1, v[0:1]
	global_load_ushort v0, v[0:1], off
	s_waitcnt vmcnt(0)
	v_mul_f16_e32 v6, s23, v0
.LBB263_15:
	s_or_b64 exec, exec, s[8:9]
	s_load_dword s38, s[0:1], 0x30
	v_lshrrev_b32_e32 v7, 2, v7
	s_lshl_b32 s34, s11, 6
	v_and_b32_e32 v49, 3, v44
	v_add_u32_e32 v29, s34, v7
	v_cmp_le_i32_e64 s[10:11], s22, v49
	v_cmp_le_i32_e64 s[8:9], s21, v29
	v_mov_b32_e32 v9, 0x7c00
	s_or_b64 s[10:11], s[10:11], s[8:9]
	v_cndmask_b32_e64 v8, 0, v9, s[10:11]
	s_nor_b64 s[14:15], s[16:17], s[10:11]
	s_and_saveexec_b64 s[10:11], s[14:15]
	s_cbranch_execz .LBB263_17
; %bb.16:
	s_waitcnt lgkmcnt(0)
	v_mad_i64_i32 v[0:1], s[14:15], v29, s38, 0
	v_min_u32_e32 v8, s36, v49
	v_lshl_add_u64 v[0:1], v[0:1], 1, s[30:31]
	v_lshlrev_b32_e32 v10, 1, v8
	v_mov_b32_e32 v11, 0
	v_lshl_add_u64 v[0:1], v[0:1], 0, v[10:11]
	global_load_ushort v0, v[0:1], off
	s_waitcnt vmcnt(0)
	v_mul_f16_e32 v8, s23, v0
.LBB263_17:
	s_or_b64 exec, exec, s[10:11]
	v_add_u32_e32 v0, 4, v46
	v_cmp_le_i32_e64 s[10:11], s22, v0
	v_min_i32_e32 v0, s36, v0
	v_mad_i64_i32 v[0:1], s[14:15], s35, v0, 0
	s_or_b64 s[14:15], vcc, s[10:11]
	v_lshl_add_u64 v[0:1], v[0:1], 1, s[28:29]
	v_cndmask_b32_e64 v30, 0, v9, s[14:15]
	s_nor_b64 s[40:41], s[16:17], s[14:15]
	s_and_saveexec_b64 s[14:15], s[40:41]
	s_cbranch_execz .LBB263_19
; %bb.18:
	v_lshl_add_u64 v[10:11], v[32:33], 1, v[0:1]
	global_load_ushort v9, v[10:11], off
	s_waitcnt vmcnt(0)
	v_mul_f16_e32 v30, s23, v9
.LBB263_19:
	s_or_b64 exec, exec, s[14:15]
	v_mov_b32_e32 v9, 0x7c00
	s_or_b64 s[14:15], s[12:13], s[10:11]
	v_cndmask_b32_e64 v31, 0, v9, s[14:15]
	s_nor_b64 s[40:41], s[14:15], s[16:17]
	s_and_saveexec_b64 s[14:15], s[40:41]
	s_cbranch_execz .LBB263_21
; %bb.20:
	v_lshl_add_u64 v[10:11], v[34:35], 1, v[0:1]
	global_load_ushort v10, v[10:11], off
	s_waitcnt vmcnt(0)
	v_mul_f16_e32 v31, s23, v10
.LBB263_21:
	s_or_b64 exec, exec, s[14:15]
	s_or_b64 s[14:15], s[4:5], s[10:11]
	v_cndmask_b32_e64 v40, 0, v9, s[14:15]
	s_nor_b64 s[40:41], s[14:15], s[16:17]
	s_and_saveexec_b64 s[14:15], s[40:41]
	s_cbranch_execz .LBB263_23
; %bb.22:
	v_lshl_add_u64 v[10:11], v[36:37], 1, v[0:1]
	global_load_ushort v9, v[10:11], off
	s_waitcnt vmcnt(0)
	v_mul_f16_e32 v40, s23, v9
.LBB263_23:
	s_or_b64 exec, exec, s[14:15]
	v_mov_b32_e32 v9, 0x7c00
	s_or_b64 s[10:11], s[6:7], s[10:11]
	v_cndmask_b32_e64 v41, 0, v9, s[10:11]
	s_nor_b64 s[14:15], s[10:11], s[16:17]
	s_and_saveexec_b64 s[10:11], s[14:15]
	s_cbranch_execz .LBB263_25
; %bb.24:
	v_lshl_add_u64 v[0:1], v[38:39], 1, v[0:1]
	global_load_ushort v0, v[0:1], off
	s_waitcnt vmcnt(0)
	v_mul_f16_e32 v41, s23, v0
.LBB263_25:
	s_or_b64 exec, exec, s[10:11]
	v_or_b32_e32 v0, 4, v49
	v_cmp_le_i32_e64 s[10:11], s22, v0
	s_or_b64 s[10:11], s[10:11], s[8:9]
	s_nor_b64 s[40:41], s[16:17], s[10:11]
	v_cndmask_b32_e64 v42, 0, v9, s[10:11]
	s_movk_i32 s14, 0x7c00
	s_and_saveexec_b64 s[10:11], s[40:41]
	s_cbranch_execz .LBB263_27
; %bb.26:
	s_waitcnt lgkmcnt(0)
	v_mad_i64_i32 v[10:11], s[40:41], v29, s38, 0
	v_min_u32_e32 v0, s36, v0
	v_lshl_add_u64 v[10:11], v[10:11], 1, s[30:31]
	v_lshlrev_b32_e32 v0, 1, v0
	v_mov_b32_e32 v1, 0
	v_lshl_add_u64 v[0:1], v[10:11], 0, v[0:1]
	global_load_ushort v0, v[0:1], off
	s_waitcnt vmcnt(0)
	v_mul_f16_e32 v42, s23, v0
.LBB263_27:
	s_or_b64 exec, exec, s[10:11]
	v_lshlrev_b32_e32 v0, 3, v2
	v_lshlrev_b32_e32 v28, 1, v49
	;; [unrolled: 1-line block ×3, first 2 shown]
	v_lshl_add_u32 v50, v46, 1, v0
	v_lshl_or_b32 v43, v7, 3, v28
	v_lshlrev_b32_e32 v48, 3, v44
	v_add_u32_e32 v51, 0x1000, v47
	ds_write_b16 v50, v3
	ds_write_b16 v50, v4 offset:512
	ds_write_b16 v50, v5 offset:1024
	;; [unrolled: 1-line block ×4, first 2 shown]
	s_waitcnt lgkmcnt(0)
	s_barrier
	ds_read2_b64 v[16:19], v48 offset1:32
	ds_read2_b64 v[12:15], v48 offset0:64 offset1:96
	ds_read2_b64 v[4:7], v48 offset0:128 offset1:160
	ds_read2_b64 v[52:55], v51 offset1:8
	ds_read2_b64 v[0:3], v48 offset0:192 offset1:224
	ds_read2_b64 v[24:27], v51 offset0:16 offset1:24
	;; [unrolled: 1-line block ×4, first 2 shown]
	s_cmp_lt_i32 s22, 9
	s_waitcnt lgkmcnt(4)
	v_pk_add_f16 v56, v16, v52
	v_pk_add_f16 v57, v18, v52
	;; [unrolled: 1-line block ×6, first 2 shown]
	s_waitcnt lgkmcnt(3)
	v_pk_add_f16 v62, v0, v52
	v_pk_add_f16 v52, v2, v52
	v_pk_add_f16 v63, v16, v54
	v_pk_add_f16 v64, v18, v54
	v_pk_add_f16 v65, v12, v54
	v_pk_add_f16 v66, v14, v54
	v_pk_add_f16 v67, v4, v54
	v_pk_add_f16 v68, v6, v54
	v_pk_add_f16 v69, v0, v54
	v_pk_add_f16 v54, v2, v54
	s_waitcnt lgkmcnt(2)
	v_pk_add_f16 v70, v16, v24
	v_pk_add_f16 v71, v18, v24
	v_pk_add_f16 v72, v12, v24
	v_pk_add_f16 v73, v14, v24
	v_pk_add_f16 v74, v4, v24
	v_pk_add_f16 v75, v6, v24
	v_pk_add_f16 v76, v0, v24
	v_pk_add_f16 v24, v2, v24
	v_pk_add_f16 v77, v16, v26
	v_pk_add_f16 v78, v18, v26
	v_pk_add_f16 v79, v12, v26
	v_pk_add_f16 v80, v14, v26
	v_pk_add_f16 v81, v4, v26
	v_pk_add_f16 v82, v6, v26
	v_pk_add_f16 v83, v0, v26
	v_pk_add_f16 v26, v2, v26
	s_waitcnt lgkmcnt(1)
	v_pk_add_f16 v101, v16, v20
	v_pk_add_f16 v117, v18, v20
	v_pk_add_f16 v118, v12, v20
	v_pk_add_f16 v119, v14, v20
	v_pk_add_f16 v120, v4, v20
	v_pk_add_f16 v121, v6, v20
	;; [unrolled: 17-line block ×3, first 2 shown]
	v_pk_add_f16 v136, v0, v8
	v_pk_add_f16 v8, v2, v8
	v_pk_add_f16 v16, v16, v10
	v_pk_add_f16 v18, v18, v10
	v_pk_add_f16 v12, v12, v10
	v_pk_add_f16 v14, v14, v10
	v_pk_add_f16 v4, v4, v10
	v_pk_add_f16 v6, v6, v10
	v_pk_add_f16 v137, v0, v10
	v_pk_add_f16 v0, v2, v10
	v_pk_add_f16 v2, v17, v53
	v_pk_min_f16 v10, v56, s14 op_sel_hi:[1,0]
	v_pk_min_f16 v8, v8, s14 op_sel_hi:[1,0]
	v_pk_min_f16 v116, v10, v2
	v_pk_add_f16 v2, v19, v53
	v_pk_min_f16 v10, v57, s14 op_sel_hi:[1,0]
	v_pk_min_f16 v4, v4, s14 op_sel_hi:[1,0]
	v_pk_min_f16 v115, v10, v2
	v_pk_add_f16 v2, v13, v53
	;; [unrolled: 4-line block ×3, first 2 shown]
	v_pk_min_f16 v10, v59, s14 op_sel_hi:[1,0]
	ds_write_b16 v50, v30 offset:2048
	ds_write_b16 v50, v31 offset:2560
	;; [unrolled: 1-line block ×5, first 2 shown]
	v_pk_min_f16 v113, v10, v2
	v_pk_add_f16 v2, v5, v53
	v_pk_min_f16 v10, v60, s14 op_sel_hi:[1,0]
	s_waitcnt lgkmcnt(0)
	v_pk_min_f16 v112, v10, v2
	v_pk_add_f16 v2, v7, v53
	v_pk_min_f16 v10, v61, s14 op_sel_hi:[1,0]
	s_barrier
	v_pk_min_f16 v111, v10, v2
	v_pk_add_f16 v2, v1, v53
	v_pk_min_f16 v10, v62, s14 op_sel_hi:[1,0]
	s_nop 0
	v_pk_min_f16 v110, v10, v2
	v_pk_add_f16 v2, v3, v53
	v_pk_min_f16 v10, v52, s14 op_sel_hi:[1,0]
	s_nop 0
	;; [unrolled: 4-line block ×48, first 2 shown]
	v_pk_min_f16 v62, v10, v2
	v_pk_add_f16 v2, v1, v9
	v_pk_min_f16 v10, v136, s14 op_sel_hi:[1,0]
	v_pk_add_f16 v1, v1, v11
	v_pk_min_f16 v61, v10, v2
	v_pk_add_f16 v2, v3, v9
	s_nop 0
	v_pk_min_f16 v60, v8, v2
	v_pk_add_f16 v2, v17, v11
	v_pk_min_f16 v8, v16, s14 op_sel_hi:[1,0]
	s_nop 0
	v_pk_min_f16 v59, v8, v2
	v_pk_add_f16 v2, v19, v11
	v_pk_min_f16 v8, v18, s14 op_sel_hi:[1,0]
	;; [unrolled: 4-line block ×4, first 2 shown]
	s_nop 0
	v_pk_min_f16 v56, v8, v2
	v_pk_add_f16 v2, v5, v11
	s_nop 0
	v_pk_min_f16 v54, v4, v2
	v_pk_add_f16 v2, v7, v11
	v_pk_min_f16 v4, v6, s14 op_sel_hi:[1,0]
	s_nop 0
	v_pk_min_f16 v53, v4, v2
	v_pk_min_f16 v2, v137, s14 op_sel_hi:[1,0]
	s_nop 0
	v_pk_min_f16 v52, v2, v1
	v_pk_add_f16 v1, v3, v11
	s_nop 0
	v_pk_min_f16 v55, v0, v1
	s_cbranch_scc1 .LBB263_50
; %bb.28:
	v_mov_b32_e32 v0, 0x800
	v_lshl_add_u32 v119, v44, 3, v0
	v_mov_b32_e32 v0, 0x1200
	v_lshl_add_u32 v120, v45, 3, v0
	v_mad_i64_i32 v[0:1], s[10:11], s38, v29, 0
	v_mov_b32_e32 v29, 0
	v_lshl_add_u64 v[0:1], v[0:1], 1, v[28:29]
	v_lshl_add_u64 v[0:1], s[30:31], 0, v[0:1]
	v_add_u32_e32 v101, 0x1000, v43
	v_add_u32_e32 v117, 0x800, v50
	;; [unrolled: 1-line block ×3, first 2 shown]
	s_add_i32 s37, s22, -8
	v_lshl_add_u64 v[40:41], v[0:1], 0, 16
	s_mov_b32 s30, 0
	v_mov_b32_e32 v121, 0x7c00
	s_branch .LBB263_30
.LBB263_29:                             ;   in Loop: Header=BB263_30 Depth=1
	s_or_b64 exec, exec, s[10:11]
	v_pk_add_f16 v43, v16, v28
	v_pk_max_f16 v116, v116, v116
	v_pk_max_f16 v115, v115, v115
	v_pk_min_f16 v43, v116, v43
	v_pk_add_f16 v116, v18, v28
	v_pk_max_f16 v114, v114, v114
	v_pk_min_f16 v115, v115, v116
	v_pk_add_f16 v116, v12, v28
	v_pk_max_f16 v113, v113, v113
	v_pk_min_f16 v114, v114, v116
	v_pk_add_f16 v116, v14, v28
	v_pk_max_f16 v112, v112, v112
	v_pk_min_f16 v113, v113, v116
	v_pk_add_f16 v116, v4, v28
	v_pk_max_f16 v111, v111, v111
	v_pk_min_f16 v112, v112, v116
	v_pk_add_f16 v116, v6, v28
	v_pk_max_f16 v109, v109, v109
	v_pk_min_f16 v111, v111, v116
	v_pk_add_f16 v116, v0, v28
	v_pk_add_f16 v28, v2, v28
	v_pk_max_f16 v108, v108, v108
	v_pk_min_f16 v28, v109, v28
	v_pk_add_f16 v109, v16, v30
	v_pk_max_f16 v107, v107, v107
	v_pk_min_f16 v108, v108, v109
	v_pk_add_f16 v109, v18, v30
	v_pk_max_f16 v105, v105, v105
	v_pk_min_f16 v107, v107, v109
	v_pk_add_f16 v109, v12, v30
	v_pk_max_f16 v103, v103, v103
	v_pk_min_f16 v105, v105, v109
	v_pk_add_f16 v109, v14, v30
	v_pk_max_f16 v100, v100, v100
	v_pk_min_f16 v103, v103, v109
	v_pk_add_f16 v109, v4, v30
	v_pk_max_f16 v98, v98, v98
	v_pk_min_f16 v100, v100, v109
	v_pk_add_f16 v109, v6, v30
	v_pk_max_f16 v94, v94, v94
	v_pk_min_f16 v98, v98, v109
	v_pk_add_f16 v109, v0, v30
	v_pk_add_f16 v30, v2, v30
	v_pk_max_f16 v92, v92, v92
	v_pk_min_f16 v30, v94, v30
	v_pk_add_f16 v94, v16, v24
	;; [unrolled: 22-line block ×4, first 2 shown]
	v_pk_max_f16 v82, v82, v82
	v_pk_min_f16 v83, v83, v84
	v_pk_add_f16 v84, v18, v20
	v_pk_max_f16 v85, v85, v85
	v_pk_min_f16 v84, v82, v84
	v_pk_add_f16 v82, v12, v20
	v_pk_max_f16 v81, v81, v81
	v_pk_max_f16 v99, v99, v99
	v_pk_min_f16 v85, v85, v97
	v_pk_min_f16 v97, v81, v82
	v_pk_add_f16 v81, v14, v20
	v_pk_max_f16 v80, v80, v80
	v_pk_max_f16 v96, v96, v96
	v_pk_min_f16 v99, v99, v106
	;; [unrolled: 5-line block ×3, first 2 shown]
	v_pk_min_f16 v109, v79, v80
	v_pk_add_f16 v79, v6, v20
	v_pk_max_f16 v78, v78, v78
	v_pk_min_f16 v110, v110, v116
	v_pk_min_f16 v116, v78, v79
	v_pk_add_f16 v78, v0, v20
	v_pk_add_f16 v20, v2, v20
	v_pk_max_f16 v76, v76, v76
	v_pk_max_f16 v75, v75, v75
	v_pk_min_f16 v20, v76, v20
	v_pk_add_f16 v76, v16, v22
	v_pk_max_f16 v74, v74, v74
	v_pk_min_f16 v127, v75, v76
	v_pk_add_f16 v75, v18, v22
	;; [unrolled: 3-line block ×7, first 2 shown]
	v_pk_add_f16 v22, v2, v22
	v_pk_max_f16 v67, v67, v67
	v_pk_min_f16 v22, v68, v22
	v_pk_add_f16 v68, v16, v8
	v_pk_max_f16 v66, v66, v66
	v_pk_min_f16 v134, v67, v68
	;; [unrolled: 3-line block ×6, first 2 shown]
	v_pk_add_f16 v63, v6, v8
	v_pk_add_f16 v16, v16, v10
	v_pk_min_f16 v139, v62, v63
	v_pk_add_f16 v62, v0, v8
	v_pk_add_f16 v8, v2, v8
	;; [unrolled: 1-line block ×9, first 2 shown]
	v_pk_max_f16 v10, v55, v55
	v_pk_max_f16 v77, v77, v77
	v_pk_min_f16 v2, v10, v2
	v_pk_add_f16 v10, v17, v29
	v_pk_min_f16 v126, v77, v78
	v_pk_min_f16 v141, v43, v10
	v_pk_add_f16 v10, v19, v29
	v_pk_max_f16 v69, v69, v69
	v_pk_min_f16 v115, v115, v10
	v_pk_add_f16 v10, v13, v29
	v_pk_min_f16 v133, v69, v70
	v_pk_min_f16 v114, v114, v10
	v_pk_add_f16 v10, v15, v29
	;; [unrolled: 6-line block ×11, first 2 shown]
	v_pk_max_f16 v82, v82, v82
	v_pk_min_f16 v81, v102, v10
	v_pk_add_f16 v10, v1, v25
	v_pk_max_f16 v81, v81, v81
	v_pk_min_f16 v80, v99, v10
	v_pk_add_f16 v10, v3, v25
	;; [unrolled: 3-line block ×12, first 2 shown]
	s_add_i32 s30, s30, 8
	v_pk_min_f16 v70, v84, v10
	v_pk_add_f16 v10, v13, v21
	s_cmp_ge_i32 s30, s37
	v_pk_min_f16 v68, v97, v10
	v_pk_add_f16 v10, v15, v21
	v_pk_max_f16 v68, v68, v68
	v_pk_min_f16 v67, v106, v10
	v_pk_add_f16 v10, v5, v21
	v_pk_max_f16 v67, v67, v67
	v_pk_min_f16 v66, v109, v10
	v_pk_add_f16 v10, v7, v21
	v_pk_max_f16 v109, v141, v141
	v_pk_min_f16 v65, v116, v10
	v_pk_add_f16 v10, v1, v21
	v_pk_max_f16 v66, v66, v66
	v_pk_min_f16 v64, v126, v10
	v_pk_add_f16 v10, v3, v21
	v_pk_max_f16 v65, v65, v65
	v_pk_min_f16 v63, v20, v10
	v_pk_add_f16 v10, v17, v23
	v_pk_max_f16 v64, v64, v64
	v_pk_min_f16 v62, v127, v10
	v_pk_add_f16 v10, v19, v23
	v_lshl_add_u64 v[40:41], v[40:41], 0, 16
	v_pk_min_f16 v61, v128, v10
	v_pk_add_f16 v10, v13, v23
	s_nop 0
	v_pk_min_f16 v60, v129, v10
	v_pk_add_f16 v10, v15, v23
	s_nop 0
	;; [unrolled: 3-line block ×10, first 2 shown]
	v_pk_min_f16 v28, v137, v10
	v_pk_add_f16 v10, v5, v9
	v_pk_add_f16 v5, v5, v11
	v_pk_min_f16 v27, v138, v10
	v_pk_add_f16 v10, v7, v9
	v_pk_min_f16 v127, v4, v5
	v_pk_min_f16 v26, v139, v10
	v_pk_add_f16 v10, v1, v9
	v_pk_add_f16 v9, v3, v9
	v_pk_add_f16 v1, v1, v11
	v_pk_min_f16 v24, v8, v9
	v_pk_add_f16 v8, v17, v11
	v_pk_add_f16 v4, v7, v11
	v_pk_min_f16 v43, v16, v8
	v_pk_add_f16 v8, v19, v11
	v_pk_min_f16 v129, v0, v1
	v_pk_min_f16 v31, v18, v8
	v_pk_add_f16 v8, v13, v11
	v_pk_add_f16 v0, v3, v11
	v_pk_min_f16 v56, v12, v8
	v_pk_add_f16 v8, v15, v11
	v_pk_min_f16 v25, v140, v10
	v_pk_min_f16 v55, v14, v8
	;; [unrolled: 1-line block ×4, first 2 shown]
	ds_read2_b64 v[12:15], v48 offset1:32
	ds_read2_b64 v[4:7], v48 offset0:64 offset1:96
	ds_read2_b64 v[84:87], v51 offset1:8
	ds_read2_b64 v[8:11], v48 offset0:128 offset1:160
	ds_read2_b64 v[0:3], v48 offset0:192 offset1:224
	;; [unrolled: 1-line block ×4, first 2 shown]
	s_waitcnt lgkmcnt(4)
	v_pk_add_f16 v89, v12, v84
	v_pk_add_f16 v91, v14, v84
	v_pk_min_f16 v89, v109, v89
	v_pk_add_f16 v109, v13, v85
	v_pk_add_f16 v93, v4, v84
	v_pk_min_f16 v116, v89, v109
	v_pk_max_f16 v109, v115, v115
	v_pk_add_f16 v94, v6, v84
	v_pk_min_f16 v91, v109, v91
	v_pk_add_f16 v109, v15, v85
	s_waitcnt lgkmcnt(1)
	v_pk_add_f16 v134, v12, v20
	v_pk_min_f16 v115, v91, v109
	v_pk_max_f16 v109, v114, v114
	v_pk_add_f16 v135, v14, v20
	v_pk_min_f16 v93, v109, v93
	v_pk_add_f16 v109, v5, v85
	v_pk_add_f16 v136, v4, v20
	;; [unrolled: 1-line block ×6, first 2 shown]
	v_pk_min_f16 v114, v93, v109
	v_pk_add_f16 v93, v2, v20
	v_pk_max_f16 v20, v113, v113
	v_pk_add_f16 v95, v8, v84
	v_pk_min_f16 v20, v20, v94
	v_pk_add_f16 v94, v7, v85
	v_pk_add_f16 v97, v10, v84
	v_pk_min_f16 v113, v20, v94
	v_pk_max_f16 v20, v112, v112
	v_pk_add_f16 v94, v9, v85
	v_pk_min_f16 v20, v20, v95
	v_pk_add_f16 v99, v0, v84
	v_pk_min_f16 v112, v20, v94
	v_pk_max_f16 v20, v111, v111
	v_pk_add_f16 v94, v11, v85
	v_pk_min_f16 v20, v20, v97
	;; [unrolled: 5-line block ×4, first 2 shown]
	v_pk_add_f16 v84, v3, v85
	v_pk_add_f16 v85, v13, v87
	v_pk_min_f16 v109, v20, v84
	v_pk_max_f16 v20, v108, v108
	v_pk_add_f16 v94, v15, v87
	v_pk_min_f16 v20, v20, v102
	v_pk_add_f16 v106, v4, v86
	v_pk_min_f16 v108, v20, v85
	v_pk_max_f16 v20, v107, v107
	v_pk_add_f16 v130, v6, v86
	v_pk_min_f16 v20, v20, v104
	;; [unrolled: 5-line block ×3, first 2 shown]
	v_pk_add_f16 v139, v14, v22
	v_pk_min_f16 v105, v20, v94
	v_pk_max_f16 v20, v103, v103
	v_pk_add_f16 v140, v4, v22
	v_pk_add_f16 v141, v6, v22
	;; [unrolled: 1-line block ×6, first 2 shown]
	v_pk_min_f16 v20, v20, v130
	v_pk_add_f16 v22, v7, v87
	v_pk_add_f16 v131, v8, v86
	v_pk_min_f16 v103, v20, v22
	v_pk_max_f16 v22, v100, v100
	v_pk_add_f16 v20, v9, v87
	v_pk_min_f16 v22, v22, v131
	v_pk_add_f16 v132, v10, v86
	v_pk_min_f16 v100, v22, v20
	v_pk_max_f16 v22, v98, v98
	v_pk_add_f16 v20, v11, v87
	v_pk_min_f16 v22, v22, v132
	;; [unrolled: 5-line block ×5, first 2 shown]
	v_pk_min_f16 v69, v69, v145
	v_pk_min_f16 v92, v22, v20
	v_pk_max_f16 v22, v90, v90
	v_pk_add_f16 v20, v15, v21
	v_pk_min_f16 v22, v22, v135
	v_pk_min_f16 v74, v74, v84
	v_pk_min_f16 v90, v22, v20
	v_pk_max_f16 v22, v88, v88
	v_pk_add_f16 v20, v5, v21
	v_pk_min_f16 v22, v22, v136
	v_pk_min_f16 v71, v71, v142
	;; [unrolled: 1-line block ×3, first 2 shown]
	v_pk_max_f16 v20, v144, v144
	s_waitcnt lgkmcnt(0)
	v_pk_add_f16 v144, v12, v16
	v_pk_min_f16 v87, v20, v137
	v_pk_add_f16 v137, v1, v23
	v_pk_min_f16 v84, v69, v143
	v_pk_max_f16 v69, v72, v72
	v_pk_min_f16 v73, v73, v85
	v_pk_min_f16 v85, v71, v137
	;; [unrolled: 1-line block ×3, first 2 shown]
	v_pk_add_f16 v71, v13, v17
	v_pk_add_f16 v86, v7, v21
	;; [unrolled: 1-line block ×12, first 2 shown]
	ds_read2_b64 v[20:23], v51 offset0:48 offset1:56
	v_pk_min_f16 v82, v82, v83
	v_pk_add_f16 v146, v14, v16
	v_pk_min_f16 v83, v69, v71
	v_pk_max_f16 v69, v70, v70
	v_pk_add_f16 v147, v4, v16
	v_pk_min_f16 v69, v69, v146
	v_pk_add_f16 v70, v15, v17
	v_pk_min_f16 v104, v82, v95
	v_pk_min_f16 v81, v81, v89
	v_pk_add_f16 v148, v6, v16
	v_pk_min_f16 v82, v69, v70
	;; [unrolled: 3-line block ×3, first 2 shown]
	v_pk_add_f16 v149, v8, v16
	v_pk_min_f16 v80, v80, v91
	v_pk_min_f16 v81, v68, v69
	;; [unrolled: 1-line block ×3, first 2 shown]
	v_pk_add_f16 v68, v7, v17
	v_pk_add_f16 v150, v10, v16
	v_pk_min_f16 v99, v80, v99
	v_pk_min_f16 v79, v79, v93
	v_pk_min_f16 v78, v78, v138
	v_pk_min_f16 v77, v77, v139
	v_pk_min_f16 v76, v76, v140
	v_pk_min_f16 v75, v75, v141
	v_pk_min_f16 v80, v67, v68
	v_pk_min_f16 v66, v66, v149
	v_pk_add_f16 v67, v9, v17
	v_pk_min_f16 v106, v87, v86
	v_pk_add_f16 v151, v0, v16
	v_pk_add_f16 v16, v2, v16
	v_pk_min_f16 v97, v79, v130
	v_pk_add_f16 v130, v12, v18
	;; [unrolled: 3-line block ×5, first 2 shown]
	v_pk_add_f16 v18, v2, v18
	v_pk_min_f16 v89, v75, v134
	s_waitcnt lgkmcnt(0)
	v_pk_add_f16 v134, v12, v20
	v_pk_add_f16 v141, v14, v20
	v_pk_min_f16 v87, v74, v135
	v_pk_add_f16 v135, v4, v20
	v_pk_add_f16 v152, v6, v20
	v_pk_min_f16 v86, v73, v136
	v_pk_add_f16 v136, v8, v20
	v_pk_add_f16 v142, v10, v20
	;; [unrolled: 1-line block ×9, first 2 shown]
	v_pk_min_f16 v79, v66, v67
	v_pk_add_f16 v10, v10, v22
	v_pk_min_f16 v65, v65, v150
	v_pk_add_f16 v66, v11, v17
	v_pk_add_f16 v0, v0, v22
	;; [unrolled: 1-line block ×3, first 2 shown]
	v_pk_max_f16 v22, v63, v63
	v_pk_min_f16 v78, v65, v66
	v_pk_add_f16 v65, v1, v17
	v_pk_min_f16 v16, v22, v16
	v_pk_add_f16 v17, v3, v17
	v_pk_min_f16 v64, v64, v151
	v_pk_min_f16 v76, v16, v17
	v_pk_max_f16 v17, v62, v62
	v_pk_add_f16 v16, v13, v19
	v_pk_min_f16 v17, v17, v130
	v_pk_min_f16 v77, v64, v65
	;; [unrolled: 1-line block ×3, first 2 shown]
	v_pk_max_f16 v17, v61, v61
	v_pk_add_f16 v16, v15, v19
	v_pk_min_f16 v17, v17, v138
	ds_write_b16 v117, v122
	ds_write_b16 v117, v123 offset:512
	ds_write_b16 v117, v124 offset:1024
	;; [unrolled: 1-line block ×3, first 2 shown]
	ds_write_b16 v118, v42
	v_pk_min_f16 v74, v17, v16
	v_pk_max_f16 v17, v60, v60
	v_pk_add_f16 v16, v5, v19
	v_pk_min_f16 v17, v17, v131
	s_waitcnt lgkmcnt(0)
	v_pk_min_f16 v73, v17, v16
	v_pk_max_f16 v17, v59, v59
	v_pk_add_f16 v16, v7, v19
	v_pk_min_f16 v17, v17, v139
	s_barrier
	v_pk_min_f16 v72, v17, v16
	v_pk_max_f16 v17, v58, v58
	v_pk_add_f16 v16, v9, v19
	v_pk_min_f16 v17, v17, v132
	s_nop 0
	v_pk_min_f16 v71, v17, v16
	v_pk_max_f16 v17, v57, v57
	v_pk_add_f16 v16, v11, v19
	v_pk_min_f16 v17, v17, v140
	s_nop 0
	;; [unrolled: 5-line block ×4, first 2 shown]
	v_pk_min_f16 v68, v17, v16
	v_pk_max_f16 v17, v54, v54
	v_pk_add_f16 v16, v13, v21
	v_pk_min_f16 v17, v17, v134
	v_pk_add_f16 v13, v13, v23
	v_pk_min_f16 v67, v17, v16
	v_pk_max_f16 v17, v53, v53
	v_pk_add_f16 v16, v15, v21
	v_pk_min_f16 v17, v17, v141
	s_nop 0
	v_pk_min_f16 v66, v17, v16
	v_pk_max_f16 v17, v30, v30
	v_pk_add_f16 v16, v5, v21
	v_pk_min_f16 v17, v17, v135
	v_pk_add_f16 v5, v5, v23
	v_pk_min_f16 v65, v17, v16
	v_pk_max_f16 v17, v28, v28
	v_pk_add_f16 v16, v7, v21
	v_pk_min_f16 v17, v17, v152
	s_nop 0
	v_pk_min_f16 v64, v17, v16
	v_pk_max_f16 v17, v27, v27
	v_pk_add_f16 v16, v9, v21
	v_pk_min_f16 v17, v17, v136
	s_nop 0
	;; [unrolled: 5-line block ×3, first 2 shown]
	v_pk_min_f16 v62, v17, v16
	v_pk_max_f16 v17, v25, v25
	v_pk_add_f16 v16, v1, v21
	v_pk_min_f16 v17, v17, v137
	v_pk_add_f16 v1, v1, v23
	v_pk_min_f16 v61, v17, v16
	v_pk_max_f16 v17, v24, v24
	v_pk_add_f16 v16, v3, v21
	v_pk_min_f16 v17, v17, v20
	s_nop 0
	v_pk_min_f16 v60, v17, v16
	v_pk_max_f16 v16, v43, v43
	s_nop 0
	v_pk_min_f16 v12, v16, v12
	s_nop 0
	v_pk_min_f16 v59, v12, v13
	v_pk_max_f16 v13, v31, v31
	v_pk_add_f16 v12, v15, v23
	v_pk_min_f16 v13, v13, v14
	s_nop 0
	v_pk_min_f16 v58, v13, v12
	v_pk_max_f16 v12, v56, v56
	s_nop 0
	v_pk_min_f16 v4, v12, v4
	s_nop 0
	v_pk_min_f16 v57, v4, v5
	v_pk_max_f16 v5, v55, v55
	v_pk_add_f16 v4, v7, v23
	v_pk_min_f16 v5, v5, v6
	s_nop 0
	v_pk_min_f16 v56, v5, v4
	v_pk_max_f16 v5, v127, v127
	v_pk_add_f16 v4, v9, v23
	;; [unrolled: 5-line block ×3, first 2 shown]
	v_pk_min_f16 v5, v5, v10
	s_nop 0
	v_pk_min_f16 v53, v5, v4
	v_pk_max_f16 v4, v129, v129
	s_nop 0
	v_pk_min_f16 v0, v4, v0
	s_nop 0
	v_pk_min_f16 v52, v0, v1
	v_pk_max_f16 v1, v128, v128
	v_pk_add_f16 v0, v3, v23
	v_pk_min_f16 v1, v1, v2
	s_nop 0
	v_pk_min_f16 v55, v1, v0
	s_cbranch_scc1 .LBB263_50
.LBB263_30:                             ; =>This Inner Loop Header: Depth=1
	v_add_u32_e32 v42, s30, v46
	v_add_u32_e32 v0, 8, v42
	v_cmp_le_i32_e64 s[10:11], s22, v0
	v_min_i32_e32 v0, s36, v0
	v_mad_i64_i32 v[0:1], s[14:15], v0, s35, 0
	s_or_b64 s[14:15], vcc, s[10:11]
	v_lshl_add_u64 v[0:1], v[0:1], 1, s[28:29]
	v_cndmask_b32_e64 v43, 0, v121, s[14:15]
	s_nor_b64 s[38:39], s[16:17], s[14:15]
	s_and_saveexec_b64 s[14:15], s[38:39]
	s_cbranch_execz .LBB263_32
; %bb.31:                               ;   in Loop: Header=BB263_30 Depth=1
	v_lshl_add_u64 v[2:3], v[32:33], 1, v[0:1]
	global_load_ushort v2, v[2:3], off
	s_waitcnt vmcnt(0)
	v_mul_f16_e32 v43, s23, v2
.LBB263_32:                             ;   in Loop: Header=BB263_30 Depth=1
	s_or_b64 exec, exec, s[14:15]
	s_or_b64 s[14:15], s[12:13], s[10:11]
	v_cndmask_b32_e64 v122, 0, v121, s[14:15]
	s_nor_b64 s[38:39], s[14:15], s[16:17]
	s_and_saveexec_b64 s[14:15], s[38:39]
	s_cbranch_execz .LBB263_34
; %bb.33:                               ;   in Loop: Header=BB263_30 Depth=1
	v_lshl_add_u64 v[2:3], v[34:35], 1, v[0:1]
	global_load_ushort v2, v[2:3], off
	s_waitcnt vmcnt(0)
	v_mul_f16_e32 v122, s23, v2
.LBB263_34:                             ;   in Loop: Header=BB263_30 Depth=1
	s_or_b64 exec, exec, s[14:15]
	s_or_b64 s[14:15], s[4:5], s[10:11]
	;; [unrolled: 12-line block ×3, first 2 shown]
	v_cndmask_b32_e64 v124, 0, v121, s[10:11]
	s_nor_b64 s[14:15], s[10:11], s[16:17]
	s_and_saveexec_b64 s[10:11], s[14:15]
	s_cbranch_execz .LBB263_38
; %bb.37:                               ;   in Loop: Header=BB263_30 Depth=1
	v_lshl_add_u64 v[0:1], v[38:39], 1, v[0:1]
	global_load_ushort v0, v[0:1], off
	s_waitcnt vmcnt(0)
	v_mul_f16_e32 v124, s23, v0
.LBB263_38:                             ;   in Loop: Header=BB263_30 Depth=1
	s_or_b64 exec, exec, s[10:11]
	v_add_u32_e32 v126, s30, v49
	v_add_u32_e32 v0, 8, v126
	v_cmp_le_i32_e64 s[10:11], s22, v0
	s_or_b64 s[10:11], s[10:11], s[8:9]
	s_nor_b64 s[14:15], s[16:17], s[10:11]
	v_cndmask_b32_e64 v125, 0, v121, s[10:11]
	s_and_saveexec_b64 s[10:11], s[14:15]
	s_cbranch_execz .LBB263_40
; %bb.39:                               ;   in Loop: Header=BB263_30 Depth=1
	global_load_ushort v0, v[40:41], off
	s_waitcnt vmcnt(0)
	v_mul_f16_e32 v125, s23, v0
.LBB263_40:                             ;   in Loop: Header=BB263_30 Depth=1
	s_or_b64 exec, exec, s[10:11]
	ds_read2_b64 v[16:19], v119 offset1:32
	ds_read2_b64 v[12:15], v119 offset0:64 offset1:96
	ds_read2_b64 v[4:7], v119 offset0:128 offset1:160
	;; [unrolled: 1-line block ×3, first 2 shown]
	ds_read2_b64 v[28:31], v120 offset1:8
	ds_read2_b64 v[24:27], v120 offset0:16 offset1:24
	ds_read2_b64 v[20:23], v120 offset0:32 offset1:40
	;; [unrolled: 1-line block ×3, first 2 shown]
	v_add_u32_e32 v42, 12, v42
	v_cmp_le_i32_e64 s[10:11], s22, v42
	v_min_i32_e32 v42, s36, v42
	ds_write_b16 v50, v43
	ds_write_b16 v50, v122 offset:512
	ds_write_b16 v50, v123 offset:1024
	;; [unrolled: 1-line block ×3, first 2 shown]
	ds_write_b16 v101, v125
	v_mad_i64_i32 v[42:43], s[14:15], v42, s35, 0
	s_or_b64 s[14:15], vcc, s[10:11]
	v_lshl_add_u64 v[42:43], v[42:43], 1, s[28:29]
	v_cndmask_b32_e64 v122, 0, v121, s[14:15]
	s_nor_b64 s[38:39], s[16:17], s[14:15]
	s_waitcnt lgkmcnt(0)
	s_barrier
	s_and_saveexec_b64 s[14:15], s[38:39]
	s_cbranch_execz .LBB263_42
; %bb.41:                               ;   in Loop: Header=BB263_30 Depth=1
	v_lshl_add_u64 v[122:123], v[32:33], 1, v[42:43]
	global_load_ushort v122, v[122:123], off
	s_waitcnt vmcnt(0)
	v_mul_f16_e32 v122, s23, v122
.LBB263_42:                             ;   in Loop: Header=BB263_30 Depth=1
	s_or_b64 exec, exec, s[14:15]
	s_or_b64 s[14:15], s[12:13], s[10:11]
	v_cndmask_b32_e64 v123, 0, v121, s[14:15]
	s_nor_b64 s[38:39], s[14:15], s[16:17]
	s_and_saveexec_b64 s[14:15], s[38:39]
	s_cbranch_execz .LBB263_44
; %bb.43:                               ;   in Loop: Header=BB263_30 Depth=1
	v_lshl_add_u64 v[124:125], v[34:35], 1, v[42:43]
	global_load_ushort v123, v[124:125], off
	s_waitcnt vmcnt(0)
	v_mul_f16_e32 v123, s23, v123
.LBB263_44:                             ;   in Loop: Header=BB263_30 Depth=1
	s_or_b64 exec, exec, s[14:15]
	s_or_b64 s[14:15], s[4:5], s[10:11]
	v_cndmask_b32_e64 v124, 0, v121, s[14:15]
	s_nor_b64 s[38:39], s[14:15], s[16:17]
	;; [unrolled: 12-line block ×3, first 2 shown]
	s_and_saveexec_b64 s[10:11], s[14:15]
	s_cbranch_execz .LBB263_48
; %bb.47:                               ;   in Loop: Header=BB263_30 Depth=1
	v_lshl_add_u64 v[42:43], v[38:39], 1, v[42:43]
	global_load_ushort v42, v[42:43], off
	s_waitcnt vmcnt(0)
	v_mul_f16_e32 v125, s23, v42
.LBB263_48:                             ;   in Loop: Header=BB263_30 Depth=1
	s_or_b64 exec, exec, s[10:11]
	v_add_u32_e32 v42, 12, v126
	v_cmp_le_i32_e64 s[10:11], s22, v42
	s_or_b64 s[10:11], s[10:11], s[8:9]
	s_nor_b64 s[14:15], s[16:17], s[10:11]
	v_cndmask_b32_e64 v42, 0, v121, s[10:11]
	s_and_saveexec_b64 s[10:11], s[14:15]
	s_cbranch_execz .LBB263_29
; %bb.49:                               ;   in Loop: Header=BB263_30 Depth=1
	global_load_ushort v42, v[40:41], off offset:8
	s_waitcnt vmcnt(0)
	v_mul_f16_e32 v42, s23, v42
	s_branch .LBB263_29
.LBB263_50:
	s_load_dwordx2 s[4:5], s[0:1], 0x70
	s_load_dword s29, s[0:1], 0x50
	s_load_dword s28, s[0:1], 0x68
	v_add_u32_e32 v0, 0x800, v48
	v_add_u32_e32 v4, 0x1000, v47
	s_waitcnt lgkmcnt(0)
	s_mul_i32 s1, s5, s3
	s_mul_hi_u32 s5, s4, s3
	s_mul_i32 s0, s4, s3
	s_add_i32 s1, s5, s1
	ds_read2_b64 v[16:19], v0 offset1:32
	ds_read2_b64 v[12:15], v0 offset0:64 offset1:96
	ds_read2_b64 v[8:11], v0 offset0:128 offset1:160
	;; [unrolled: 1-line block ×7, first 2 shown]
	s_lshl_b64 s[0:1], s[0:1], 1
	s_add_u32 s22, s18, s0
	v_add_u32_e32 v101, s34, v45
	s_addc_u32 s23, s19, s1
	v_mad_i64_i32 v[34:35], s[0:1], v101, s29, 0
	v_add_u32_e32 v32, s2, v44
	v_lshl_add_u64 v[50:51], v[34:35], 1, s[24:25]
	v_mad_i64_i32 v[34:35], s[0:1], v101, s28, 0
	v_cmp_gt_i32_e64 s[2:3], s20, v32
	v_cmp_gt_i32_e64 s[18:19], s21, v101
	v_lshl_add_u64 v[48:49], v[34:35], 1, s[22:23]
	v_cndmask_b32_e64 v34, 0, 1, s[26:27]
	v_ashrrev_i32_e32 v33, 31, v32
	s_and_b64 s[6:7], s[2:3], s[18:19]
	v_cmp_ne_u32_e64 s[0:1], 1, v34
	s_and_saveexec_b64 s[4:5], s[6:7]
	s_cbranch_execz .LBB263_56
; %bb.51:
	s_and_b64 vcc, exec, s[0:1]
	s_cbranch_vccnz .LBB263_54
; %bb.52:
	v_lshl_add_u64 v[34:35], v[32:33], 1, v[50:51]
	global_load_ushort v34, v[34:35], off
	s_waitcnt vmcnt(0)
	v_mul_f16_e32 v34, s33, v34
	v_cvt_f32_f16_e32 v34, v34
	s_branch .LBB263_55
.LBB263_53:
	s_mov_b64 s[28:29], 0
	s_andn2_b64 vcc, exec, s[8:9]
	s_mov_b64 s[4:5], -1
	s_cbranch_vccz .LBB263_2
	s_branch .LBB263_3
.LBB263_54:
	v_mov_b32_e32 v34, 0
.LBB263_55:
	s_waitcnt lgkmcnt(3)
	v_pk_add_f16 v35, v16, v28
	v_max_f16_e32 v36, v116, v116
	v_pk_add_f16 v38, v17, v29
	v_min_f16_e32 v36, v36, v35
	v_lshrrev_b32_e32 v37, 16, v116
	v_lshrrev_b32_e32 v35, 16, v35
	v_lshrrev_b32_e32 v39, 16, v38
	v_min3_f16 v35, v37, v35, v39
	v_min3_f16 v35, v36, v38, v35
	v_cvt_f32_f16_e32 v35, v35
	v_max_f32_e32 v34, v34, v34
	v_min_f32_e32 v34, v34, v35
	v_cvt_f16_f32_e32 v36, v34
	v_lshl_add_u64 v[34:35], v[32:33], 1, v[48:49]
	global_store_short v[34:35], v36, off
.LBB263_56:
	s_or_b64 exec, exec, s[4:5]
	v_add_u32_e32 v34, 32, v32
	v_cmp_gt_i32_e64 s[4:5], s20, v34
	v_ashrrev_i32_e32 v35, 31, v34
	s_and_b64 s[8:9], s[4:5], s[18:19]
	s_and_saveexec_b64 s[6:7], s[8:9]
	s_cbranch_execz .LBB263_61
; %bb.57:
	s_and_b64 vcc, exec, s[0:1]
	s_cbranch_vccnz .LBB263_59
; %bb.58:
	v_lshl_add_u64 v[36:37], v[34:35], 1, v[50:51]
	global_load_ushort v36, v[36:37], off
	s_waitcnt vmcnt(0)
	v_mul_f16_e32 v36, s33, v36
	v_cvt_f32_f16_e32 v36, v36
	s_branch .LBB263_60
.LBB263_59:
	v_mov_b32_e32 v36, 0
.LBB263_60:
	s_waitcnt lgkmcnt(3)
	v_pk_add_f16 v37, v18, v28
	v_max_f16_e32 v38, v115, v115
	v_pk_add_f16 v40, v19, v29
	v_min_f16_e32 v38, v38, v37
	v_lshrrev_b32_e32 v39, 16, v115
	v_lshrrev_b32_e32 v37, 16, v37
	v_lshrrev_b32_e32 v41, 16, v40
	v_min3_f16 v37, v39, v37, v41
	v_min3_f16 v37, v38, v40, v37
	v_cvt_f32_f16_e32 v37, v37
	v_max_f32_e32 v36, v36, v36
	v_min_f32_e32 v36, v36, v37
	v_cvt_f16_f32_e32 v38, v36
	v_lshl_add_u64 v[36:37], v[34:35], 1, v[48:49]
	global_store_short v[36:37], v38, off
.LBB263_61:
	s_or_b64 exec, exec, s[6:7]
	v_add_u32_e32 v36, 64, v32
	v_cmp_gt_i32_e64 s[6:7], s20, v36
	v_ashrrev_i32_e32 v37, 31, v36
	s_and_b64 s[10:11], s[6:7], s[18:19]
	s_and_saveexec_b64 s[8:9], s[10:11]
	s_cbranch_execz .LBB263_66
; %bb.62:
	s_and_b64 vcc, exec, s[0:1]
	s_cbranch_vccnz .LBB263_64
; %bb.63:
	v_lshl_add_u64 v[38:39], v[36:37], 1, v[50:51]
	global_load_ushort v38, v[38:39], off
	s_waitcnt vmcnt(0)
	v_mul_f16_e32 v38, s33, v38
	v_cvt_f32_f16_e32 v38, v38
	s_branch .LBB263_65
.LBB263_64:
	v_mov_b32_e32 v38, 0
.LBB263_65:
	s_waitcnt lgkmcnt(3)
	v_pk_add_f16 v39, v12, v28
	v_max_f16_e32 v40, v114, v114
	v_pk_add_f16 v42, v13, v29
	v_min_f16_e32 v40, v40, v39
	v_lshrrev_b32_e32 v41, 16, v114
	v_lshrrev_b32_e32 v39, 16, v39
	v_lshrrev_b32_e32 v43, 16, v42
	v_min3_f16 v39, v41, v39, v43
	v_min3_f16 v39, v40, v42, v39
	v_cvt_f32_f16_e32 v39, v39
	v_max_f32_e32 v38, v38, v38
	v_min_f32_e32 v38, v38, v39
	v_cvt_f16_f32_e32 v40, v38
	v_lshl_add_u64 v[38:39], v[36:37], 1, v[48:49]
	global_store_short v[38:39], v40, off
.LBB263_66:
	;; [unrolled: 37-line block ×4, first 2 shown]
	s_or_b64 exec, exec, s[12:13]
	v_add_u32_e32 v42, 0xa0, v32
	v_cmp_gt_i32_e64 s[12:13], s20, v42
	v_ashrrev_i32_e32 v43, 31, v42
	s_and_b64 s[16:17], s[12:13], s[18:19]
	s_and_saveexec_b64 s[14:15], s[16:17]
	s_cbranch_execz .LBB263_81
; %bb.77:
	s_and_b64 vcc, exec, s[0:1]
	s_cbranch_vccnz .LBB263_79
; %bb.78:
	v_lshl_add_u64 v[44:45], v[42:43], 1, v[50:51]
	global_load_ushort v44, v[44:45], off
	s_waitcnt vmcnt(0)
	v_mul_f16_e32 v44, s33, v44
	v_cvt_f32_f16_e32 v44, v44
	s_branch .LBB263_80
.LBB263_79:
	v_mov_b32_e32 v44, 0
.LBB263_80:
	s_waitcnt lgkmcnt(3)
	v_pk_add_f16 v45, v10, v28
	v_max_f16_e32 v46, v111, v111
	v_lshrrev_b32_e32 v47, 16, v111
	v_pk_add_f16 v111, v11, v29
	v_min_f16_e32 v46, v46, v45
	v_lshrrev_b32_e32 v45, 16, v45
	v_lshrrev_b32_e32 v112, 16, v111
	v_min3_f16 v45, v47, v45, v112
	v_min3_f16 v45, v46, v111, v45
	v_cvt_f32_f16_e32 v45, v45
	v_max_f32_e32 v44, v44, v44
	v_min_f32_e32 v44, v44, v45
	v_cvt_f16_f32_e32 v46, v44
	v_lshl_add_u64 v[44:45], v[42:43], 1, v[48:49]
	global_store_short v[44:45], v46, off
.LBB263_81:
	s_or_b64 exec, exec, s[14:15]
	v_add_u32_e32 v44, 0xc0, v32
	v_cmp_gt_i32_e64 s[14:15], s20, v44
	v_ashrrev_i32_e32 v45, 31, v44
	s_and_b64 s[26:27], s[14:15], s[18:19]
	s_and_saveexec_b64 s[16:17], s[26:27]
	s_cbranch_execz .LBB263_86
; %bb.82:
	s_and_b64 vcc, exec, s[0:1]
	s_cbranch_vccnz .LBB263_84
; %bb.83:
	v_lshl_add_u64 v[46:47], v[44:45], 1, v[50:51]
	global_load_ushort v46, v[46:47], off
	s_waitcnt vmcnt(0)
	v_mul_f16_e32 v46, s33, v46
	v_cvt_f32_f16_e32 v46, v46
	s_branch .LBB263_85
.LBB263_84:
	v_mov_b32_e32 v46, 0
.LBB263_85:
	s_waitcnt lgkmcnt(3)
	v_pk_add_f16 v47, v0, v28
	v_max_f16_e32 v111, v110, v110
	v_pk_add_f16 v112, v1, v29
	v_min_f16_e32 v111, v111, v47
	v_lshrrev_b32_e32 v110, 16, v110
	v_lshrrev_b32_e32 v47, 16, v47
	;; [unrolled: 1-line block ×3, first 2 shown]
	v_min3_f16 v47, v110, v47, v113
	v_min3_f16 v47, v111, v112, v47
	v_cvt_f32_f16_e32 v47, v47
	v_max_f32_e32 v46, v46, v46
	v_min_f32_e32 v46, v46, v47
	v_cvt_f16_f32_e32 v110, v46
	v_lshl_add_u64 v[46:47], v[44:45], 1, v[48:49]
	global_store_short v[46:47], v110, off
.LBB263_86:
	s_or_b64 exec, exec, s[16:17]
	v_add_u32_e32 v46, 0xe0, v32
	v_cmp_gt_i32_e64 s[16:17], s20, v46
	v_ashrrev_i32_e32 v47, 31, v46
	s_and_b64 s[26:27], s[16:17], s[18:19]
	s_and_saveexec_b64 s[18:19], s[26:27]
	s_cbranch_execz .LBB263_91
; %bb.87:
	s_and_b64 vcc, exec, s[0:1]
	s_cbranch_vccnz .LBB263_89
; %bb.88:
	v_lshl_add_u64 v[50:51], v[46:47], 1, v[50:51]
	global_load_ushort v50, v[50:51], off
	s_waitcnt vmcnt(0)
	v_mul_f16_e32 v50, s33, v50
	v_cvt_f32_f16_e32 v50, v50
	s_branch .LBB263_90
.LBB263_89:
	v_mov_b32_e32 v50, 0
.LBB263_90:
	s_waitcnt lgkmcnt(3)
	v_pk_add_f16 v28, v2, v28
	v_max_f16_e32 v51, v109, v109
	v_pk_add_f16 v29, v3, v29
	v_min_f16_e32 v51, v51, v28
	v_lshrrev_b32_e32 v109, 16, v109
	v_lshrrev_b32_e32 v28, 16, v28
	;; [unrolled: 1-line block ×3, first 2 shown]
	v_min3_f16 v28, v109, v28, v110
	v_min3_f16 v28, v51, v29, v28
	v_cvt_f32_f16_e32 v28, v28
	v_max_f32_e32 v29, v50, v50
	v_min_f32_e32 v28, v29, v28
	v_cvt_f16_f32_e32 v50, v28
	v_lshl_add_u64 v[28:29], v[46:47], 1, v[48:49]
	global_store_short v[28:29], v50, off
.LBB263_91:
	s_or_b64 exec, exec, s[18:19]
	v_add_u32_e32 v50, 8, v101
	s_waitcnt lgkmcnt(3)
	v_mad_i64_i32 v[28:29], s[26:27], v50, s29, 0
	v_cmp_gt_i32_e64 s[18:19], s21, v50
	v_lshl_add_u64 v[48:49], v[28:29], 1, s[24:25]
	v_mad_i64_i32 v[28:29], s[26:27], v50, s28, 0
	v_lshl_add_u64 v[28:29], v[28:29], 1, s[22:23]
	s_and_b64 s[30:31], s[2:3], s[18:19]
	s_and_saveexec_b64 s[26:27], s[30:31]
	s_cbranch_execnz .LBB263_99
; %bb.92:
	s_or_b64 exec, exec, s[26:27]
	s_and_b64 s[30:31], s[4:5], s[18:19]
	s_and_saveexec_b64 s[26:27], s[30:31]
	s_cbranch_execnz .LBB263_103
.LBB263_93:
	s_or_b64 exec, exec, s[26:27]
	s_and_b64 s[30:31], s[6:7], s[18:19]
	s_and_saveexec_b64 s[26:27], s[30:31]
	s_cbranch_execnz .LBB263_107
.LBB263_94:
	s_or_b64 exec, exec, s[26:27]
	s_and_b64 s[30:31], s[8:9], s[18:19]
	s_and_saveexec_b64 s[26:27], s[30:31]
	s_cbranch_execnz .LBB263_111
.LBB263_95:
	s_or_b64 exec, exec, s[26:27]
	s_and_b64 s[30:31], s[10:11], s[18:19]
	s_and_saveexec_b64 s[26:27], s[30:31]
	s_cbranch_execnz .LBB263_115
.LBB263_96:
	s_or_b64 exec, exec, s[26:27]
	s_and_b64 s[30:31], s[12:13], s[18:19]
	s_and_saveexec_b64 s[26:27], s[30:31]
	s_cbranch_execnz .LBB263_119
.LBB263_97:
	s_or_b64 exec, exec, s[26:27]
	s_and_b64 s[30:31], s[14:15], s[18:19]
	s_and_saveexec_b64 s[26:27], s[30:31]
	s_cbranch_execnz .LBB263_123
.LBB263_98:
	s_or_b64 exec, exec, s[26:27]
	s_and_b64 s[26:27], s[16:17], s[18:19]
	s_and_saveexec_b64 s[18:19], s[26:27]
	s_cbranch_execnz .LBB263_127
	s_branch .LBB263_131
.LBB263_99:
	s_and_b64 vcc, exec, s[0:1]
	s_cbranch_vccnz .LBB263_101
; %bb.100:
	v_lshl_add_u64 v[50:51], v[32:33], 1, v[48:49]
	global_load_ushort v50, v[50:51], off
	s_waitcnt vmcnt(0)
	v_mul_f16_e32 v50, s33, v50
	v_cvt_f32_f16_e32 v50, v50
	s_branch .LBB263_102
.LBB263_101:
	v_mov_b32_e32 v50, 0
.LBB263_102:
	v_pk_add_f16 v51, v16, v30
	v_max_f16_e32 v109, v108, v108
	v_pk_add_f16 v110, v17, v31
	v_min_f16_e32 v109, v109, v51
	v_lshrrev_b32_e32 v108, 16, v108
	v_lshrrev_b32_e32 v51, 16, v51
	;; [unrolled: 1-line block ×3, first 2 shown]
	v_min3_f16 v51, v108, v51, v111
	v_min3_f16 v51, v109, v110, v51
	v_cvt_f32_f16_e32 v51, v51
	v_max_f32_e32 v50, v50, v50
	v_min_f32_e32 v50, v50, v51
	v_cvt_f16_f32_e32 v108, v50
	v_lshl_add_u64 v[50:51], v[32:33], 1, v[28:29]
	global_store_short v[50:51], v108, off
	s_or_b64 exec, exec, s[26:27]
	s_and_b64 s[30:31], s[4:5], s[18:19]
	s_and_saveexec_b64 s[26:27], s[30:31]
	s_cbranch_execz .LBB263_93
.LBB263_103:
	s_and_b64 vcc, exec, s[0:1]
	s_cbranch_vccnz .LBB263_105
; %bb.104:
	v_lshl_add_u64 v[50:51], v[34:35], 1, v[48:49]
	global_load_ushort v50, v[50:51], off
	s_waitcnt vmcnt(0)
	v_mul_f16_e32 v50, s33, v50
	v_cvt_f32_f16_e32 v50, v50
	s_branch .LBB263_106
.LBB263_105:
	v_mov_b32_e32 v50, 0
.LBB263_106:
	v_pk_add_f16 v51, v18, v30
	v_max_f16_e32 v108, v107, v107
	v_pk_add_f16 v109, v19, v31
	v_min_f16_e32 v108, v108, v51
	v_lshrrev_b32_e32 v107, 16, v107
	v_lshrrev_b32_e32 v51, 16, v51
	;; [unrolled: 1-line block ×3, first 2 shown]
	v_min3_f16 v51, v107, v51, v110
	v_min3_f16 v51, v108, v109, v51
	v_cvt_f32_f16_e32 v51, v51
	v_max_f32_e32 v50, v50, v50
	v_min_f32_e32 v50, v50, v51
	v_cvt_f16_f32_e32 v107, v50
	v_lshl_add_u64 v[50:51], v[34:35], 1, v[28:29]
	global_store_short v[50:51], v107, off
	s_or_b64 exec, exec, s[26:27]
	s_and_b64 s[30:31], s[6:7], s[18:19]
	s_and_saveexec_b64 s[26:27], s[30:31]
	s_cbranch_execz .LBB263_94
.LBB263_107:
	s_and_b64 vcc, exec, s[0:1]
	s_cbranch_vccnz .LBB263_109
; %bb.108:
	v_lshl_add_u64 v[50:51], v[36:37], 1, v[48:49]
	global_load_ushort v50, v[50:51], off
	s_waitcnt vmcnt(0)
	v_mul_f16_e32 v50, s33, v50
	v_cvt_f32_f16_e32 v50, v50
	s_branch .LBB263_110
.LBB263_109:
	v_mov_b32_e32 v50, 0
.LBB263_110:
	v_pk_add_f16 v51, v12, v30
	v_max_f16_e32 v107, v105, v105
	v_pk_add_f16 v108, v13, v31
	v_min_f16_e32 v107, v107, v51
	v_lshrrev_b32_e32 v105, 16, v105
	v_lshrrev_b32_e32 v51, 16, v51
	;; [unrolled: 1-line block ×3, first 2 shown]
	v_min3_f16 v51, v105, v51, v109
	v_min3_f16 v51, v107, v108, v51
	v_cvt_f32_f16_e32 v51, v51
	v_max_f32_e32 v50, v50, v50
	v_min_f32_e32 v50, v50, v51
	v_cvt_f16_f32_e32 v105, v50
	v_lshl_add_u64 v[50:51], v[36:37], 1, v[28:29]
	global_store_short v[50:51], v105, off
	s_or_b64 exec, exec, s[26:27]
	s_and_b64 s[30:31], s[8:9], s[18:19]
	s_and_saveexec_b64 s[26:27], s[30:31]
	s_cbranch_execz .LBB263_95
.LBB263_111:
	s_and_b64 vcc, exec, s[0:1]
	s_cbranch_vccnz .LBB263_113
; %bb.112:
	v_lshl_add_u64 v[50:51], v[38:39], 1, v[48:49]
	global_load_ushort v50, v[50:51], off
	s_waitcnt vmcnt(0)
	v_mul_f16_e32 v50, s33, v50
	v_cvt_f32_f16_e32 v50, v50
	s_branch .LBB263_114
.LBB263_113:
	v_mov_b32_e32 v50, 0
.LBB263_114:
	v_pk_add_f16 v51, v14, v30
	v_max_f16_e32 v105, v103, v103
	v_pk_add_f16 v107, v15, v31
	v_min_f16_e32 v105, v105, v51
	v_lshrrev_b32_e32 v103, 16, v103
	v_lshrrev_b32_e32 v51, 16, v51
	;; [unrolled: 1-line block ×3, first 2 shown]
	v_min3_f16 v51, v103, v51, v108
	v_min3_f16 v51, v105, v107, v51
	v_cvt_f32_f16_e32 v51, v51
	v_max_f32_e32 v50, v50, v50
	v_min_f32_e32 v50, v50, v51
	v_cvt_f16_f32_e32 v103, v50
	v_lshl_add_u64 v[50:51], v[38:39], 1, v[28:29]
	global_store_short v[50:51], v103, off
	s_or_b64 exec, exec, s[26:27]
	s_and_b64 s[30:31], s[10:11], s[18:19]
	s_and_saveexec_b64 s[26:27], s[30:31]
	s_cbranch_execz .LBB263_96
.LBB263_115:
	s_and_b64 vcc, exec, s[0:1]
	s_cbranch_vccnz .LBB263_117
; %bb.116:
	v_lshl_add_u64 v[50:51], v[40:41], 1, v[48:49]
	global_load_ushort v50, v[50:51], off
	s_waitcnt vmcnt(0)
	v_mul_f16_e32 v50, s33, v50
	v_cvt_f32_f16_e32 v50, v50
	s_branch .LBB263_118
.LBB263_117:
	v_mov_b32_e32 v50, 0
.LBB263_118:
	v_pk_add_f16 v51, v8, v30
	v_max_f16_e32 v103, v100, v100
	v_pk_add_f16 v105, v9, v31
	v_min_f16_e32 v103, v103, v51
	v_lshrrev_b32_e32 v100, 16, v100
	v_lshrrev_b32_e32 v51, 16, v51
	v_lshrrev_b32_e32 v107, 16, v105
	v_min3_f16 v51, v100, v51, v107
	v_min3_f16 v51, v103, v105, v51
	v_cvt_f32_f16_e32 v51, v51
	v_max_f32_e32 v50, v50, v50
	v_min_f32_e32 v50, v50, v51
	v_cvt_f16_f32_e32 v100, v50
	v_lshl_add_u64 v[50:51], v[40:41], 1, v[28:29]
	global_store_short v[50:51], v100, off
	s_or_b64 exec, exec, s[26:27]
	s_and_b64 s[30:31], s[12:13], s[18:19]
	s_and_saveexec_b64 s[26:27], s[30:31]
	s_cbranch_execz .LBB263_97
.LBB263_119:
	s_and_b64 vcc, exec, s[0:1]
	s_cbranch_vccnz .LBB263_121
; %bb.120:
	v_lshl_add_u64 v[50:51], v[42:43], 1, v[48:49]
	global_load_ushort v50, v[50:51], off
	s_waitcnt vmcnt(0)
	v_mul_f16_e32 v50, s33, v50
	v_cvt_f32_f16_e32 v50, v50
	s_branch .LBB263_122
.LBB263_121:
	v_mov_b32_e32 v50, 0
.LBB263_122:
	v_pk_add_f16 v51, v10, v30
	v_max_f16_e32 v100, v98, v98
	v_pk_add_f16 v103, v11, v31
	v_min_f16_e32 v100, v100, v51
	v_lshrrev_b32_e32 v98, 16, v98
	v_lshrrev_b32_e32 v51, 16, v51
	;; [unrolled: 1-line block ×3, first 2 shown]
	v_min3_f16 v51, v98, v51, v105
	v_min3_f16 v51, v100, v103, v51
	v_cvt_f32_f16_e32 v51, v51
	v_max_f32_e32 v50, v50, v50
	v_min_f32_e32 v50, v50, v51
	v_cvt_f16_f32_e32 v98, v50
	v_lshl_add_u64 v[50:51], v[42:43], 1, v[28:29]
	global_store_short v[50:51], v98, off
	s_or_b64 exec, exec, s[26:27]
	s_and_b64 s[30:31], s[14:15], s[18:19]
	s_and_saveexec_b64 s[26:27], s[30:31]
	s_cbranch_execz .LBB263_98
.LBB263_123:
	s_and_b64 vcc, exec, s[0:1]
	s_cbranch_vccnz .LBB263_125
; %bb.124:
	v_lshl_add_u64 v[50:51], v[44:45], 1, v[48:49]
	global_load_ushort v50, v[50:51], off
	s_waitcnt vmcnt(0)
	v_mul_f16_e32 v50, s33, v50
	v_cvt_f32_f16_e32 v50, v50
	s_branch .LBB263_126
.LBB263_125:
	v_mov_b32_e32 v50, 0
.LBB263_126:
	v_pk_add_f16 v51, v0, v30
	v_max_f16_e32 v98, v96, v96
	v_pk_add_f16 v100, v1, v31
	v_min_f16_e32 v98, v98, v51
	v_lshrrev_b32_e32 v96, 16, v96
	v_lshrrev_b32_e32 v51, 16, v51
	;; [unrolled: 1-line block ×3, first 2 shown]
	v_min3_f16 v51, v96, v51, v103
	v_min3_f16 v51, v98, v100, v51
	v_cvt_f32_f16_e32 v51, v51
	v_max_f32_e32 v50, v50, v50
	v_min_f32_e32 v50, v50, v51
	v_cvt_f16_f32_e32 v96, v50
	v_lshl_add_u64 v[50:51], v[44:45], 1, v[28:29]
	global_store_short v[50:51], v96, off
	s_or_b64 exec, exec, s[26:27]
	s_and_b64 s[26:27], s[16:17], s[18:19]
	s_and_saveexec_b64 s[18:19], s[26:27]
	s_cbranch_execz .LBB263_131
.LBB263_127:
	s_and_b64 vcc, exec, s[0:1]
	s_cbranch_vccnz .LBB263_129
; %bb.128:
	v_lshl_add_u64 v[48:49], v[46:47], 1, v[48:49]
	global_load_ushort v48, v[48:49], off
	s_waitcnt vmcnt(0)
	v_mul_f16_e32 v48, s33, v48
	v_cvt_f32_f16_e32 v48, v48
	s_branch .LBB263_130
.LBB263_129:
	v_mov_b32_e32 v48, 0
.LBB263_130:
	v_pk_add_f16 v30, v2, v30
	v_max_f16_e32 v49, v94, v94
	v_pk_add_f16 v31, v3, v31
	v_min_f16_e32 v49, v49, v30
	v_lshrrev_b32_e32 v50, 16, v94
	v_lshrrev_b32_e32 v30, 16, v30
	;; [unrolled: 1-line block ×3, first 2 shown]
	v_min3_f16 v30, v50, v30, v51
	v_min3_f16 v30, v49, v31, v30
	v_cvt_f32_f16_e32 v30, v30
	v_max_f32_e32 v31, v48, v48
	v_lshl_add_u64 v[28:29], v[46:47], 1, v[28:29]
	v_min_f32_e32 v30, v31, v30
	v_cvt_f16_f32_e32 v30, v30
	global_store_short v[28:29], v30, off
.LBB263_131:
	s_or_b64 exec, exec, s[18:19]
	v_add_u32_e32 v48, 16, v101
	v_mad_i64_i32 v[28:29], s[26:27], v48, s29, 0
	v_cmp_gt_i32_e64 s[18:19], s21, v48
	v_lshl_add_u64 v[30:31], v[28:29], 1, s[24:25]
	v_mad_i64_i32 v[28:29], s[26:27], v48, s28, 0
	v_lshl_add_u64 v[28:29], v[28:29], 1, s[22:23]
	s_and_b64 s[30:31], s[2:3], s[18:19]
	s_and_saveexec_b64 s[26:27], s[30:31]
	s_cbranch_execnz .LBB263_139
; %bb.132:
	s_or_b64 exec, exec, s[26:27]
	s_and_b64 s[30:31], s[4:5], s[18:19]
	s_and_saveexec_b64 s[26:27], s[30:31]
	s_cbranch_execnz .LBB263_143
.LBB263_133:
	s_or_b64 exec, exec, s[26:27]
	s_and_b64 s[30:31], s[6:7], s[18:19]
	s_and_saveexec_b64 s[26:27], s[30:31]
	s_cbranch_execnz .LBB263_147
.LBB263_134:
	s_or_b64 exec, exec, s[26:27]
	s_and_b64 s[30:31], s[8:9], s[18:19]
	s_and_saveexec_b64 s[26:27], s[30:31]
	s_cbranch_execnz .LBB263_151
.LBB263_135:
	s_or_b64 exec, exec, s[26:27]
	s_and_b64 s[30:31], s[10:11], s[18:19]
	s_and_saveexec_b64 s[26:27], s[30:31]
	s_cbranch_execnz .LBB263_155
.LBB263_136:
	s_or_b64 exec, exec, s[26:27]
	s_and_b64 s[30:31], s[12:13], s[18:19]
	s_and_saveexec_b64 s[26:27], s[30:31]
	s_cbranch_execnz .LBB263_159
.LBB263_137:
	s_or_b64 exec, exec, s[26:27]
	s_and_b64 s[30:31], s[14:15], s[18:19]
	s_and_saveexec_b64 s[26:27], s[30:31]
	s_cbranch_execnz .LBB263_163
.LBB263_138:
	s_or_b64 exec, exec, s[26:27]
	s_and_b64 s[26:27], s[16:17], s[18:19]
	s_and_saveexec_b64 s[18:19], s[26:27]
	s_cbranch_execnz .LBB263_167
	s_branch .LBB263_171
.LBB263_139:
	s_and_b64 vcc, exec, s[0:1]
	s_cbranch_vccnz .LBB263_141
; %bb.140:
	v_lshl_add_u64 v[48:49], v[32:33], 1, v[30:31]
	global_load_ushort v48, v[48:49], off
	s_waitcnt vmcnt(0)
	v_mul_f16_e32 v48, s33, v48
	v_cvt_f32_f16_e32 v48, v48
	s_branch .LBB263_142
.LBB263_141:
	v_mov_b32_e32 v48, 0
.LBB263_142:
	s_waitcnt lgkmcnt(2)
	v_pk_add_f16 v49, v16, v24
	v_max_f16_e32 v50, v92, v92
	v_lshrrev_b32_e32 v51, 16, v92
	v_pk_add_f16 v92, v17, v25
	v_min_f16_e32 v50, v50, v49
	v_lshrrev_b32_e32 v49, 16, v49
	v_lshrrev_b32_e32 v94, 16, v92
	v_min3_f16 v49, v51, v49, v94
	v_min3_f16 v49, v50, v92, v49
	v_cvt_f32_f16_e32 v49, v49
	v_max_f32_e32 v48, v48, v48
	v_min_f32_e32 v48, v48, v49
	v_cvt_f16_f32_e32 v50, v48
	v_lshl_add_u64 v[48:49], v[32:33], 1, v[28:29]
	global_store_short v[48:49], v50, off
	s_or_b64 exec, exec, s[26:27]
	s_and_b64 s[30:31], s[4:5], s[18:19]
	s_and_saveexec_b64 s[26:27], s[30:31]
	s_cbranch_execz .LBB263_133
.LBB263_143:
	s_and_b64 vcc, exec, s[0:1]
	s_cbranch_vccnz .LBB263_145
; %bb.144:
	v_lshl_add_u64 v[48:49], v[34:35], 1, v[30:31]
	global_load_ushort v48, v[48:49], off
	s_waitcnt vmcnt(0)
	v_mul_f16_e32 v48, s33, v48
	v_cvt_f32_f16_e32 v48, v48
	s_branch .LBB263_146
.LBB263_145:
	v_mov_b32_e32 v48, 0
.LBB263_146:
	s_waitcnt lgkmcnt(2)
	v_pk_add_f16 v49, v18, v24
	v_max_f16_e32 v50, v90, v90
	v_lshrrev_b32_e32 v51, 16, v90
	v_pk_add_f16 v90, v19, v25
	v_min_f16_e32 v50, v50, v49
	v_lshrrev_b32_e32 v49, 16, v49
	v_lshrrev_b32_e32 v92, 16, v90
	v_min3_f16 v49, v51, v49, v92
	v_min3_f16 v49, v50, v90, v49
	v_cvt_f32_f16_e32 v49, v49
	v_max_f32_e32 v48, v48, v48
	v_min_f32_e32 v48, v48, v49
	v_cvt_f16_f32_e32 v50, v48
	v_lshl_add_u64 v[48:49], v[34:35], 1, v[28:29]
	global_store_short v[48:49], v50, off
	s_or_b64 exec, exec, s[26:27]
	s_and_b64 s[30:31], s[6:7], s[18:19]
	s_and_saveexec_b64 s[26:27], s[30:31]
	s_cbranch_execz .LBB263_134
.LBB263_147:
	s_and_b64 vcc, exec, s[0:1]
	s_cbranch_vccnz .LBB263_149
; %bb.148:
	v_lshl_add_u64 v[48:49], v[36:37], 1, v[30:31]
	global_load_ushort v48, v[48:49], off
	s_waitcnt vmcnt(0)
	v_mul_f16_e32 v48, s33, v48
	v_cvt_f32_f16_e32 v48, v48
	s_branch .LBB263_150
.LBB263_149:
	v_mov_b32_e32 v48, 0
.LBB263_150:
	s_waitcnt lgkmcnt(2)
	v_pk_add_f16 v49, v12, v24
	v_max_f16_e32 v50, v88, v88
	v_lshrrev_b32_e32 v51, 16, v88
	v_pk_add_f16 v88, v13, v25
	v_min_f16_e32 v50, v50, v49
	v_lshrrev_b32_e32 v49, 16, v49
	v_lshrrev_b32_e32 v90, 16, v88
	v_min3_f16 v49, v51, v49, v90
	v_min3_f16 v49, v50, v88, v49
	v_cvt_f32_f16_e32 v49, v49
	v_max_f32_e32 v48, v48, v48
	v_min_f32_e32 v48, v48, v49
	v_cvt_f16_f32_e32 v50, v48
	v_lshl_add_u64 v[48:49], v[36:37], 1, v[28:29]
	global_store_short v[48:49], v50, off
	s_or_b64 exec, exec, s[26:27]
	s_and_b64 s[30:31], s[8:9], s[18:19]
	s_and_saveexec_b64 s[26:27], s[30:31]
	s_cbranch_execz .LBB263_135
.LBB263_151:
	s_and_b64 vcc, exec, s[0:1]
	s_cbranch_vccnz .LBB263_153
; %bb.152:
	v_lshl_add_u64 v[48:49], v[38:39], 1, v[30:31]
	global_load_ushort v48, v[48:49], off
	s_waitcnt vmcnt(0)
	v_mul_f16_e32 v48, s33, v48
	v_cvt_f32_f16_e32 v48, v48
	s_branch .LBB263_154
.LBB263_153:
	v_mov_b32_e32 v48, 0
.LBB263_154:
	s_waitcnt lgkmcnt(2)
	v_pk_add_f16 v49, v14, v24
	v_max_f16_e32 v50, v106, v106
	v_pk_add_f16 v88, v15, v25
	v_min_f16_e32 v50, v50, v49
	v_lshrrev_b32_e32 v51, 16, v106
	v_lshrrev_b32_e32 v49, 16, v49
	;; [unrolled: 1-line block ×3, first 2 shown]
	v_min3_f16 v49, v51, v49, v90
	v_min3_f16 v49, v50, v88, v49
	v_cvt_f32_f16_e32 v49, v49
	v_max_f32_e32 v48, v48, v48
	v_min_f32_e32 v48, v48, v49
	v_cvt_f16_f32_e32 v50, v48
	v_lshl_add_u64 v[48:49], v[38:39], 1, v[28:29]
	global_store_short v[48:49], v50, off
	s_or_b64 exec, exec, s[26:27]
	s_and_b64 s[30:31], s[10:11], s[18:19]
	s_and_saveexec_b64 s[26:27], s[30:31]
	s_cbranch_execz .LBB263_136
.LBB263_155:
	s_and_b64 vcc, exec, s[0:1]
	s_cbranch_vccnz .LBB263_157
; %bb.156:
	v_lshl_add_u64 v[48:49], v[40:41], 1, v[30:31]
	global_load_ushort v48, v[48:49], off
	s_waitcnt vmcnt(0)
	v_mul_f16_e32 v48, s33, v48
	v_cvt_f32_f16_e32 v48, v48
	s_branch .LBB263_158
.LBB263_157:
	v_mov_b32_e32 v48, 0
.LBB263_158:
	s_waitcnt lgkmcnt(2)
	v_pk_add_f16 v49, v8, v24
	v_max_f16_e32 v50, v104, v104
	v_pk_add_f16 v88, v9, v25
	v_min_f16_e32 v50, v50, v49
	v_lshrrev_b32_e32 v51, 16, v104
	v_lshrrev_b32_e32 v49, 16, v49
	;; [unrolled: 1-line block ×3, first 2 shown]
	v_min3_f16 v49, v51, v49, v90
	v_min3_f16 v49, v50, v88, v49
	v_cvt_f32_f16_e32 v49, v49
	v_max_f32_e32 v48, v48, v48
	v_min_f32_e32 v48, v48, v49
	v_cvt_f16_f32_e32 v50, v48
	v_lshl_add_u64 v[48:49], v[40:41], 1, v[28:29]
	global_store_short v[48:49], v50, off
	s_or_b64 exec, exec, s[26:27]
	s_and_b64 s[30:31], s[12:13], s[18:19]
	s_and_saveexec_b64 s[26:27], s[30:31]
	s_cbranch_execz .LBB263_137
.LBB263_159:
	s_and_b64 vcc, exec, s[0:1]
	s_cbranch_vccnz .LBB263_161
; %bb.160:
	v_lshl_add_u64 v[48:49], v[42:43], 1, v[30:31]
	global_load_ushort v48, v[48:49], off
	s_waitcnt vmcnt(0)
	v_mul_f16_e32 v48, s33, v48
	v_cvt_f32_f16_e32 v48, v48
	s_branch .LBB263_162
.LBB263_161:
	v_mov_b32_e32 v48, 0
.LBB263_162:
	s_waitcnt lgkmcnt(2)
	v_pk_add_f16 v49, v10, v24
	v_max_f16_e32 v50, v102, v102
	v_pk_add_f16 v88, v11, v25
	v_min_f16_e32 v50, v50, v49
	v_lshrrev_b32_e32 v51, 16, v102
	v_lshrrev_b32_e32 v49, 16, v49
	v_lshrrev_b32_e32 v90, 16, v88
	v_min3_f16 v49, v51, v49, v90
	v_min3_f16 v49, v50, v88, v49
	v_cvt_f32_f16_e32 v49, v49
	v_max_f32_e32 v48, v48, v48
	v_min_f32_e32 v48, v48, v49
	v_cvt_f16_f32_e32 v50, v48
	v_lshl_add_u64 v[48:49], v[42:43], 1, v[28:29]
	global_store_short v[48:49], v50, off
	s_or_b64 exec, exec, s[26:27]
	s_and_b64 s[30:31], s[14:15], s[18:19]
	s_and_saveexec_b64 s[26:27], s[30:31]
	s_cbranch_execz .LBB263_138
.LBB263_163:
	s_and_b64 vcc, exec, s[0:1]
	s_cbranch_vccnz .LBB263_165
; %bb.164:
	v_lshl_add_u64 v[48:49], v[44:45], 1, v[30:31]
	global_load_ushort v48, v[48:49], off
	s_waitcnt vmcnt(0)
	v_mul_f16_e32 v48, s33, v48
	v_cvt_f32_f16_e32 v48, v48
	s_branch .LBB263_166
.LBB263_165:
	v_mov_b32_e32 v48, 0
.LBB263_166:
	s_waitcnt lgkmcnt(2)
	v_pk_add_f16 v49, v0, v24
	v_max_f16_e32 v50, v99, v99
	v_pk_add_f16 v88, v1, v25
	v_min_f16_e32 v50, v50, v49
	v_lshrrev_b32_e32 v51, 16, v99
	v_lshrrev_b32_e32 v49, 16, v49
	;; [unrolled: 1-line block ×3, first 2 shown]
	v_min3_f16 v49, v51, v49, v90
	v_min3_f16 v49, v50, v88, v49
	v_cvt_f32_f16_e32 v49, v49
	v_max_f32_e32 v48, v48, v48
	v_min_f32_e32 v48, v48, v49
	v_cvt_f16_f32_e32 v50, v48
	v_lshl_add_u64 v[48:49], v[44:45], 1, v[28:29]
	global_store_short v[48:49], v50, off
	s_or_b64 exec, exec, s[26:27]
	s_and_b64 s[26:27], s[16:17], s[18:19]
	s_and_saveexec_b64 s[18:19], s[26:27]
	s_cbranch_execz .LBB263_171
.LBB263_167:
	s_and_b64 vcc, exec, s[0:1]
	s_cbranch_vccnz .LBB263_169
; %bb.168:
	v_lshl_add_u64 v[30:31], v[46:47], 1, v[30:31]
	global_load_ushort v30, v[30:31], off
	s_waitcnt vmcnt(0)
	v_mul_f16_e32 v30, s33, v30
	v_cvt_f32_f16_e32 v30, v30
	s_branch .LBB263_170
.LBB263_169:
	v_mov_b32_e32 v30, 0
.LBB263_170:
	s_waitcnt lgkmcnt(2)
	v_pk_add_f16 v24, v2, v24
	v_max_f16_e32 v31, v97, v97
	v_pk_add_f16 v25, v3, v25
	v_min_f16_e32 v31, v31, v24
	v_lshrrev_b32_e32 v48, 16, v97
	v_lshrrev_b32_e32 v24, 16, v24
	;; [unrolled: 1-line block ×3, first 2 shown]
	v_min3_f16 v24, v48, v24, v49
	v_min3_f16 v24, v31, v25, v24
	v_cvt_f32_f16_e32 v24, v24
	v_max_f32_e32 v25, v30, v30
	v_min_f32_e32 v24, v25, v24
	v_cvt_f16_f32_e32 v30, v24
	v_lshl_add_u64 v[24:25], v[46:47], 1, v[28:29]
	global_store_short v[24:25], v30, off
.LBB263_171:
	s_or_b64 exec, exec, s[18:19]
	v_add_u32_e32 v30, 24, v101
	s_waitcnt lgkmcnt(2)
	v_mad_i64_i32 v[24:25], s[26:27], v30, s29, 0
	v_cmp_gt_i32_e64 s[18:19], s21, v30
	v_lshl_add_u64 v[28:29], v[24:25], 1, s[24:25]
	v_mad_i64_i32 v[24:25], s[26:27], v30, s28, 0
	v_lshl_add_u64 v[24:25], v[24:25], 1, s[22:23]
	s_and_b64 s[30:31], s[2:3], s[18:19]
	s_and_saveexec_b64 s[26:27], s[30:31]
	s_cbranch_execnz .LBB263_179
; %bb.172:
	s_or_b64 exec, exec, s[26:27]
	s_and_b64 s[30:31], s[4:5], s[18:19]
	s_and_saveexec_b64 s[26:27], s[30:31]
	s_cbranch_execnz .LBB263_183
.LBB263_173:
	s_or_b64 exec, exec, s[26:27]
	s_and_b64 s[30:31], s[6:7], s[18:19]
	s_and_saveexec_b64 s[26:27], s[30:31]
	s_cbranch_execnz .LBB263_187
.LBB263_174:
	s_or_b64 exec, exec, s[26:27]
	s_and_b64 s[30:31], s[8:9], s[18:19]
	s_and_saveexec_b64 s[26:27], s[30:31]
	s_cbranch_execnz .LBB263_191
.LBB263_175:
	s_or_b64 exec, exec, s[26:27]
	s_and_b64 s[30:31], s[10:11], s[18:19]
	s_and_saveexec_b64 s[26:27], s[30:31]
	s_cbranch_execnz .LBB263_195
.LBB263_176:
	s_or_b64 exec, exec, s[26:27]
	s_and_b64 s[30:31], s[12:13], s[18:19]
	s_and_saveexec_b64 s[26:27], s[30:31]
	s_cbranch_execnz .LBB263_199
.LBB263_177:
	s_or_b64 exec, exec, s[26:27]
	s_and_b64 s[30:31], s[14:15], s[18:19]
	s_and_saveexec_b64 s[26:27], s[30:31]
	s_cbranch_execnz .LBB263_203
.LBB263_178:
	s_or_b64 exec, exec, s[26:27]
	s_and_b64 s[26:27], s[16:17], s[18:19]
	s_and_saveexec_b64 s[18:19], s[26:27]
	s_cbranch_execnz .LBB263_207
	s_branch .LBB263_211
.LBB263_179:
	s_and_b64 vcc, exec, s[0:1]
	s_cbranch_vccnz .LBB263_181
; %bb.180:
	v_lshl_add_u64 v[30:31], v[32:33], 1, v[28:29]
	global_load_ushort v30, v[30:31], off
	s_waitcnt vmcnt(0)
	v_mul_f16_e32 v30, s33, v30
	v_cvt_f32_f16_e32 v30, v30
	s_branch .LBB263_182
.LBB263_181:
	v_mov_b32_e32 v30, 0
.LBB263_182:
	v_pk_add_f16 v31, v16, v26
	v_max_f16_e32 v48, v95, v95
	v_pk_add_f16 v50, v17, v27
	v_min_f16_e32 v48, v48, v31
	v_lshrrev_b32_e32 v49, 16, v95
	v_lshrrev_b32_e32 v31, 16, v31
	v_lshrrev_b32_e32 v51, 16, v50
	v_min3_f16 v31, v49, v31, v51
	v_min3_f16 v31, v48, v50, v31
	v_cvt_f32_f16_e32 v31, v31
	v_max_f32_e32 v30, v30, v30
	v_min_f32_e32 v30, v30, v31
	v_cvt_f16_f32_e32 v48, v30
	v_lshl_add_u64 v[30:31], v[32:33], 1, v[24:25]
	global_store_short v[30:31], v48, off
	s_or_b64 exec, exec, s[26:27]
	s_and_b64 s[30:31], s[4:5], s[18:19]
	s_and_saveexec_b64 s[26:27], s[30:31]
	s_cbranch_execz .LBB263_173
.LBB263_183:
	s_and_b64 vcc, exec, s[0:1]
	s_cbranch_vccnz .LBB263_185
; %bb.184:
	v_lshl_add_u64 v[30:31], v[34:35], 1, v[28:29]
	global_load_ushort v30, v[30:31], off
	s_waitcnt vmcnt(0)
	v_mul_f16_e32 v30, s33, v30
	v_cvt_f32_f16_e32 v30, v30
	s_branch .LBB263_186
.LBB263_185:
	v_mov_b32_e32 v30, 0
.LBB263_186:
	v_pk_add_f16 v31, v18, v26
	v_max_f16_e32 v48, v93, v93
	v_pk_add_f16 v50, v19, v27
	v_min_f16_e32 v48, v48, v31
	v_lshrrev_b32_e32 v49, 16, v93
	v_lshrrev_b32_e32 v31, 16, v31
	v_lshrrev_b32_e32 v51, 16, v50
	v_min3_f16 v31, v49, v31, v51
	v_min3_f16 v31, v48, v50, v31
	v_cvt_f32_f16_e32 v31, v31
	v_max_f32_e32 v30, v30, v30
	v_min_f32_e32 v30, v30, v31
	v_cvt_f16_f32_e32 v48, v30
	v_lshl_add_u64 v[30:31], v[34:35], 1, v[24:25]
	global_store_short v[30:31], v48, off
	s_or_b64 exec, exec, s[26:27]
	s_and_b64 s[30:31], s[6:7], s[18:19]
	s_and_saveexec_b64 s[26:27], s[30:31]
	s_cbranch_execz .LBB263_174
.LBB263_187:
	s_and_b64 vcc, exec, s[0:1]
	s_cbranch_vccnz .LBB263_189
; %bb.188:
	v_lshl_add_u64 v[30:31], v[36:37], 1, v[28:29]
	global_load_ushort v30, v[30:31], off
	s_waitcnt vmcnt(0)
	v_mul_f16_e32 v30, s33, v30
	v_cvt_f32_f16_e32 v30, v30
	s_branch .LBB263_190
.LBB263_189:
	v_mov_b32_e32 v30, 0
.LBB263_190:
	v_pk_add_f16 v31, v12, v26
	v_max_f16_e32 v48, v91, v91
	v_pk_add_f16 v50, v13, v27
	v_min_f16_e32 v48, v48, v31
	v_lshrrev_b32_e32 v49, 16, v91
	v_lshrrev_b32_e32 v31, 16, v31
	;; [unrolled: 1-line block ×3, first 2 shown]
	v_min3_f16 v31, v49, v31, v51
	v_min3_f16 v31, v48, v50, v31
	v_cvt_f32_f16_e32 v31, v31
	v_max_f32_e32 v30, v30, v30
	v_min_f32_e32 v30, v30, v31
	v_cvt_f16_f32_e32 v48, v30
	v_lshl_add_u64 v[30:31], v[36:37], 1, v[24:25]
	global_store_short v[30:31], v48, off
	s_or_b64 exec, exec, s[26:27]
	s_and_b64 s[30:31], s[8:9], s[18:19]
	s_and_saveexec_b64 s[26:27], s[30:31]
	s_cbranch_execz .LBB263_175
.LBB263_191:
	s_and_b64 vcc, exec, s[0:1]
	s_cbranch_vccnz .LBB263_193
; %bb.192:
	v_lshl_add_u64 v[30:31], v[38:39], 1, v[28:29]
	global_load_ushort v30, v[30:31], off
	s_waitcnt vmcnt(0)
	v_mul_f16_e32 v30, s33, v30
	v_cvt_f32_f16_e32 v30, v30
	s_branch .LBB263_194
.LBB263_193:
	v_mov_b32_e32 v30, 0
.LBB263_194:
	v_pk_add_f16 v31, v14, v26
	v_max_f16_e32 v48, v89, v89
	v_pk_add_f16 v50, v15, v27
	v_min_f16_e32 v48, v48, v31
	v_lshrrev_b32_e32 v49, 16, v89
	v_lshrrev_b32_e32 v31, 16, v31
	;; [unrolled: 1-line block ×3, first 2 shown]
	v_min3_f16 v31, v49, v31, v51
	v_min3_f16 v31, v48, v50, v31
	v_cvt_f32_f16_e32 v31, v31
	v_max_f32_e32 v30, v30, v30
	v_min_f32_e32 v30, v30, v31
	v_cvt_f16_f32_e32 v48, v30
	v_lshl_add_u64 v[30:31], v[38:39], 1, v[24:25]
	global_store_short v[30:31], v48, off
	s_or_b64 exec, exec, s[26:27]
	s_and_b64 s[30:31], s[10:11], s[18:19]
	s_and_saveexec_b64 s[26:27], s[30:31]
	s_cbranch_execz .LBB263_176
.LBB263_195:
	s_and_b64 vcc, exec, s[0:1]
	s_cbranch_vccnz .LBB263_197
; %bb.196:
	v_lshl_add_u64 v[30:31], v[40:41], 1, v[28:29]
	global_load_ushort v30, v[30:31], off
	s_waitcnt vmcnt(0)
	v_mul_f16_e32 v30, s33, v30
	v_cvt_f32_f16_e32 v30, v30
	s_branch .LBB263_198
.LBB263_197:
	v_mov_b32_e32 v30, 0
.LBB263_198:
	v_pk_add_f16 v31, v8, v26
	v_max_f16_e32 v48, v87, v87
	v_pk_add_f16 v50, v9, v27
	v_min_f16_e32 v48, v48, v31
	v_lshrrev_b32_e32 v49, 16, v87
	v_lshrrev_b32_e32 v31, 16, v31
	;; [unrolled: 1-line block ×3, first 2 shown]
	v_min3_f16 v31, v49, v31, v51
	v_min3_f16 v31, v48, v50, v31
	v_cvt_f32_f16_e32 v31, v31
	v_max_f32_e32 v30, v30, v30
	v_min_f32_e32 v30, v30, v31
	v_cvt_f16_f32_e32 v48, v30
	v_lshl_add_u64 v[30:31], v[40:41], 1, v[24:25]
	global_store_short v[30:31], v48, off
	s_or_b64 exec, exec, s[26:27]
	s_and_b64 s[30:31], s[12:13], s[18:19]
	s_and_saveexec_b64 s[26:27], s[30:31]
	s_cbranch_execz .LBB263_177
.LBB263_199:
	s_and_b64 vcc, exec, s[0:1]
	s_cbranch_vccnz .LBB263_201
; %bb.200:
	v_lshl_add_u64 v[30:31], v[42:43], 1, v[28:29]
	global_load_ushort v30, v[30:31], off
	s_waitcnt vmcnt(0)
	v_mul_f16_e32 v30, s33, v30
	v_cvt_f32_f16_e32 v30, v30
	s_branch .LBB263_202
.LBB263_201:
	v_mov_b32_e32 v30, 0
.LBB263_202:
	v_pk_add_f16 v31, v10, v26
	v_max_f16_e32 v48, v86, v86
	v_pk_add_f16 v50, v11, v27
	v_min_f16_e32 v48, v48, v31
	v_lshrrev_b32_e32 v49, 16, v86
	v_lshrrev_b32_e32 v31, 16, v31
	;; [unrolled: 1-line block ×3, first 2 shown]
	v_min3_f16 v31, v49, v31, v51
	v_min3_f16 v31, v48, v50, v31
	v_cvt_f32_f16_e32 v31, v31
	v_max_f32_e32 v30, v30, v30
	v_min_f32_e32 v30, v30, v31
	v_cvt_f16_f32_e32 v48, v30
	v_lshl_add_u64 v[30:31], v[42:43], 1, v[24:25]
	global_store_short v[30:31], v48, off
	s_or_b64 exec, exec, s[26:27]
	s_and_b64 s[30:31], s[14:15], s[18:19]
	s_and_saveexec_b64 s[26:27], s[30:31]
	s_cbranch_execz .LBB263_178
.LBB263_203:
	s_and_b64 vcc, exec, s[0:1]
	s_cbranch_vccnz .LBB263_205
; %bb.204:
	v_lshl_add_u64 v[30:31], v[44:45], 1, v[28:29]
	global_load_ushort v30, v[30:31], off
	s_waitcnt vmcnt(0)
	v_mul_f16_e32 v30, s33, v30
	v_cvt_f32_f16_e32 v30, v30
	s_branch .LBB263_206
.LBB263_205:
	v_mov_b32_e32 v30, 0
.LBB263_206:
	v_pk_add_f16 v31, v0, v26
	v_max_f16_e32 v48, v85, v85
	v_pk_add_f16 v50, v1, v27
	v_min_f16_e32 v48, v48, v31
	v_lshrrev_b32_e32 v49, 16, v85
	v_lshrrev_b32_e32 v31, 16, v31
	;; [unrolled: 1-line block ×3, first 2 shown]
	v_min3_f16 v31, v49, v31, v51
	v_min3_f16 v31, v48, v50, v31
	v_cvt_f32_f16_e32 v31, v31
	v_max_f32_e32 v30, v30, v30
	v_min_f32_e32 v30, v30, v31
	v_cvt_f16_f32_e32 v48, v30
	v_lshl_add_u64 v[30:31], v[44:45], 1, v[24:25]
	global_store_short v[30:31], v48, off
	s_or_b64 exec, exec, s[26:27]
	s_and_b64 s[26:27], s[16:17], s[18:19]
	s_and_saveexec_b64 s[18:19], s[26:27]
	s_cbranch_execz .LBB263_211
.LBB263_207:
	s_and_b64 vcc, exec, s[0:1]
	s_cbranch_vccnz .LBB263_209
; %bb.208:
	v_lshl_add_u64 v[28:29], v[46:47], 1, v[28:29]
	global_load_ushort v28, v[28:29], off
	s_waitcnt vmcnt(0)
	v_mul_f16_e32 v28, s33, v28
	v_cvt_f32_f16_e32 v28, v28
	s_branch .LBB263_210
.LBB263_209:
	v_mov_b32_e32 v28, 0
.LBB263_210:
	v_pk_add_f16 v26, v2, v26
	v_max_f16_e32 v29, v84, v84
	v_pk_add_f16 v27, v3, v27
	v_min_f16_e32 v29, v29, v26
	v_lshrrev_b32_e32 v30, 16, v84
	v_lshrrev_b32_e32 v26, 16, v26
	;; [unrolled: 1-line block ×3, first 2 shown]
	v_min3_f16 v26, v30, v26, v31
	v_min3_f16 v26, v29, v27, v26
	v_cvt_f32_f16_e32 v26, v26
	v_max_f32_e32 v27, v28, v28
	v_lshl_add_u64 v[24:25], v[46:47], 1, v[24:25]
	v_min_f32_e32 v26, v27, v26
	v_cvt_f16_f32_e32 v26, v26
	global_store_short v[24:25], v26, off
.LBB263_211:
	s_or_b64 exec, exec, s[18:19]
	v_add_u32_e32 v28, 32, v101
	v_mad_i64_i32 v[24:25], s[26:27], v28, s29, 0
	v_cmp_gt_i32_e64 s[18:19], s21, v28
	v_lshl_add_u64 v[26:27], v[24:25], 1, s[24:25]
	v_mad_i64_i32 v[24:25], s[26:27], v28, s28, 0
	v_lshl_add_u64 v[24:25], v[24:25], 1, s[22:23]
	s_and_b64 s[30:31], s[2:3], s[18:19]
	s_and_saveexec_b64 s[26:27], s[30:31]
	s_cbranch_execnz .LBB263_219
; %bb.212:
	s_or_b64 exec, exec, s[26:27]
	s_and_b64 s[30:31], s[4:5], s[18:19]
	s_and_saveexec_b64 s[26:27], s[30:31]
	s_cbranch_execnz .LBB263_223
.LBB263_213:
	s_or_b64 exec, exec, s[26:27]
	s_and_b64 s[30:31], s[6:7], s[18:19]
	s_and_saveexec_b64 s[26:27], s[30:31]
	s_cbranch_execnz .LBB263_227
.LBB263_214:
	s_or_b64 exec, exec, s[26:27]
	s_and_b64 s[30:31], s[8:9], s[18:19]
	s_and_saveexec_b64 s[26:27], s[30:31]
	s_cbranch_execnz .LBB263_231
.LBB263_215:
	s_or_b64 exec, exec, s[26:27]
	s_and_b64 s[30:31], s[10:11], s[18:19]
	s_and_saveexec_b64 s[26:27], s[30:31]
	s_cbranch_execnz .LBB263_235
.LBB263_216:
	s_or_b64 exec, exec, s[26:27]
	s_and_b64 s[30:31], s[12:13], s[18:19]
	s_and_saveexec_b64 s[26:27], s[30:31]
	s_cbranch_execnz .LBB263_239
.LBB263_217:
	s_or_b64 exec, exec, s[26:27]
	s_and_b64 s[30:31], s[14:15], s[18:19]
	s_and_saveexec_b64 s[26:27], s[30:31]
	s_cbranch_execnz .LBB263_243
.LBB263_218:
	s_or_b64 exec, exec, s[26:27]
	s_and_b64 s[26:27], s[16:17], s[18:19]
	s_and_saveexec_b64 s[18:19], s[26:27]
	s_cbranch_execnz .LBB263_247
	s_branch .LBB263_251
.LBB263_219:
	s_and_b64 vcc, exec, s[0:1]
	s_cbranch_vccnz .LBB263_221
; %bb.220:
	v_lshl_add_u64 v[28:29], v[32:33], 1, v[26:27]
	global_load_ushort v28, v[28:29], off
	s_waitcnt vmcnt(0)
	v_mul_f16_e32 v28, s33, v28
	v_cvt_f32_f16_e32 v28, v28
	s_branch .LBB263_222
.LBB263_221:
	v_mov_b32_e32 v28, 0
.LBB263_222:
	s_waitcnt lgkmcnt(1)
	v_pk_add_f16 v29, v16, v20
	v_max_f16_e32 v30, v83, v83
	v_pk_add_f16 v48, v17, v21
	v_min_f16_e32 v30, v30, v29
	v_lshrrev_b32_e32 v31, 16, v83
	v_lshrrev_b32_e32 v29, 16, v29
	;; [unrolled: 1-line block ×3, first 2 shown]
	v_min3_f16 v29, v31, v29, v49
	v_min3_f16 v29, v30, v48, v29
	v_cvt_f32_f16_e32 v29, v29
	v_max_f32_e32 v28, v28, v28
	v_min_f32_e32 v28, v28, v29
	v_cvt_f16_f32_e32 v30, v28
	v_lshl_add_u64 v[28:29], v[32:33], 1, v[24:25]
	global_store_short v[28:29], v30, off
	s_or_b64 exec, exec, s[26:27]
	s_and_b64 s[30:31], s[4:5], s[18:19]
	s_and_saveexec_b64 s[26:27], s[30:31]
	s_cbranch_execz .LBB263_213
.LBB263_223:
	s_and_b64 vcc, exec, s[0:1]
	s_cbranch_vccnz .LBB263_225
; %bb.224:
	v_lshl_add_u64 v[28:29], v[34:35], 1, v[26:27]
	global_load_ushort v28, v[28:29], off
	s_waitcnt vmcnt(0)
	v_mul_f16_e32 v28, s33, v28
	v_cvt_f32_f16_e32 v28, v28
	s_branch .LBB263_226
.LBB263_225:
	v_mov_b32_e32 v28, 0
.LBB263_226:
	s_waitcnt lgkmcnt(1)
	v_pk_add_f16 v29, v18, v20
	v_max_f16_e32 v30, v82, v82
	v_pk_add_f16 v48, v19, v21
	v_min_f16_e32 v30, v30, v29
	v_lshrrev_b32_e32 v31, 16, v82
	v_lshrrev_b32_e32 v29, 16, v29
	;; [unrolled: 1-line block ×3, first 2 shown]
	v_min3_f16 v29, v31, v29, v49
	v_min3_f16 v29, v30, v48, v29
	v_cvt_f32_f16_e32 v29, v29
	v_max_f32_e32 v28, v28, v28
	v_min_f32_e32 v28, v28, v29
	v_cvt_f16_f32_e32 v30, v28
	v_lshl_add_u64 v[28:29], v[34:35], 1, v[24:25]
	global_store_short v[28:29], v30, off
	s_or_b64 exec, exec, s[26:27]
	s_and_b64 s[30:31], s[6:7], s[18:19]
	s_and_saveexec_b64 s[26:27], s[30:31]
	s_cbranch_execz .LBB263_214
.LBB263_227:
	s_and_b64 vcc, exec, s[0:1]
	s_cbranch_vccnz .LBB263_229
; %bb.228:
	v_lshl_add_u64 v[28:29], v[36:37], 1, v[26:27]
	global_load_ushort v28, v[28:29], off
	s_waitcnt vmcnt(0)
	v_mul_f16_e32 v28, s33, v28
	v_cvt_f32_f16_e32 v28, v28
	s_branch .LBB263_230
.LBB263_229:
	v_mov_b32_e32 v28, 0
.LBB263_230:
	s_waitcnt lgkmcnt(1)
	v_pk_add_f16 v29, v12, v20
	v_max_f16_e32 v30, v81, v81
	v_pk_add_f16 v48, v13, v21
	v_min_f16_e32 v30, v30, v29
	v_lshrrev_b32_e32 v31, 16, v81
	v_lshrrev_b32_e32 v29, 16, v29
	;; [unrolled: 1-line block ×3, first 2 shown]
	v_min3_f16 v29, v31, v29, v49
	v_min3_f16 v29, v30, v48, v29
	v_cvt_f32_f16_e32 v29, v29
	v_max_f32_e32 v28, v28, v28
	v_min_f32_e32 v28, v28, v29
	v_cvt_f16_f32_e32 v30, v28
	v_lshl_add_u64 v[28:29], v[36:37], 1, v[24:25]
	global_store_short v[28:29], v30, off
	s_or_b64 exec, exec, s[26:27]
	s_and_b64 s[30:31], s[8:9], s[18:19]
	s_and_saveexec_b64 s[26:27], s[30:31]
	s_cbranch_execz .LBB263_215
.LBB263_231:
	s_and_b64 vcc, exec, s[0:1]
	s_cbranch_vccnz .LBB263_233
; %bb.232:
	v_lshl_add_u64 v[28:29], v[38:39], 1, v[26:27]
	global_load_ushort v28, v[28:29], off
	s_waitcnt vmcnt(0)
	v_mul_f16_e32 v28, s33, v28
	v_cvt_f32_f16_e32 v28, v28
	s_branch .LBB263_234
.LBB263_233:
	v_mov_b32_e32 v28, 0
.LBB263_234:
	s_waitcnt lgkmcnt(1)
	v_pk_add_f16 v29, v14, v20
	v_max_f16_e32 v30, v80, v80
	v_pk_add_f16 v48, v15, v21
	v_min_f16_e32 v30, v30, v29
	v_lshrrev_b32_e32 v31, 16, v80
	v_lshrrev_b32_e32 v29, 16, v29
	;; [unrolled: 1-line block ×3, first 2 shown]
	v_min3_f16 v29, v31, v29, v49
	v_min3_f16 v29, v30, v48, v29
	v_cvt_f32_f16_e32 v29, v29
	v_max_f32_e32 v28, v28, v28
	v_min_f32_e32 v28, v28, v29
	v_cvt_f16_f32_e32 v30, v28
	v_lshl_add_u64 v[28:29], v[38:39], 1, v[24:25]
	global_store_short v[28:29], v30, off
	s_or_b64 exec, exec, s[26:27]
	s_and_b64 s[30:31], s[10:11], s[18:19]
	s_and_saveexec_b64 s[26:27], s[30:31]
	s_cbranch_execz .LBB263_216
.LBB263_235:
	s_and_b64 vcc, exec, s[0:1]
	s_cbranch_vccnz .LBB263_237
; %bb.236:
	v_lshl_add_u64 v[28:29], v[40:41], 1, v[26:27]
	global_load_ushort v28, v[28:29], off
	s_waitcnt vmcnt(0)
	v_mul_f16_e32 v28, s33, v28
	v_cvt_f32_f16_e32 v28, v28
	s_branch .LBB263_238
.LBB263_237:
	v_mov_b32_e32 v28, 0
.LBB263_238:
	s_waitcnt lgkmcnt(1)
	v_pk_add_f16 v29, v8, v20
	v_max_f16_e32 v30, v79, v79
	v_pk_add_f16 v48, v9, v21
	v_min_f16_e32 v30, v30, v29
	v_lshrrev_b32_e32 v31, 16, v79
	v_lshrrev_b32_e32 v29, 16, v29
	v_lshrrev_b32_e32 v49, 16, v48
	v_min3_f16 v29, v31, v29, v49
	v_min3_f16 v29, v30, v48, v29
	v_cvt_f32_f16_e32 v29, v29
	v_max_f32_e32 v28, v28, v28
	v_min_f32_e32 v28, v28, v29
	v_cvt_f16_f32_e32 v30, v28
	v_lshl_add_u64 v[28:29], v[40:41], 1, v[24:25]
	global_store_short v[28:29], v30, off
	s_or_b64 exec, exec, s[26:27]
	s_and_b64 s[30:31], s[12:13], s[18:19]
	s_and_saveexec_b64 s[26:27], s[30:31]
	s_cbranch_execz .LBB263_217
.LBB263_239:
	s_and_b64 vcc, exec, s[0:1]
	s_cbranch_vccnz .LBB263_241
; %bb.240:
	v_lshl_add_u64 v[28:29], v[42:43], 1, v[26:27]
	global_load_ushort v28, v[28:29], off
	s_waitcnt vmcnt(0)
	v_mul_f16_e32 v28, s33, v28
	v_cvt_f32_f16_e32 v28, v28
	s_branch .LBB263_242
.LBB263_241:
	v_mov_b32_e32 v28, 0
.LBB263_242:
	s_waitcnt lgkmcnt(1)
	v_pk_add_f16 v29, v10, v20
	v_max_f16_e32 v30, v78, v78
	v_pk_add_f16 v48, v11, v21
	v_min_f16_e32 v30, v30, v29
	v_lshrrev_b32_e32 v31, 16, v78
	v_lshrrev_b32_e32 v29, 16, v29
	;; [unrolled: 1-line block ×3, first 2 shown]
	v_min3_f16 v29, v31, v29, v49
	v_min3_f16 v29, v30, v48, v29
	v_cvt_f32_f16_e32 v29, v29
	v_max_f32_e32 v28, v28, v28
	v_min_f32_e32 v28, v28, v29
	v_cvt_f16_f32_e32 v30, v28
	v_lshl_add_u64 v[28:29], v[42:43], 1, v[24:25]
	global_store_short v[28:29], v30, off
	s_or_b64 exec, exec, s[26:27]
	s_and_b64 s[30:31], s[14:15], s[18:19]
	s_and_saveexec_b64 s[26:27], s[30:31]
	s_cbranch_execz .LBB263_218
.LBB263_243:
	s_and_b64 vcc, exec, s[0:1]
	s_cbranch_vccnz .LBB263_245
; %bb.244:
	v_lshl_add_u64 v[28:29], v[44:45], 1, v[26:27]
	global_load_ushort v28, v[28:29], off
	s_waitcnt vmcnt(0)
	v_mul_f16_e32 v28, s33, v28
	v_cvt_f32_f16_e32 v28, v28
	s_branch .LBB263_246
.LBB263_245:
	v_mov_b32_e32 v28, 0
.LBB263_246:
	s_waitcnt lgkmcnt(1)
	v_pk_add_f16 v29, v0, v20
	v_max_f16_e32 v30, v77, v77
	v_pk_add_f16 v48, v1, v21
	v_min_f16_e32 v30, v30, v29
	v_lshrrev_b32_e32 v31, 16, v77
	v_lshrrev_b32_e32 v29, 16, v29
	;; [unrolled: 1-line block ×3, first 2 shown]
	v_min3_f16 v29, v31, v29, v49
	v_min3_f16 v29, v30, v48, v29
	v_cvt_f32_f16_e32 v29, v29
	v_max_f32_e32 v28, v28, v28
	v_min_f32_e32 v28, v28, v29
	v_cvt_f16_f32_e32 v30, v28
	v_lshl_add_u64 v[28:29], v[44:45], 1, v[24:25]
	global_store_short v[28:29], v30, off
	s_or_b64 exec, exec, s[26:27]
	s_and_b64 s[26:27], s[16:17], s[18:19]
	s_and_saveexec_b64 s[18:19], s[26:27]
	s_cbranch_execz .LBB263_251
.LBB263_247:
	s_and_b64 vcc, exec, s[0:1]
	s_cbranch_vccnz .LBB263_249
; %bb.248:
	v_lshl_add_u64 v[26:27], v[46:47], 1, v[26:27]
	global_load_ushort v26, v[26:27], off
	s_waitcnt vmcnt(0)
	v_mul_f16_e32 v26, s33, v26
	v_cvt_f32_f16_e32 v26, v26
	s_branch .LBB263_250
.LBB263_249:
	v_mov_b32_e32 v26, 0
.LBB263_250:
	s_waitcnt lgkmcnt(1)
	v_pk_add_f16 v20, v2, v20
	v_max_f16_e32 v27, v76, v76
	v_pk_add_f16 v21, v3, v21
	v_min_f16_e32 v27, v27, v20
	v_lshrrev_b32_e32 v28, 16, v76
	v_lshrrev_b32_e32 v20, 16, v20
	;; [unrolled: 1-line block ×3, first 2 shown]
	v_min3_f16 v20, v28, v20, v29
	v_min3_f16 v20, v27, v21, v20
	v_cvt_f32_f16_e32 v20, v20
	v_max_f32_e32 v21, v26, v26
	v_min_f32_e32 v20, v21, v20
	v_cvt_f16_f32_e32 v26, v20
	v_lshl_add_u64 v[20:21], v[46:47], 1, v[24:25]
	global_store_short v[20:21], v26, off
.LBB263_251:
	s_or_b64 exec, exec, s[18:19]
	v_add_u32_e32 v26, 40, v101
	s_waitcnt lgkmcnt(1)
	v_mad_i64_i32 v[20:21], s[26:27], v26, s29, 0
	v_cmp_gt_i32_e64 s[18:19], s21, v26
	v_lshl_add_u64 v[24:25], v[20:21], 1, s[24:25]
	v_mad_i64_i32 v[20:21], s[26:27], v26, s28, 0
	v_lshl_add_u64 v[20:21], v[20:21], 1, s[22:23]
	s_and_b64 s[30:31], s[2:3], s[18:19]
	s_and_saveexec_b64 s[26:27], s[30:31]
	s_cbranch_execnz .LBB263_259
; %bb.252:
	s_or_b64 exec, exec, s[26:27]
	s_and_b64 s[30:31], s[4:5], s[18:19]
	s_and_saveexec_b64 s[26:27], s[30:31]
	s_cbranch_execnz .LBB263_263
.LBB263_253:
	s_or_b64 exec, exec, s[26:27]
	s_and_b64 s[30:31], s[6:7], s[18:19]
	s_and_saveexec_b64 s[26:27], s[30:31]
	s_cbranch_execnz .LBB263_267
.LBB263_254:
	s_or_b64 exec, exec, s[26:27]
	s_and_b64 s[30:31], s[8:9], s[18:19]
	s_and_saveexec_b64 s[26:27], s[30:31]
	s_cbranch_execnz .LBB263_271
.LBB263_255:
	s_or_b64 exec, exec, s[26:27]
	s_and_b64 s[30:31], s[10:11], s[18:19]
	s_and_saveexec_b64 s[26:27], s[30:31]
	s_cbranch_execnz .LBB263_275
.LBB263_256:
	s_or_b64 exec, exec, s[26:27]
	s_and_b64 s[30:31], s[12:13], s[18:19]
	s_and_saveexec_b64 s[26:27], s[30:31]
	s_cbranch_execnz .LBB263_279
.LBB263_257:
	s_or_b64 exec, exec, s[26:27]
	s_and_b64 s[30:31], s[14:15], s[18:19]
	s_and_saveexec_b64 s[26:27], s[30:31]
	s_cbranch_execnz .LBB263_283
.LBB263_258:
	s_or_b64 exec, exec, s[26:27]
	s_and_b64 s[26:27], s[16:17], s[18:19]
	s_and_saveexec_b64 s[18:19], s[26:27]
	s_cbranch_execnz .LBB263_287
	s_branch .LBB263_291
.LBB263_259:
	s_and_b64 vcc, exec, s[0:1]
	s_cbranch_vccnz .LBB263_261
; %bb.260:
	v_lshl_add_u64 v[26:27], v[32:33], 1, v[24:25]
	global_load_ushort v26, v[26:27], off
	s_waitcnt vmcnt(0)
	v_mul_f16_e32 v26, s33, v26
	v_cvt_f32_f16_e32 v26, v26
	s_branch .LBB263_262
.LBB263_261:
	v_mov_b32_e32 v26, 0
.LBB263_262:
	v_pk_add_f16 v27, v16, v22
	v_max_f16_e32 v28, v75, v75
	v_pk_add_f16 v30, v17, v23
	v_min_f16_e32 v28, v28, v27
	v_lshrrev_b32_e32 v29, 16, v75
	v_lshrrev_b32_e32 v27, 16, v27
	;; [unrolled: 1-line block ×3, first 2 shown]
	v_min3_f16 v27, v29, v27, v31
	v_min3_f16 v27, v28, v30, v27
	v_cvt_f32_f16_e32 v27, v27
	v_max_f32_e32 v26, v26, v26
	v_min_f32_e32 v26, v26, v27
	v_cvt_f16_f32_e32 v28, v26
	v_lshl_add_u64 v[26:27], v[32:33], 1, v[20:21]
	global_store_short v[26:27], v28, off
	s_or_b64 exec, exec, s[26:27]
	s_and_b64 s[30:31], s[4:5], s[18:19]
	s_and_saveexec_b64 s[26:27], s[30:31]
	s_cbranch_execz .LBB263_253
.LBB263_263:
	s_and_b64 vcc, exec, s[0:1]
	s_cbranch_vccnz .LBB263_265
; %bb.264:
	v_lshl_add_u64 v[26:27], v[34:35], 1, v[24:25]
	global_load_ushort v26, v[26:27], off
	s_waitcnt vmcnt(0)
	v_mul_f16_e32 v26, s33, v26
	v_cvt_f32_f16_e32 v26, v26
	s_branch .LBB263_266
.LBB263_265:
	v_mov_b32_e32 v26, 0
.LBB263_266:
	v_pk_add_f16 v27, v18, v22
	v_max_f16_e32 v28, v74, v74
	v_pk_add_f16 v30, v19, v23
	v_min_f16_e32 v28, v28, v27
	v_lshrrev_b32_e32 v29, 16, v74
	v_lshrrev_b32_e32 v27, 16, v27
	;; [unrolled: 1-line block ×3, first 2 shown]
	v_min3_f16 v27, v29, v27, v31
	v_min3_f16 v27, v28, v30, v27
	v_cvt_f32_f16_e32 v27, v27
	v_max_f32_e32 v26, v26, v26
	v_min_f32_e32 v26, v26, v27
	v_cvt_f16_f32_e32 v28, v26
	v_lshl_add_u64 v[26:27], v[34:35], 1, v[20:21]
	global_store_short v[26:27], v28, off
	s_or_b64 exec, exec, s[26:27]
	s_and_b64 s[30:31], s[6:7], s[18:19]
	s_and_saveexec_b64 s[26:27], s[30:31]
	s_cbranch_execz .LBB263_254
.LBB263_267:
	s_and_b64 vcc, exec, s[0:1]
	s_cbranch_vccnz .LBB263_269
; %bb.268:
	v_lshl_add_u64 v[26:27], v[36:37], 1, v[24:25]
	global_load_ushort v26, v[26:27], off
	s_waitcnt vmcnt(0)
	v_mul_f16_e32 v26, s33, v26
	v_cvt_f32_f16_e32 v26, v26
	s_branch .LBB263_270
.LBB263_269:
	v_mov_b32_e32 v26, 0
.LBB263_270:
	v_pk_add_f16 v27, v12, v22
	v_max_f16_e32 v28, v73, v73
	v_pk_add_f16 v30, v13, v23
	v_min_f16_e32 v28, v28, v27
	v_lshrrev_b32_e32 v29, 16, v73
	v_lshrrev_b32_e32 v27, 16, v27
	;; [unrolled: 1-line block ×3, first 2 shown]
	v_min3_f16 v27, v29, v27, v31
	v_min3_f16 v27, v28, v30, v27
	v_cvt_f32_f16_e32 v27, v27
	v_max_f32_e32 v26, v26, v26
	v_min_f32_e32 v26, v26, v27
	v_cvt_f16_f32_e32 v28, v26
	v_lshl_add_u64 v[26:27], v[36:37], 1, v[20:21]
	global_store_short v[26:27], v28, off
	s_or_b64 exec, exec, s[26:27]
	s_and_b64 s[30:31], s[8:9], s[18:19]
	s_and_saveexec_b64 s[26:27], s[30:31]
	s_cbranch_execz .LBB263_255
.LBB263_271:
	s_and_b64 vcc, exec, s[0:1]
	s_cbranch_vccnz .LBB263_273
; %bb.272:
	v_lshl_add_u64 v[26:27], v[38:39], 1, v[24:25]
	global_load_ushort v26, v[26:27], off
	s_waitcnt vmcnt(0)
	v_mul_f16_e32 v26, s33, v26
	v_cvt_f32_f16_e32 v26, v26
	s_branch .LBB263_274
.LBB263_273:
	v_mov_b32_e32 v26, 0
.LBB263_274:
	v_pk_add_f16 v27, v14, v22
	v_max_f16_e32 v28, v72, v72
	v_pk_add_f16 v30, v15, v23
	v_min_f16_e32 v28, v28, v27
	v_lshrrev_b32_e32 v29, 16, v72
	v_lshrrev_b32_e32 v27, 16, v27
	;; [unrolled: 1-line block ×3, first 2 shown]
	v_min3_f16 v27, v29, v27, v31
	v_min3_f16 v27, v28, v30, v27
	v_cvt_f32_f16_e32 v27, v27
	v_max_f32_e32 v26, v26, v26
	v_min_f32_e32 v26, v26, v27
	v_cvt_f16_f32_e32 v28, v26
	v_lshl_add_u64 v[26:27], v[38:39], 1, v[20:21]
	global_store_short v[26:27], v28, off
	s_or_b64 exec, exec, s[26:27]
	s_and_b64 s[30:31], s[10:11], s[18:19]
	s_and_saveexec_b64 s[26:27], s[30:31]
	s_cbranch_execz .LBB263_256
.LBB263_275:
	s_and_b64 vcc, exec, s[0:1]
	s_cbranch_vccnz .LBB263_277
; %bb.276:
	v_lshl_add_u64 v[26:27], v[40:41], 1, v[24:25]
	global_load_ushort v26, v[26:27], off
	s_waitcnt vmcnt(0)
	v_mul_f16_e32 v26, s33, v26
	v_cvt_f32_f16_e32 v26, v26
	s_branch .LBB263_278
.LBB263_277:
	v_mov_b32_e32 v26, 0
.LBB263_278:
	v_pk_add_f16 v27, v8, v22
	v_max_f16_e32 v28, v71, v71
	v_pk_add_f16 v30, v9, v23
	v_min_f16_e32 v28, v28, v27
	v_lshrrev_b32_e32 v29, 16, v71
	v_lshrrev_b32_e32 v27, 16, v27
	;; [unrolled: 1-line block ×3, first 2 shown]
	v_min3_f16 v27, v29, v27, v31
	v_min3_f16 v27, v28, v30, v27
	v_cvt_f32_f16_e32 v27, v27
	v_max_f32_e32 v26, v26, v26
	v_min_f32_e32 v26, v26, v27
	v_cvt_f16_f32_e32 v28, v26
	v_lshl_add_u64 v[26:27], v[40:41], 1, v[20:21]
	global_store_short v[26:27], v28, off
	s_or_b64 exec, exec, s[26:27]
	s_and_b64 s[30:31], s[12:13], s[18:19]
	s_and_saveexec_b64 s[26:27], s[30:31]
	s_cbranch_execz .LBB263_257
.LBB263_279:
	s_and_b64 vcc, exec, s[0:1]
	s_cbranch_vccnz .LBB263_281
; %bb.280:
	v_lshl_add_u64 v[26:27], v[42:43], 1, v[24:25]
	global_load_ushort v26, v[26:27], off
	s_waitcnt vmcnt(0)
	v_mul_f16_e32 v26, s33, v26
	v_cvt_f32_f16_e32 v26, v26
	s_branch .LBB263_282
.LBB263_281:
	v_mov_b32_e32 v26, 0
.LBB263_282:
	v_pk_add_f16 v27, v10, v22
	v_max_f16_e32 v28, v70, v70
	v_pk_add_f16 v30, v11, v23
	v_min_f16_e32 v28, v28, v27
	v_lshrrev_b32_e32 v29, 16, v70
	v_lshrrev_b32_e32 v27, 16, v27
	;; [unrolled: 1-line block ×3, first 2 shown]
	v_min3_f16 v27, v29, v27, v31
	v_min3_f16 v27, v28, v30, v27
	v_cvt_f32_f16_e32 v27, v27
	v_max_f32_e32 v26, v26, v26
	v_min_f32_e32 v26, v26, v27
	v_cvt_f16_f32_e32 v28, v26
	v_lshl_add_u64 v[26:27], v[42:43], 1, v[20:21]
	global_store_short v[26:27], v28, off
	s_or_b64 exec, exec, s[26:27]
	s_and_b64 s[30:31], s[14:15], s[18:19]
	s_and_saveexec_b64 s[26:27], s[30:31]
	s_cbranch_execz .LBB263_258
.LBB263_283:
	s_and_b64 vcc, exec, s[0:1]
	s_cbranch_vccnz .LBB263_285
; %bb.284:
	v_lshl_add_u64 v[26:27], v[44:45], 1, v[24:25]
	global_load_ushort v26, v[26:27], off
	s_waitcnt vmcnt(0)
	v_mul_f16_e32 v26, s33, v26
	v_cvt_f32_f16_e32 v26, v26
	s_branch .LBB263_286
.LBB263_285:
	v_mov_b32_e32 v26, 0
.LBB263_286:
	v_pk_add_f16 v27, v0, v22
	v_max_f16_e32 v28, v69, v69
	v_pk_add_f16 v30, v1, v23
	v_min_f16_e32 v28, v28, v27
	v_lshrrev_b32_e32 v29, 16, v69
	v_lshrrev_b32_e32 v27, 16, v27
	;; [unrolled: 1-line block ×3, first 2 shown]
	v_min3_f16 v27, v29, v27, v31
	v_min3_f16 v27, v28, v30, v27
	v_cvt_f32_f16_e32 v27, v27
	v_max_f32_e32 v26, v26, v26
	v_min_f32_e32 v26, v26, v27
	v_cvt_f16_f32_e32 v28, v26
	v_lshl_add_u64 v[26:27], v[44:45], 1, v[20:21]
	global_store_short v[26:27], v28, off
	s_or_b64 exec, exec, s[26:27]
	s_and_b64 s[26:27], s[16:17], s[18:19]
	s_and_saveexec_b64 s[18:19], s[26:27]
	s_cbranch_execz .LBB263_291
.LBB263_287:
	s_and_b64 vcc, exec, s[0:1]
	s_cbranch_vccnz .LBB263_289
; %bb.288:
	v_lshl_add_u64 v[24:25], v[46:47], 1, v[24:25]
	global_load_ushort v24, v[24:25], off
	s_waitcnt vmcnt(0)
	v_mul_f16_e32 v24, s33, v24
	v_cvt_f32_f16_e32 v24, v24
	s_branch .LBB263_290
.LBB263_289:
	v_mov_b32_e32 v24, 0
.LBB263_290:
	v_pk_add_f16 v22, v2, v22
	v_max_f16_e32 v25, v68, v68
	v_pk_add_f16 v23, v3, v23
	v_min_f16_e32 v25, v25, v22
	v_lshrrev_b32_e32 v26, 16, v68
	v_lshrrev_b32_e32 v22, 16, v22
	;; [unrolled: 1-line block ×3, first 2 shown]
	v_min3_f16 v22, v26, v22, v27
	v_min3_f16 v22, v25, v23, v22
	v_cvt_f32_f16_e32 v22, v22
	v_max_f32_e32 v23, v24, v24
	v_lshl_add_u64 v[20:21], v[46:47], 1, v[20:21]
	v_min_f32_e32 v22, v23, v22
	v_cvt_f16_f32_e32 v22, v22
	global_store_short v[20:21], v22, off
.LBB263_291:
	s_or_b64 exec, exec, s[18:19]
	v_add_u32_e32 v24, 48, v101
	v_mad_i64_i32 v[20:21], s[26:27], v24, s29, 0
	v_cmp_gt_i32_e64 s[18:19], s21, v24
	v_lshl_add_u64 v[22:23], v[20:21], 1, s[24:25]
	v_mad_i64_i32 v[20:21], s[26:27], v24, s28, 0
	v_lshl_add_u64 v[20:21], v[20:21], 1, s[22:23]
	s_and_b64 s[30:31], s[2:3], s[18:19]
	s_and_saveexec_b64 s[26:27], s[30:31]
	s_cbranch_execnz .LBB263_299
; %bb.292:
	s_or_b64 exec, exec, s[26:27]
	s_and_b64 s[30:31], s[4:5], s[18:19]
	s_and_saveexec_b64 s[26:27], s[30:31]
	s_cbranch_execnz .LBB263_303
.LBB263_293:
	s_or_b64 exec, exec, s[26:27]
	s_and_b64 s[30:31], s[6:7], s[18:19]
	s_and_saveexec_b64 s[26:27], s[30:31]
	s_cbranch_execnz .LBB263_307
.LBB263_294:
	s_or_b64 exec, exec, s[26:27]
	s_and_b64 s[30:31], s[8:9], s[18:19]
	s_and_saveexec_b64 s[26:27], s[30:31]
	s_cbranch_execnz .LBB263_311
.LBB263_295:
	s_or_b64 exec, exec, s[26:27]
	s_and_b64 s[30:31], s[10:11], s[18:19]
	s_and_saveexec_b64 s[26:27], s[30:31]
	s_cbranch_execnz .LBB263_315
.LBB263_296:
	s_or_b64 exec, exec, s[26:27]
	s_and_b64 s[30:31], s[12:13], s[18:19]
	s_and_saveexec_b64 s[26:27], s[30:31]
	s_cbranch_execnz .LBB263_319
.LBB263_297:
	s_or_b64 exec, exec, s[26:27]
	s_and_b64 s[30:31], s[14:15], s[18:19]
	s_and_saveexec_b64 s[26:27], s[30:31]
	s_cbranch_execnz .LBB263_323
.LBB263_298:
	s_or_b64 exec, exec, s[26:27]
	s_and_b64 s[26:27], s[16:17], s[18:19]
	s_and_saveexec_b64 s[18:19], s[26:27]
	s_cbranch_execnz .LBB263_327
	s_branch .LBB263_331
.LBB263_299:
	s_and_b64 vcc, exec, s[0:1]
	s_cbranch_vccnz .LBB263_301
; %bb.300:
	v_lshl_add_u64 v[24:25], v[32:33], 1, v[22:23]
	global_load_ushort v24, v[24:25], off
	s_waitcnt vmcnt(0)
	v_mul_f16_e32 v24, s33, v24
	v_cvt_f32_f16_e32 v24, v24
	s_branch .LBB263_302
.LBB263_301:
	v_mov_b32_e32 v24, 0
.LBB263_302:
	s_waitcnt lgkmcnt(0)
	v_pk_add_f16 v25, v16, v4
	v_max_f16_e32 v26, v67, v67
	v_pk_add_f16 v28, v17, v5
	v_min_f16_e32 v26, v26, v25
	v_lshrrev_b32_e32 v27, 16, v67
	v_lshrrev_b32_e32 v25, 16, v25
	;; [unrolled: 1-line block ×3, first 2 shown]
	v_min3_f16 v25, v27, v25, v29
	v_min3_f16 v25, v26, v28, v25
	v_cvt_f32_f16_e32 v25, v25
	v_max_f32_e32 v24, v24, v24
	v_min_f32_e32 v24, v24, v25
	v_cvt_f16_f32_e32 v26, v24
	v_lshl_add_u64 v[24:25], v[32:33], 1, v[20:21]
	global_store_short v[24:25], v26, off
	s_or_b64 exec, exec, s[26:27]
	s_and_b64 s[30:31], s[4:5], s[18:19]
	s_and_saveexec_b64 s[26:27], s[30:31]
	s_cbranch_execz .LBB263_293
.LBB263_303:
	s_and_b64 vcc, exec, s[0:1]
	s_cbranch_vccnz .LBB263_305
; %bb.304:
	v_lshl_add_u64 v[24:25], v[34:35], 1, v[22:23]
	global_load_ushort v24, v[24:25], off
	s_waitcnt vmcnt(0)
	v_mul_f16_e32 v24, s33, v24
	v_cvt_f32_f16_e32 v24, v24
	s_branch .LBB263_306
.LBB263_305:
	v_mov_b32_e32 v24, 0
.LBB263_306:
	s_waitcnt lgkmcnt(0)
	v_pk_add_f16 v25, v18, v4
	v_max_f16_e32 v26, v66, v66
	v_pk_add_f16 v28, v19, v5
	v_min_f16_e32 v26, v26, v25
	v_lshrrev_b32_e32 v27, 16, v66
	v_lshrrev_b32_e32 v25, 16, v25
	;; [unrolled: 1-line block ×3, first 2 shown]
	v_min3_f16 v25, v27, v25, v29
	v_min3_f16 v25, v26, v28, v25
	v_cvt_f32_f16_e32 v25, v25
	v_max_f32_e32 v24, v24, v24
	v_min_f32_e32 v24, v24, v25
	v_cvt_f16_f32_e32 v26, v24
	v_lshl_add_u64 v[24:25], v[34:35], 1, v[20:21]
	global_store_short v[24:25], v26, off
	s_or_b64 exec, exec, s[26:27]
	s_and_b64 s[30:31], s[6:7], s[18:19]
	s_and_saveexec_b64 s[26:27], s[30:31]
	s_cbranch_execz .LBB263_294
.LBB263_307:
	s_and_b64 vcc, exec, s[0:1]
	s_cbranch_vccnz .LBB263_309
; %bb.308:
	v_lshl_add_u64 v[24:25], v[36:37], 1, v[22:23]
	global_load_ushort v24, v[24:25], off
	s_waitcnt vmcnt(0)
	v_mul_f16_e32 v24, s33, v24
	v_cvt_f32_f16_e32 v24, v24
	s_branch .LBB263_310
.LBB263_309:
	v_mov_b32_e32 v24, 0
.LBB263_310:
	s_waitcnt lgkmcnt(0)
	v_pk_add_f16 v25, v12, v4
	v_max_f16_e32 v26, v65, v65
	v_pk_add_f16 v28, v13, v5
	v_min_f16_e32 v26, v26, v25
	v_lshrrev_b32_e32 v27, 16, v65
	v_lshrrev_b32_e32 v25, 16, v25
	;; [unrolled: 1-line block ×3, first 2 shown]
	v_min3_f16 v25, v27, v25, v29
	v_min3_f16 v25, v26, v28, v25
	v_cvt_f32_f16_e32 v25, v25
	v_max_f32_e32 v24, v24, v24
	v_min_f32_e32 v24, v24, v25
	v_cvt_f16_f32_e32 v26, v24
	v_lshl_add_u64 v[24:25], v[36:37], 1, v[20:21]
	global_store_short v[24:25], v26, off
	s_or_b64 exec, exec, s[26:27]
	s_and_b64 s[30:31], s[8:9], s[18:19]
	s_and_saveexec_b64 s[26:27], s[30:31]
	s_cbranch_execz .LBB263_295
.LBB263_311:
	s_and_b64 vcc, exec, s[0:1]
	s_cbranch_vccnz .LBB263_313
; %bb.312:
	v_lshl_add_u64 v[24:25], v[38:39], 1, v[22:23]
	global_load_ushort v24, v[24:25], off
	s_waitcnt vmcnt(0)
	v_mul_f16_e32 v24, s33, v24
	v_cvt_f32_f16_e32 v24, v24
	s_branch .LBB263_314
.LBB263_313:
	v_mov_b32_e32 v24, 0
.LBB263_314:
	s_waitcnt lgkmcnt(0)
	v_pk_add_f16 v25, v14, v4
	v_max_f16_e32 v26, v64, v64
	v_pk_add_f16 v28, v15, v5
	v_min_f16_e32 v26, v26, v25
	v_lshrrev_b32_e32 v27, 16, v64
	v_lshrrev_b32_e32 v25, 16, v25
	;; [unrolled: 1-line block ×3, first 2 shown]
	v_min3_f16 v25, v27, v25, v29
	v_min3_f16 v25, v26, v28, v25
	v_cvt_f32_f16_e32 v25, v25
	v_max_f32_e32 v24, v24, v24
	v_min_f32_e32 v24, v24, v25
	v_cvt_f16_f32_e32 v26, v24
	v_lshl_add_u64 v[24:25], v[38:39], 1, v[20:21]
	global_store_short v[24:25], v26, off
	s_or_b64 exec, exec, s[26:27]
	s_and_b64 s[30:31], s[10:11], s[18:19]
	s_and_saveexec_b64 s[26:27], s[30:31]
	s_cbranch_execz .LBB263_296
.LBB263_315:
	s_and_b64 vcc, exec, s[0:1]
	s_cbranch_vccnz .LBB263_317
; %bb.316:
	v_lshl_add_u64 v[24:25], v[40:41], 1, v[22:23]
	global_load_ushort v24, v[24:25], off
	s_waitcnt vmcnt(0)
	v_mul_f16_e32 v24, s33, v24
	v_cvt_f32_f16_e32 v24, v24
	s_branch .LBB263_318
.LBB263_317:
	v_mov_b32_e32 v24, 0
.LBB263_318:
	s_waitcnt lgkmcnt(0)
	v_pk_add_f16 v25, v8, v4
	v_max_f16_e32 v26, v63, v63
	v_pk_add_f16 v28, v9, v5
	v_min_f16_e32 v26, v26, v25
	v_lshrrev_b32_e32 v27, 16, v63
	v_lshrrev_b32_e32 v25, 16, v25
	;; [unrolled: 1-line block ×3, first 2 shown]
	v_min3_f16 v25, v27, v25, v29
	v_min3_f16 v25, v26, v28, v25
	v_cvt_f32_f16_e32 v25, v25
	v_max_f32_e32 v24, v24, v24
	v_min_f32_e32 v24, v24, v25
	v_cvt_f16_f32_e32 v26, v24
	v_lshl_add_u64 v[24:25], v[40:41], 1, v[20:21]
	global_store_short v[24:25], v26, off
	s_or_b64 exec, exec, s[26:27]
	s_and_b64 s[30:31], s[12:13], s[18:19]
	s_and_saveexec_b64 s[26:27], s[30:31]
	s_cbranch_execz .LBB263_297
.LBB263_319:
	s_and_b64 vcc, exec, s[0:1]
	s_cbranch_vccnz .LBB263_321
; %bb.320:
	v_lshl_add_u64 v[24:25], v[42:43], 1, v[22:23]
	global_load_ushort v24, v[24:25], off
	s_waitcnt vmcnt(0)
	v_mul_f16_e32 v24, s33, v24
	v_cvt_f32_f16_e32 v24, v24
	s_branch .LBB263_322
.LBB263_321:
	v_mov_b32_e32 v24, 0
.LBB263_322:
	s_waitcnt lgkmcnt(0)
	v_pk_add_f16 v25, v10, v4
	v_max_f16_e32 v26, v62, v62
	v_pk_add_f16 v28, v11, v5
	v_min_f16_e32 v26, v26, v25
	v_lshrrev_b32_e32 v27, 16, v62
	v_lshrrev_b32_e32 v25, 16, v25
	;; [unrolled: 1-line block ×3, first 2 shown]
	v_min3_f16 v25, v27, v25, v29
	v_min3_f16 v25, v26, v28, v25
	v_cvt_f32_f16_e32 v25, v25
	v_max_f32_e32 v24, v24, v24
	v_min_f32_e32 v24, v24, v25
	v_cvt_f16_f32_e32 v26, v24
	v_lshl_add_u64 v[24:25], v[42:43], 1, v[20:21]
	global_store_short v[24:25], v26, off
	s_or_b64 exec, exec, s[26:27]
	s_and_b64 s[30:31], s[14:15], s[18:19]
	s_and_saveexec_b64 s[26:27], s[30:31]
	s_cbranch_execz .LBB263_298
.LBB263_323:
	s_and_b64 vcc, exec, s[0:1]
	s_cbranch_vccnz .LBB263_325
; %bb.324:
	v_lshl_add_u64 v[24:25], v[44:45], 1, v[22:23]
	global_load_ushort v24, v[24:25], off
	s_waitcnt vmcnt(0)
	v_mul_f16_e32 v24, s33, v24
	v_cvt_f32_f16_e32 v24, v24
	s_branch .LBB263_326
.LBB263_325:
	v_mov_b32_e32 v24, 0
.LBB263_326:
	s_waitcnt lgkmcnt(0)
	v_pk_add_f16 v25, v0, v4
	v_max_f16_e32 v26, v61, v61
	v_pk_add_f16 v28, v1, v5
	v_min_f16_e32 v26, v26, v25
	v_lshrrev_b32_e32 v27, 16, v61
	v_lshrrev_b32_e32 v25, 16, v25
	v_lshrrev_b32_e32 v29, 16, v28
	v_min3_f16 v25, v27, v25, v29
	v_min3_f16 v25, v26, v28, v25
	v_cvt_f32_f16_e32 v25, v25
	v_max_f32_e32 v24, v24, v24
	v_min_f32_e32 v24, v24, v25
	v_cvt_f16_f32_e32 v26, v24
	v_lshl_add_u64 v[24:25], v[44:45], 1, v[20:21]
	global_store_short v[24:25], v26, off
	s_or_b64 exec, exec, s[26:27]
	s_and_b64 s[26:27], s[16:17], s[18:19]
	s_and_saveexec_b64 s[18:19], s[26:27]
	s_cbranch_execz .LBB263_331
.LBB263_327:
	s_and_b64 vcc, exec, s[0:1]
	s_cbranch_vccnz .LBB263_329
; %bb.328:
	v_lshl_add_u64 v[22:23], v[46:47], 1, v[22:23]
	global_load_ushort v22, v[22:23], off
	s_waitcnt vmcnt(0)
	v_mul_f16_e32 v22, s33, v22
	v_cvt_f32_f16_e32 v22, v22
	s_branch .LBB263_330
.LBB263_329:
	v_mov_b32_e32 v22, 0
.LBB263_330:
	s_waitcnt lgkmcnt(0)
	v_pk_add_f16 v4, v2, v4
	v_max_f16_e32 v23, v60, v60
	v_pk_add_f16 v5, v3, v5
	v_min_f16_e32 v23, v23, v4
	v_lshrrev_b32_e32 v24, 16, v60
	v_lshrrev_b32_e32 v4, 16, v4
	v_lshrrev_b32_e32 v25, 16, v5
	v_min3_f16 v4, v24, v4, v25
	v_min3_f16 v4, v23, v5, v4
	v_cvt_f32_f16_e32 v4, v4
	v_max_f32_e32 v5, v22, v22
	v_min_f32_e32 v4, v5, v4
	v_cvt_f16_f32_e32 v22, v4
	v_lshl_add_u64 v[4:5], v[46:47], 1, v[20:21]
	global_store_short v[4:5], v22, off
.LBB263_331:
	s_or_b64 exec, exec, s[18:19]
	v_add_u32_e32 v22, 56, v101
	v_cmp_gt_i32_e64 s[18:19], s21, v22
	s_waitcnt lgkmcnt(0)
	v_mad_i64_i32 v[4:5], s[20:21], v22, s29, 0
	v_lshl_add_u64 v[20:21], v[4:5], 1, s[24:25]
	v_mad_i64_i32 v[4:5], s[20:21], v22, s28, 0
	v_lshl_add_u64 v[4:5], v[4:5], 1, s[22:23]
	s_and_b64 s[20:21], s[2:3], s[18:19]
	s_and_saveexec_b64 s[2:3], s[20:21]
	s_cbranch_execnz .LBB263_340
; %bb.332:
	s_or_b64 exec, exec, s[2:3]
	s_and_b64 s[4:5], s[4:5], s[18:19]
	s_and_saveexec_b64 s[2:3], s[4:5]
	s_cbranch_execnz .LBB263_344
.LBB263_333:
	s_or_b64 exec, exec, s[2:3]
	s_and_b64 s[4:5], s[6:7], s[18:19]
	s_and_saveexec_b64 s[2:3], s[4:5]
	s_cbranch_execnz .LBB263_348
.LBB263_334:
	s_or_b64 exec, exec, s[2:3]
	s_and_b64 s[4:5], s[8:9], s[18:19]
	s_and_saveexec_b64 s[2:3], s[4:5]
	s_cbranch_execnz .LBB263_352
.LBB263_335:
	s_or_b64 exec, exec, s[2:3]
	s_and_b64 s[4:5], s[10:11], s[18:19]
	s_and_saveexec_b64 s[2:3], s[4:5]
	s_cbranch_execnz .LBB263_356
.LBB263_336:
	s_or_b64 exec, exec, s[2:3]
	s_and_b64 s[4:5], s[12:13], s[18:19]
	s_and_saveexec_b64 s[2:3], s[4:5]
	s_cbranch_execnz .LBB263_360
.LBB263_337:
	s_or_b64 exec, exec, s[2:3]
	s_and_b64 s[4:5], s[14:15], s[18:19]
	s_and_saveexec_b64 s[2:3], s[4:5]
	s_cbranch_execnz .LBB263_364
.LBB263_338:
	s_or_b64 exec, exec, s[2:3]
	s_and_b64 s[2:3], s[16:17], s[18:19]
	s_and_saveexec_b64 s[4:5], s[2:3]
	s_cbranch_execnz .LBB263_368
.LBB263_339:
	s_endpgm
.LBB263_340:
	s_and_b64 vcc, exec, s[0:1]
	s_cbranch_vccnz .LBB263_342
; %bb.341:
	v_lshl_add_u64 v[22:23], v[32:33], 1, v[20:21]
	global_load_ushort v22, v[22:23], off
	s_waitcnt vmcnt(0)
	v_mul_f16_e32 v22, s33, v22
	v_cvt_f32_f16_e32 v22, v22
	s_branch .LBB263_343
.LBB263_342:
	v_mov_b32_e32 v22, 0
.LBB263_343:
	v_pk_add_f16 v16, v16, v6
	v_max_f16_e32 v23, v59, v59
	v_pk_add_f16 v17, v17, v7
	v_min_f16_e32 v23, v23, v16
	v_lshrrev_b32_e32 v24, 16, v59
	v_lshrrev_b32_e32 v16, 16, v16
	;; [unrolled: 1-line block ×3, first 2 shown]
	v_min3_f16 v16, v24, v16, v25
	v_min3_f16 v16, v23, v17, v16
	v_cvt_f32_f16_e32 v16, v16
	v_max_f32_e32 v17, v22, v22
	v_min_f32_e32 v16, v17, v16
	v_cvt_f16_f32_e32 v22, v16
	v_lshl_add_u64 v[16:17], v[32:33], 1, v[4:5]
	global_store_short v[16:17], v22, off
	s_or_b64 exec, exec, s[2:3]
	s_and_b64 s[4:5], s[4:5], s[18:19]
	s_and_saveexec_b64 s[2:3], s[4:5]
	s_cbranch_execz .LBB263_333
.LBB263_344:
	s_and_b64 vcc, exec, s[0:1]
	s_cbranch_vccnz .LBB263_346
; %bb.345:
	v_lshl_add_u64 v[16:17], v[34:35], 1, v[20:21]
	global_load_ushort v16, v[16:17], off
	s_waitcnt vmcnt(0)
	v_mul_f16_e32 v16, s33, v16
	v_cvt_f32_f16_e32 v16, v16
	s_branch .LBB263_347
.LBB263_346:
	v_mov_b32_e32 v16, 0
.LBB263_347:
	v_pk_add_f16 v17, v18, v6
	v_max_f16_e32 v18, v58, v58
	v_pk_add_f16 v19, v19, v7
	v_min_f16_e32 v18, v18, v17
	v_lshrrev_b32_e32 v22, 16, v58
	v_lshrrev_b32_e32 v17, 16, v17
	;; [unrolled: 1-line block ×3, first 2 shown]
	v_min3_f16 v17, v22, v17, v23
	v_min3_f16 v17, v18, v19, v17
	v_cvt_f32_f16_e32 v17, v17
	v_max_f32_e32 v16, v16, v16
	v_min_f32_e32 v16, v16, v17
	v_cvt_f16_f32_e32 v18, v16
	v_lshl_add_u64 v[16:17], v[34:35], 1, v[4:5]
	global_store_short v[16:17], v18, off
	s_or_b64 exec, exec, s[2:3]
	s_and_b64 s[4:5], s[6:7], s[18:19]
	s_and_saveexec_b64 s[2:3], s[4:5]
	s_cbranch_execz .LBB263_334
.LBB263_348:
	s_and_b64 vcc, exec, s[0:1]
	s_cbranch_vccnz .LBB263_350
; %bb.349:
	v_lshl_add_u64 v[16:17], v[36:37], 1, v[20:21]
	global_load_ushort v16, v[16:17], off
	s_waitcnt vmcnt(0)
	v_mul_f16_e32 v16, s33, v16
	v_cvt_f32_f16_e32 v16, v16
	s_branch .LBB263_351
.LBB263_350:
	v_mov_b32_e32 v16, 0
.LBB263_351:
	v_pk_add_f16 v12, v12, v6
	v_max_f16_e32 v17, v57, v57
	v_pk_add_f16 v13, v13, v7
	v_min_f16_e32 v17, v17, v12
	v_lshrrev_b32_e32 v18, 16, v57
	v_lshrrev_b32_e32 v12, 16, v12
	;; [unrolled: 1-line block ×3, first 2 shown]
	v_min3_f16 v12, v18, v12, v19
	v_min3_f16 v12, v17, v13, v12
	v_cvt_f32_f16_e32 v12, v12
	v_max_f32_e32 v13, v16, v16
	v_min_f32_e32 v12, v13, v12
	v_cvt_f16_f32_e32 v16, v12
	v_lshl_add_u64 v[12:13], v[36:37], 1, v[4:5]
	global_store_short v[12:13], v16, off
	s_or_b64 exec, exec, s[2:3]
	s_and_b64 s[4:5], s[8:9], s[18:19]
	s_and_saveexec_b64 s[2:3], s[4:5]
	s_cbranch_execz .LBB263_335
.LBB263_352:
	s_and_b64 vcc, exec, s[0:1]
	s_cbranch_vccnz .LBB263_354
; %bb.353:
	v_lshl_add_u64 v[12:13], v[38:39], 1, v[20:21]
	global_load_ushort v12, v[12:13], off
	s_waitcnt vmcnt(0)
	v_mul_f16_e32 v12, s33, v12
	v_cvt_f32_f16_e32 v12, v12
	s_branch .LBB263_355
.LBB263_354:
	v_mov_b32_e32 v12, 0
.LBB263_355:
	v_pk_add_f16 v13, v14, v6
	v_max_f16_e32 v14, v56, v56
	v_pk_add_f16 v15, v15, v7
	v_min_f16_e32 v14, v14, v13
	v_lshrrev_b32_e32 v16, 16, v56
	v_lshrrev_b32_e32 v13, 16, v13
	;; [unrolled: 1-line block ×3, first 2 shown]
	v_min3_f16 v13, v16, v13, v17
	v_min3_f16 v13, v14, v15, v13
	v_cvt_f32_f16_e32 v13, v13
	v_max_f32_e32 v12, v12, v12
	v_min_f32_e32 v12, v12, v13
	v_cvt_f16_f32_e32 v14, v12
	v_lshl_add_u64 v[12:13], v[38:39], 1, v[4:5]
	global_store_short v[12:13], v14, off
	s_or_b64 exec, exec, s[2:3]
	s_and_b64 s[4:5], s[10:11], s[18:19]
	s_and_saveexec_b64 s[2:3], s[4:5]
	s_cbranch_execz .LBB263_336
.LBB263_356:
	s_and_b64 vcc, exec, s[0:1]
	s_cbranch_vccnz .LBB263_358
; %bb.357:
	v_lshl_add_u64 v[12:13], v[40:41], 1, v[20:21]
	global_load_ushort v12, v[12:13], off
	s_waitcnt vmcnt(0)
	v_mul_f16_e32 v12, s33, v12
	v_cvt_f32_f16_e32 v12, v12
	s_branch .LBB263_359
.LBB263_358:
	v_mov_b32_e32 v12, 0
.LBB263_359:
	v_pk_add_f16 v8, v8, v6
	v_max_f16_e32 v13, v54, v54
	v_pk_add_f16 v9, v9, v7
	v_min_f16_e32 v13, v13, v8
	v_lshrrev_b32_e32 v14, 16, v54
	v_lshrrev_b32_e32 v8, 16, v8
	;; [unrolled: 1-line block ×3, first 2 shown]
	v_min3_f16 v8, v14, v8, v15
	v_min3_f16 v8, v13, v9, v8
	v_cvt_f32_f16_e32 v8, v8
	v_max_f32_e32 v9, v12, v12
	v_min_f32_e32 v8, v9, v8
	v_cvt_f16_f32_e32 v12, v8
	v_lshl_add_u64 v[8:9], v[40:41], 1, v[4:5]
	global_store_short v[8:9], v12, off
	s_or_b64 exec, exec, s[2:3]
	s_and_b64 s[4:5], s[12:13], s[18:19]
	s_and_saveexec_b64 s[2:3], s[4:5]
	s_cbranch_execz .LBB263_337
.LBB263_360:
	s_and_b64 vcc, exec, s[0:1]
	s_cbranch_vccnz .LBB263_362
; %bb.361:
	v_lshl_add_u64 v[8:9], v[42:43], 1, v[20:21]
	global_load_ushort v8, v[8:9], off
	s_waitcnt vmcnt(0)
	v_mul_f16_e32 v8, s33, v8
	v_cvt_f32_f16_e32 v8, v8
	s_branch .LBB263_363
.LBB263_362:
	v_mov_b32_e32 v8, 0
.LBB263_363:
	v_pk_add_f16 v9, v10, v6
	v_max_f16_e32 v10, v53, v53
	v_pk_add_f16 v11, v11, v7
	v_min_f16_e32 v10, v10, v9
	v_lshrrev_b32_e32 v12, 16, v53
	v_lshrrev_b32_e32 v9, 16, v9
	;; [unrolled: 1-line block ×3, first 2 shown]
	v_min3_f16 v9, v12, v9, v13
	v_min3_f16 v9, v10, v11, v9
	v_cvt_f32_f16_e32 v9, v9
	v_max_f32_e32 v8, v8, v8
	v_min_f32_e32 v8, v8, v9
	v_cvt_f16_f32_e32 v10, v8
	v_lshl_add_u64 v[8:9], v[42:43], 1, v[4:5]
	global_store_short v[8:9], v10, off
	s_or_b64 exec, exec, s[2:3]
	s_and_b64 s[4:5], s[14:15], s[18:19]
	s_and_saveexec_b64 s[2:3], s[4:5]
	s_cbranch_execz .LBB263_338
.LBB263_364:
	s_and_b64 vcc, exec, s[0:1]
	s_cbranch_vccnz .LBB263_366
; %bb.365:
	v_lshl_add_u64 v[8:9], v[44:45], 1, v[20:21]
	global_load_ushort v8, v[8:9], off
	s_waitcnt vmcnt(0)
	v_mul_f16_e32 v8, s33, v8
	v_cvt_f32_f16_e32 v8, v8
	s_branch .LBB263_367
.LBB263_366:
	v_mov_b32_e32 v8, 0
.LBB263_367:
	v_pk_add_f16 v0, v0, v6
	v_max_f16_e32 v9, v52, v52
	v_pk_add_f16 v1, v1, v7
	v_min_f16_e32 v9, v9, v0
	v_lshrrev_b32_e32 v10, 16, v52
	v_lshrrev_b32_e32 v0, 16, v0
	;; [unrolled: 1-line block ×3, first 2 shown]
	v_min3_f16 v0, v10, v0, v11
	v_min3_f16 v0, v9, v1, v0
	v_cvt_f32_f16_e32 v0, v0
	v_max_f32_e32 v1, v8, v8
	v_min_f32_e32 v0, v1, v0
	v_cvt_f16_f32_e32 v8, v0
	v_lshl_add_u64 v[0:1], v[44:45], 1, v[4:5]
	global_store_short v[0:1], v8, off
	s_or_b64 exec, exec, s[2:3]
	s_and_b64 s[2:3], s[16:17], s[18:19]
	s_and_saveexec_b64 s[4:5], s[2:3]
	s_cbranch_execz .LBB263_339
.LBB263_368:
	s_and_b64 vcc, exec, s[0:1]
	s_cbranch_vccnz .LBB263_370
; %bb.369:
	v_lshl_add_u64 v[0:1], v[46:47], 1, v[20:21]
	global_load_ushort v0, v[0:1], off
	s_waitcnt vmcnt(0)
	v_mul_f16_e32 v0, s33, v0
	v_cvt_f32_f16_e32 v0, v0
	s_branch .LBB263_371
.LBB263_370:
	v_mov_b32_e32 v0, 0
.LBB263_371:
	v_pk_add_f16 v1, v2, v6
	v_max_f16_e32 v2, v55, v55
	v_pk_add_f16 v3, v3, v7
	v_min_f16_e32 v2, v2, v1
	v_lshrrev_b32_e32 v6, 16, v55
	v_lshrrev_b32_e32 v1, 16, v1
	;; [unrolled: 1-line block ×3, first 2 shown]
	v_min3_f16 v1, v6, v1, v7
	v_min3_f16 v1, v2, v3, v1
	v_cvt_f32_f16_e32 v1, v1
	v_max_f32_e32 v0, v0, v0
	v_min_f32_e32 v0, v0, v1
	v_cvt_f16_f32_e32 v2, v0
	v_lshl_add_u64 v[0:1], v[46:47], 1, v[4:5]
	global_store_short v[0:1], v2, off
	s_endpgm
	.section	.rodata,"a",@progbits
	.p2align	6, 0x0
	.amdhsa_kernel _ZN12_GLOBAL__N_120geam_min_plus_kernelIDF16_Dv2_DF16_S1_Li32ELi8ELi256ELi64ELi4ELi64ELi4ELi4ELi64ELc78ELc78ELb0ELb1ELb1EDF16_KDF16_DF16_EEviiiT16_PT17_ilS5_ilS3_S5_ilPT18_ili26rocblas_geam_ex_operation_
		.amdhsa_group_segment_fixed_size 5120
		.amdhsa_private_segment_fixed_size 0
		.amdhsa_kernarg_size 128
		.amdhsa_user_sgpr_count 2
		.amdhsa_user_sgpr_dispatch_ptr 0
		.amdhsa_user_sgpr_queue_ptr 0
		.amdhsa_user_sgpr_kernarg_segment_ptr 1
		.amdhsa_user_sgpr_dispatch_id 0
		.amdhsa_user_sgpr_kernarg_preload_length 0
		.amdhsa_user_sgpr_kernarg_preload_offset 0
		.amdhsa_user_sgpr_private_segment_size 0
		.amdhsa_uses_dynamic_stack 0
		.amdhsa_enable_private_segment 0
		.amdhsa_system_sgpr_workgroup_id_x 1
		.amdhsa_system_sgpr_workgroup_id_y 0
		.amdhsa_system_sgpr_workgroup_id_z 1
		.amdhsa_system_sgpr_workgroup_info 0
		.amdhsa_system_vgpr_workitem_id 1
		.amdhsa_next_free_vgpr 153
		.amdhsa_next_free_sgpr 42
		.amdhsa_accum_offset 156
		.amdhsa_reserve_vcc 1
		.amdhsa_float_round_mode_32 0
		.amdhsa_float_round_mode_16_64 0
		.amdhsa_float_denorm_mode_32 3
		.amdhsa_float_denorm_mode_16_64 3
		.amdhsa_dx10_clamp 1
		.amdhsa_ieee_mode 1
		.amdhsa_fp16_overflow 0
		.amdhsa_tg_split 0
		.amdhsa_exception_fp_ieee_invalid_op 0
		.amdhsa_exception_fp_denorm_src 0
		.amdhsa_exception_fp_ieee_div_zero 0
		.amdhsa_exception_fp_ieee_overflow 0
		.amdhsa_exception_fp_ieee_underflow 0
		.amdhsa_exception_fp_ieee_inexact 0
		.amdhsa_exception_int_div_zero 0
	.end_amdhsa_kernel
	.section	.text._ZN12_GLOBAL__N_120geam_min_plus_kernelIDF16_Dv2_DF16_S1_Li32ELi8ELi256ELi64ELi4ELi64ELi4ELi4ELi64ELc78ELc78ELb0ELb1ELb1EDF16_KDF16_DF16_EEviiiT16_PT17_ilS5_ilS3_S5_ilPT18_ili26rocblas_geam_ex_operation_,"axG",@progbits,_ZN12_GLOBAL__N_120geam_min_plus_kernelIDF16_Dv2_DF16_S1_Li32ELi8ELi256ELi64ELi4ELi64ELi4ELi4ELi64ELc78ELc78ELb0ELb1ELb1EDF16_KDF16_DF16_EEviiiT16_PT17_ilS5_ilS3_S5_ilPT18_ili26rocblas_geam_ex_operation_,comdat
.Lfunc_end263:
	.size	_ZN12_GLOBAL__N_120geam_min_plus_kernelIDF16_Dv2_DF16_S1_Li32ELi8ELi256ELi64ELi4ELi64ELi4ELi4ELi64ELc78ELc78ELb0ELb1ELb1EDF16_KDF16_DF16_EEviiiT16_PT17_ilS5_ilS3_S5_ilPT18_ili26rocblas_geam_ex_operation_, .Lfunc_end263-_ZN12_GLOBAL__N_120geam_min_plus_kernelIDF16_Dv2_DF16_S1_Li32ELi8ELi256ELi64ELi4ELi64ELi4ELi4ELi64ELc78ELc78ELb0ELb1ELb1EDF16_KDF16_DF16_EEviiiT16_PT17_ilS5_ilS3_S5_ilPT18_ili26rocblas_geam_ex_operation_
                                        ; -- End function
	.set _ZN12_GLOBAL__N_120geam_min_plus_kernelIDF16_Dv2_DF16_S1_Li32ELi8ELi256ELi64ELi4ELi64ELi4ELi4ELi64ELc78ELc78ELb0ELb1ELb1EDF16_KDF16_DF16_EEviiiT16_PT17_ilS5_ilS3_S5_ilPT18_ili26rocblas_geam_ex_operation_.num_vgpr, 153
	.set _ZN12_GLOBAL__N_120geam_min_plus_kernelIDF16_Dv2_DF16_S1_Li32ELi8ELi256ELi64ELi4ELi64ELi4ELi4ELi64ELc78ELc78ELb0ELb1ELb1EDF16_KDF16_DF16_EEviiiT16_PT17_ilS5_ilS3_S5_ilPT18_ili26rocblas_geam_ex_operation_.num_agpr, 0
	.set _ZN12_GLOBAL__N_120geam_min_plus_kernelIDF16_Dv2_DF16_S1_Li32ELi8ELi256ELi64ELi4ELi64ELi4ELi4ELi64ELc78ELc78ELb0ELb1ELb1EDF16_KDF16_DF16_EEviiiT16_PT17_ilS5_ilS3_S5_ilPT18_ili26rocblas_geam_ex_operation_.numbered_sgpr, 42
	.set _ZN12_GLOBAL__N_120geam_min_plus_kernelIDF16_Dv2_DF16_S1_Li32ELi8ELi256ELi64ELi4ELi64ELi4ELi4ELi64ELc78ELc78ELb0ELb1ELb1EDF16_KDF16_DF16_EEviiiT16_PT17_ilS5_ilS3_S5_ilPT18_ili26rocblas_geam_ex_operation_.num_named_barrier, 0
	.set _ZN12_GLOBAL__N_120geam_min_plus_kernelIDF16_Dv2_DF16_S1_Li32ELi8ELi256ELi64ELi4ELi64ELi4ELi4ELi64ELc78ELc78ELb0ELb1ELb1EDF16_KDF16_DF16_EEviiiT16_PT17_ilS5_ilS3_S5_ilPT18_ili26rocblas_geam_ex_operation_.private_seg_size, 0
	.set _ZN12_GLOBAL__N_120geam_min_plus_kernelIDF16_Dv2_DF16_S1_Li32ELi8ELi256ELi64ELi4ELi64ELi4ELi4ELi64ELc78ELc78ELb0ELb1ELb1EDF16_KDF16_DF16_EEviiiT16_PT17_ilS5_ilS3_S5_ilPT18_ili26rocblas_geam_ex_operation_.uses_vcc, 1
	.set _ZN12_GLOBAL__N_120geam_min_plus_kernelIDF16_Dv2_DF16_S1_Li32ELi8ELi256ELi64ELi4ELi64ELi4ELi4ELi64ELc78ELc78ELb0ELb1ELb1EDF16_KDF16_DF16_EEviiiT16_PT17_ilS5_ilS3_S5_ilPT18_ili26rocblas_geam_ex_operation_.uses_flat_scratch, 0
	.set _ZN12_GLOBAL__N_120geam_min_plus_kernelIDF16_Dv2_DF16_S1_Li32ELi8ELi256ELi64ELi4ELi64ELi4ELi4ELi64ELc78ELc78ELb0ELb1ELb1EDF16_KDF16_DF16_EEviiiT16_PT17_ilS5_ilS3_S5_ilPT18_ili26rocblas_geam_ex_operation_.has_dyn_sized_stack, 0
	.set _ZN12_GLOBAL__N_120geam_min_plus_kernelIDF16_Dv2_DF16_S1_Li32ELi8ELi256ELi64ELi4ELi64ELi4ELi4ELi64ELc78ELc78ELb0ELb1ELb1EDF16_KDF16_DF16_EEviiiT16_PT17_ilS5_ilS3_S5_ilPT18_ili26rocblas_geam_ex_operation_.has_recursion, 0
	.set _ZN12_GLOBAL__N_120geam_min_plus_kernelIDF16_Dv2_DF16_S1_Li32ELi8ELi256ELi64ELi4ELi64ELi4ELi4ELi64ELc78ELc78ELb0ELb1ELb1EDF16_KDF16_DF16_EEviiiT16_PT17_ilS5_ilS3_S5_ilPT18_ili26rocblas_geam_ex_operation_.has_indirect_call, 0
	.section	.AMDGPU.csdata,"",@progbits
; Kernel info:
; codeLenInByte = 20792
; TotalNumSgprs: 48
; NumVgprs: 153
; NumAgprs: 0
; TotalNumVgprs: 153
; ScratchSize: 0
; MemoryBound: 0
; FloatMode: 240
; IeeeMode: 1
; LDSByteSize: 5120 bytes/workgroup (compile time only)
; SGPRBlocks: 5
; VGPRBlocks: 19
; NumSGPRsForWavesPerEU: 48
; NumVGPRsForWavesPerEU: 153
; AccumOffset: 156
; Occupancy: 3
; WaveLimiterHint : 0
; COMPUTE_PGM_RSRC2:SCRATCH_EN: 0
; COMPUTE_PGM_RSRC2:USER_SGPR: 2
; COMPUTE_PGM_RSRC2:TRAP_HANDLER: 0
; COMPUTE_PGM_RSRC2:TGID_X_EN: 1
; COMPUTE_PGM_RSRC2:TGID_Y_EN: 0
; COMPUTE_PGM_RSRC2:TGID_Z_EN: 1
; COMPUTE_PGM_RSRC2:TIDIG_COMP_CNT: 1
; COMPUTE_PGM_RSRC3_GFX90A:ACCUM_OFFSET: 38
; COMPUTE_PGM_RSRC3_GFX90A:TG_SPLIT: 0
	.section	.text._ZN12_GLOBAL__N_120geam_min_plus_kernelIDF16_Dv2_DF16_S1_Li32ELi8ELi128ELi128ELi4ELi4ELi64ELi4ELi64ELc84ELc78ELb0ELb0ELb1EPKDF16_S2_DF16_EEviiiT16_PT17_ilS6_ilS4_S6_ilPT18_ili26rocblas_geam_ex_operation_,"axG",@progbits,_ZN12_GLOBAL__N_120geam_min_plus_kernelIDF16_Dv2_DF16_S1_Li32ELi8ELi128ELi128ELi4ELi4ELi64ELi4ELi64ELc84ELc78ELb0ELb0ELb1EPKDF16_S2_DF16_EEviiiT16_PT17_ilS6_ilS4_S6_ilPT18_ili26rocblas_geam_ex_operation_,comdat
	.globl	_ZN12_GLOBAL__N_120geam_min_plus_kernelIDF16_Dv2_DF16_S1_Li32ELi8ELi128ELi128ELi4ELi4ELi64ELi4ELi64ELc84ELc78ELb0ELb0ELb1EPKDF16_S2_DF16_EEviiiT16_PT17_ilS6_ilS4_S6_ilPT18_ili26rocblas_geam_ex_operation_ ; -- Begin function _ZN12_GLOBAL__N_120geam_min_plus_kernelIDF16_Dv2_DF16_S1_Li32ELi8ELi128ELi128ELi4ELi4ELi64ELi4ELi64ELc84ELc78ELb0ELb0ELb1EPKDF16_S2_DF16_EEviiiT16_PT17_ilS6_ilS4_S6_ilPT18_ili26rocblas_geam_ex_operation_
	.p2align	8
	.type	_ZN12_GLOBAL__N_120geam_min_plus_kernelIDF16_Dv2_DF16_S1_Li32ELi8ELi128ELi128ELi4ELi4ELi64ELi4ELi64ELc84ELc78ELb0ELb0ELb1EPKDF16_S2_DF16_EEviiiT16_PT17_ilS6_ilS4_S6_ilPT18_ili26rocblas_geam_ex_operation_,@function
_ZN12_GLOBAL__N_120geam_min_plus_kernelIDF16_Dv2_DF16_S1_Li32ELi8ELi128ELi128ELi4ELi4ELi64ELi4ELi64ELc84ELc78ELb0ELb0ELb1EPKDF16_S2_DF16_EEviiiT16_PT17_ilS6_ilS4_S6_ilPT18_ili26rocblas_geam_ex_operation_: ; @_ZN12_GLOBAL__N_120geam_min_plus_kernelIDF16_Dv2_DF16_S1_Li32ELi8ELi128ELi128ELi4ELi4ELi64ELi4ELi64ELc84ELc78ELb0ELb0ELb1EPKDF16_S2_DF16_EEviiiT16_PT17_ilS6_ilS4_S6_ilPT18_ili26rocblas_geam_ex_operation_
; %bb.0:
	s_load_dwordx4 s[4:7], s[0:1], 0x10
	s_load_dwordx4 s[12:15], s[0:1], 0x28
	s_mov_b32 s20, s3
	s_mov_b32 s21, 0
	s_lshl_b64 s[8:9], s[20:21], 1
	s_waitcnt lgkmcnt(0)
	s_add_u32 s4, s4, s8
	s_addc_u32 s5, s5, s9
	v_mov_b32_e32 v1, 0
	global_load_ushort v95, v1, s[4:5]
	s_load_dwordx4 s[16:19], s[0:1], 0x40
	s_load_dwordx2 s[10:11], s[0:1], 0x50
	s_mov_b64 s[22:23], 0
	s_waitcnt lgkmcnt(0)
	s_add_u32 s24, s18, s8
	s_addc_u32 s25, s19, s9
	s_mov_b64 s[18:19], 0
	s_waitcnt vmcnt(0)
	v_cmp_eq_f16_e32 vcc, 0, v95
	s_and_b64 s[4:5], exec, vcc
	v_cmp_neq_f16_e64 s[8:9], 0, v95
	s_mov_b64 vcc, s[4:5]
	s_cbranch_vccnz .LBB264_2
; %bb.1:
	s_mul_i32 s3, s13, s20
	s_mul_hi_u32 s13, s12, s20
	s_add_i32 s13, s13, s3
	s_mul_i32 s12, s12, s20
	s_lshl_b64 s[12:13], s[12:13], 1
	s_add_u32 s18, s6, s12
	s_addc_u32 s19, s7, s13
.LBB264_2:
	global_load_ushort v58, v1, s[24:25]
	v_cndmask_b32_e64 v1, 0, 1, s[8:9]
	v_cmp_ne_u32_e64 s[6:7], 1, v1
	s_andn2_b64 vcc, exec, s[8:9]
	s_cbranch_vccnz .LBB264_4
; %bb.3:
	s_mul_i32 s3, s17, s20
	s_mul_hi_u32 s8, s16, s20
	s_add_i32 s9, s8, s3
	s_mul_i32 s8, s16, s20
	s_lshl_b64 s[8:9], s[8:9], 1
	s_add_u32 s22, s14, s8
	s_addc_u32 s23, s15, s9
.LBB264_4:
	s_load_dwordx4 s[12:15], s[0:1], 0x60
	s_waitcnt vmcnt(0)
	v_cmp_eq_f16_e32 vcc, 0, v58
	s_and_b64 s[8:9], exec, vcc
	s_mov_b64 vcc, s[8:9]
	s_cbranch_vccnz .LBB264_6
; %bb.5:
	s_waitcnt lgkmcnt(0)
	s_mul_i32 s3, s13, s20
	s_mul_hi_u32 s13, s12, s20
	s_add_i32 s13, s13, s3
	s_mul_i32 s12, s12, s20
	s_lshl_b64 s[12:13], s[12:13], 1
	s_add_u32 s10, s10, s12
	s_addc_u32 s11, s11, s13
	s_branch .LBB264_7
.LBB264_6:
	s_mov_b64 s[10:11], 0
.LBB264_7:
	s_load_dword s3, s[0:1], 0x0
	s_load_dword s21, s[0:1], 0x20
	v_and_b32_e32 v89, 0x3ff, v0
	v_bfe_u32 v90, v0, 10, 10
	v_and_b32_e32 v4, 3, v0
	s_waitcnt lgkmcnt(0)
	s_add_i32 s3, s3, -1
	s_ashr_i32 s12, s3, 31
	s_lshr_b32 s12, s12, 25
	s_add_i32 s3, s3, s12
	s_ashr_i32 s3, s3, 7
	s_add_i32 s12, s3, 1
	v_cvt_f32_u32_e32 v1, s12
	s_not_b32 s3, s3
	v_lshl_add_u32 v3, v90, 5, v89
	v_lshrrev_b32_e32 v5, 2, v3
	v_rcp_iflag_f32_e32 v2, v1
	v_mov_b32_e32 v1, 0
	v_mul_f32_e32 v0, 0x4f7ffffe, v2
	v_cvt_u32_f32_e32 v2, v0
	v_lshlrev_b32_e32 v0, 1, v4
	v_readfirstlane_b32 s13, v2
	s_mul_i32 s3, s3, s13
	s_mul_hi_u32 s3, s13, s3
	s_add_i32 s13, s13, s3
	s_mul_hi_u32 s3, s2, s13
	s_mul_i32 s13, s3, s12
	s_sub_i32 s13, s2, s13
	s_add_i32 s16, s3, 1
	s_sub_i32 s17, s13, s12
	s_cmp_ge_u32 s13, s12
	s_cselect_b32 s3, s16, s3
	s_cselect_b32 s13, s17, s13
	s_add_i32 s16, s3, 1
	s_cmp_ge_u32 s13, s12
	s_cselect_b32 s3, s16, s3
	s_mul_i32 s12, s3, s12
	s_sub_i32 s2, s2, s12
	s_lshl_b32 s12, s2, 7
	s_and_b64 vcc, exec, s[6:7]
	v_add_u32_e32 v32, s12, v5
	v_lshl_add_u64 v[2:3], s[18:19], 0, v[0:1]
	s_cbranch_vccnz .LBB264_9
; %bb.8:
	v_mad_i64_i32 v[6:7], s[16:17], v32, s21, 0
	v_lshl_add_u64 v[6:7], v[6:7], 1, v[2:3]
	global_load_ushort v1, v[6:7], off
	s_waitcnt vmcnt(0)
	v_mul_f16_e32 v1, v95, v1
.LBB264_9:
	s_load_dword s24, s[0:1], 0x38
	s_lshl_b32 s13, s3, 7
	v_and_b32_e32 v7, 0xffff, v1
	s_mov_b64 vcc, s[4:5]
	s_cbranch_vccz .LBB264_11
; %bb.10:
	v_and_b32_e32 v107, 0xffff, v7
	s_mov_b64 s[2:3], 0
	s_branch .LBB264_12
.LBB264_11:
	s_mov_b64 s[2:3], -1
                                        ; implicit-def: $vgpr107
.LBB264_12:
	v_add_u32_e32 v34, s13, v5
	v_mov_b32_e32 v6, 0
	v_mov_b32_e32 v36, 0
	s_andn2_b64 vcc, exec, s[2:3]
	v_add_u32_e32 v33, 64, v32
	v_add_u32_e32 v35, 64, v34
	v_mov_b32_e32 v37, 0
	s_cbranch_vccnz .LBB264_14
; %bb.13:
	v_mad_i64_i32 v[8:9], s[2:3], v33, s21, 0
	v_lshl_add_u64 v[8:9], v[8:9], 1, v[2:3]
	v_mov_b32_e32 v1, 0
	global_load_ushort v12, v[8:9], off
	v_lshl_add_u64 v[8:9], s[22:23], 0, v[0:1]
	s_waitcnt lgkmcnt(0)
	v_mad_i64_i32 v[10:11], s[2:3], v34, s24, 0
	v_lshl_add_u64 v[10:11], v[10:11], 1, v[8:9]
	global_load_ushort v1, v[10:11], off
	v_mad_i64_i32 v[10:11], s[2:3], v35, s24, 0
	v_lshl_add_u64 v[8:9], v[10:11], 1, v[8:9]
	global_load_ushort v8, v[8:9], off
	s_mov_b32 s2, 0x5040100
	s_waitcnt vmcnt(2)
	v_mul_f16_e32 v9, v95, v12
	v_perm_b32 v107, v9, v7, s2
	s_waitcnt vmcnt(1)
	v_mul_f16_e32 v1, v95, v1
	v_pack_b32_f16 v36, v1, 0
	s_waitcnt vmcnt(0)
	v_mul_f16_e32 v37, v95, v8
.LBB264_14:
	s_and_b64 vcc, exec, s[6:7]
	s_cbranch_vccnz .LBB264_16
; %bb.15:
	v_mad_i64_i32 v[6:7], s[2:3], v32, s21, 0
	v_lshl_add_u64 v[6:7], v[6:7], 1, v[2:3]
	global_load_ushort v1, v[6:7], off offset:8
	s_waitcnt vmcnt(0)
	v_mul_f16_e32 v6, v95, v1
.LBB264_16:
	v_and_b32_e32 v6, 0xffff, v6
	s_mov_b64 vcc, s[4:5]
	s_cbranch_vccz .LBB264_19
; %bb.17:
	v_and_b32_e32 v111, 0xffff, v6
	s_cbranch_execz .LBB264_20
; %bb.18:
	v_mov_b32_e32 v39, 0
	v_mov_b32_e32 v38, 0
	s_branch .LBB264_21
.LBB264_19:
                                        ; implicit-def: $vgpr111
.LBB264_20:
	v_mad_i64_i32 v[8:9], s[2:3], v33, s21, 0
	v_lshl_add_u64 v[2:3], v[8:9], 1, v[2:3]
	v_mov_b32_e32 v1, 0
	global_load_ushort v7, v[2:3], off offset:8
	v_lshl_add_u64 v[0:1], s[22:23], 0, v[0:1]
	s_waitcnt lgkmcnt(0)
	v_mad_i64_i32 v[2:3], s[2:3], v34, s24, 0
	v_lshl_add_u64 v[2:3], v[2:3], 1, v[0:1]
	global_load_ushort v8, v[2:3], off offset:8
	v_mad_i64_i32 v[2:3], s[2:3], v35, s24, 0
	v_lshl_add_u64 v[0:1], v[2:3], 1, v[0:1]
	global_load_ushort v0, v[0:1], off offset:8
	s_mov_b32 s2, 0x5040100
	s_waitcnt vmcnt(2)
	v_mul_f16_e32 v1, v95, v7
	v_perm_b32 v111, v1, v6, s2
	s_waitcnt vmcnt(1)
	v_mul_f16_e32 v1, v95, v8
	v_pack_b32_f16 v38, v1, 0
	s_waitcnt vmcnt(0)
	v_mul_f16_e32 v39, v95, v0
.LBB264_21:
	v_lshlrev_b32_e32 v0, 3, v5
	v_lshlrev_b32_e32 v98, 3, v90
	v_lshl_or_b32 v113, v4, 1, v0
	v_lshlrev_b32_e32 v101, 3, v89
	v_add_u32_e32 v115, 0x800, v98
	ds_write_b16 v113, v107
	ds_write_b16_d16_hi v113, v107 offset:512
	ds_write_b16 v113, v36 offset:2048
	ds_write_b16 v113, v37 offset:2560
	s_waitcnt lgkmcnt(0)
	s_barrier
	ds_read2_b64 v[4:7], v101 offset1:32
	ds_read2_b64 v[0:3], v101 offset0:64 offset1:96
	ds_read2_b64 v[40:43], v115 offset1:8
	ds_read2_b64 v[44:47], v115 offset0:16 offset1:24
	ds_read2_b64 v[28:31], v115 offset0:32 offset1:40
	;; [unrolled: 1-line block ×7, first 2 shown]
	s_movk_i32 s2, 0x7c00
	s_load_dword s16, s[0:1], 0x8
	s_waitcnt lgkmcnt(0)
	v_pk_add_f16 v48, v4, v40
	v_pk_add_f16 v49, v6, v40
	;; [unrolled: 1-line block ×65, first 2 shown]
	v_pk_min_f16 v10, v48, s2 op_sel_hi:[1,0]
	v_pk_min_f16 v8, v8, s2 op_sel_hi:[1,0]
	v_pk_min_f16 v131, v10, v2
	v_pk_add_f16 v2, v7, v41
	v_pk_min_f16 v10, v49, s2 op_sel_hi:[1,0]
	v_pk_min_f16 v4, v4, s2 op_sel_hi:[1,0]
	v_pk_min_f16 v130, v10, v2
	v_pk_add_f16 v2, v1, v41
	;; [unrolled: 4-line block ×3, first 2 shown]
	v_pk_min_f16 v10, v40, s2 op_sel_hi:[1,0]
	s_cmp_lt_i32 s16, 9
	v_pk_min_f16 v128, v10, v2
	v_pk_add_f16 v2, v5, v43
	v_pk_min_f16 v10, v51, s2 op_sel_hi:[1,0]
	ds_write_b16 v113, v111 offset:1024
	ds_write_b16_d16_hi v113, v111 offset:1536
	ds_write_b16 v113, v38 offset:3072
	ds_write_b16 v113, v39 offset:3584
	v_pk_min_f16 v127, v10, v2
	v_pk_add_f16 v2, v7, v43
	v_pk_min_f16 v10, v52, s2 op_sel_hi:[1,0]
	s_waitcnt lgkmcnt(0)
	v_pk_min_f16 v126, v10, v2
	v_pk_add_f16 v2, v1, v43
	v_pk_min_f16 v10, v53, s2 op_sel_hi:[1,0]
	s_barrier
	v_pk_min_f16 v125, v10, v2
	v_pk_add_f16 v2, v3, v43
	v_pk_min_f16 v10, v42, s2 op_sel_hi:[1,0]
	s_nop 0
	v_pk_min_f16 v124, v10, v2
	v_pk_add_f16 v2, v5, v45
	v_pk_min_f16 v10, v54, s2 op_sel_hi:[1,0]
	s_nop 0
	;; [unrolled: 4-line block ×51, first 2 shown]
	v_pk_min_f16 v65, v10, v2
	v_pk_add_f16 v2, v1, v9
	v_pk_min_f16 v10, v144, s2 op_sel_hi:[1,0]
	v_pk_add_f16 v1, v1, v11
	v_pk_min_f16 v64, v10, v2
	v_pk_add_f16 v2, v3, v9
	s_nop 0
	v_pk_min_f16 v62, v8, v2
	v_pk_add_f16 v2, v5, v11
	s_nop 0
	v_pk_min_f16 v61, v4, v2
	v_pk_add_f16 v2, v7, v11
	v_pk_min_f16 v4, v6, s2 op_sel_hi:[1,0]
	s_nop 0
	v_pk_min_f16 v59, v4, v2
	v_pk_min_f16 v2, v145, s2 op_sel_hi:[1,0]
	s_nop 0
	v_pk_min_f16 v60, v2, v1
	v_pk_add_f16 v1, v3, v11
	s_nop 0
	v_pk_min_f16 v63, v0, v1
	s_cbranch_scc1 .LBB264_36
; %bb.22:
	v_mov_b32_e32 v0, 0x400
	v_lshl_add_u32 v135, v89, 3, v0
	v_mov_b32_e32 v0, 0xc00
	v_lshl_add_u32 v136, v90, 3, v0
	v_and_b32_e32 v0, 3, v89
	v_lshlrev_b32_e32 v40, 1, v0
	v_mad_i64_i32 v[0:1], s[2:3], s24, v35, 0
	v_lshl_add_u64 v[42:43], v[0:1], 1, s[22:23]
	v_mad_i64_i32 v[0:1], s[2:3], s24, v34, 0
	v_lshl_add_u64 v[44:45], v[0:1], 1, s[22:23]
	v_mad_i64_i32 v[0:1], s[2:3], s21, v33, 0
	s_mov_b32 s17, 0x5040100
	v_lshl_add_u64 v[46:47], v[0:1], 1, s[18:19]
	v_mad_i64_i32 v[0:1], s[2:3], s21, v32, 0
	v_add_u32_e32 v132, 0x800, v113
	v_add_u32_e32 v133, 0x400, v113
	;; [unrolled: 1-line block ×3, first 2 shown]
	s_add_i32 s16, s16, -8
	v_perm_b32 v36, v37, v36, s17
	v_perm_b32 v139, v39, v38, s17
	v_mov_b32_e32 v41, 0
	v_lshl_add_u64 v[48:49], v[0:1], 1, s[18:19]
	s_mov_b32 s18, 0
	s_mov_b32 s19, 0xffff
	s_branch .LBB264_24
.LBB264_23:                             ;   in Loop: Header=BB264_24 Depth=1
	v_pk_add_f16 v50, v4, v36
	v_pk_max_f16 v51, v131, v131
	v_pk_max_f16 v52, v130, v130
	v_pk_min_f16 v50, v51, v50
	v_pk_add_f16 v51, v6, v36
	v_pk_max_f16 v53, v129, v129
	v_pk_min_f16 v51, v52, v51
	v_pk_add_f16 v52, v0, v36
	v_pk_add_f16 v36, v2, v36
	v_pk_min_f16 v52, v53, v52
	v_pk_max_f16 v53, v128, v128
	v_pk_max_f16 v54, v127, v127
	v_pk_min_f16 v36, v53, v36
	v_pk_add_f16 v53, v4, v38
	v_pk_max_f16 v55, v126, v126
	v_pk_min_f16 v53, v54, v53
	v_pk_add_f16 v54, v6, v38
	v_pk_max_f16 v124, v124, v124
	v_pk_min_f16 v54, v55, v54
	v_pk_add_f16 v55, v0, v38
	v_pk_add_f16 v38, v2, v38
	v_pk_max_f16 v123, v123, v123
	v_pk_min_f16 v38, v124, v38
	v_pk_add_f16 v124, v4, v32
	v_pk_max_f16 v122, v122, v122
	v_pk_min_f16 v123, v123, v124
	v_pk_add_f16 v124, v6, v32
	v_pk_max_f16 v120, v120, v120
	v_pk_min_f16 v122, v122, v124
	v_pk_add_f16 v124, v0, v32
	v_pk_add_f16 v32, v2, v32
	;; [unrolled: 10-line block ×13, first 2 shown]
	v_pk_max_f16 v66, v66, v66
	v_pk_min_f16 v14, v67, v14
	v_pk_add_f16 v67, v4, v8
	v_pk_max_f16 v65, v65, v65
	v_pk_min_f16 v66, v66, v67
	v_pk_add_f16 v67, v6, v8
	v_pk_add_f16 v4, v4, v10
	v_pk_min_f16 v65, v65, v67
	v_pk_add_f16 v67, v0, v8
	v_pk_add_f16 v8, v2, v8
	;; [unrolled: 1-line block ×3, first 2 shown]
	v_pk_max_f16 v59, v59, v59
	v_pk_add_f16 v0, v0, v10
	v_pk_add_f16 v2, v2, v10
	v_pk_max_f16 v10, v63, v63
	v_pk_min_f16 v6, v59, v6
	v_pk_max_f16 v59, v60, v60
	v_pk_min_f16 v2, v10, v2
	v_pk_add_f16 v10, v5, v37
	v_pk_min_f16 v0, v59, v0
	v_pk_min_f16 v59, v50, v10
	v_pk_add_f16 v10, v7, v37
	v_pk_max_f16 v61, v61, v61
	v_pk_min_f16 v60, v51, v10
	v_pk_add_f16 v10, v1, v37
	v_pk_min_f16 v4, v61, v4
	v_pk_min_f16 v61, v52, v10
	v_pk_add_f16 v10, v3, v37
	v_pk_max_f16 v62, v62, v62
	v_pk_min_f16 v37, v36, v10
	v_pk_add_f16 v10, v5, v39
	v_pk_max_f16 v125, v125, v125
	v_pk_min_f16 v8, v62, v8
	v_pk_min_f16 v62, v53, v10
	v_pk_add_f16 v10, v7, v39
	v_pk_min_f16 v55, v125, v55
	v_pk_min_f16 v54, v54, v10
	v_pk_add_f16 v10, v1, v39
	v_pk_max_f16 v121, v121, v121
	v_pk_min_f16 v55, v55, v10
	v_pk_add_f16 v10, v3, v39
	v_pk_min_f16 v121, v121, v124
	v_pk_min_f16 v38, v38, v10
	v_pk_add_f16 v10, v5, v33
	v_pk_max_f16 v64, v64, v64
	v_pk_min_f16 v39, v123, v10
	v_pk_add_f16 v10, v7, v33
	v_pk_max_f16 v68, v68, v68
	v_pk_min_f16 v63, v122, v10
	v_pk_add_f16 v10, v1, v33
	v_pk_min_f16 v64, v64, v67
	v_pk_min_f16 v67, v121, v10
	v_pk_add_f16 v10, v3, v33
	v_pk_max_f16 v72, v72, v72
	v_pk_min_f16 v68, v68, v71
	v_pk_min_f16 v71, v32, v10
	v_pk_add_f16 v10, v5, v35
	v_pk_max_f16 v117, v117, v117
	v_pk_max_f16 v76, v76, v76
	v_pk_min_f16 v72, v72, v75
	v_pk_min_f16 v75, v119, v10
	v_pk_add_f16 v10, v7, v35
	v_pk_min_f16 v117, v117, v120
	v_pk_max_f16 v80, v80, v80
	v_pk_min_f16 v76, v76, v79
	v_pk_min_f16 v79, v118, v10
	v_pk_add_f16 v10, v1, v35
	v_pk_max_f16 v84, v84, v84
	v_pk_min_f16 v80, v80, v83
	v_pk_min_f16 v83, v117, v10
	v_pk_add_f16 v10, v3, v35
	;; [unrolled: 4-line block ×3, first 2 shown]
	v_pk_max_f16 v110, v110, v110
	v_pk_max_f16 v94, v94, v94
	v_pk_min_f16 v88, v88, v93
	v_pk_min_f16 v93, v114, v10
	v_pk_add_f16 v10, v7, v29
	v_pk_min_f16 v110, v110, v116
	v_pk_max_f16 v100, v100, v100
	v_pk_min_f16 v94, v94, v99
	v_pk_min_f16 v99, v112, v10
	v_pk_add_f16 v10, v1, v29
	v_pk_max_f16 v105, v105, v105
	v_pk_min_f16 v100, v100, v104
	v_pk_min_f16 v104, v110, v10
	v_pk_add_f16 v10, v3, v29
	v_pk_min_f16 v105, v105, v109
	v_pk_min_f16 v109, v28, v10
	v_pk_add_f16 v10, v5, v31
	v_pk_max_f16 v61, v61, v61
	v_pk_min_f16 v108, v108, v10
	v_pk_add_f16 v10, v7, v31
	v_pk_max_f16 v38, v38, v38
	;; [unrolled: 3-line block ×4, first 2 shown]
	v_pk_min_f16 v139, v30, v10
	v_pk_add_f16 v10, v5, v25
	v_perm_b32 v36, v138, v137, s17
	v_pk_min_f16 v103, v103, v10
	v_pk_add_f16 v10, v7, v25
	v_pk_max_f16 v59, v59, v59
	v_pk_min_f16 v102, v102, v10
	v_pk_add_f16 v10, v1, v25
	v_pk_max_f16 v60, v60, v60
	;; [unrolled: 3-line block ×4, first 2 shown]
	v_pk_min_f16 v97, v97, v10
	v_pk_add_f16 v10, v7, v27
	s_add_i32 s18, s18, 8
	v_pk_min_f16 v96, v96, v10
	v_pk_add_f16 v10, v1, v27
	v_lshl_add_u64 v[42:43], v[42:43], 0, 16
	v_pk_min_f16 v94, v94, v10
	v_pk_add_f16 v10, v3, v27
	v_lshl_add_u64 v[44:45], v[44:45], 0, 16
	;; [unrolled: 3-line block ×3, first 2 shown]
	v_pk_min_f16 v92, v92, v10
	v_pk_add_f16 v10, v7, v21
	s_cmp_ge_i32 s18, s16
	v_pk_min_f16 v91, v91, v10
	v_pk_add_f16 v10, v1, v21
	v_lshl_add_u64 v[48:49], v[48:49], 0, 16
	v_pk_min_f16 v88, v88, v10
	v_pk_add_f16 v10, v3, v21
	s_nop 0
	v_pk_min_f16 v142, v20, v10
	v_pk_add_f16 v10, v5, v23
	s_nop 0
	;; [unrolled: 3-line block ×21, first 2 shown]
	v_pk_min_f16 v147, v14, v10
	v_pk_add_f16 v10, v5, v9
	v_pk_add_f16 v5, v5, v11
	v_pk_min_f16 v66, v66, v10
	v_pk_add_f16 v10, v7, v9
	v_pk_min_f16 v149, v4, v5
	v_pk_min_f16 v65, v65, v10
	v_pk_add_f16 v10, v1, v9
	v_pk_add_f16 v1, v1, v11
	;; [unrolled: 1-line block ×4, first 2 shown]
	v_pk_min_f16 v151, v0, v1
	v_pk_add_f16 v0, v3, v11
	v_pk_min_f16 v64, v64, v10
	v_pk_min_f16 v148, v8, v9
	;; [unrolled: 1-line block ×4, first 2 shown]
	ds_read2_b64 v[4:7], v101 offset1:32
	ds_read2_b64 v[0:3], v101 offset0:64 offset1:96
	ds_read2_b64 v[32:35], v115 offset1:8
	ds_read2_b64 v[50:53], v115 offset0:16 offset1:24
	ds_read2_b64 v[28:31], v115 offset0:32 offset1:40
	;; [unrolled: 1-line block ×7, first 2 shown]
	s_waitcnt lgkmcnt(7)
	v_pk_add_f16 v114, v0, v32
	v_pk_add_f16 v116, v4, v34
	;; [unrolled: 1-line block ×8, first 2 shown]
	s_waitcnt lgkmcnt(6)
	v_pk_add_f16 v119, v4, v50
	v_pk_add_f16 v120, v6, v50
	;; [unrolled: 1-line block ×9, first 2 shown]
	v_pk_min_f16 v61, v61, v114
	v_pk_min_f16 v34, v38, v34
	v_pk_add_f16 v138, v6, v52
	v_pk_add_f16 v122, v5, v33
	;; [unrolled: 1-line block ×8, first 2 shown]
	v_pk_min_f16 v129, v61, v124
	v_pk_min_f16 v32, v37, v32
	;; [unrolled: 1-line block ×3, first 2 shown]
	v_pk_max_f16 v35, v39, v39
	v_pk_max_f16 v39, v63, v63
	v_pk_min_f16 v50, v71, v50
	v_pk_max_f16 v71, v79, v79
	v_pk_add_f16 v137, v4, v52
	v_pk_add_f16 v167, v7, v53
	v_pk_min_f16 v128, v32, v33
	v_pk_max_f16 v33, v62, v62
	v_pk_min_f16 v39, v39, v120
	v_pk_max_f16 v63, v67, v67
	;; [unrolled: 2-line block ×3, first 2 shown]
	v_pk_min_f16 v71, v71, v138
	v_pk_add_f16 v153, v0, v52
	v_pk_add_f16 v166, v5, v53
	v_pk_min_f16 v59, v59, v110
	v_pk_min_f16 v60, v60, v112
	;; [unrolled: 1-line block ×9, first 2 shown]
	v_pk_max_f16 v71, v83, v83
	v_pk_add_f16 v52, v2, v52
	s_waitcnt lgkmcnt(5)
	v_pk_add_f16 v154, v4, v28
	v_pk_add_f16 v155, v6, v28
	;; [unrolled: 1-line block ×8, first 2 shown]
	s_waitcnt lgkmcnt(4)
	v_pk_add_f16 v160, v4, v24
	v_pk_add_f16 v161, v6, v24
	;; [unrolled: 1-line block ×6, first 2 shown]
	v_pk_min_f16 v131, v59, v122
	v_pk_add_f16 v59, v0, v26
	v_pk_add_f16 v26, v2, v26
	v_pk_min_f16 v130, v60, v123
	s_waitcnt lgkmcnt(3)
	v_pk_add_f16 v60, v4, v20
	v_pk_add_f16 v172, v6, v20
	;; [unrolled: 1-line block ×6, first 2 shown]
	v_pk_min_f16 v127, v33, v125
	v_pk_add_f16 v33, v0, v22
	v_pk_add_f16 v22, v2, v22
	v_pk_min_f16 v126, v54, v126
	s_waitcnt lgkmcnt(2)
	v_pk_add_f16 v54, v4, v16
	v_pk_add_f16 v62, v6, v16
	v_pk_min_f16 v125, v55, v162
	v_pk_add_f16 v55, v0, v16
	v_pk_add_f16 v16, v2, v16
	v_pk_add_f16 v34, v4, v18
	v_pk_add_f16 v38, v6, v18
	v_pk_min_f16 v123, v35, v163
	v_pk_add_f16 v35, v0, v18
	v_pk_add_f16 v18, v2, v18
	v_pk_min_f16 v122, v39, v164
	s_waitcnt lgkmcnt(1)
	v_pk_add_f16 v39, v4, v12
	v_pk_add_f16 v67, v6, v12
	v_pk_min_f16 v121, v63, v165
	v_pk_add_f16 v63, v0, v12
	v_pk_add_f16 v12, v2, v12
	;; [unrolled: 1-line block ×4, first 2 shown]
	v_pk_min_f16 v119, v51, v166
	v_pk_add_f16 v51, v0, v14
	v_pk_add_f16 v14, v2, v14
	s_waitcnt lgkmcnt(0)
	v_pk_add_f16 v138, v4, v8
	v_pk_min_f16 v71, v71, v153
	v_pk_add_f16 v153, v6, v8
	v_pk_add_f16 v162, v0, v8
	;; [unrolled: 1-line block ×7, first 2 shown]
	v_pk_max_f16 v10, v109, v109
	v_pk_add_f16 v168, v1, v53
	v_pk_min_f16 v10, v10, v28
	v_pk_add_f16 v28, v3, v29
	v_pk_min_f16 v117, v71, v168
	v_pk_min_f16 v109, v10, v28
	v_pk_max_f16 v28, v108, v108
	v_pk_add_f16 v10, v5, v31
	v_pk_min_f16 v28, v28, v157
	v_pk_max_f16 v71, v87, v87
	v_pk_min_f16 v108, v28, v10
	v_pk_max_f16 v28, v106, v106
	v_pk_add_f16 v53, v3, v53
	v_pk_min_f16 v52, v71, v52
	v_pk_add_f16 v10, v7, v31
	v_pk_min_f16 v28, v28, v158
	v_pk_min_f16 v116, v52, v53
	v_pk_max_f16 v52, v93, v93
	v_pk_min_f16 v106, v28, v10
	v_pk_max_f16 v28, v105, v105
	v_pk_min_f16 v52, v52, v154
	v_pk_add_f16 v53, v5, v29
	v_pk_add_f16 v10, v1, v31
	v_pk_min_f16 v28, v28, v159
	v_pk_min_f16 v114, v52, v53
	v_pk_max_f16 v52, v99, v99
	v_pk_min_f16 v105, v28, v10
	v_pk_max_f16 v28, v139, v139
	v_pk_min_f16 v52, v52, v155
	v_pk_add_f16 v53, v7, v29
	v_pk_add_f16 v10, v3, v31
	v_pk_min_f16 v28, v28, v30
	v_pk_min_f16 v112, v52, v53
	v_pk_max_f16 v52, v104, v104
	v_pk_min_f16 v104, v28, v10
	v_pk_max_f16 v28, v103, v103
	v_pk_add_f16 v10, v5, v25
	v_pk_min_f16 v28, v28, v160
	v_pk_add_f16 v53, v1, v29
	v_pk_min_f16 v103, v28, v10
	v_pk_max_f16 v28, v102, v102
	v_pk_add_f16 v10, v7, v25
	v_pk_min_f16 v28, v28, v161
	v_pk_min_f16 v52, v52, v156
	;; [unrolled: 1-line block ×3, first 2 shown]
	v_pk_max_f16 v28, v100, v100
	v_pk_add_f16 v10, v1, v25
	v_pk_min_f16 v28, v28, v169
	v_pk_min_f16 v110, v52, v53
	;; [unrolled: 1-line block ×3, first 2 shown]
	v_pk_add_f16 v10, v3, v25
	v_pk_max_f16 v25, v140, v140
	v_perm_b32 v139, v57, v56, s17
	v_pk_min_f16 v24, v25, v24
	ds_write_b16 v133, v111
	ds_write_b16_d16_hi v133, v111 offset:512
	ds_write_b16 v134, v56
	ds_write_b16 v134, v57 offset:512
	v_pk_min_f16 v99, v24, v10
	v_pk_max_f16 v24, v97, v97
	v_pk_add_f16 v10, v5, v27
	v_pk_min_f16 v24, v24, v170
	s_waitcnt lgkmcnt(0)
	v_pk_min_f16 v97, v24, v10
	v_pk_max_f16 v24, v96, v96
	v_pk_add_f16 v10, v7, v27
	v_pk_min_f16 v24, v24, v171
	s_barrier
	v_pk_min_f16 v96, v24, v10
	v_pk_max_f16 v24, v94, v94
	v_pk_add_f16 v10, v1, v27
	v_pk_min_f16 v24, v24, v59
	s_nop 0
	v_pk_min_f16 v94, v24, v10
	v_pk_max_f16 v24, v141, v141
	v_pk_add_f16 v10, v3, v27
	v_pk_min_f16 v24, v24, v26
	s_nop 0
	v_pk_min_f16 v93, v24, v10
	v_pk_max_f16 v24, v92, v92
	v_pk_add_f16 v10, v5, v21
	v_pk_min_f16 v24, v24, v60
	s_nop 0
	v_pk_min_f16 v92, v24, v10
	v_pk_max_f16 v24, v91, v91
	v_pk_add_f16 v10, v7, v21
	v_pk_min_f16 v24, v24, v172
	s_nop 0
	v_pk_min_f16 v91, v24, v10
	v_pk_max_f16 v24, v88, v88
	v_pk_add_f16 v10, v1, v21
	v_pk_min_f16 v24, v24, v61
	s_nop 0
	v_pk_min_f16 v88, v24, v10
	v_pk_add_f16 v10, v3, v21
	v_pk_max_f16 v21, v142, v142
	s_nop 0
	v_pk_min_f16 v20, v21, v20
	s_nop 0
	v_pk_min_f16 v87, v20, v10
	v_pk_max_f16 v20, v86, v86
	v_pk_add_f16 v10, v5, v23
	v_pk_min_f16 v20, v20, v32
	s_nop 0
	v_pk_min_f16 v86, v20, v10
	v_pk_max_f16 v20, v85, v85
	v_pk_add_f16 v10, v7, v23
	v_pk_min_f16 v20, v20, v37
	s_nop 0
	v_pk_min_f16 v85, v20, v10
	v_pk_max_f16 v20, v84, v84
	v_pk_add_f16 v10, v1, v23
	v_pk_min_f16 v20, v20, v33
	s_nop 0
	v_pk_min_f16 v84, v20, v10
	v_pk_max_f16 v20, v143, v143
	v_pk_add_f16 v10, v3, v23
	v_pk_min_f16 v20, v20, v22
	s_nop 0
	v_pk_min_f16 v83, v20, v10
	v_pk_max_f16 v20, v82, v82
	v_pk_add_f16 v10, v5, v17
	v_pk_min_f16 v20, v20, v54
	s_nop 0
	v_pk_min_f16 v82, v20, v10
	v_pk_max_f16 v20, v81, v81
	v_pk_add_f16 v10, v7, v17
	v_pk_min_f16 v20, v20, v62
	s_nop 0
	v_pk_min_f16 v81, v20, v10
	v_pk_max_f16 v20, v80, v80
	v_pk_add_f16 v10, v1, v17
	v_pk_min_f16 v20, v20, v55
	s_nop 0
	v_pk_min_f16 v80, v20, v10
	v_pk_add_f16 v10, v3, v17
	v_pk_max_f16 v17, v144, v144
	s_nop 0
	v_pk_min_f16 v16, v17, v16
	s_nop 0
	v_pk_min_f16 v79, v16, v10
	v_pk_max_f16 v16, v78, v78
	v_pk_add_f16 v10, v5, v19
	v_pk_min_f16 v16, v16, v34
	s_nop 0
	v_pk_min_f16 v78, v16, v10
	v_pk_max_f16 v16, v77, v77
	v_pk_add_f16 v10, v7, v19
	v_pk_min_f16 v16, v16, v38
	s_nop 0
	;; [unrolled: 41-line block ×3, first 2 shown]
	v_pk_min_f16 v69, v12, v10
	v_pk_max_f16 v12, v68, v68
	v_pk_add_f16 v10, v1, v15
	v_pk_min_f16 v12, v12, v51
	s_nop 0
	v_pk_min_f16 v68, v12, v10
	v_pk_max_f16 v12, v147, v147
	v_pk_add_f16 v10, v3, v15
	v_pk_min_f16 v12, v12, v14
	s_nop 0
	v_pk_min_f16 v67, v12, v10
	v_pk_max_f16 v12, v66, v66
	v_pk_add_f16 v10, v5, v9
	v_pk_min_f16 v12, v12, v138
	v_pk_add_f16 v5, v5, v11
	v_pk_min_f16 v66, v12, v10
	v_pk_max_f16 v12, v65, v65
	v_pk_add_f16 v10, v7, v9
	v_pk_min_f16 v12, v12, v153
	s_nop 0
	v_pk_min_f16 v65, v12, v10
	v_pk_max_f16 v12, v64, v64
	v_pk_add_f16 v10, v1, v9
	v_pk_min_f16 v12, v12, v162
	v_pk_add_f16 v9, v3, v9
	v_pk_min_f16 v64, v12, v10
	v_pk_max_f16 v10, v148, v148
	v_pk_add_f16 v1, v1, v11
	v_pk_min_f16 v8, v10, v8
	s_nop 0
	v_pk_min_f16 v62, v8, v9
	v_pk_max_f16 v8, v149, v149
	s_nop 0
	v_pk_min_f16 v4, v8, v4
	s_nop 0
	v_pk_min_f16 v61, v4, v5
	v_pk_max_f16 v5, v150, v150
	v_pk_add_f16 v4, v7, v11
	v_pk_min_f16 v5, v5, v6
	s_nop 0
	v_pk_min_f16 v59, v5, v4
	v_pk_max_f16 v4, v151, v151
	s_nop 0
	v_pk_min_f16 v0, v4, v0
	s_nop 0
	v_pk_min_f16 v60, v0, v1
	v_pk_max_f16 v1, v152, v152
	v_pk_add_f16 v0, v3, v11
	v_pk_min_f16 v1, v1, v2
	s_nop 0
	v_pk_min_f16 v63, v1, v0
	s_cbranch_scc1 .LBB264_36
.LBB264_24:                             ; =>This Inner Loop Header: Depth=1
	s_and_b64 vcc, exec, s[6:7]
	v_lshl_add_u64 v[56:57], v[48:49], 0, v[40:41]
	v_mov_b32_e32 v0, 0
	s_cbranch_vccnz .LBB264_26
; %bb.25:                               ;   in Loop: Header=BB264_24 Depth=1
	global_load_ushort v0, v[56:57], off offset:16
	s_waitcnt vmcnt(0)
	v_mul_f16_e32 v0, v95, v0
.LBB264_26:                             ;   in Loop: Header=BB264_24 Depth=1
	v_bfi_b32 v0, s19, v0, v107
	s_mov_b64 s[2:3], -1
	s_mov_b64 vcc, s[4:5]
                                        ; implicit-def: $vgpr107
                                        ; implicit-def: $vgpr137
	s_cbranch_vccz .LBB264_28
; %bb.27:                               ;   in Loop: Header=BB264_24 Depth=1
	v_and_b32_e32 v107, 0xffff, v0
	v_and_b32_e32 v137, 0xffff0000, v36
	s_mov_b64 s[2:3], 0
.LBB264_28:                             ;   in Loop: Header=BB264_24 Depth=1
	v_mov_b32_e32 v140, 0
	s_andn2_b64 vcc, exec, s[2:3]
	v_lshl_add_u64 v[54:55], v[46:47], 0, v[40:41]
	v_lshl_add_u64 v[52:53], v[44:45], 0, v[40:41]
	;; [unrolled: 1-line block ×3, first 2 shown]
	v_mov_b32_e32 v138, 0
	s_cbranch_vccnz .LBB264_30
; %bb.29:                               ;   in Loop: Header=BB264_24 Depth=1
	global_load_ushort v1, v[54:55], off offset:16
	global_load_ushort v2, v[52:53], off offset:16
	;; [unrolled: 1-line block ×3, first 2 shown]
	s_waitcnt vmcnt(2)
	v_mul_f16_e32 v1, v95, v1
	s_waitcnt vmcnt(1)
	v_mul_f16_e32 v2, v95, v2
	v_perm_b32 v107, v1, v0, s17
	v_bfi_b32 v137, s19, v2, v36
	s_waitcnt vmcnt(0)
	v_mul_f16_e32 v138, v95, v3
.LBB264_30:                             ;   in Loop: Header=BB264_24 Depth=1
	ds_read2_b64 v[4:7], v135 offset1:32
	ds_read2_b64 v[0:3], v135 offset0:64 offset1:96
	ds_read2_b64 v[36:39], v136 offset1:8
	ds_read2_b64 v[32:35], v136 offset0:16 offset1:24
	ds_read2_b64 v[28:31], v136 offset0:32 offset1:40
	;; [unrolled: 1-line block ×7, first 2 shown]
	s_and_b64 vcc, exec, s[6:7]
	ds_write_b16 v113, v107
	ds_write_b16_d16_hi v113, v107 offset:512
	ds_write_b16 v132, v137
	ds_write_b16 v132, v138 offset:512
	s_waitcnt lgkmcnt(0)
	s_barrier
	s_cbranch_vccnz .LBB264_32
; %bb.31:                               ;   in Loop: Header=BB264_24 Depth=1
	global_load_ushort v56, v[56:57], off offset:24
	s_waitcnt vmcnt(0)
	v_mul_f16_e32 v140, v95, v56
.LBB264_32:                             ;   in Loop: Header=BB264_24 Depth=1
	v_bfi_b32 v140, s19, v140, v111
	s_mov_b64 s[2:3], -1
	s_mov_b64 vcc, s[4:5]
                                        ; implicit-def: $vgpr111
                                        ; implicit-def: $vgpr56
	s_cbranch_vccz .LBB264_34
; %bb.33:                               ;   in Loop: Header=BB264_24 Depth=1
	v_and_b32_e32 v111, 0xffff, v140
	v_and_b32_e32 v56, 0xffff0000, v139
	s_mov_b64 s[2:3], 0
.LBB264_34:                             ;   in Loop: Header=BB264_24 Depth=1
	s_andn2_b64 vcc, exec, s[2:3]
	v_mov_b32_e32 v57, 0
	s_cbranch_vccnz .LBB264_23
; %bb.35:                               ;   in Loop: Header=BB264_24 Depth=1
	global_load_ushort v54, v[54:55], off offset:24
	s_nop 0
	global_load_ushort v52, v[52:53], off offset:24
	s_nop 0
	global_load_ushort v50, v[50:51], off offset:24
	s_waitcnt vmcnt(2)
	v_mul_f16_e32 v51, v95, v54
	s_waitcnt vmcnt(1)
	v_mul_f16_e32 v52, v95, v52
	v_perm_b32 v111, v51, v140, s17
	v_bfi_b32 v56, s19, v52, v139
	s_waitcnt vmcnt(0)
	v_mul_f16_e32 v57, v95, v50
	s_branch .LBB264_23
.LBB264_36:
	s_load_dword s6, s[0:1], 0x58
	ds_read_b64 v[38:39], v101 offset:1024
	ds_read_b64 v[46:47], v98 offset:3072
	v_add_u32_e32 v52, s13, v90
	v_cmp_neq_f16_e64 s[4:5], 0, v58
	v_add_u32_e32 v36, s12, v89
	s_waitcnt lgkmcnt(0)
	v_mad_i64_i32 v[0:1], s[2:3], v52, s6, 0
	v_ashrrev_i32_e32 v37, 31, v36
	v_lshl_add_u64 v[48:49], v[0:1], 1, s[10:11]
	v_mov_b32_e32 v42, 0
	s_and_b64 vcc, exec, s[4:5]
	v_mov_b32_e32 v43, 0
	s_cbranch_vccz .LBB264_38
; %bb.37:
	v_lshl_add_u64 v[0:1], v[36:37], 1, v[48:49]
	global_load_ushort v0, v[0:1], off
	s_waitcnt vmcnt(0)
	v_mul_f16_e32 v0, v58, v0
	v_cvt_f32_f16_e32 v43, v0
.LBB264_38:
	v_add_u32_e32 v4, 0x800, v98
	v_pk_add_f16 v40, v38, v46
	v_max_f16_e32 v41, v131, v131
	v_pk_add_f16 v45, v39, v47
	ds_read2_b64 v[0:3], v101 offset0:160 offset1:192
	ds_read_b64 v[32:33], v101 offset:1792
	ds_read2_b64 v[28:31], v4 offset0:136 offset1:144
	ds_read2_b64 v[24:27], v4 offset0:152 offset1:160
	;; [unrolled: 1-line block ×4, first 2 shown]
	s_load_dword s7, s[0:1], 0x70
	s_load_dwordx2 s[2:3], s[0:1], 0x78
	v_min_f16_e32 v44, v41, v40
	v_lshrrev_b32_e32 v41, 16, v131
	v_lshrrev_b32_e32 v40, 16, v40
	;; [unrolled: 1-line block ×3, first 2 shown]
	v_min3_f16 v50, v41, v40, v50
	v_min3_f16 v44, v44, v45, v50
	v_cvt_f32_f16_e32 v53, v44
	ds_read2_b64 v[12:15], v4 offset0:200 offset1:208
	ds_read2_b64 v[8:11], v4 offset0:216 offset1:224
	;; [unrolled: 1-line block ×3, first 2 shown]
	ds_read_b64 v[34:35], v98 offset:4032
	s_waitcnt lgkmcnt(0)
	s_mul_i32 s0, s3, s20
	s_mul_hi_u32 s1, s2, s20
	s_add_i32 s1, s1, s0
	s_mul_i32 s0, s2, s20
	v_max_f32_e32 v43, v43, v43
	s_lshl_b64 s[0:1], s[0:1], 1
	v_min_f32_e32 v43, v43, v53
	s_add_u32 s2, s14, s0
	v_cvt_f16_f32_e32 v43, v43
	s_addc_u32 s3, s15, s1
	v_mad_i64_i32 v[44:45], s[0:1], v52, s7, 0
	v_add_u32_e32 v40, 32, v36
	v_lshl_add_u64 v[50:51], v[44:45], 1, s[2:3]
	v_cndmask_b32_e64 v53, 0, 1, s[4:5]
	v_ashrrev_i32_e32 v41, 31, v40
	v_lshl_add_u64 v[44:45], v[36:37], 1, v[50:51]
	v_cmp_ne_u32_e64 s[0:1], 1, v53
	s_andn2_b64 vcc, exec, s[4:5]
	global_store_short v[44:45], v43, off
	s_cbranch_vccnz .LBB264_40
; %bb.39:
	v_lshl_add_u64 v[42:43], v[40:41], 1, v[48:49]
	global_load_ushort v42, v[42:43], off
	s_waitcnt vmcnt(0)
	v_mul_f16_e32 v42, v58, v42
	v_cvt_f32_f16_e32 v42, v42
.LBB264_40:
	v_pk_add_f16 v43, v0, v46
	v_max_f16_e32 v44, v130, v130
	v_pk_add_f16 v53, v1, v47
	v_min_f16_e32 v44, v44, v43
	v_lshrrev_b32_e32 v45, 16, v130
	v_lshrrev_b32_e32 v43, 16, v43
	;; [unrolled: 1-line block ×3, first 2 shown]
	v_min3_f16 v43, v45, v43, v54
	v_min3_f16 v43, v44, v53, v43
	v_cvt_f32_f16_e32 v43, v43
	v_max_f32_e32 v42, v42, v42
	v_lshl_add_u64 v[44:45], v[40:41], 1, v[50:51]
	s_and_b64 vcc, exec, s[0:1]
	v_min_f32_e32 v42, v42, v43
	v_cvt_f16_f32_e32 v53, v42
	v_add_u32_e32 v42, 64, v36
	v_ashrrev_i32_e32 v43, 31, v42
	global_store_short v[44:45], v53, off
	v_mov_b32_e32 v53, 0
	v_mov_b32_e32 v45, 0
	s_cbranch_vccnz .LBB264_42
; %bb.41:
	v_lshl_add_u64 v[44:45], v[42:43], 1, v[48:49]
	global_load_ushort v44, v[44:45], off
	s_waitcnt vmcnt(0)
	v_mul_f16_e32 v44, v58, v44
	v_cvt_f32_f16_e32 v45, v44
.LBB264_42:
	v_pk_add_f16 v44, v2, v46
	v_max_f16_e32 v54, v129, v129
	v_pk_add_f16 v56, v3, v47
	v_min_f16_e32 v54, v54, v44
	v_lshrrev_b32_e32 v55, 16, v129
	v_lshrrev_b32_e32 v44, 16, v44
	;; [unrolled: 1-line block ×3, first 2 shown]
	v_min3_f16 v44, v55, v44, v57
	v_min3_f16 v44, v54, v56, v44
	v_cvt_f32_f16_e32 v54, v44
	v_max_f32_e32 v45, v45, v45
	v_add_u32_e32 v44, 0x60, v36
	s_and_b64 vcc, exec, s[0:1]
	v_min_f32_e32 v45, v45, v54
	v_cvt_f16_f32_e32 v56, v45
	v_ashrrev_i32_e32 v45, 31, v44
	v_lshl_add_u64 v[54:55], v[42:43], 1, v[50:51]
	global_store_short v[54:55], v56, off
	s_cbranch_vccnz .LBB264_44
; %bb.43:
	v_lshl_add_u64 v[48:49], v[44:45], 1, v[48:49]
	global_load_ushort v48, v[48:49], off
	s_waitcnt vmcnt(0)
	v_mul_f16_e32 v48, v58, v48
	v_cvt_f32_f16_e32 v53, v48
.LBB264_44:
	v_pk_add_f16 v46, v32, v46
	v_max_f16_e32 v48, v128, v128
	v_pk_add_f16 v47, v33, v47
	v_min_f16_e32 v48, v48, v46
	v_lshrrev_b32_e32 v49, 16, v128
	v_lshrrev_b32_e32 v46, 16, v46
	;; [unrolled: 1-line block ×3, first 2 shown]
	v_min3_f16 v46, v49, v46, v54
	v_min3_f16 v46, v48, v47, v46
	v_cvt_f32_f16_e32 v46, v46
	v_max_f32_e32 v47, v53, v53
	s_and_b64 vcc, exec, s[0:1]
	v_mov_b32_e32 v49, 0
	v_min_f32_e32 v46, v47, v46
	v_cvt_f16_f32_e32 v48, v46
	v_lshl_add_u64 v[46:47], v[44:45], 1, v[50:51]
	v_mov_b32_e32 v50, 0
	global_store_short v[46:47], v48, off
	v_add_u32_e32 v48, 8, v52
	v_mad_i64_i32 v[46:47], s[4:5], v48, s6, 0
	v_lshl_add_u64 v[46:47], v[46:47], 1, s[10:11]
	s_cbranch_vccnz .LBB264_46
; %bb.45:
	v_lshl_add_u64 v[54:55], v[36:37], 1, v[46:47]
	global_load_ushort v49, v[54:55], off
	s_waitcnt vmcnt(0)
	v_mul_f16_e32 v49, v58, v49
	v_cvt_f32_f16_e32 v49, v49
.LBB264_46:
	v_pk_add_f16 v51, v38, v28
	v_max_f16_e32 v53, v127, v127
	v_pk_add_f16 v55, v39, v29
	v_min_f16_e32 v53, v53, v51
	v_lshrrev_b32_e32 v54, 16, v127
	v_lshrrev_b32_e32 v51, 16, v51
	;; [unrolled: 1-line block ×3, first 2 shown]
	v_min3_f16 v51, v54, v51, v56
	v_min3_f16 v51, v53, v55, v51
	v_cvt_f32_f16_e32 v51, v51
	v_mad_i64_i32 v[54:55], s[4:5], v48, s7, 0
	v_max_f32_e32 v48, v49, v49
	v_min_f32_e32 v48, v48, v51
	v_cvt_f16_f32_e32 v51, v48
	v_lshl_add_u64 v[48:49], v[54:55], 1, s[2:3]
	v_lshl_add_u64 v[54:55], v[36:37], 1, v[48:49]
	s_and_b64 vcc, exec, s[0:1]
	global_store_short v[54:55], v51, off
	s_cbranch_vccnz .LBB264_48
; %bb.47:
	v_lshl_add_u64 v[50:51], v[40:41], 1, v[46:47]
	global_load_ushort v50, v[50:51], off
	s_waitcnt vmcnt(0)
	v_mul_f16_e32 v50, v58, v50
	v_cvt_f32_f16_e32 v50, v50
.LBB264_48:
	v_pk_add_f16 v51, v0, v28
	v_max_f16_e32 v53, v126, v126
	v_pk_add_f16 v55, v1, v29
	v_min_f16_e32 v53, v53, v51
	v_lshrrev_b32_e32 v54, 16, v126
	v_lshrrev_b32_e32 v51, 16, v51
	v_lshrrev_b32_e32 v56, 16, v55
	v_min3_f16 v51, v54, v51, v56
	v_min3_f16 v51, v53, v55, v51
	v_cvt_f32_f16_e32 v51, v51
	v_max_f32_e32 v50, v50, v50
	s_and_b64 vcc, exec, s[0:1]
	v_min_f32_e32 v50, v50, v51
	v_cvt_f16_f32_e32 v53, v50
	v_lshl_add_u64 v[50:51], v[40:41], 1, v[48:49]
	global_store_short v[50:51], v53, off
	v_mov_b32_e32 v50, 0
	v_mov_b32_e32 v51, 0
	s_cbranch_vccnz .LBB264_50
; %bb.49:
	v_lshl_add_u64 v[54:55], v[42:43], 1, v[46:47]
	global_load_ushort v51, v[54:55], off
	s_waitcnt vmcnt(0)
	v_mul_f16_e32 v51, v58, v51
	v_cvt_f32_f16_e32 v51, v51
.LBB264_50:
	v_pk_add_f16 v53, v2, v28
	v_max_f16_e32 v54, v125, v125
	v_pk_add_f16 v56, v3, v29
	v_min_f16_e32 v54, v54, v53
	v_lshrrev_b32_e32 v55, 16, v125
	v_lshrrev_b32_e32 v53, 16, v53
	;; [unrolled: 1-line block ×3, first 2 shown]
	v_min3_f16 v53, v55, v53, v57
	v_min3_f16 v53, v54, v56, v53
	v_cvt_f32_f16_e32 v53, v53
	v_max_f32_e32 v51, v51, v51
	v_lshl_add_u64 v[54:55], v[42:43], 1, v[48:49]
	s_and_b64 vcc, exec, s[0:1]
	v_min_f32_e32 v51, v51, v53
	v_cvt_f16_f32_e32 v51, v51
	global_store_short v[54:55], v51, off
	s_cbranch_vccnz .LBB264_52
; %bb.51:
	v_lshl_add_u64 v[46:47], v[44:45], 1, v[46:47]
	global_load_ushort v46, v[46:47], off
	s_waitcnt vmcnt(0)
	v_mul_f16_e32 v46, v58, v46
	v_cvt_f32_f16_e32 v50, v46
.LBB264_52:
	v_pk_add_f16 v28, v32, v28
	v_max_f16_e32 v46, v124, v124
	v_pk_add_f16 v29, v33, v29
	v_min_f16_e32 v46, v46, v28
	v_lshrrev_b32_e32 v47, 16, v124
	v_lshrrev_b32_e32 v28, 16, v28
	;; [unrolled: 1-line block ×3, first 2 shown]
	v_min3_f16 v28, v47, v28, v51
	v_min3_f16 v28, v46, v29, v28
	v_cvt_f32_f16_e32 v28, v28
	v_max_f32_e32 v29, v50, v50
	s_and_b64 vcc, exec, s[0:1]
	v_mov_b32_e32 v47, 0
	v_min_f32_e32 v28, v29, v28
	v_cvt_f16_f32_e32 v46, v28
	v_lshl_add_u64 v[28:29], v[44:45], 1, v[48:49]
	v_mov_b32_e32 v48, 0
	global_store_short v[28:29], v46, off
	v_add_u32_e32 v46, 16, v52
	v_mad_i64_i32 v[28:29], s[4:5], v46, s6, 0
	v_lshl_add_u64 v[28:29], v[28:29], 1, s[10:11]
	s_cbranch_vccnz .LBB264_54
; %bb.53:
	v_lshl_add_u64 v[50:51], v[36:37], 1, v[28:29]
	global_load_ushort v47, v[50:51], off
	s_waitcnt vmcnt(0)
	v_mul_f16_e32 v47, v58, v47
	v_cvt_f32_f16_e32 v47, v47
.LBB264_54:
	v_pk_add_f16 v49, v38, v30
	v_max_f16_e32 v50, v123, v123
	v_pk_add_f16 v53, v39, v31
	v_min_f16_e32 v50, v50, v49
	v_lshrrev_b32_e32 v51, 16, v123
	v_lshrrev_b32_e32 v49, 16, v49
	;; [unrolled: 1-line block ×3, first 2 shown]
	v_min3_f16 v49, v51, v49, v54
	v_min3_f16 v49, v50, v53, v49
	v_cvt_f32_f16_e32 v49, v49
	v_mad_i64_i32 v[50:51], s[4:5], v46, s7, 0
	v_max_f32_e32 v46, v47, v47
	v_min_f32_e32 v46, v46, v49
	v_cvt_f16_f32_e32 v49, v46
	v_lshl_add_u64 v[46:47], v[50:51], 1, s[2:3]
	v_lshl_add_u64 v[50:51], v[36:37], 1, v[46:47]
	s_and_b64 vcc, exec, s[0:1]
	global_store_short v[50:51], v49, off
	s_cbranch_vccnz .LBB264_56
; %bb.55:
	v_lshl_add_u64 v[48:49], v[40:41], 1, v[28:29]
	global_load_ushort v48, v[48:49], off
	s_waitcnt vmcnt(0)
	v_mul_f16_e32 v48, v58, v48
	v_cvt_f32_f16_e32 v48, v48
.LBB264_56:
	v_pk_add_f16 v49, v0, v30
	v_max_f16_e32 v50, v122, v122
	v_pk_add_f16 v53, v1, v31
	v_min_f16_e32 v50, v50, v49
	v_lshrrev_b32_e32 v51, 16, v122
	v_lshrrev_b32_e32 v49, 16, v49
	;; [unrolled: 1-line block ×3, first 2 shown]
	v_min3_f16 v49, v51, v49, v54
	v_min3_f16 v49, v50, v53, v49
	v_cvt_f32_f16_e32 v49, v49
	v_max_f32_e32 v48, v48, v48
	s_and_b64 vcc, exec, s[0:1]
	v_min_f32_e32 v48, v48, v49
	v_cvt_f16_f32_e32 v50, v48
	v_lshl_add_u64 v[48:49], v[40:41], 1, v[46:47]
	global_store_short v[48:49], v50, off
	v_mov_b32_e32 v48, 0
	v_mov_b32_e32 v49, 0
	s_cbranch_vccnz .LBB264_58
; %bb.57:
	v_lshl_add_u64 v[50:51], v[42:43], 1, v[28:29]
	global_load_ushort v49, v[50:51], off
	s_waitcnt vmcnt(0)
	v_mul_f16_e32 v49, v58, v49
	v_cvt_f32_f16_e32 v49, v49
.LBB264_58:
	v_pk_add_f16 v50, v2, v30
	v_max_f16_e32 v51, v121, v121
	v_pk_add_f16 v54, v3, v31
	v_min_f16_e32 v51, v51, v50
	v_lshrrev_b32_e32 v53, 16, v121
	v_lshrrev_b32_e32 v50, 16, v50
	;; [unrolled: 1-line block ×3, first 2 shown]
	v_min3_f16 v50, v53, v50, v55
	v_min3_f16 v50, v51, v54, v50
	v_cvt_f32_f16_e32 v50, v50
	v_max_f32_e32 v49, v49, v49
	s_and_b64 vcc, exec, s[0:1]
	v_min_f32_e32 v49, v49, v50
	v_cvt_f16_f32_e32 v49, v49
	v_lshl_add_u64 v[50:51], v[42:43], 1, v[46:47]
	global_store_short v[50:51], v49, off
	s_cbranch_vccnz .LBB264_60
; %bb.59:
	v_lshl_add_u64 v[28:29], v[44:45], 1, v[28:29]
	global_load_ushort v28, v[28:29], off
	s_waitcnt vmcnt(0)
	v_mul_f16_e32 v28, v58, v28
	v_cvt_f32_f16_e32 v48, v28
.LBB264_60:
	v_pk_add_f16 v28, v32, v30
	v_max_f16_e32 v29, v120, v120
	v_pk_add_f16 v31, v33, v31
	v_min_f16_e32 v29, v29, v28
	v_lshrrev_b32_e32 v30, 16, v120
	v_lshrrev_b32_e32 v28, 16, v28
	;; [unrolled: 1-line block ×3, first 2 shown]
	v_min3_f16 v28, v30, v28, v49
	v_min3_f16 v28, v29, v31, v28
	v_cvt_f32_f16_e32 v28, v28
	v_max_f32_e32 v29, v48, v48
	s_and_b64 vcc, exec, s[0:1]
	v_mov_b32_e32 v31, 0
	v_min_f32_e32 v28, v29, v28
	v_cvt_f16_f32_e32 v30, v28
	v_lshl_add_u64 v[28:29], v[44:45], 1, v[46:47]
	v_mov_b32_e32 v46, 0
	global_store_short v[28:29], v30, off
	v_add_u32_e32 v30, 24, v52
	v_mad_i64_i32 v[28:29], s[4:5], v30, s6, 0
	v_lshl_add_u64 v[28:29], v[28:29], 1, s[10:11]
	s_cbranch_vccnz .LBB264_62
; %bb.61:
	v_lshl_add_u64 v[48:49], v[36:37], 1, v[28:29]
	global_load_ushort v31, v[48:49], off
	s_waitcnt vmcnt(0)
	v_mul_f16_e32 v31, v58, v31
	v_cvt_f32_f16_e32 v31, v31
.LBB264_62:
	v_pk_add_f16 v47, v38, v24
	v_max_f16_e32 v48, v119, v119
	v_pk_add_f16 v50, v39, v25
	v_min_f16_e32 v48, v48, v47
	v_lshrrev_b32_e32 v49, 16, v119
	v_lshrrev_b32_e32 v47, 16, v47
	;; [unrolled: 1-line block ×3, first 2 shown]
	v_min3_f16 v47, v49, v47, v51
	v_min3_f16 v47, v48, v50, v47
	v_cvt_f32_f16_e32 v47, v47
	v_mad_i64_i32 v[48:49], s[4:5], v30, s7, 0
	v_max_f32_e32 v30, v31, v31
	v_min_f32_e32 v30, v30, v47
	v_cvt_f16_f32_e32 v47, v30
	v_lshl_add_u64 v[30:31], v[48:49], 1, s[2:3]
	v_lshl_add_u64 v[48:49], v[36:37], 1, v[30:31]
	s_and_b64 vcc, exec, s[0:1]
	global_store_short v[48:49], v47, off
	s_cbranch_vccnz .LBB264_64
; %bb.63:
	v_lshl_add_u64 v[46:47], v[40:41], 1, v[28:29]
	global_load_ushort v46, v[46:47], off
	s_waitcnt vmcnt(0)
	v_mul_f16_e32 v46, v58, v46
	v_cvt_f32_f16_e32 v46, v46
.LBB264_64:
	v_pk_add_f16 v47, v0, v24
	v_max_f16_e32 v48, v118, v118
	v_pk_add_f16 v50, v1, v25
	v_min_f16_e32 v48, v48, v47
	v_lshrrev_b32_e32 v49, 16, v118
	v_lshrrev_b32_e32 v47, 16, v47
	;; [unrolled: 1-line block ×3, first 2 shown]
	v_min3_f16 v47, v49, v47, v51
	v_min3_f16 v47, v48, v50, v47
	v_cvt_f32_f16_e32 v47, v47
	v_max_f32_e32 v46, v46, v46
	s_and_b64 vcc, exec, s[0:1]
	v_min_f32_e32 v46, v46, v47
	v_cvt_f16_f32_e32 v48, v46
	v_lshl_add_u64 v[46:47], v[40:41], 1, v[30:31]
	global_store_short v[46:47], v48, off
	v_mov_b32_e32 v46, 0
	v_mov_b32_e32 v47, 0
	s_cbranch_vccnz .LBB264_66
; %bb.65:
	v_lshl_add_u64 v[48:49], v[42:43], 1, v[28:29]
	global_load_ushort v47, v[48:49], off
	s_waitcnt vmcnt(0)
	v_mul_f16_e32 v47, v58, v47
	v_cvt_f32_f16_e32 v47, v47
.LBB264_66:
	v_pk_add_f16 v48, v2, v24
	v_max_f16_e32 v49, v117, v117
	v_pk_add_f16 v51, v3, v25
	v_min_f16_e32 v49, v49, v48
	v_lshrrev_b32_e32 v50, 16, v117
	v_lshrrev_b32_e32 v48, 16, v48
	;; [unrolled: 1-line block ×3, first 2 shown]
	v_min3_f16 v48, v50, v48, v53
	v_min3_f16 v48, v49, v51, v48
	v_cvt_f32_f16_e32 v48, v48
	v_max_f32_e32 v47, v47, v47
	s_and_b64 vcc, exec, s[0:1]
	v_min_f32_e32 v47, v47, v48
	v_cvt_f16_f32_e32 v47, v47
	v_lshl_add_u64 v[48:49], v[42:43], 1, v[30:31]
	global_store_short v[48:49], v47, off
	s_cbranch_vccnz .LBB264_68
; %bb.67:
	v_lshl_add_u64 v[28:29], v[44:45], 1, v[28:29]
	global_load_ushort v28, v[28:29], off
	s_waitcnt vmcnt(0)
	v_mul_f16_e32 v28, v58, v28
	v_cvt_f32_f16_e32 v46, v28
.LBB264_68:
	v_pk_add_f16 v24, v32, v24
	v_max_f16_e32 v28, v116, v116
	v_pk_add_f16 v25, v33, v25
	v_min_f16_e32 v28, v28, v24
	v_lshrrev_b32_e32 v29, 16, v116
	v_lshrrev_b32_e32 v24, 16, v24
	;; [unrolled: 1-line block ×3, first 2 shown]
	v_min3_f16 v24, v29, v24, v47
	v_min3_f16 v24, v28, v25, v24
	v_cvt_f32_f16_e32 v24, v24
	v_max_f32_e32 v25, v46, v46
	s_and_b64 vcc, exec, s[0:1]
	v_mov_b32_e32 v29, 0
	v_min_f32_e32 v24, v25, v24
	v_cvt_f16_f32_e32 v28, v24
	v_lshl_add_u64 v[24:25], v[44:45], 1, v[30:31]
	v_mov_b32_e32 v30, 0
	global_store_short v[24:25], v28, off
	v_add_u32_e32 v28, 32, v52
	v_mad_i64_i32 v[24:25], s[4:5], v28, s6, 0
	v_lshl_add_u64 v[24:25], v[24:25], 1, s[10:11]
	s_cbranch_vccnz .LBB264_70
; %bb.69:
	v_lshl_add_u64 v[46:47], v[36:37], 1, v[24:25]
	global_load_ushort v29, v[46:47], off
	s_waitcnt vmcnt(0)
	v_mul_f16_e32 v29, v58, v29
	v_cvt_f32_f16_e32 v29, v29
.LBB264_70:
	v_pk_add_f16 v31, v38, v26
	v_max_f16_e32 v46, v114, v114
	v_pk_add_f16 v48, v39, v27
	v_min_f16_e32 v46, v46, v31
	v_lshrrev_b32_e32 v47, 16, v114
	v_lshrrev_b32_e32 v31, 16, v31
	;; [unrolled: 1-line block ×3, first 2 shown]
	v_min3_f16 v31, v47, v31, v49
	v_min3_f16 v31, v46, v48, v31
	v_cvt_f32_f16_e32 v31, v31
	v_mad_i64_i32 v[46:47], s[4:5], v28, s7, 0
	v_max_f32_e32 v28, v29, v29
	v_min_f32_e32 v28, v28, v31
	v_cvt_f16_f32_e32 v31, v28
	v_lshl_add_u64 v[28:29], v[46:47], 1, s[2:3]
	v_lshl_add_u64 v[46:47], v[36:37], 1, v[28:29]
	s_and_b64 vcc, exec, s[0:1]
	global_store_short v[46:47], v31, off
	s_cbranch_vccnz .LBB264_72
; %bb.71:
	v_lshl_add_u64 v[30:31], v[40:41], 1, v[24:25]
	global_load_ushort v30, v[30:31], off
	s_waitcnt vmcnt(0)
	v_mul_f16_e32 v30, v58, v30
	v_cvt_f32_f16_e32 v30, v30
.LBB264_72:
	v_pk_add_f16 v31, v0, v26
	v_max_f16_e32 v46, v112, v112
	v_pk_add_f16 v48, v1, v27
	v_min_f16_e32 v46, v46, v31
	v_lshrrev_b32_e32 v47, 16, v112
	v_lshrrev_b32_e32 v31, 16, v31
	;; [unrolled: 1-line block ×3, first 2 shown]
	v_min3_f16 v31, v47, v31, v49
	v_min3_f16 v31, v46, v48, v31
	v_cvt_f32_f16_e32 v31, v31
	v_max_f32_e32 v30, v30, v30
	s_and_b64 vcc, exec, s[0:1]
	v_min_f32_e32 v30, v30, v31
	v_cvt_f16_f32_e32 v46, v30
	v_lshl_add_u64 v[30:31], v[40:41], 1, v[28:29]
	global_store_short v[30:31], v46, off
	v_mov_b32_e32 v30, 0
	v_mov_b32_e32 v31, 0
	s_cbranch_vccnz .LBB264_74
; %bb.73:
	v_lshl_add_u64 v[46:47], v[42:43], 1, v[24:25]
	global_load_ushort v31, v[46:47], off
	s_waitcnt vmcnt(0)
	v_mul_f16_e32 v31, v58, v31
	v_cvt_f32_f16_e32 v31, v31
.LBB264_74:
	v_pk_add_f16 v46, v2, v26
	v_max_f16_e32 v47, v110, v110
	v_pk_add_f16 v49, v3, v27
	v_min_f16_e32 v47, v47, v46
	v_lshrrev_b32_e32 v48, 16, v110
	v_lshrrev_b32_e32 v46, 16, v46
	;; [unrolled: 1-line block ×3, first 2 shown]
	v_min3_f16 v46, v48, v46, v50
	v_min3_f16 v46, v47, v49, v46
	v_cvt_f32_f16_e32 v46, v46
	v_max_f32_e32 v31, v31, v31
	s_and_b64 vcc, exec, s[0:1]
	v_min_f32_e32 v31, v31, v46
	v_cvt_f16_f32_e32 v31, v31
	v_lshl_add_u64 v[46:47], v[42:43], 1, v[28:29]
	global_store_short v[46:47], v31, off
	s_cbranch_vccnz .LBB264_76
; %bb.75:
	v_lshl_add_u64 v[24:25], v[44:45], 1, v[24:25]
	global_load_ushort v24, v[24:25], off
	s_waitcnt vmcnt(0)
	v_mul_f16_e32 v24, v58, v24
	v_cvt_f32_f16_e32 v30, v24
.LBB264_76:
	v_pk_add_f16 v24, v32, v26
	v_max_f16_e32 v25, v109, v109
	v_pk_add_f16 v27, v33, v27
	v_min_f16_e32 v25, v25, v24
	v_lshrrev_b32_e32 v26, 16, v109
	v_lshrrev_b32_e32 v24, 16, v24
	;; [unrolled: 1-line block ×3, first 2 shown]
	v_min3_f16 v24, v26, v24, v31
	v_min3_f16 v24, v25, v27, v24
	v_cvt_f32_f16_e32 v24, v24
	v_max_f32_e32 v25, v30, v30
	s_and_b64 vcc, exec, s[0:1]
	v_mov_b32_e32 v27, 0
	v_min_f32_e32 v24, v25, v24
	v_cvt_f16_f32_e32 v26, v24
	v_lshl_add_u64 v[24:25], v[44:45], 1, v[28:29]
	v_mov_b32_e32 v28, 0
	global_store_short v[24:25], v26, off
	v_add_u32_e32 v26, 40, v52
	v_mad_i64_i32 v[24:25], s[4:5], v26, s6, 0
	v_lshl_add_u64 v[24:25], v[24:25], 1, s[10:11]
	s_cbranch_vccnz .LBB264_78
; %bb.77:
	v_lshl_add_u64 v[30:31], v[36:37], 1, v[24:25]
	global_load_ushort v27, v[30:31], off
	s_waitcnt vmcnt(0)
	v_mul_f16_e32 v27, v58, v27
	v_cvt_f32_f16_e32 v27, v27
.LBB264_78:
	v_pk_add_f16 v29, v38, v20
	v_max_f16_e32 v30, v108, v108
	v_pk_add_f16 v46, v39, v21
	v_min_f16_e32 v30, v30, v29
	v_lshrrev_b32_e32 v31, 16, v108
	v_lshrrev_b32_e32 v29, 16, v29
	;; [unrolled: 1-line block ×3, first 2 shown]
	v_min3_f16 v29, v31, v29, v47
	v_min3_f16 v29, v30, v46, v29
	v_cvt_f32_f16_e32 v29, v29
	v_mad_i64_i32 v[30:31], s[4:5], v26, s7, 0
	v_max_f32_e32 v26, v27, v27
	v_min_f32_e32 v26, v26, v29
	v_cvt_f16_f32_e32 v29, v26
	v_lshl_add_u64 v[26:27], v[30:31], 1, s[2:3]
	v_lshl_add_u64 v[30:31], v[36:37], 1, v[26:27]
	s_and_b64 vcc, exec, s[0:1]
	global_store_short v[30:31], v29, off
	s_cbranch_vccnz .LBB264_80
; %bb.79:
	v_lshl_add_u64 v[28:29], v[40:41], 1, v[24:25]
	global_load_ushort v28, v[28:29], off
	s_waitcnt vmcnt(0)
	v_mul_f16_e32 v28, v58, v28
	v_cvt_f32_f16_e32 v28, v28
.LBB264_80:
	v_pk_add_f16 v29, v0, v20
	v_max_f16_e32 v30, v106, v106
	v_pk_add_f16 v46, v1, v21
	v_min_f16_e32 v30, v30, v29
	v_lshrrev_b32_e32 v31, 16, v106
	v_lshrrev_b32_e32 v29, 16, v29
	;; [unrolled: 1-line block ×3, first 2 shown]
	v_min3_f16 v29, v31, v29, v47
	v_min3_f16 v29, v30, v46, v29
	v_cvt_f32_f16_e32 v29, v29
	v_max_f32_e32 v28, v28, v28
	s_and_b64 vcc, exec, s[0:1]
	v_min_f32_e32 v28, v28, v29
	v_cvt_f16_f32_e32 v30, v28
	v_lshl_add_u64 v[28:29], v[40:41], 1, v[26:27]
	global_store_short v[28:29], v30, off
	v_mov_b32_e32 v28, 0
	v_mov_b32_e32 v29, 0
	s_cbranch_vccnz .LBB264_82
; %bb.81:
	v_lshl_add_u64 v[30:31], v[42:43], 1, v[24:25]
	global_load_ushort v29, v[30:31], off
	s_waitcnt vmcnt(0)
	v_mul_f16_e32 v29, v58, v29
	v_cvt_f32_f16_e32 v29, v29
.LBB264_82:
	v_pk_add_f16 v30, v2, v20
	v_max_f16_e32 v31, v105, v105
	v_pk_add_f16 v47, v3, v21
	v_min_f16_e32 v31, v31, v30
	v_lshrrev_b32_e32 v46, 16, v105
	v_lshrrev_b32_e32 v30, 16, v30
	;; [unrolled: 1-line block ×3, first 2 shown]
	v_min3_f16 v30, v46, v30, v48
	v_min3_f16 v30, v31, v47, v30
	v_cvt_f32_f16_e32 v30, v30
	v_max_f32_e32 v29, v29, v29
	s_and_b64 vcc, exec, s[0:1]
	v_min_f32_e32 v29, v29, v30
	v_cvt_f16_f32_e32 v29, v29
	v_lshl_add_u64 v[30:31], v[42:43], 1, v[26:27]
	global_store_short v[30:31], v29, off
	s_cbranch_vccnz .LBB264_84
; %bb.83:
	v_lshl_add_u64 v[24:25], v[44:45], 1, v[24:25]
	global_load_ushort v24, v[24:25], off
	s_waitcnt vmcnt(0)
	v_mul_f16_e32 v24, v58, v24
	v_cvt_f32_f16_e32 v28, v24
.LBB264_84:
	v_pk_add_f16 v20, v32, v20
	v_max_f16_e32 v24, v104, v104
	v_pk_add_f16 v21, v33, v21
	v_min_f16_e32 v24, v24, v20
	v_lshrrev_b32_e32 v25, 16, v104
	v_lshrrev_b32_e32 v20, 16, v20
	v_lshrrev_b32_e32 v29, 16, v21
	v_min3_f16 v20, v25, v20, v29
	v_min3_f16 v20, v24, v21, v20
	v_cvt_f32_f16_e32 v20, v20
	v_max_f32_e32 v21, v28, v28
	s_and_b64 vcc, exec, s[0:1]
	v_mov_b32_e32 v25, 0
	v_min_f32_e32 v20, v21, v20
	v_cvt_f16_f32_e32 v24, v20
	v_lshl_add_u64 v[20:21], v[44:45], 1, v[26:27]
	v_mov_b32_e32 v26, 0
	global_store_short v[20:21], v24, off
	v_add_u32_e32 v24, 48, v52
	v_mad_i64_i32 v[20:21], s[4:5], v24, s6, 0
	v_lshl_add_u64 v[20:21], v[20:21], 1, s[10:11]
	s_cbranch_vccnz .LBB264_86
; %bb.85:
	v_lshl_add_u64 v[28:29], v[36:37], 1, v[20:21]
	global_load_ushort v25, v[28:29], off
	s_waitcnt vmcnt(0)
	v_mul_f16_e32 v25, v58, v25
	v_cvt_f32_f16_e32 v25, v25
.LBB264_86:
	v_pk_add_f16 v27, v38, v22
	v_max_f16_e32 v28, v103, v103
	v_pk_add_f16 v30, v39, v23
	v_min_f16_e32 v28, v28, v27
	v_lshrrev_b32_e32 v29, 16, v103
	v_lshrrev_b32_e32 v27, 16, v27
	;; [unrolled: 1-line block ×3, first 2 shown]
	v_min3_f16 v27, v29, v27, v31
	v_min3_f16 v27, v28, v30, v27
	v_cvt_f32_f16_e32 v27, v27
	v_mad_i64_i32 v[28:29], s[4:5], v24, s7, 0
	v_max_f32_e32 v24, v25, v25
	v_min_f32_e32 v24, v24, v27
	v_cvt_f16_f32_e32 v27, v24
	v_lshl_add_u64 v[24:25], v[28:29], 1, s[2:3]
	v_lshl_add_u64 v[28:29], v[36:37], 1, v[24:25]
	s_and_b64 vcc, exec, s[0:1]
	global_store_short v[28:29], v27, off
	s_cbranch_vccnz .LBB264_88
; %bb.87:
	v_lshl_add_u64 v[26:27], v[40:41], 1, v[20:21]
	global_load_ushort v26, v[26:27], off
	s_waitcnt vmcnt(0)
	v_mul_f16_e32 v26, v58, v26
	v_cvt_f32_f16_e32 v26, v26
.LBB264_88:
	v_pk_add_f16 v27, v0, v22
	v_max_f16_e32 v28, v102, v102
	v_pk_add_f16 v30, v1, v23
	v_min_f16_e32 v28, v28, v27
	v_lshrrev_b32_e32 v29, 16, v102
	v_lshrrev_b32_e32 v27, 16, v27
	v_lshrrev_b32_e32 v31, 16, v30
	v_min3_f16 v27, v29, v27, v31
	v_min3_f16 v27, v28, v30, v27
	v_cvt_f32_f16_e32 v27, v27
	v_max_f32_e32 v26, v26, v26
	s_and_b64 vcc, exec, s[0:1]
	v_min_f32_e32 v26, v26, v27
	v_cvt_f16_f32_e32 v28, v26
	v_lshl_add_u64 v[26:27], v[40:41], 1, v[24:25]
	global_store_short v[26:27], v28, off
	v_mov_b32_e32 v26, 0
	v_mov_b32_e32 v27, 0
	s_cbranch_vccnz .LBB264_90
; %bb.89:
	v_lshl_add_u64 v[28:29], v[42:43], 1, v[20:21]
	global_load_ushort v27, v[28:29], off
	s_waitcnt vmcnt(0)
	v_mul_f16_e32 v27, v58, v27
	v_cvt_f32_f16_e32 v27, v27
.LBB264_90:
	v_pk_add_f16 v28, v2, v22
	v_max_f16_e32 v29, v100, v100
	v_pk_add_f16 v31, v3, v23
	v_min_f16_e32 v29, v29, v28
	v_lshrrev_b32_e32 v30, 16, v100
	v_lshrrev_b32_e32 v28, 16, v28
	;; [unrolled: 1-line block ×3, first 2 shown]
	v_min3_f16 v28, v30, v28, v46
	v_min3_f16 v28, v29, v31, v28
	v_cvt_f32_f16_e32 v28, v28
	v_max_f32_e32 v27, v27, v27
	s_and_b64 vcc, exec, s[0:1]
	v_min_f32_e32 v27, v27, v28
	v_cvt_f16_f32_e32 v27, v27
	v_lshl_add_u64 v[28:29], v[42:43], 1, v[24:25]
	global_store_short v[28:29], v27, off
	s_cbranch_vccnz .LBB264_92
; %bb.91:
	v_lshl_add_u64 v[20:21], v[44:45], 1, v[20:21]
	global_load_ushort v20, v[20:21], off
	s_waitcnt vmcnt(0)
	v_mul_f16_e32 v20, v58, v20
	v_cvt_f32_f16_e32 v26, v20
.LBB264_92:
	v_pk_add_f16 v20, v32, v22
	v_max_f16_e32 v21, v99, v99
	v_pk_add_f16 v23, v33, v23
	v_min_f16_e32 v21, v21, v20
	v_lshrrev_b32_e32 v22, 16, v99
	v_lshrrev_b32_e32 v20, 16, v20
	;; [unrolled: 1-line block ×3, first 2 shown]
	v_min3_f16 v20, v22, v20, v27
	v_min3_f16 v20, v21, v23, v20
	v_cvt_f32_f16_e32 v20, v20
	v_max_f32_e32 v21, v26, v26
	s_and_b64 vcc, exec, s[0:1]
	v_mov_b32_e32 v23, 0
	v_min_f32_e32 v20, v21, v20
	v_cvt_f16_f32_e32 v22, v20
	v_lshl_add_u64 v[20:21], v[44:45], 1, v[24:25]
	v_mov_b32_e32 v24, 0
	global_store_short v[20:21], v22, off
	v_add_u32_e32 v22, 56, v52
	v_mad_i64_i32 v[20:21], s[4:5], v22, s6, 0
	v_lshl_add_u64 v[20:21], v[20:21], 1, s[10:11]
	s_cbranch_vccnz .LBB264_94
; %bb.93:
	v_lshl_add_u64 v[26:27], v[36:37], 1, v[20:21]
	global_load_ushort v23, v[26:27], off
	s_waitcnt vmcnt(0)
	v_mul_f16_e32 v23, v58, v23
	v_cvt_f32_f16_e32 v23, v23
.LBB264_94:
	v_pk_add_f16 v25, v38, v16
	v_max_f16_e32 v26, v97, v97
	v_pk_add_f16 v28, v39, v17
	v_min_f16_e32 v26, v26, v25
	v_lshrrev_b32_e32 v27, 16, v97
	v_lshrrev_b32_e32 v25, 16, v25
	;; [unrolled: 1-line block ×3, first 2 shown]
	v_min3_f16 v25, v27, v25, v29
	v_min3_f16 v25, v26, v28, v25
	v_cvt_f32_f16_e32 v25, v25
	v_mad_i64_i32 v[26:27], s[4:5], v22, s7, 0
	v_max_f32_e32 v22, v23, v23
	v_min_f32_e32 v22, v22, v25
	v_cvt_f16_f32_e32 v25, v22
	v_lshl_add_u64 v[22:23], v[26:27], 1, s[2:3]
	v_lshl_add_u64 v[26:27], v[36:37], 1, v[22:23]
	s_and_b64 vcc, exec, s[0:1]
	global_store_short v[26:27], v25, off
	s_cbranch_vccnz .LBB264_96
; %bb.95:
	v_lshl_add_u64 v[24:25], v[40:41], 1, v[20:21]
	global_load_ushort v24, v[24:25], off
	s_waitcnt vmcnt(0)
	v_mul_f16_e32 v24, v58, v24
	v_cvt_f32_f16_e32 v24, v24
.LBB264_96:
	v_pk_add_f16 v25, v0, v16
	v_max_f16_e32 v26, v96, v96
	v_pk_add_f16 v28, v1, v17
	v_min_f16_e32 v26, v26, v25
	v_lshrrev_b32_e32 v27, 16, v96
	v_lshrrev_b32_e32 v25, 16, v25
	;; [unrolled: 1-line block ×3, first 2 shown]
	v_min3_f16 v25, v27, v25, v29
	v_min3_f16 v25, v26, v28, v25
	v_cvt_f32_f16_e32 v25, v25
	v_max_f32_e32 v24, v24, v24
	s_and_b64 vcc, exec, s[0:1]
	v_min_f32_e32 v24, v24, v25
	v_cvt_f16_f32_e32 v26, v24
	v_lshl_add_u64 v[24:25], v[40:41], 1, v[22:23]
	global_store_short v[24:25], v26, off
	v_mov_b32_e32 v24, 0
	v_mov_b32_e32 v25, 0
	s_cbranch_vccnz .LBB264_98
; %bb.97:
	v_lshl_add_u64 v[26:27], v[42:43], 1, v[20:21]
	global_load_ushort v25, v[26:27], off
	s_waitcnt vmcnt(0)
	v_mul_f16_e32 v25, v58, v25
	v_cvt_f32_f16_e32 v25, v25
.LBB264_98:
	v_pk_add_f16 v26, v2, v16
	v_max_f16_e32 v27, v94, v94
	v_pk_add_f16 v29, v3, v17
	v_min_f16_e32 v27, v27, v26
	v_lshrrev_b32_e32 v28, 16, v94
	v_lshrrev_b32_e32 v26, 16, v26
	;; [unrolled: 1-line block ×3, first 2 shown]
	v_min3_f16 v26, v28, v26, v30
	v_min3_f16 v26, v27, v29, v26
	v_cvt_f32_f16_e32 v26, v26
	v_max_f32_e32 v25, v25, v25
	s_and_b64 vcc, exec, s[0:1]
	v_min_f32_e32 v25, v25, v26
	v_cvt_f16_f32_e32 v25, v25
	v_lshl_add_u64 v[26:27], v[42:43], 1, v[22:23]
	global_store_short v[26:27], v25, off
	s_cbranch_vccnz .LBB264_100
; %bb.99:
	v_lshl_add_u64 v[20:21], v[44:45], 1, v[20:21]
	global_load_ushort v20, v[20:21], off
	s_waitcnt vmcnt(0)
	v_mul_f16_e32 v20, v58, v20
	v_cvt_f32_f16_e32 v24, v20
.LBB264_100:
	v_pk_add_f16 v16, v32, v16
	v_max_f16_e32 v20, v93, v93
	v_pk_add_f16 v17, v33, v17
	v_min_f16_e32 v20, v20, v16
	v_lshrrev_b32_e32 v21, 16, v93
	v_lshrrev_b32_e32 v16, 16, v16
	;; [unrolled: 1-line block ×3, first 2 shown]
	v_min3_f16 v16, v21, v16, v25
	v_min3_f16 v16, v20, v17, v16
	v_cvt_f32_f16_e32 v16, v16
	v_max_f32_e32 v17, v24, v24
	s_and_b64 vcc, exec, s[0:1]
	v_mov_b32_e32 v21, 0
	v_min_f32_e32 v16, v17, v16
	v_cvt_f16_f32_e32 v20, v16
	v_lshl_add_u64 v[16:17], v[44:45], 1, v[22:23]
	v_mov_b32_e32 v22, 0
	global_store_short v[16:17], v20, off
	v_add_u32_e32 v20, 64, v52
	v_mad_i64_i32 v[16:17], s[4:5], v20, s6, 0
	v_lshl_add_u64 v[16:17], v[16:17], 1, s[10:11]
	s_cbranch_vccnz .LBB264_102
; %bb.101:
	v_lshl_add_u64 v[24:25], v[36:37], 1, v[16:17]
	global_load_ushort v21, v[24:25], off
	s_waitcnt vmcnt(0)
	v_mul_f16_e32 v21, v58, v21
	v_cvt_f32_f16_e32 v21, v21
.LBB264_102:
	v_pk_add_f16 v23, v38, v18
	v_max_f16_e32 v24, v92, v92
	v_pk_add_f16 v26, v39, v19
	v_min_f16_e32 v24, v24, v23
	v_lshrrev_b32_e32 v25, 16, v92
	v_lshrrev_b32_e32 v23, 16, v23
	;; [unrolled: 1-line block ×3, first 2 shown]
	v_min3_f16 v23, v25, v23, v27
	v_min3_f16 v23, v24, v26, v23
	v_cvt_f32_f16_e32 v23, v23
	v_mad_i64_i32 v[24:25], s[4:5], v20, s7, 0
	v_max_f32_e32 v20, v21, v21
	v_min_f32_e32 v20, v20, v23
	v_cvt_f16_f32_e32 v23, v20
	v_lshl_add_u64 v[20:21], v[24:25], 1, s[2:3]
	v_lshl_add_u64 v[24:25], v[36:37], 1, v[20:21]
	s_and_b64 vcc, exec, s[0:1]
	global_store_short v[24:25], v23, off
	s_cbranch_vccnz .LBB264_104
; %bb.103:
	v_lshl_add_u64 v[22:23], v[40:41], 1, v[16:17]
	global_load_ushort v22, v[22:23], off
	s_waitcnt vmcnt(0)
	v_mul_f16_e32 v22, v58, v22
	v_cvt_f32_f16_e32 v22, v22
.LBB264_104:
	v_pk_add_f16 v23, v0, v18
	v_max_f16_e32 v24, v91, v91
	v_pk_add_f16 v26, v1, v19
	v_min_f16_e32 v24, v24, v23
	v_lshrrev_b32_e32 v25, 16, v91
	v_lshrrev_b32_e32 v23, 16, v23
	;; [unrolled: 1-line block ×3, first 2 shown]
	v_min3_f16 v23, v25, v23, v27
	v_min3_f16 v23, v24, v26, v23
	v_cvt_f32_f16_e32 v23, v23
	v_max_f32_e32 v22, v22, v22
	s_and_b64 vcc, exec, s[0:1]
	v_min_f32_e32 v22, v22, v23
	v_cvt_f16_f32_e32 v24, v22
	v_lshl_add_u64 v[22:23], v[40:41], 1, v[20:21]
	global_store_short v[22:23], v24, off
	v_mov_b32_e32 v22, 0
	v_mov_b32_e32 v23, 0
	s_cbranch_vccnz .LBB264_106
; %bb.105:
	v_lshl_add_u64 v[24:25], v[42:43], 1, v[16:17]
	global_load_ushort v23, v[24:25], off
	s_waitcnt vmcnt(0)
	v_mul_f16_e32 v23, v58, v23
	v_cvt_f32_f16_e32 v23, v23
.LBB264_106:
	v_pk_add_f16 v24, v2, v18
	v_max_f16_e32 v25, v88, v88
	v_pk_add_f16 v27, v3, v19
	v_min_f16_e32 v25, v25, v24
	v_lshrrev_b32_e32 v26, 16, v88
	v_lshrrev_b32_e32 v24, 16, v24
	;; [unrolled: 1-line block ×3, first 2 shown]
	v_min3_f16 v24, v26, v24, v28
	v_min3_f16 v24, v25, v27, v24
	v_cvt_f32_f16_e32 v24, v24
	v_max_f32_e32 v23, v23, v23
	s_and_b64 vcc, exec, s[0:1]
	v_min_f32_e32 v23, v23, v24
	v_cvt_f16_f32_e32 v23, v23
	v_lshl_add_u64 v[24:25], v[42:43], 1, v[20:21]
	global_store_short v[24:25], v23, off
	s_cbranch_vccnz .LBB264_108
; %bb.107:
	v_lshl_add_u64 v[16:17], v[44:45], 1, v[16:17]
	global_load_ushort v16, v[16:17], off
	s_waitcnt vmcnt(0)
	v_mul_f16_e32 v16, v58, v16
	v_cvt_f32_f16_e32 v22, v16
.LBB264_108:
	v_pk_add_f16 v16, v32, v18
	v_max_f16_e32 v17, v87, v87
	v_pk_add_f16 v19, v33, v19
	v_min_f16_e32 v17, v17, v16
	v_lshrrev_b32_e32 v18, 16, v87
	v_lshrrev_b32_e32 v16, 16, v16
	v_lshrrev_b32_e32 v23, 16, v19
	v_min3_f16 v16, v18, v16, v23
	v_min3_f16 v16, v17, v19, v16
	v_cvt_f32_f16_e32 v16, v16
	v_max_f32_e32 v17, v22, v22
	s_and_b64 vcc, exec, s[0:1]
	v_mov_b32_e32 v19, 0
	v_min_f32_e32 v16, v17, v16
	v_cvt_f16_f32_e32 v18, v16
	v_lshl_add_u64 v[16:17], v[44:45], 1, v[20:21]
	v_mov_b32_e32 v20, 0
	global_store_short v[16:17], v18, off
	v_add_u32_e32 v18, 0x48, v52
	v_mad_i64_i32 v[16:17], s[4:5], v18, s6, 0
	v_lshl_add_u64 v[16:17], v[16:17], 1, s[10:11]
	s_cbranch_vccnz .LBB264_110
; %bb.109:
	v_lshl_add_u64 v[22:23], v[36:37], 1, v[16:17]
	global_load_ushort v19, v[22:23], off
	s_waitcnt vmcnt(0)
	v_mul_f16_e32 v19, v58, v19
	v_cvt_f32_f16_e32 v19, v19
.LBB264_110:
	v_pk_add_f16 v21, v38, v12
	v_max_f16_e32 v22, v86, v86
	v_pk_add_f16 v24, v39, v13
	v_min_f16_e32 v22, v22, v21
	v_lshrrev_b32_e32 v23, 16, v86
	v_lshrrev_b32_e32 v21, 16, v21
	;; [unrolled: 1-line block ×3, first 2 shown]
	v_min3_f16 v21, v23, v21, v25
	v_min3_f16 v21, v22, v24, v21
	v_cvt_f32_f16_e32 v21, v21
	v_mad_i64_i32 v[22:23], s[4:5], v18, s7, 0
	v_max_f32_e32 v18, v19, v19
	v_min_f32_e32 v18, v18, v21
	v_cvt_f16_f32_e32 v21, v18
	v_lshl_add_u64 v[18:19], v[22:23], 1, s[2:3]
	v_lshl_add_u64 v[22:23], v[36:37], 1, v[18:19]
	s_and_b64 vcc, exec, s[0:1]
	global_store_short v[22:23], v21, off
	s_cbranch_vccnz .LBB264_112
; %bb.111:
	v_lshl_add_u64 v[20:21], v[40:41], 1, v[16:17]
	global_load_ushort v20, v[20:21], off
	s_waitcnt vmcnt(0)
	v_mul_f16_e32 v20, v58, v20
	v_cvt_f32_f16_e32 v20, v20
.LBB264_112:
	v_pk_add_f16 v21, v0, v12
	v_max_f16_e32 v22, v85, v85
	v_pk_add_f16 v24, v1, v13
	v_min_f16_e32 v22, v22, v21
	v_lshrrev_b32_e32 v23, 16, v85
	v_lshrrev_b32_e32 v21, 16, v21
	;; [unrolled: 1-line block ×3, first 2 shown]
	v_min3_f16 v21, v23, v21, v25
	v_min3_f16 v21, v22, v24, v21
	v_cvt_f32_f16_e32 v21, v21
	v_max_f32_e32 v20, v20, v20
	s_and_b64 vcc, exec, s[0:1]
	v_min_f32_e32 v20, v20, v21
	v_cvt_f16_f32_e32 v22, v20
	v_lshl_add_u64 v[20:21], v[40:41], 1, v[18:19]
	global_store_short v[20:21], v22, off
	v_mov_b32_e32 v20, 0
	v_mov_b32_e32 v21, 0
	s_cbranch_vccnz .LBB264_114
; %bb.113:
	v_lshl_add_u64 v[22:23], v[42:43], 1, v[16:17]
	global_load_ushort v21, v[22:23], off
	s_waitcnt vmcnt(0)
	v_mul_f16_e32 v21, v58, v21
	v_cvt_f32_f16_e32 v21, v21
.LBB264_114:
	v_pk_add_f16 v22, v2, v12
	v_max_f16_e32 v23, v84, v84
	v_pk_add_f16 v25, v3, v13
	v_min_f16_e32 v23, v23, v22
	v_lshrrev_b32_e32 v24, 16, v84
	v_lshrrev_b32_e32 v22, 16, v22
	;; [unrolled: 1-line block ×3, first 2 shown]
	v_min3_f16 v22, v24, v22, v26
	v_min3_f16 v22, v23, v25, v22
	v_cvt_f32_f16_e32 v22, v22
	v_max_f32_e32 v21, v21, v21
	s_and_b64 vcc, exec, s[0:1]
	v_min_f32_e32 v21, v21, v22
	v_cvt_f16_f32_e32 v21, v21
	v_lshl_add_u64 v[22:23], v[42:43], 1, v[18:19]
	global_store_short v[22:23], v21, off
	s_cbranch_vccnz .LBB264_116
; %bb.115:
	v_lshl_add_u64 v[16:17], v[44:45], 1, v[16:17]
	global_load_ushort v16, v[16:17], off
	s_waitcnt vmcnt(0)
	v_mul_f16_e32 v16, v58, v16
	v_cvt_f32_f16_e32 v20, v16
.LBB264_116:
	v_pk_add_f16 v12, v32, v12
	v_max_f16_e32 v16, v83, v83
	v_pk_add_f16 v13, v33, v13
	v_min_f16_e32 v16, v16, v12
	v_lshrrev_b32_e32 v17, 16, v83
	v_lshrrev_b32_e32 v12, 16, v12
	;; [unrolled: 1-line block ×3, first 2 shown]
	v_min3_f16 v12, v17, v12, v21
	v_min3_f16 v12, v16, v13, v12
	v_cvt_f32_f16_e32 v12, v12
	v_max_f32_e32 v13, v20, v20
	s_and_b64 vcc, exec, s[0:1]
	v_mov_b32_e32 v17, 0
	v_min_f32_e32 v12, v13, v12
	v_cvt_f16_f32_e32 v16, v12
	v_lshl_add_u64 v[12:13], v[44:45], 1, v[18:19]
	v_mov_b32_e32 v18, 0
	global_store_short v[12:13], v16, off
	v_add_u32_e32 v16, 0x50, v52
	v_mad_i64_i32 v[12:13], s[4:5], v16, s6, 0
	v_lshl_add_u64 v[12:13], v[12:13], 1, s[10:11]
	s_cbranch_vccnz .LBB264_118
; %bb.117:
	v_lshl_add_u64 v[20:21], v[36:37], 1, v[12:13]
	global_load_ushort v17, v[20:21], off
	s_waitcnt vmcnt(0)
	v_mul_f16_e32 v17, v58, v17
	v_cvt_f32_f16_e32 v17, v17
.LBB264_118:
	v_pk_add_f16 v19, v38, v14
	v_max_f16_e32 v20, v82, v82
	v_pk_add_f16 v22, v39, v15
	v_min_f16_e32 v20, v20, v19
	v_lshrrev_b32_e32 v21, 16, v82
	v_lshrrev_b32_e32 v19, 16, v19
	;; [unrolled: 1-line block ×3, first 2 shown]
	v_min3_f16 v19, v21, v19, v23
	v_min3_f16 v19, v20, v22, v19
	v_cvt_f32_f16_e32 v19, v19
	v_mad_i64_i32 v[20:21], s[4:5], v16, s7, 0
	v_max_f32_e32 v16, v17, v17
	v_min_f32_e32 v16, v16, v19
	v_cvt_f16_f32_e32 v19, v16
	v_lshl_add_u64 v[16:17], v[20:21], 1, s[2:3]
	v_lshl_add_u64 v[20:21], v[36:37], 1, v[16:17]
	s_and_b64 vcc, exec, s[0:1]
	global_store_short v[20:21], v19, off
	s_cbranch_vccnz .LBB264_120
; %bb.119:
	v_lshl_add_u64 v[18:19], v[40:41], 1, v[12:13]
	global_load_ushort v18, v[18:19], off
	s_waitcnt vmcnt(0)
	v_mul_f16_e32 v18, v58, v18
	v_cvt_f32_f16_e32 v18, v18
.LBB264_120:
	v_pk_add_f16 v19, v0, v14
	v_max_f16_e32 v20, v81, v81
	v_pk_add_f16 v22, v1, v15
	v_min_f16_e32 v20, v20, v19
	v_lshrrev_b32_e32 v21, 16, v81
	v_lshrrev_b32_e32 v19, 16, v19
	;; [unrolled: 1-line block ×3, first 2 shown]
	v_min3_f16 v19, v21, v19, v23
	v_min3_f16 v19, v20, v22, v19
	v_cvt_f32_f16_e32 v19, v19
	v_max_f32_e32 v18, v18, v18
	s_and_b64 vcc, exec, s[0:1]
	v_min_f32_e32 v18, v18, v19
	v_cvt_f16_f32_e32 v20, v18
	v_lshl_add_u64 v[18:19], v[40:41], 1, v[16:17]
	global_store_short v[18:19], v20, off
	v_mov_b32_e32 v18, 0
	v_mov_b32_e32 v19, 0
	s_cbranch_vccnz .LBB264_122
; %bb.121:
	v_lshl_add_u64 v[20:21], v[42:43], 1, v[12:13]
	global_load_ushort v19, v[20:21], off
	s_waitcnt vmcnt(0)
	v_mul_f16_e32 v19, v58, v19
	v_cvt_f32_f16_e32 v19, v19
.LBB264_122:
	v_pk_add_f16 v20, v2, v14
	v_max_f16_e32 v21, v80, v80
	v_pk_add_f16 v23, v3, v15
	v_min_f16_e32 v21, v21, v20
	v_lshrrev_b32_e32 v22, 16, v80
	v_lshrrev_b32_e32 v20, 16, v20
	;; [unrolled: 1-line block ×3, first 2 shown]
	v_min3_f16 v20, v22, v20, v24
	v_min3_f16 v20, v21, v23, v20
	v_cvt_f32_f16_e32 v20, v20
	v_max_f32_e32 v19, v19, v19
	s_and_b64 vcc, exec, s[0:1]
	v_min_f32_e32 v19, v19, v20
	v_cvt_f16_f32_e32 v19, v19
	v_lshl_add_u64 v[20:21], v[42:43], 1, v[16:17]
	global_store_short v[20:21], v19, off
	s_cbranch_vccnz .LBB264_124
; %bb.123:
	v_lshl_add_u64 v[12:13], v[44:45], 1, v[12:13]
	global_load_ushort v12, v[12:13], off
	s_waitcnt vmcnt(0)
	v_mul_f16_e32 v12, v58, v12
	v_cvt_f32_f16_e32 v18, v12
.LBB264_124:
	v_pk_add_f16 v12, v32, v14
	v_max_f16_e32 v13, v79, v79
	v_pk_add_f16 v15, v33, v15
	v_min_f16_e32 v13, v13, v12
	v_lshrrev_b32_e32 v14, 16, v79
	v_lshrrev_b32_e32 v12, 16, v12
	;; [unrolled: 1-line block ×3, first 2 shown]
	v_min3_f16 v12, v14, v12, v19
	v_min3_f16 v12, v13, v15, v12
	v_cvt_f32_f16_e32 v12, v12
	v_max_f32_e32 v13, v18, v18
	s_and_b64 vcc, exec, s[0:1]
	v_mov_b32_e32 v15, 0
	v_min_f32_e32 v12, v13, v12
	v_cvt_f16_f32_e32 v14, v12
	v_lshl_add_u64 v[12:13], v[44:45], 1, v[16:17]
	v_mov_b32_e32 v16, 0
	global_store_short v[12:13], v14, off
	v_add_u32_e32 v14, 0x58, v52
	v_mad_i64_i32 v[12:13], s[4:5], v14, s6, 0
	v_lshl_add_u64 v[12:13], v[12:13], 1, s[10:11]
	s_cbranch_vccnz .LBB264_126
; %bb.125:
	v_lshl_add_u64 v[18:19], v[36:37], 1, v[12:13]
	global_load_ushort v15, v[18:19], off
	s_waitcnt vmcnt(0)
	v_mul_f16_e32 v15, v58, v15
	v_cvt_f32_f16_e32 v15, v15
.LBB264_126:
	v_pk_add_f16 v17, v38, v8
	v_max_f16_e32 v18, v78, v78
	v_pk_add_f16 v20, v39, v9
	v_min_f16_e32 v18, v18, v17
	v_lshrrev_b32_e32 v19, 16, v78
	v_lshrrev_b32_e32 v17, 16, v17
	;; [unrolled: 1-line block ×3, first 2 shown]
	v_min3_f16 v17, v19, v17, v21
	v_min3_f16 v17, v18, v20, v17
	v_cvt_f32_f16_e32 v17, v17
	v_mad_i64_i32 v[18:19], s[4:5], v14, s7, 0
	v_max_f32_e32 v14, v15, v15
	v_min_f32_e32 v14, v14, v17
	v_cvt_f16_f32_e32 v17, v14
	v_lshl_add_u64 v[14:15], v[18:19], 1, s[2:3]
	v_lshl_add_u64 v[18:19], v[36:37], 1, v[14:15]
	s_and_b64 vcc, exec, s[0:1]
	global_store_short v[18:19], v17, off
	s_cbranch_vccnz .LBB264_128
; %bb.127:
	v_lshl_add_u64 v[16:17], v[40:41], 1, v[12:13]
	global_load_ushort v16, v[16:17], off
	s_waitcnt vmcnt(0)
	v_mul_f16_e32 v16, v58, v16
	v_cvt_f32_f16_e32 v16, v16
.LBB264_128:
	v_pk_add_f16 v17, v0, v8
	v_max_f16_e32 v18, v77, v77
	v_pk_add_f16 v20, v1, v9
	v_min_f16_e32 v18, v18, v17
	v_lshrrev_b32_e32 v19, 16, v77
	v_lshrrev_b32_e32 v17, 16, v17
	;; [unrolled: 1-line block ×3, first 2 shown]
	v_min3_f16 v17, v19, v17, v21
	v_min3_f16 v17, v18, v20, v17
	v_cvt_f32_f16_e32 v17, v17
	v_max_f32_e32 v16, v16, v16
	s_and_b64 vcc, exec, s[0:1]
	v_min_f32_e32 v16, v16, v17
	v_cvt_f16_f32_e32 v18, v16
	v_lshl_add_u64 v[16:17], v[40:41], 1, v[14:15]
	global_store_short v[16:17], v18, off
	v_mov_b32_e32 v16, 0
	v_mov_b32_e32 v17, 0
	s_cbranch_vccnz .LBB264_130
; %bb.129:
	v_lshl_add_u64 v[18:19], v[42:43], 1, v[12:13]
	global_load_ushort v17, v[18:19], off
	s_waitcnt vmcnt(0)
	v_mul_f16_e32 v17, v58, v17
	v_cvt_f32_f16_e32 v17, v17
.LBB264_130:
	v_pk_add_f16 v18, v2, v8
	v_max_f16_e32 v19, v76, v76
	v_pk_add_f16 v21, v3, v9
	v_min_f16_e32 v19, v19, v18
	v_lshrrev_b32_e32 v20, 16, v76
	v_lshrrev_b32_e32 v18, 16, v18
	;; [unrolled: 1-line block ×3, first 2 shown]
	v_min3_f16 v18, v20, v18, v22
	v_min3_f16 v18, v19, v21, v18
	v_cvt_f32_f16_e32 v18, v18
	v_max_f32_e32 v17, v17, v17
	s_and_b64 vcc, exec, s[0:1]
	v_min_f32_e32 v17, v17, v18
	v_cvt_f16_f32_e32 v17, v17
	v_lshl_add_u64 v[18:19], v[42:43], 1, v[14:15]
	global_store_short v[18:19], v17, off
	s_cbranch_vccnz .LBB264_132
; %bb.131:
	v_lshl_add_u64 v[12:13], v[44:45], 1, v[12:13]
	global_load_ushort v12, v[12:13], off
	s_waitcnt vmcnt(0)
	v_mul_f16_e32 v12, v58, v12
	v_cvt_f32_f16_e32 v16, v12
.LBB264_132:
	v_pk_add_f16 v8, v32, v8
	v_max_f16_e32 v12, v75, v75
	v_pk_add_f16 v9, v33, v9
	v_min_f16_e32 v12, v12, v8
	v_lshrrev_b32_e32 v13, 16, v75
	v_lshrrev_b32_e32 v8, 16, v8
	v_lshrrev_b32_e32 v17, 16, v9
	v_min3_f16 v8, v13, v8, v17
	v_min3_f16 v8, v12, v9, v8
	v_cvt_f32_f16_e32 v8, v8
	v_max_f32_e32 v9, v16, v16
	s_and_b64 vcc, exec, s[0:1]
	v_mov_b32_e32 v13, 0
	v_min_f32_e32 v8, v9, v8
	v_cvt_f16_f32_e32 v12, v8
	v_lshl_add_u64 v[8:9], v[44:45], 1, v[14:15]
	v_mov_b32_e32 v14, 0
	global_store_short v[8:9], v12, off
	v_add_u32_e32 v12, 0x60, v52
	v_mad_i64_i32 v[8:9], s[4:5], v12, s6, 0
	v_lshl_add_u64 v[8:9], v[8:9], 1, s[10:11]
	s_cbranch_vccnz .LBB264_134
; %bb.133:
	v_lshl_add_u64 v[16:17], v[36:37], 1, v[8:9]
	global_load_ushort v13, v[16:17], off
	s_waitcnt vmcnt(0)
	v_mul_f16_e32 v13, v58, v13
	v_cvt_f32_f16_e32 v13, v13
.LBB264_134:
	v_pk_add_f16 v15, v38, v10
	v_max_f16_e32 v16, v74, v74
	v_pk_add_f16 v18, v39, v11
	v_min_f16_e32 v16, v16, v15
	v_lshrrev_b32_e32 v17, 16, v74
	v_lshrrev_b32_e32 v15, 16, v15
	v_lshrrev_b32_e32 v19, 16, v18
	v_min3_f16 v15, v17, v15, v19
	v_min3_f16 v15, v16, v18, v15
	v_cvt_f32_f16_e32 v15, v15
	v_mad_i64_i32 v[16:17], s[4:5], v12, s7, 0
	v_max_f32_e32 v12, v13, v13
	v_min_f32_e32 v12, v12, v15
	v_cvt_f16_f32_e32 v15, v12
	v_lshl_add_u64 v[12:13], v[16:17], 1, s[2:3]
	v_lshl_add_u64 v[16:17], v[36:37], 1, v[12:13]
	s_and_b64 vcc, exec, s[0:1]
	global_store_short v[16:17], v15, off
	s_cbranch_vccnz .LBB264_136
; %bb.135:
	v_lshl_add_u64 v[14:15], v[40:41], 1, v[8:9]
	global_load_ushort v14, v[14:15], off
	s_waitcnt vmcnt(0)
	v_mul_f16_e32 v14, v58, v14
	v_cvt_f32_f16_e32 v14, v14
.LBB264_136:
	v_pk_add_f16 v15, v0, v10
	v_max_f16_e32 v16, v73, v73
	v_pk_add_f16 v18, v1, v11
	v_min_f16_e32 v16, v16, v15
	v_lshrrev_b32_e32 v17, 16, v73
	v_lshrrev_b32_e32 v15, 16, v15
	;; [unrolled: 1-line block ×3, first 2 shown]
	v_min3_f16 v15, v17, v15, v19
	v_min3_f16 v15, v16, v18, v15
	v_cvt_f32_f16_e32 v15, v15
	v_max_f32_e32 v14, v14, v14
	s_and_b64 vcc, exec, s[0:1]
	v_min_f32_e32 v14, v14, v15
	v_cvt_f16_f32_e32 v16, v14
	v_lshl_add_u64 v[14:15], v[40:41], 1, v[12:13]
	global_store_short v[14:15], v16, off
	v_mov_b32_e32 v14, 0
	v_mov_b32_e32 v15, 0
	s_cbranch_vccnz .LBB264_138
; %bb.137:
	v_lshl_add_u64 v[16:17], v[42:43], 1, v[8:9]
	global_load_ushort v15, v[16:17], off
	s_waitcnt vmcnt(0)
	v_mul_f16_e32 v15, v58, v15
	v_cvt_f32_f16_e32 v15, v15
.LBB264_138:
	v_pk_add_f16 v16, v2, v10
	v_max_f16_e32 v17, v72, v72
	v_pk_add_f16 v19, v3, v11
	v_min_f16_e32 v17, v17, v16
	v_lshrrev_b32_e32 v18, 16, v72
	v_lshrrev_b32_e32 v16, 16, v16
	;; [unrolled: 1-line block ×3, first 2 shown]
	v_min3_f16 v16, v18, v16, v20
	v_min3_f16 v16, v17, v19, v16
	v_cvt_f32_f16_e32 v16, v16
	v_max_f32_e32 v15, v15, v15
	s_and_b64 vcc, exec, s[0:1]
	v_min_f32_e32 v15, v15, v16
	v_cvt_f16_f32_e32 v15, v15
	v_lshl_add_u64 v[16:17], v[42:43], 1, v[12:13]
	global_store_short v[16:17], v15, off
	s_cbranch_vccnz .LBB264_140
; %bb.139:
	v_lshl_add_u64 v[8:9], v[44:45], 1, v[8:9]
	global_load_ushort v8, v[8:9], off
	s_waitcnt vmcnt(0)
	v_mul_f16_e32 v8, v58, v8
	v_cvt_f32_f16_e32 v14, v8
.LBB264_140:
	v_pk_add_f16 v8, v32, v10
	v_max_f16_e32 v9, v71, v71
	v_pk_add_f16 v11, v33, v11
	v_min_f16_e32 v9, v9, v8
	v_lshrrev_b32_e32 v10, 16, v71
	v_lshrrev_b32_e32 v8, 16, v8
	v_lshrrev_b32_e32 v15, 16, v11
	v_min3_f16 v8, v10, v8, v15
	v_min3_f16 v8, v9, v11, v8
	v_cvt_f32_f16_e32 v8, v8
	v_max_f32_e32 v9, v14, v14
	s_and_b64 vcc, exec, s[0:1]
	v_mov_b32_e32 v11, 0
	v_min_f32_e32 v8, v9, v8
	v_cvt_f16_f32_e32 v10, v8
	v_lshl_add_u64 v[8:9], v[44:45], 1, v[12:13]
	v_mov_b32_e32 v12, 0
	global_store_short v[8:9], v10, off
	v_add_u32_e32 v10, 0x68, v52
	v_mad_i64_i32 v[8:9], s[4:5], v10, s6, 0
	v_lshl_add_u64 v[8:9], v[8:9], 1, s[10:11]
	s_cbranch_vccnz .LBB264_142
; %bb.141:
	v_lshl_add_u64 v[14:15], v[36:37], 1, v[8:9]
	global_load_ushort v11, v[14:15], off
	s_waitcnt vmcnt(0)
	v_mul_f16_e32 v11, v58, v11
	v_cvt_f32_f16_e32 v11, v11
.LBB264_142:
	v_pk_add_f16 v13, v38, v4
	v_max_f16_e32 v14, v70, v70
	v_pk_add_f16 v16, v39, v5
	v_min_f16_e32 v14, v14, v13
	v_lshrrev_b32_e32 v15, 16, v70
	v_lshrrev_b32_e32 v13, 16, v13
	;; [unrolled: 1-line block ×3, first 2 shown]
	v_min3_f16 v13, v15, v13, v17
	v_min3_f16 v13, v14, v16, v13
	v_cvt_f32_f16_e32 v13, v13
	v_mad_i64_i32 v[14:15], s[4:5], v10, s7, 0
	v_max_f32_e32 v10, v11, v11
	v_min_f32_e32 v10, v10, v13
	v_cvt_f16_f32_e32 v13, v10
	v_lshl_add_u64 v[10:11], v[14:15], 1, s[2:3]
	v_lshl_add_u64 v[14:15], v[36:37], 1, v[10:11]
	s_and_b64 vcc, exec, s[0:1]
	global_store_short v[14:15], v13, off
	s_cbranch_vccnz .LBB264_144
; %bb.143:
	v_lshl_add_u64 v[12:13], v[40:41], 1, v[8:9]
	global_load_ushort v12, v[12:13], off
	s_waitcnt vmcnt(0)
	v_mul_f16_e32 v12, v58, v12
	v_cvt_f32_f16_e32 v12, v12
.LBB264_144:
	v_pk_add_f16 v13, v0, v4
	v_max_f16_e32 v14, v69, v69
	v_pk_add_f16 v16, v1, v5
	v_min_f16_e32 v14, v14, v13
	v_lshrrev_b32_e32 v15, 16, v69
	v_lshrrev_b32_e32 v13, 16, v13
	;; [unrolled: 1-line block ×3, first 2 shown]
	v_min3_f16 v13, v15, v13, v17
	v_min3_f16 v13, v14, v16, v13
	v_cvt_f32_f16_e32 v13, v13
	v_max_f32_e32 v12, v12, v12
	s_and_b64 vcc, exec, s[0:1]
	v_min_f32_e32 v12, v12, v13
	v_cvt_f16_f32_e32 v14, v12
	v_lshl_add_u64 v[12:13], v[40:41], 1, v[10:11]
	global_store_short v[12:13], v14, off
	v_mov_b32_e32 v12, 0
	v_mov_b32_e32 v13, 0
	s_cbranch_vccnz .LBB264_146
; %bb.145:
	v_lshl_add_u64 v[14:15], v[42:43], 1, v[8:9]
	global_load_ushort v13, v[14:15], off
	s_waitcnt vmcnt(0)
	v_mul_f16_e32 v13, v58, v13
	v_cvt_f32_f16_e32 v13, v13
.LBB264_146:
	v_pk_add_f16 v14, v2, v4
	v_max_f16_e32 v15, v68, v68
	v_pk_add_f16 v17, v3, v5
	v_min_f16_e32 v15, v15, v14
	v_lshrrev_b32_e32 v16, 16, v68
	v_lshrrev_b32_e32 v14, 16, v14
	;; [unrolled: 1-line block ×3, first 2 shown]
	v_min3_f16 v14, v16, v14, v18
	v_min3_f16 v14, v15, v17, v14
	v_cvt_f32_f16_e32 v14, v14
	v_max_f32_e32 v13, v13, v13
	s_and_b64 vcc, exec, s[0:1]
	v_min_f32_e32 v13, v13, v14
	v_cvt_f16_f32_e32 v13, v13
	v_lshl_add_u64 v[14:15], v[42:43], 1, v[10:11]
	global_store_short v[14:15], v13, off
	s_cbranch_vccnz .LBB264_148
; %bb.147:
	v_lshl_add_u64 v[8:9], v[44:45], 1, v[8:9]
	global_load_ushort v8, v[8:9], off
	s_waitcnt vmcnt(0)
	v_mul_f16_e32 v8, v58, v8
	v_cvt_f32_f16_e32 v12, v8
.LBB264_148:
	v_pk_add_f16 v4, v32, v4
	v_max_f16_e32 v8, v67, v67
	v_pk_add_f16 v5, v33, v5
	v_min_f16_e32 v8, v8, v4
	v_lshrrev_b32_e32 v9, 16, v67
	v_lshrrev_b32_e32 v4, 16, v4
	;; [unrolled: 1-line block ×3, first 2 shown]
	v_min3_f16 v4, v9, v4, v13
	v_min3_f16 v4, v8, v5, v4
	v_cvt_f32_f16_e32 v4, v4
	v_max_f32_e32 v5, v12, v12
	s_and_b64 vcc, exec, s[0:1]
	v_mov_b32_e32 v9, 0
	v_min_f32_e32 v4, v5, v4
	v_cvt_f16_f32_e32 v8, v4
	v_lshl_add_u64 v[4:5], v[44:45], 1, v[10:11]
	v_mov_b32_e32 v10, 0
	global_store_short v[4:5], v8, off
	v_add_u32_e32 v8, 0x70, v52
	v_mad_i64_i32 v[4:5], s[4:5], v8, s6, 0
	v_lshl_add_u64 v[4:5], v[4:5], 1, s[10:11]
	s_cbranch_vccnz .LBB264_150
; %bb.149:
	v_lshl_add_u64 v[12:13], v[36:37], 1, v[4:5]
	global_load_ushort v9, v[12:13], off
	s_waitcnt vmcnt(0)
	v_mul_f16_e32 v9, v58, v9
	v_cvt_f32_f16_e32 v9, v9
.LBB264_150:
	v_pk_add_f16 v11, v38, v6
	v_max_f16_e32 v12, v66, v66
	v_pk_add_f16 v14, v39, v7
	v_min_f16_e32 v12, v12, v11
	v_lshrrev_b32_e32 v13, 16, v66
	v_lshrrev_b32_e32 v11, 16, v11
	;; [unrolled: 1-line block ×3, first 2 shown]
	v_min3_f16 v11, v13, v11, v15
	v_min3_f16 v11, v12, v14, v11
	v_cvt_f32_f16_e32 v11, v11
	v_mad_i64_i32 v[12:13], s[4:5], v8, s7, 0
	v_max_f32_e32 v8, v9, v9
	v_min_f32_e32 v8, v8, v11
	v_cvt_f16_f32_e32 v11, v8
	v_lshl_add_u64 v[8:9], v[12:13], 1, s[2:3]
	v_lshl_add_u64 v[12:13], v[36:37], 1, v[8:9]
	s_and_b64 vcc, exec, s[0:1]
	global_store_short v[12:13], v11, off
	s_cbranch_vccnz .LBB264_152
; %bb.151:
	v_lshl_add_u64 v[10:11], v[40:41], 1, v[4:5]
	global_load_ushort v10, v[10:11], off
	s_waitcnt vmcnt(0)
	v_mul_f16_e32 v10, v58, v10
	v_cvt_f32_f16_e32 v10, v10
.LBB264_152:
	v_pk_add_f16 v11, v0, v6
	v_max_f16_e32 v12, v65, v65
	v_pk_add_f16 v14, v1, v7
	v_min_f16_e32 v12, v12, v11
	v_lshrrev_b32_e32 v13, 16, v65
	v_lshrrev_b32_e32 v11, 16, v11
	v_lshrrev_b32_e32 v15, 16, v14
	v_min3_f16 v11, v13, v11, v15
	v_min3_f16 v11, v12, v14, v11
	v_cvt_f32_f16_e32 v11, v11
	v_max_f32_e32 v10, v10, v10
	s_and_b64 vcc, exec, s[0:1]
	v_min_f32_e32 v10, v10, v11
	v_cvt_f16_f32_e32 v12, v10
	v_lshl_add_u64 v[10:11], v[40:41], 1, v[8:9]
	global_store_short v[10:11], v12, off
	v_mov_b32_e32 v10, 0
	v_mov_b32_e32 v11, 0
	s_cbranch_vccnz .LBB264_154
; %bb.153:
	v_lshl_add_u64 v[12:13], v[42:43], 1, v[4:5]
	global_load_ushort v11, v[12:13], off
	s_waitcnt vmcnt(0)
	v_mul_f16_e32 v11, v58, v11
	v_cvt_f32_f16_e32 v11, v11
.LBB264_154:
	v_pk_add_f16 v12, v2, v6
	v_max_f16_e32 v13, v64, v64
	v_pk_add_f16 v15, v3, v7
	v_min_f16_e32 v13, v13, v12
	v_lshrrev_b32_e32 v14, 16, v64
	v_lshrrev_b32_e32 v12, 16, v12
	;; [unrolled: 1-line block ×3, first 2 shown]
	v_min3_f16 v12, v14, v12, v16
	v_min3_f16 v12, v13, v15, v12
	v_cvt_f32_f16_e32 v12, v12
	v_max_f32_e32 v11, v11, v11
	s_and_b64 vcc, exec, s[0:1]
	v_min_f32_e32 v11, v11, v12
	v_cvt_f16_f32_e32 v11, v11
	v_lshl_add_u64 v[12:13], v[42:43], 1, v[8:9]
	global_store_short v[12:13], v11, off
	s_cbranch_vccnz .LBB264_156
; %bb.155:
	v_lshl_add_u64 v[4:5], v[44:45], 1, v[4:5]
	global_load_ushort v4, v[4:5], off
	s_waitcnt vmcnt(0)
	v_mul_f16_e32 v4, v58, v4
	v_cvt_f32_f16_e32 v10, v4
.LBB264_156:
	v_pk_add_f16 v4, v32, v6
	v_max_f16_e32 v5, v62, v62
	v_pk_add_f16 v7, v33, v7
	v_min_f16_e32 v5, v5, v4
	v_lshrrev_b32_e32 v6, 16, v62
	v_lshrrev_b32_e32 v4, 16, v4
	;; [unrolled: 1-line block ×3, first 2 shown]
	v_min3_f16 v4, v6, v4, v11
	v_min3_f16 v4, v5, v7, v4
	v_cvt_f32_f16_e32 v4, v4
	v_max_f32_e32 v5, v10, v10
	s_and_b64 vcc, exec, s[0:1]
	v_mov_b32_e32 v7, 0
	v_min_f32_e32 v4, v5, v4
	v_cvt_f16_f32_e32 v6, v4
	v_lshl_add_u64 v[4:5], v[44:45], 1, v[8:9]
	v_mov_b32_e32 v8, 0
	global_store_short v[4:5], v6, off
	v_add_u32_e32 v6, 0x78, v52
	v_mad_i64_i32 v[4:5], s[4:5], v6, s6, 0
	v_lshl_add_u64 v[4:5], v[4:5], 1, s[10:11]
	s_cbranch_vccnz .LBB264_158
; %bb.157:
	v_lshl_add_u64 v[10:11], v[36:37], 1, v[4:5]
	global_load_ushort v7, v[10:11], off
	s_waitcnt vmcnt(0)
	v_mul_f16_e32 v7, v58, v7
	v_cvt_f32_f16_e32 v7, v7
.LBB264_158:
	v_pk_add_f16 v9, v38, v34
	v_max_f16_e32 v10, v61, v61
	v_pk_add_f16 v12, v39, v35
	v_min_f16_e32 v10, v10, v9
	v_lshrrev_b32_e32 v11, 16, v61
	v_lshrrev_b32_e32 v9, 16, v9
	;; [unrolled: 1-line block ×3, first 2 shown]
	v_min3_f16 v9, v11, v9, v13
	v_min3_f16 v9, v10, v12, v9
	v_cvt_f32_f16_e32 v9, v9
	v_mad_i64_i32 v[10:11], s[4:5], v6, s7, 0
	v_max_f32_e32 v6, v7, v7
	v_min_f32_e32 v6, v6, v9
	v_cvt_f16_f32_e32 v9, v6
	v_lshl_add_u64 v[6:7], v[10:11], 1, s[2:3]
	v_lshl_add_u64 v[10:11], v[36:37], 1, v[6:7]
	s_and_b64 vcc, exec, s[0:1]
	global_store_short v[10:11], v9, off
	s_cbranch_vccnz .LBB264_160
; %bb.159:
	v_lshl_add_u64 v[8:9], v[40:41], 1, v[4:5]
	global_load_ushort v8, v[8:9], off
	s_waitcnt vmcnt(0)
	v_mul_f16_e32 v8, v58, v8
	v_cvt_f32_f16_e32 v8, v8
.LBB264_160:
	v_pk_add_f16 v0, v0, v34
	v_max_f16_e32 v9, v59, v59
	v_pk_add_f16 v1, v1, v35
	v_min_f16_e32 v9, v9, v0
	v_lshrrev_b32_e32 v10, 16, v59
	v_lshrrev_b32_e32 v0, 16, v0
	;; [unrolled: 1-line block ×3, first 2 shown]
	v_min3_f16 v0, v10, v0, v11
	v_min3_f16 v0, v9, v1, v0
	v_cvt_f32_f16_e32 v0, v0
	v_max_f32_e32 v8, v8, v8
	v_pk_add_f16 v1, v2, v34
	v_max_f16_e32 v2, v60, v60
	v_min_f32_e32 v0, v8, v0
	v_cvt_f16_f32_e32 v8, v0
	v_pk_add_f16 v3, v3, v35
	v_min_f16_e32 v2, v2, v1
	v_lshrrev_b32_e32 v9, 16, v60
	v_lshrrev_b32_e32 v1, 16, v1
	;; [unrolled: 1-line block ×3, first 2 shown]
	v_min3_f16 v9, v9, v1, v0
	v_lshl_add_u64 v[0:1], v[40:41], 1, v[6:7]
	global_store_short v[0:1], v8, off
	v_min3_f16 v0, v2, v3, v9
	s_mov_b64 s[0:1], -1
	s_mov_b64 vcc, s[8:9]
	s_cbranch_vccz .LBB264_162
; %bb.161:
	v_cvt_f32_f16_e32 v1, v0
	v_lshl_add_u64 v[2:3], v[42:43], 1, v[6:7]
	s_mov_b64 s[0:1], 0
	v_min_f32_e32 v1, 0, v1
	v_cvt_f16_f32_e32 v1, v1
	global_store_short v[2:3], v1, off
.LBB264_162:
	s_andn2_b64 vcc, exec, s[0:1]
	v_mov_b32_e32 v1, 0
	s_cbranch_vccnz .LBB264_164
; %bb.163:
	v_lshlrev_b64 v[2:3], 1, v[42:43]
	v_lshl_add_u64 v[8:9], v[4:5], 0, v[2:3]
	global_load_ushort v8, v[8:9], off
	v_max_f16_e32 v9, v0, v0
	v_lshl_add_u64 v[0:1], v[6:7], 0, v[2:3]
	s_waitcnt vmcnt(0)
	v_mul_f16_e32 v2, v58, v8
	v_min_f16_e32 v2, v2, v9
	global_store_short v[0:1], v2, off
	v_lshl_add_u64 v[0:1], v[44:45], 1, v[4:5]
	global_load_ushort v0, v[0:1], off
	s_waitcnt vmcnt(0)
	v_mul_f16_e32 v0, v58, v0
	v_cvt_f32_f16_e32 v1, v0
.LBB264_164:
	v_pk_add_f16 v0, v32, v34
	v_max_f16_e32 v2, v63, v63
	v_pk_add_f16 v3, v33, v35
	v_min_f16_e32 v2, v2, v0
	v_lshrrev_b32_e32 v4, 16, v63
	v_lshrrev_b32_e32 v0, 16, v0
	;; [unrolled: 1-line block ×3, first 2 shown]
	v_min3_f16 v0, v4, v0, v5
	v_min3_f16 v0, v2, v3, v0
	v_cvt_f32_f16_e32 v0, v0
	v_max_f32_e32 v1, v1, v1
	v_min_f32_e32 v0, v1, v0
	v_cvt_f16_f32_e32 v2, v0
	v_lshl_add_u64 v[0:1], v[44:45], 1, v[6:7]
	global_store_short v[0:1], v2, off
	s_endpgm
	.section	.rodata,"a",@progbits
	.p2align	6, 0x0
	.amdhsa_kernel _ZN12_GLOBAL__N_120geam_min_plus_kernelIDF16_Dv2_DF16_S1_Li32ELi8ELi128ELi128ELi4ELi4ELi64ELi4ELi64ELc84ELc78ELb0ELb0ELb1EPKDF16_S2_DF16_EEviiiT16_PT17_ilS6_ilS4_S6_ilPT18_ili26rocblas_geam_ex_operation_
		.amdhsa_group_segment_fixed_size 4096
		.amdhsa_private_segment_fixed_size 0
		.amdhsa_kernarg_size 136
		.amdhsa_user_sgpr_count 2
		.amdhsa_user_sgpr_dispatch_ptr 0
		.amdhsa_user_sgpr_queue_ptr 0
		.amdhsa_user_sgpr_kernarg_segment_ptr 1
		.amdhsa_user_sgpr_dispatch_id 0
		.amdhsa_user_sgpr_kernarg_preload_length 0
		.amdhsa_user_sgpr_kernarg_preload_offset 0
		.amdhsa_user_sgpr_private_segment_size 0
		.amdhsa_uses_dynamic_stack 0
		.amdhsa_enable_private_segment 0
		.amdhsa_system_sgpr_workgroup_id_x 1
		.amdhsa_system_sgpr_workgroup_id_y 0
		.amdhsa_system_sgpr_workgroup_id_z 1
		.amdhsa_system_sgpr_workgroup_info 0
		.amdhsa_system_vgpr_workitem_id 1
		.amdhsa_next_free_vgpr 173
		.amdhsa_next_free_sgpr 26
		.amdhsa_accum_offset 176
		.amdhsa_reserve_vcc 1
		.amdhsa_float_round_mode_32 0
		.amdhsa_float_round_mode_16_64 0
		.amdhsa_float_denorm_mode_32 3
		.amdhsa_float_denorm_mode_16_64 3
		.amdhsa_dx10_clamp 1
		.amdhsa_ieee_mode 1
		.amdhsa_fp16_overflow 0
		.amdhsa_tg_split 0
		.amdhsa_exception_fp_ieee_invalid_op 0
		.amdhsa_exception_fp_denorm_src 0
		.amdhsa_exception_fp_ieee_div_zero 0
		.amdhsa_exception_fp_ieee_overflow 0
		.amdhsa_exception_fp_ieee_underflow 0
		.amdhsa_exception_fp_ieee_inexact 0
		.amdhsa_exception_int_div_zero 0
	.end_amdhsa_kernel
	.section	.text._ZN12_GLOBAL__N_120geam_min_plus_kernelIDF16_Dv2_DF16_S1_Li32ELi8ELi128ELi128ELi4ELi4ELi64ELi4ELi64ELc84ELc78ELb0ELb0ELb1EPKDF16_S2_DF16_EEviiiT16_PT17_ilS6_ilS4_S6_ilPT18_ili26rocblas_geam_ex_operation_,"axG",@progbits,_ZN12_GLOBAL__N_120geam_min_plus_kernelIDF16_Dv2_DF16_S1_Li32ELi8ELi128ELi128ELi4ELi4ELi64ELi4ELi64ELc84ELc78ELb0ELb0ELb1EPKDF16_S2_DF16_EEviiiT16_PT17_ilS6_ilS4_S6_ilPT18_ili26rocblas_geam_ex_operation_,comdat
.Lfunc_end264:
	.size	_ZN12_GLOBAL__N_120geam_min_plus_kernelIDF16_Dv2_DF16_S1_Li32ELi8ELi128ELi128ELi4ELi4ELi64ELi4ELi64ELc84ELc78ELb0ELb0ELb1EPKDF16_S2_DF16_EEviiiT16_PT17_ilS6_ilS4_S6_ilPT18_ili26rocblas_geam_ex_operation_, .Lfunc_end264-_ZN12_GLOBAL__N_120geam_min_plus_kernelIDF16_Dv2_DF16_S1_Li32ELi8ELi128ELi128ELi4ELi4ELi64ELi4ELi64ELc84ELc78ELb0ELb0ELb1EPKDF16_S2_DF16_EEviiiT16_PT17_ilS6_ilS4_S6_ilPT18_ili26rocblas_geam_ex_operation_
                                        ; -- End function
	.set _ZN12_GLOBAL__N_120geam_min_plus_kernelIDF16_Dv2_DF16_S1_Li32ELi8ELi128ELi128ELi4ELi4ELi64ELi4ELi64ELc84ELc78ELb0ELb0ELb1EPKDF16_S2_DF16_EEviiiT16_PT17_ilS6_ilS4_S6_ilPT18_ili26rocblas_geam_ex_operation_.num_vgpr, 173
	.set _ZN12_GLOBAL__N_120geam_min_plus_kernelIDF16_Dv2_DF16_S1_Li32ELi8ELi128ELi128ELi4ELi4ELi64ELi4ELi64ELc84ELc78ELb0ELb0ELb1EPKDF16_S2_DF16_EEviiiT16_PT17_ilS6_ilS4_S6_ilPT18_ili26rocblas_geam_ex_operation_.num_agpr, 0
	.set _ZN12_GLOBAL__N_120geam_min_plus_kernelIDF16_Dv2_DF16_S1_Li32ELi8ELi128ELi128ELi4ELi4ELi64ELi4ELi64ELc84ELc78ELb0ELb0ELb1EPKDF16_S2_DF16_EEviiiT16_PT17_ilS6_ilS4_S6_ilPT18_ili26rocblas_geam_ex_operation_.numbered_sgpr, 26
	.set _ZN12_GLOBAL__N_120geam_min_plus_kernelIDF16_Dv2_DF16_S1_Li32ELi8ELi128ELi128ELi4ELi4ELi64ELi4ELi64ELc84ELc78ELb0ELb0ELb1EPKDF16_S2_DF16_EEviiiT16_PT17_ilS6_ilS4_S6_ilPT18_ili26rocblas_geam_ex_operation_.num_named_barrier, 0
	.set _ZN12_GLOBAL__N_120geam_min_plus_kernelIDF16_Dv2_DF16_S1_Li32ELi8ELi128ELi128ELi4ELi4ELi64ELi4ELi64ELc84ELc78ELb0ELb0ELb1EPKDF16_S2_DF16_EEviiiT16_PT17_ilS6_ilS4_S6_ilPT18_ili26rocblas_geam_ex_operation_.private_seg_size, 0
	.set _ZN12_GLOBAL__N_120geam_min_plus_kernelIDF16_Dv2_DF16_S1_Li32ELi8ELi128ELi128ELi4ELi4ELi64ELi4ELi64ELc84ELc78ELb0ELb0ELb1EPKDF16_S2_DF16_EEviiiT16_PT17_ilS6_ilS4_S6_ilPT18_ili26rocblas_geam_ex_operation_.uses_vcc, 1
	.set _ZN12_GLOBAL__N_120geam_min_plus_kernelIDF16_Dv2_DF16_S1_Li32ELi8ELi128ELi128ELi4ELi4ELi64ELi4ELi64ELc84ELc78ELb0ELb0ELb1EPKDF16_S2_DF16_EEviiiT16_PT17_ilS6_ilS4_S6_ilPT18_ili26rocblas_geam_ex_operation_.uses_flat_scratch, 0
	.set _ZN12_GLOBAL__N_120geam_min_plus_kernelIDF16_Dv2_DF16_S1_Li32ELi8ELi128ELi128ELi4ELi4ELi64ELi4ELi64ELc84ELc78ELb0ELb0ELb1EPKDF16_S2_DF16_EEviiiT16_PT17_ilS6_ilS4_S6_ilPT18_ili26rocblas_geam_ex_operation_.has_dyn_sized_stack, 0
	.set _ZN12_GLOBAL__N_120geam_min_plus_kernelIDF16_Dv2_DF16_S1_Li32ELi8ELi128ELi128ELi4ELi4ELi64ELi4ELi64ELc84ELc78ELb0ELb0ELb1EPKDF16_S2_DF16_EEviiiT16_PT17_ilS6_ilS4_S6_ilPT18_ili26rocblas_geam_ex_operation_.has_recursion, 0
	.set _ZN12_GLOBAL__N_120geam_min_plus_kernelIDF16_Dv2_DF16_S1_Li32ELi8ELi128ELi128ELi4ELi4ELi64ELi4ELi64ELc84ELc78ELb0ELb0ELb1EPKDF16_S2_DF16_EEviiiT16_PT17_ilS6_ilS4_S6_ilPT18_ili26rocblas_geam_ex_operation_.has_indirect_call, 0
	.section	.AMDGPU.csdata,"",@progbits
; Kernel info:
; codeLenInByte = 18408
; TotalNumSgprs: 32
; NumVgprs: 173
; NumAgprs: 0
; TotalNumVgprs: 173
; ScratchSize: 0
; MemoryBound: 0
; FloatMode: 240
; IeeeMode: 1
; LDSByteSize: 4096 bytes/workgroup (compile time only)
; SGPRBlocks: 3
; VGPRBlocks: 21
; NumSGPRsForWavesPerEU: 32
; NumVGPRsForWavesPerEU: 173
; AccumOffset: 176
; Occupancy: 2
; WaveLimiterHint : 0
; COMPUTE_PGM_RSRC2:SCRATCH_EN: 0
; COMPUTE_PGM_RSRC2:USER_SGPR: 2
; COMPUTE_PGM_RSRC2:TRAP_HANDLER: 0
; COMPUTE_PGM_RSRC2:TGID_X_EN: 1
; COMPUTE_PGM_RSRC2:TGID_Y_EN: 0
; COMPUTE_PGM_RSRC2:TGID_Z_EN: 1
; COMPUTE_PGM_RSRC2:TIDIG_COMP_CNT: 1
; COMPUTE_PGM_RSRC3_GFX90A:ACCUM_OFFSET: 43
; COMPUTE_PGM_RSRC3_GFX90A:TG_SPLIT: 0
	.section	.text._ZN12_GLOBAL__N_120geam_min_plus_kernelIDF16_Dv2_DF16_S1_Li32ELi8ELi128ELi128ELi4ELi4ELi64ELi4ELi64ELc84ELc78ELb1ELb0ELb1EDF16_KDF16_DF16_EEviiiT16_PT17_ilS5_ilS3_S5_ilPT18_ili26rocblas_geam_ex_operation_,"axG",@progbits,_ZN12_GLOBAL__N_120geam_min_plus_kernelIDF16_Dv2_DF16_S1_Li32ELi8ELi128ELi128ELi4ELi4ELi64ELi4ELi64ELc84ELc78ELb1ELb0ELb1EDF16_KDF16_DF16_EEviiiT16_PT17_ilS5_ilS3_S5_ilPT18_ili26rocblas_geam_ex_operation_,comdat
	.globl	_ZN12_GLOBAL__N_120geam_min_plus_kernelIDF16_Dv2_DF16_S1_Li32ELi8ELi128ELi128ELi4ELi4ELi64ELi4ELi64ELc84ELc78ELb1ELb0ELb1EDF16_KDF16_DF16_EEviiiT16_PT17_ilS5_ilS3_S5_ilPT18_ili26rocblas_geam_ex_operation_ ; -- Begin function _ZN12_GLOBAL__N_120geam_min_plus_kernelIDF16_Dv2_DF16_S1_Li32ELi8ELi128ELi128ELi4ELi4ELi64ELi4ELi64ELc84ELc78ELb1ELb0ELb1EDF16_KDF16_DF16_EEviiiT16_PT17_ilS5_ilS3_S5_ilPT18_ili26rocblas_geam_ex_operation_
	.p2align	8
	.type	_ZN12_GLOBAL__N_120geam_min_plus_kernelIDF16_Dv2_DF16_S1_Li32ELi8ELi128ELi128ELi4ELi4ELi64ELi4ELi64ELc84ELc78ELb1ELb0ELb1EDF16_KDF16_DF16_EEviiiT16_PT17_ilS5_ilS3_S5_ilPT18_ili26rocblas_geam_ex_operation_,@function
_ZN12_GLOBAL__N_120geam_min_plus_kernelIDF16_Dv2_DF16_S1_Li32ELi8ELi128ELi128ELi4ELi4ELi64ELi4ELi64ELc84ELc78ELb1ELb0ELb1EDF16_KDF16_DF16_EEviiiT16_PT17_ilS5_ilS3_S5_ilPT18_ili26rocblas_geam_ex_operation_: ; @_ZN12_GLOBAL__N_120geam_min_plus_kernelIDF16_Dv2_DF16_S1_Li32ELi8ELi128ELi128ELi4ELi4ELi64ELi4ELi64ELc84ELc78ELb1ELb0ELb1EDF16_KDF16_DF16_EEviiiT16_PT17_ilS5_ilS3_S5_ilPT18_ili26rocblas_geam_ex_operation_
; %bb.0:
	s_load_dwordx2 s[14:15], s[0:1], 0x8
	s_load_dwordx4 s[4:7], s[0:1], 0x20
	s_waitcnt lgkmcnt(0)
	v_cmp_eq_f16_e64 s[8:9], s15, 0
	s_and_b64 vcc, exec, s[8:9]
	s_cbranch_vccnz .LBB265_139
; %bb.1:
	s_load_dwordx2 s[10:11], s[0:1], 0x10
	s_mul_i32 s5, s5, s3
	s_mul_hi_u32 s12, s4, s3
	s_add_i32 s5, s12, s5
	s_mul_i32 s4, s4, s3
	s_lshl_b64 s[4:5], s[4:5], 1
	s_waitcnt lgkmcnt(0)
	s_add_u32 s16, s10, s4
	s_addc_u32 s17, s11, s5
	s_andn2_b64 vcc, exec, s[8:9]
	s_mov_b64 s[4:5], -1
	s_cbranch_vccnz .LBB265_3
.LBB265_2:
	s_mov_b64 s[4:5], 0
.LBB265_3:
	s_mov_b64 s[12:13], 0
	s_andn2_b64 vcc, exec, s[4:5]
	s_mov_b64 s[18:19], 0
	s_cbranch_vccnz .LBB265_5
; %bb.4:
	s_load_dwordx2 s[4:5], s[0:1], 0x38
	s_waitcnt lgkmcnt(0)
	s_mul_i32 s5, s5, s3
	s_mul_hi_u32 s8, s4, s3
	s_add_i32 s5, s8, s5
	s_mul_i32 s4, s4, s3
	s_lshl_b64 s[4:5], s[4:5], 1
	s_add_u32 s18, s6, s4
	s_addc_u32 s19, s7, s5
.LBB265_5:
	s_load_dword s15, s[0:1], 0x40
	s_load_dwordx4 s[8:11], s[0:1], 0x58
	s_waitcnt lgkmcnt(0)
	v_cmp_eq_f16_e64 s[4:5], s15, 0
	s_and_b64 s[4:5], exec, s[4:5]
	s_mov_b64 vcc, s[4:5]
	s_cbranch_vccnz .LBB265_7
; %bb.6:
	s_load_dwordx2 s[6:7], s[0:1], 0x48
	s_mul_i32 s9, s9, s3
	s_mul_hi_u32 s12, s8, s3
	s_add_i32 s9, s12, s9
	s_mul_i32 s8, s8, s3
	s_lshl_b64 s[8:9], s[8:9], 1
	s_waitcnt lgkmcnt(0)
	s_add_u32 s12, s6, s8
	s_addc_u32 s13, s7, s9
.LBB265_7:
	s_load_dword s6, s[0:1], 0x0
	s_load_dword s9, s[0:1], 0x18
	;; [unrolled: 1-line block ×3, first 2 shown]
	v_and_b32_e32 v72, 0x3ff, v0
	v_bfe_u32 v73, v0, 10, 10
	s_waitcnt lgkmcnt(0)
	s_add_i32 s6, s6, -1
	s_ashr_i32 s7, s6, 31
	s_lshr_b32 s7, s7, 25
	s_add_i32 s6, s6, s7
	s_ashr_i32 s6, s6, 7
	s_add_i32 s7, s6, 1
	v_cvt_f32_u32_e32 v1, s7
	s_not_b32 s6, s6
	v_lshl_add_u32 v2, v73, 5, v72
	v_lshrrev_b32_e32 v8, 2, v2
	v_rcp_iflag_f32_e32 v1, v1
	v_lshlrev_b32_e32 v0, 1, v0
	v_mov_b32_e32 v41, 0
	v_and_b32_e32 v40, 6, v0
	v_mul_f32_e32 v1, 0x4f7ffffe, v1
	v_cvt_u32_f32_e32 v1, v1
	v_lshl_or_b32 v87, v8, 3, v40
	v_lshlrev_b32_e32 v78, 3, v72
	v_lshlrev_b32_e32 v76, 3, v73
	v_readfirstlane_b32 s8, v1
	s_mul_i32 s6, s6, s8
	s_mul_hi_u32 s6, s8, s6
	s_add_i32 s8, s8, s6
	s_mul_hi_u32 s6, s2, s8
	s_mul_i32 s8, s6, s7
	s_sub_i32 s8, s2, s8
	s_add_i32 s21, s6, 1
	s_sub_i32 s22, s8, s7
	s_cmp_ge_u32 s8, s7
	s_cselect_b32 s6, s21, s6
	s_cselect_b32 s8, s22, s8
	s_add_i32 s21, s6, 1
	s_cmp_ge_u32 s8, s7
	s_cselect_b32 s6, s21, s6
	s_mul_i32 s7, s6, s7
	s_sub_i32 s2, s2, s7
	s_lshl_b32 s2, s2, 7
	s_lshl_b32 s8, s6, 7
	v_add_u32_e32 v4, s2, v8
	v_mad_i64_i32 v[32:33], s[6:7], v4, s9, 0
	v_add_u32_e32 v4, 64, v4
	v_add_u32_e32 v9, s8, v8
	v_mad_i64_i32 v[34:35], s[6:7], v4, s9, 0
	v_lshl_add_u64 v[4:5], s[18:19], 0, v[40:41]
	v_mad_i64_i32 v[36:37], s[6:7], v9, s20, 0
	v_add_u32_e32 v9, 64, v9
	v_lshl_add_u64 v[0:1], s[16:17], 0, v[40:41]
	v_lshl_add_u64 v[6:7], v[36:37], 1, v[4:5]
	v_mad_i64_i32 v[38:39], s[6:7], v9, s20, 0
	v_lshl_add_u64 v[2:3], v[32:33], 1, v[0:1]
	v_lshl_add_u64 v[0:1], v[34:35], 1, v[0:1]
	;; [unrolled: 1-line block ×3, first 2 shown]
	global_load_ushort v9, v[6:7], off
	global_load_ushort v10, v[4:5], off
	;; [unrolled: 1-line block ×4, first 2 shown]
	global_load_ushort v40, v[4:5], off offset:8
	global_load_ushort v42, v[6:7], off offset:8
	;; [unrolled: 1-line block ×4, first 2 shown]
	v_add_u32_e32 v86, 0x800, v76
	s_movk_i32 s6, 0x7c00
	s_cmp_lt_i32 s14, 9
	s_waitcnt vmcnt(7)
	ds_write_b16 v87, v9 offset:2048
	s_waitcnt vmcnt(6)
	ds_write_b16 v87, v10 offset:2560
	s_waitcnt vmcnt(5)
	ds_write_b16 v87, v11
	s_waitcnt vmcnt(4)
	ds_write_b16 v87, v12 offset:512
	s_waitcnt lgkmcnt(0)
	s_barrier
	ds_read2_b64 v[4:7], v78 offset1:32
	ds_read2_b64 v[0:3], v78 offset0:64 offset1:96
	ds_read2_b64 v[46:49], v86 offset1:8
	ds_read2_b64 v[50:53], v86 offset0:16 offset1:24
	ds_read2_b64 v[28:31], v86 offset0:32 offset1:40
	;; [unrolled: 1-line block ×7, first 2 shown]
	s_waitcnt lgkmcnt(7)
	v_pk_add_f16 v45, v4, v46
	v_pk_add_f16 v54, v6, v46
	v_pk_add_f16 v55, v0, v46
	v_pk_add_f16 v46, v2, v46
	v_pk_add_f16 v56, v4, v48
	v_pk_add_f16 v57, v6, v48
	v_pk_add_f16 v58, v0, v48
	v_pk_add_f16 v48, v2, v48
	s_waitcnt lgkmcnt(6)
	v_pk_add_f16 v59, v4, v50
	v_pk_add_f16 v60, v6, v50
	v_pk_add_f16 v61, v0, v50
	v_pk_add_f16 v50, v2, v50
	v_pk_add_f16 v62, v4, v52
	v_pk_add_f16 v63, v6, v52
	v_pk_add_f16 v64, v0, v52
	v_pk_add_f16 v52, v2, v52
	;; [unrolled: 9-line block ×8, first 2 shown]
	v_pk_add_f16 v2, v5, v47
	v_pk_min_f16 v10, v45, s6 op_sel_hi:[1,0]
	v_pk_min_f16 v8, v8, s6 op_sel_hi:[1,0]
	v_pk_min_f16 v132, v10, v2
	v_pk_add_f16 v2, v7, v47
	v_pk_min_f16 v10, v54, s6 op_sel_hi:[1,0]
	v_pk_min_f16 v4, v4, s6 op_sel_hi:[1,0]
	v_pk_min_f16 v131, v10, v2
	;; [unrolled: 4-line block ×3, first 2 shown]
	v_pk_add_f16 v2, v3, v47
	v_pk_min_f16 v10, v46, s6 op_sel_hi:[1,0]
	s_waitcnt vmcnt(0)
	ds_write_b16 v87, v44 offset:1024
	ds_write_b16 v87, v43 offset:1536
	;; [unrolled: 1-line block ×4, first 2 shown]
	v_pk_min_f16 v129, v10, v2
	v_pk_add_f16 v2, v5, v49
	v_pk_min_f16 v10, v56, s6 op_sel_hi:[1,0]
	s_waitcnt lgkmcnt(0)
	v_pk_min_f16 v128, v10, v2
	v_pk_add_f16 v2, v7, v49
	v_pk_min_f16 v10, v57, s6 op_sel_hi:[1,0]
	s_barrier
	v_pk_min_f16 v127, v10, v2
	v_pk_add_f16 v2, v1, v49
	v_pk_min_f16 v10, v58, s6 op_sel_hi:[1,0]
	s_nop 0
	v_pk_min_f16 v126, v10, v2
	v_pk_add_f16 v2, v3, v49
	v_pk_min_f16 v10, v48, s6 op_sel_hi:[1,0]
	s_nop 0
	v_pk_min_f16 v125, v10, v2
	v_pk_add_f16 v2, v5, v51
	v_pk_min_f16 v10, v59, s6 op_sel_hi:[1,0]
	s_nop 0
	v_pk_min_f16 v124, v10, v2
	v_pk_add_f16 v2, v7, v51
	v_pk_min_f16 v10, v60, s6 op_sel_hi:[1,0]
	s_nop 0
	v_pk_min_f16 v123, v10, v2
	v_pk_add_f16 v2, v1, v51
	v_pk_min_f16 v10, v61, s6 op_sel_hi:[1,0]
	s_nop 0
	v_pk_min_f16 v122, v10, v2
	v_pk_add_f16 v2, v3, v51
	v_pk_min_f16 v10, v50, s6 op_sel_hi:[1,0]
	s_nop 0
	v_pk_min_f16 v121, v10, v2
	v_pk_add_f16 v2, v5, v53
	v_pk_min_f16 v10, v62, s6 op_sel_hi:[1,0]
	s_nop 0
	v_pk_min_f16 v120, v10, v2
	v_pk_add_f16 v2, v7, v53
	v_pk_min_f16 v10, v63, s6 op_sel_hi:[1,0]
	s_nop 0
	v_pk_min_f16 v119, v10, v2
	v_pk_add_f16 v2, v1, v53
	v_pk_min_f16 v10, v64, s6 op_sel_hi:[1,0]
	s_nop 0
	v_pk_min_f16 v118, v10, v2
	v_pk_add_f16 v2, v3, v53
	v_pk_min_f16 v10, v52, s6 op_sel_hi:[1,0]
	s_nop 0
	v_pk_min_f16 v117, v10, v2
	v_pk_add_f16 v2, v5, v29
	v_pk_min_f16 v10, v65, s6 op_sel_hi:[1,0]
	s_nop 0
	v_pk_min_f16 v116, v10, v2
	v_pk_add_f16 v2, v7, v29
	v_pk_min_f16 v10, v66, s6 op_sel_hi:[1,0]
	s_nop 0
	v_pk_min_f16 v115, v10, v2
	v_pk_add_f16 v2, v1, v29
	v_pk_min_f16 v10, v67, s6 op_sel_hi:[1,0]
	s_nop 0
	v_pk_min_f16 v114, v10, v2
	v_pk_add_f16 v2, v3, v29
	v_pk_min_f16 v10, v28, s6 op_sel_hi:[1,0]
	s_nop 0
	v_pk_min_f16 v113, v10, v2
	v_pk_add_f16 v2, v5, v31
	v_pk_min_f16 v10, v68, s6 op_sel_hi:[1,0]
	s_nop 0
	v_pk_min_f16 v112, v10, v2
	v_pk_add_f16 v2, v7, v31
	v_pk_min_f16 v10, v69, s6 op_sel_hi:[1,0]
	s_nop 0
	v_pk_min_f16 v106, v10, v2
	v_pk_add_f16 v2, v1, v31
	v_pk_min_f16 v10, v70, s6 op_sel_hi:[1,0]
	s_nop 0
	v_pk_min_f16 v105, v10, v2
	v_pk_add_f16 v2, v3, v31
	v_pk_min_f16 v10, v30, s6 op_sel_hi:[1,0]
	s_nop 0
	v_pk_min_f16 v104, v10, v2
	v_pk_add_f16 v2, v5, v25
	v_pk_min_f16 v10, v71, s6 op_sel_hi:[1,0]
	s_nop 0
	v_pk_min_f16 v103, v10, v2
	v_pk_add_f16 v2, v7, v25
	v_pk_min_f16 v10, v74, s6 op_sel_hi:[1,0]
	s_nop 0
	v_pk_min_f16 v102, v10, v2
	v_pk_add_f16 v2, v1, v25
	v_pk_min_f16 v10, v75, s6 op_sel_hi:[1,0]
	s_nop 0
	v_pk_min_f16 v101, v10, v2
	v_pk_add_f16 v2, v3, v25
	v_pk_min_f16 v10, v24, s6 op_sel_hi:[1,0]
	s_nop 0
	v_pk_min_f16 v100, v10, v2
	v_pk_add_f16 v2, v5, v27
	v_pk_min_f16 v10, v77, s6 op_sel_hi:[1,0]
	s_nop 0
	v_pk_min_f16 v99, v10, v2
	v_pk_add_f16 v2, v7, v27
	v_pk_min_f16 v10, v79, s6 op_sel_hi:[1,0]
	s_nop 0
	v_pk_min_f16 v98, v10, v2
	v_pk_add_f16 v2, v1, v27
	v_pk_min_f16 v10, v80, s6 op_sel_hi:[1,0]
	s_nop 0
	v_pk_min_f16 v97, v10, v2
	v_pk_add_f16 v2, v3, v27
	v_pk_min_f16 v10, v26, s6 op_sel_hi:[1,0]
	s_nop 0
	v_pk_min_f16 v96, v10, v2
	v_pk_add_f16 v2, v5, v21
	v_pk_min_f16 v10, v81, s6 op_sel_hi:[1,0]
	s_nop 0
	v_pk_min_f16 v95, v10, v2
	v_pk_add_f16 v2, v7, v21
	v_pk_min_f16 v10, v82, s6 op_sel_hi:[1,0]
	s_nop 0
	v_pk_min_f16 v94, v10, v2
	v_pk_add_f16 v2, v1, v21
	v_pk_min_f16 v10, v83, s6 op_sel_hi:[1,0]
	s_nop 0
	v_pk_min_f16 v93, v10, v2
	v_pk_add_f16 v2, v3, v21
	v_pk_min_f16 v10, v20, s6 op_sel_hi:[1,0]
	s_nop 0
	v_pk_min_f16 v92, v10, v2
	v_pk_add_f16 v2, v5, v23
	v_pk_min_f16 v10, v84, s6 op_sel_hi:[1,0]
	s_nop 0
	v_pk_min_f16 v91, v10, v2
	v_pk_add_f16 v2, v7, v23
	v_pk_min_f16 v10, v85, s6 op_sel_hi:[1,0]
	s_nop 0
	v_pk_min_f16 v90, v10, v2
	v_pk_add_f16 v2, v1, v23
	v_pk_min_f16 v10, v88, s6 op_sel_hi:[1,0]
	s_nop 0
	v_pk_min_f16 v89, v10, v2
	v_pk_add_f16 v2, v3, v23
	v_pk_min_f16 v10, v22, s6 op_sel_hi:[1,0]
	s_nop 0
	v_pk_min_f16 v88, v10, v2
	v_pk_add_f16 v2, v5, v17
	v_pk_min_f16 v10, v107, s6 op_sel_hi:[1,0]
	s_nop 0
	v_pk_min_f16 v85, v10, v2
	v_pk_add_f16 v2, v7, v17
	v_pk_min_f16 v10, v108, s6 op_sel_hi:[1,0]
	s_nop 0
	v_pk_min_f16 v84, v10, v2
	v_pk_add_f16 v2, v1, v17
	v_pk_min_f16 v10, v109, s6 op_sel_hi:[1,0]
	s_nop 0
	v_pk_min_f16 v83, v10, v2
	v_pk_add_f16 v2, v3, v17
	v_pk_min_f16 v10, v16, s6 op_sel_hi:[1,0]
	s_nop 0
	v_pk_min_f16 v82, v10, v2
	v_pk_add_f16 v2, v5, v19
	v_pk_min_f16 v10, v110, s6 op_sel_hi:[1,0]
	s_nop 0
	v_pk_min_f16 v81, v10, v2
	v_pk_add_f16 v2, v7, v19
	v_pk_min_f16 v10, v111, s6 op_sel_hi:[1,0]
	s_nop 0
	v_pk_min_f16 v80, v10, v2
	v_pk_add_f16 v2, v1, v19
	v_pk_min_f16 v10, v133, s6 op_sel_hi:[1,0]
	s_nop 0
	v_pk_min_f16 v79, v10, v2
	v_pk_add_f16 v2, v3, v19
	v_pk_min_f16 v10, v18, s6 op_sel_hi:[1,0]
	s_nop 0
	v_pk_min_f16 v77, v10, v2
	v_pk_add_f16 v2, v5, v13
	v_pk_min_f16 v10, v134, s6 op_sel_hi:[1,0]
	s_nop 0
	v_pk_min_f16 v75, v10, v2
	v_pk_add_f16 v2, v7, v13
	v_pk_min_f16 v10, v135, s6 op_sel_hi:[1,0]
	s_nop 0
	v_pk_min_f16 v74, v10, v2
	v_pk_add_f16 v2, v1, v13
	v_pk_min_f16 v10, v136, s6 op_sel_hi:[1,0]
	s_nop 0
	v_pk_min_f16 v71, v10, v2
	v_pk_add_f16 v2, v3, v13
	v_pk_min_f16 v10, v12, s6 op_sel_hi:[1,0]
	s_nop 0
	v_pk_min_f16 v70, v10, v2
	v_pk_add_f16 v2, v5, v15
	v_pk_min_f16 v10, v137, s6 op_sel_hi:[1,0]
	s_nop 0
	v_pk_min_f16 v69, v10, v2
	v_pk_add_f16 v2, v7, v15
	v_pk_min_f16 v10, v138, s6 op_sel_hi:[1,0]
	s_nop 0
	v_pk_min_f16 v68, v10, v2
	v_pk_add_f16 v2, v1, v15
	v_pk_min_f16 v10, v139, s6 op_sel_hi:[1,0]
	s_nop 0
	v_pk_min_f16 v67, v10, v2
	v_pk_add_f16 v2, v3, v15
	v_pk_min_f16 v10, v14, s6 op_sel_hi:[1,0]
	s_nop 0
	v_pk_min_f16 v66, v10, v2
	v_pk_add_f16 v2, v5, v9
	v_pk_min_f16 v10, v140, s6 op_sel_hi:[1,0]
	s_nop 0
	v_pk_min_f16 v65, v10, v2
	v_pk_add_f16 v2, v7, v9
	v_pk_min_f16 v10, v141, s6 op_sel_hi:[1,0]
	s_nop 0
	v_pk_min_f16 v64, v10, v2
	v_pk_add_f16 v2, v1, v9
	v_pk_min_f16 v10, v142, s6 op_sel_hi:[1,0]
	v_pk_add_f16 v1, v1, v11
	v_pk_min_f16 v63, v10, v2
	v_pk_add_f16 v2, v3, v9
	s_nop 0
	v_pk_min_f16 v62, v8, v2
	v_pk_add_f16 v2, v5, v11
	s_nop 0
	v_pk_min_f16 v61, v4, v2
	v_pk_add_f16 v2, v7, v11
	v_pk_min_f16 v4, v6, s6 op_sel_hi:[1,0]
	s_nop 0
	v_pk_min_f16 v60, v4, v2
	v_pk_min_f16 v2, v143, s6 op_sel_hi:[1,0]
	s_nop 0
	v_pk_min_f16 v58, v2, v1
	v_pk_add_f16 v1, v3, v11
	s_nop 0
	v_pk_min_f16 v59, v0, v1
	s_cbranch_scc1 .LBB265_10
; %bb.8:
	v_mov_b32_e32 v0, 0x400
	v_lshl_add_u32 v110, v72, 3, v0
	v_mov_b32_e32 v0, 0xc00
	v_lshl_add_u32 v111, v73, 3, v0
	v_and_b32_e32 v0, 3, v72
	v_add_u32_e32 v107, 0x800, v87
	v_add_u32_e32 v108, 0x400, v87
	;; [unrolled: 1-line block ×3, first 2 shown]
	s_add_i32 s6, s14, -8
	v_lshlrev_b32_e32 v40, 1, v0
	v_lshl_add_u64 v[42:43], v[36:37], 1, s[18:19]
	v_lshl_add_u64 v[44:45], v[38:39], 1, s[18:19]
	;; [unrolled: 1-line block ×4, first 2 shown]
	s_mov_b32 s7, 0
.LBB265_9:                              ; =>This Inner Loop Header: Depth=1
	v_lshl_add_u64 v[54:55], v[46:47], 0, v[40:41]
	v_lshl_add_u64 v[50:51], v[48:49], 0, v[40:41]
	;; [unrolled: 1-line block ×4, first 2 shown]
	ds_read2_b64 v[4:7], v110 offset1:32
	ds_read2_b64 v[0:3], v110 offset0:64 offset1:96
	ds_read2_b64 v[36:39], v111 offset1:8
	ds_read2_b64 v[32:35], v111 offset0:16 offset1:24
	ds_read2_b64 v[28:31], v111 offset0:32 offset1:40
	;; [unrolled: 1-line block ×7, first 2 shown]
	global_load_ushort v133, v[54:55], off offset:16
	global_load_ushort v134, v[50:51], off offset:16
	;; [unrolled: 1-line block ×4, first 2 shown]
	v_pk_max_f16 v132, v132, v132
	v_pk_max_f16 v131, v131, v131
	v_pk_max_f16 v130, v130, v130
	v_pk_max_f16 v129, v129, v129
	v_pk_max_f16 v128, v128, v128
	v_pk_max_f16 v127, v127, v127
	v_pk_max_f16 v126, v126, v126
	v_pk_max_f16 v125, v125, v125
	v_pk_max_f16 v124, v124, v124
	v_pk_max_f16 v123, v123, v123
	v_pk_max_f16 v122, v122, v122
	v_pk_max_f16 v121, v121, v121
	v_pk_max_f16 v120, v120, v120
	v_pk_max_f16 v119, v119, v119
	v_pk_max_f16 v118, v118, v118
	v_pk_max_f16 v117, v117, v117
	v_pk_max_f16 v113, v113, v113
	v_pk_max_f16 v104, v104, v104
	v_pk_max_f16 v100, v100, v100
	v_pk_max_f16 v96, v96, v96
	v_pk_max_f16 v92, v92, v92
	v_pk_max_f16 v88, v88, v88
	v_pk_max_f16 v82, v82, v82
	v_pk_max_f16 v77, v77, v77
	v_pk_max_f16 v70, v70, v70
	v_pk_max_f16 v66, v66, v66
	v_pk_max_f16 v62, v62, v62
	v_pk_max_f16 v61, v61, v61
	v_pk_max_f16 v60, v60, v60
	v_pk_max_f16 v58, v58, v58
	v_pk_max_f16 v59, v59, v59
	s_waitcnt lgkmcnt(7)
	v_pk_add_f16 v137, v4, v36
	v_pk_add_f16 v138, v6, v36
	v_pk_add_f16 v139, v0, v36
	v_pk_add_f16 v36, v2, v36
	v_pk_add_f16 v140, v4, v38
	v_pk_add_f16 v141, v6, v38
	v_pk_add_f16 v142, v0, v38
	v_pk_add_f16 v38, v2, v38
	s_waitcnt lgkmcnt(6)
	v_pk_add_f16 v143, v4, v32
	v_pk_add_f16 v144, v6, v32
	v_pk_add_f16 v145, v0, v32
	v_pk_add_f16 v32, v2, v32
	v_pk_add_f16 v146, v4, v34
	v_pk_add_f16 v147, v6, v34
	v_pk_add_f16 v148, v0, v34
	v_pk_add_f16 v34, v2, v34
	;; [unrolled: 9-line block ×5, first 2 shown]
	s_waitcnt lgkmcnt(2)
	v_pk_add_f16 v167, v4, v16
	v_pk_add_f16 v168, v6, v16
	;; [unrolled: 1-line block ×4, first 2 shown]
	s_waitcnt vmcnt(3)
	ds_write_b16 v87, v133
	s_waitcnt vmcnt(2)
	ds_write_b16 v87, v134 offset:512
	s_waitcnt vmcnt(1)
	ds_write_b16 v107, v135
	s_waitcnt vmcnt(0)
	ds_write_b16 v107, v136 offset:512
	s_waitcnt lgkmcnt(0)
	s_barrier
	global_load_ushort v54, v[54:55], off offset:24
	s_nop 0
	global_load_ushort v55, v[50:51], off offset:24
	global_load_ushort v133, v[52:53], off offset:24
	;; [unrolled: 1-line block ×3, first 2 shown]
	v_pk_add_f16 v170, v4, v18
	v_pk_add_f16 v171, v6, v18
	v_pk_add_f16 v172, v0, v18
	v_pk_add_f16 v18, v2, v18
	v_pk_add_f16 v173, v4, v12
	v_pk_add_f16 v174, v6, v12
	v_pk_add_f16 v175, v0, v12
	v_pk_add_f16 v12, v2, v12
	v_pk_add_f16 v176, v4, v14
	v_pk_add_f16 v177, v6, v14
	v_pk_add_f16 v178, v0, v14
	v_pk_add_f16 v14, v2, v14
	v_pk_add_f16 v179, v4, v8
	v_pk_add_f16 v180, v6, v8
	v_pk_add_f16 v181, v0, v8
	v_pk_add_f16 v8, v2, v8
	v_pk_add_f16 v4, v4, v10
	v_pk_add_f16 v6, v6, v10
	v_pk_add_f16 v0, v0, v10
	v_pk_add_f16 v2, v2, v10
	v_pk_add_f16 v10, v5, v37
	v_pk_add_f16 v182, v7, v37
	v_pk_add_f16 v183, v1, v37
	v_pk_add_f16 v37, v3, v37
	v_pk_add_f16 v184, v5, v39
	v_pk_add_f16 v185, v7, v39
	v_pk_add_f16 v186, v1, v39
	v_pk_add_f16 v39, v3, v39
	v_pk_add_f16 v187, v5, v33
	v_pk_add_f16 v188, v7, v33
	v_pk_add_f16 v189, v1, v33
	v_pk_add_f16 v33, v3, v33
	v_pk_add_f16 v190, v5, v35
	v_pk_add_f16 v191, v7, v35
	v_pk_add_f16 v192, v1, v35
	v_pk_add_f16 v35, v3, v35
	v_pk_add_f16 v193, v5, v29
	v_pk_add_f16 v194, v7, v29
	v_pk_add_f16 v195, v1, v29
	v_pk_add_f16 v29, v3, v29
	v_pk_add_f16 v196, v5, v31
	v_pk_add_f16 v197, v7, v31
	v_pk_add_f16 v198, v1, v31
	v_pk_add_f16 v31, v3, v31
	v_pk_add_f16 v199, v5, v25
	v_pk_add_f16 v200, v7, v25
	v_pk_add_f16 v201, v1, v25
	v_pk_add_f16 v25, v3, v25
	v_pk_add_f16 v202, v5, v27
	v_pk_add_f16 v203, v7, v27
	v_pk_add_f16 v204, v1, v27
	v_pk_add_f16 v27, v3, v27
	v_pk_add_f16 v205, v5, v21
	v_pk_add_f16 v206, v7, v21
	v_pk_add_f16 v207, v1, v21
	v_pk_add_f16 v21, v3, v21
	v_pk_add_f16 v208, v5, v23
	v_pk_add_f16 v209, v7, v23
	v_pk_add_f16 v210, v1, v23
	v_pk_add_f16 v23, v3, v23
	v_pk_add_f16 v211, v5, v17
	v_pk_add_f16 v212, v7, v17
	v_pk_add_f16 v213, v1, v17
	v_pk_add_f16 v17, v3, v17
	v_pk_add_f16 v214, v5, v19
	v_pk_add_f16 v215, v7, v19
	v_pk_add_f16 v216, v1, v19
	v_pk_add_f16 v19, v3, v19
	v_pk_add_f16 v217, v5, v13
	v_pk_add_f16 v218, v7, v13
	v_pk_add_f16 v219, v1, v13
	v_pk_add_f16 v13, v3, v13
	v_pk_add_f16 v220, v5, v15
	v_pk_add_f16 v221, v7, v15
	v_pk_add_f16 v222, v1, v15
	v_pk_add_f16 v15, v3, v15
	v_pk_add_f16 v223, v5, v9
	v_pk_add_f16 v224, v7, v9
	v_pk_add_f16 v225, v1, v9
	v_pk_add_f16 v9, v3, v9
	v_pk_add_f16 v5, v5, v11
	v_pk_add_f16 v7, v7, v11
	v_pk_add_f16 v1, v1, v11
	v_pk_add_f16 v3, v3, v11
	v_pk_min_f16 v11, v132, v137
	v_pk_min_f16 v131, v131, v138
	;; [unrolled: 1-line block ×62, first 2 shown]
	ds_read2_b64 v[0:3], v78 offset1:32
	ds_read2_b64 v[4:7], v78 offset0:64 offset1:96
	ds_read2_b64 v[8:11], v86 offset1:8
	ds_read2_b64 v[12:15], v86 offset0:16 offset1:24
	ds_read2_b64 v[16:19], v86 offset0:32 offset1:40
	;; [unrolled: 1-line block ×7, first 2 shown]
	v_pk_max_f16 v116, v116, v116
	v_pk_max_f16 v115, v115, v115
	;; [unrolled: 1-line block ×33, first 2 shown]
	v_pk_min_f16 v116, v116, v149
	v_pk_min_f16 v115, v115, v150
	;; [unrolled: 1-line block ×66, first 2 shown]
	s_waitcnt lgkmcnt(7)
	v_pk_add_f16 v50, v0, v8
	v_pk_add_f16 v51, v2, v8
	v_pk_add_f16 v52, v4, v8
	v_pk_add_f16 v8, v6, v8
	v_pk_add_f16 v53, v0, v10
	v_pk_add_f16 v56, v2, v10
	v_pk_add_f16 v57, v4, v10
	v_pk_add_f16 v10, v6, v10
	s_waitcnt lgkmcnt(6)
	v_pk_add_f16 v135, v0, v12
	v_pk_add_f16 v136, v2, v12
	v_pk_add_f16 v137, v4, v12
	v_pk_add_f16 v12, v6, v12
	v_pk_add_f16 v138, v0, v14
	v_pk_add_f16 v139, v2, v14
	v_pk_add_f16 v140, v4, v14
	v_pk_add_f16 v14, v6, v14
	;; [unrolled: 9-line block ×8, first 2 shown]
	s_add_i32 s7, s7, 8
	v_pk_add_f16 v38, v1, v9
	v_pk_add_f16 v174, v3, v9
	;; [unrolled: 1-line block ×64, first 2 shown]
	v_pk_min_f16 v39, v58, v50
	v_pk_min_f16 v50, v59, v51
	;; [unrolled: 1-line block ×64, first 2 shown]
	v_lshl_add_u64 v[42:43], v[42:43], 0, 16
	v_lshl_add_u64 v[44:45], v[44:45], 0, 16
	v_lshl_add_u64 v[46:47], v[46:47], 0, 16
	v_lshl_add_u64 v[48:49], v[48:49], 0, 16
	s_cmp_ge_i32 s7, s6
	v_pk_min_f16 v132, v39, v38
	v_pk_min_f16 v131, v50, v174
	;; [unrolled: 1-line block ×64, first 2 shown]
	s_waitcnt vmcnt(3)
	ds_write_b16 v108, v54
	s_waitcnt vmcnt(2)
	ds_write_b16 v108, v55 offset:512
	s_waitcnt vmcnt(1)
	ds_write_b16 v109, v133
	s_waitcnt vmcnt(0)
	ds_write_b16 v109, v134 offset:512
	s_waitcnt lgkmcnt(0)
	s_barrier
	s_cbranch_scc0 .LBB265_9
.LBB265_10:
	s_load_dword s9, s[0:1], 0x50
	ds_read_b64 v[38:39], v78 offset:1024
	ds_read_b64 v[46:47], v76 offset:3072
	v_add_u32_e32 v52, s8, v73
	v_cmp_neq_f16_e64 s[6:7], s15, 0
	v_add_u32_e32 v36, s2, v72
	s_waitcnt lgkmcnt(0)
	v_mad_i64_i32 v[0:1], s[16:17], v52, s9, 0
	v_ashrrev_i32_e32 v37, 31, v36
	v_lshl_add_u64 v[48:49], v[0:1], 1, s[12:13]
	v_mov_b32_e32 v42, 0
	s_and_b64 vcc, exec, s[6:7]
	v_mov_b32_e32 v43, 0
	s_cbranch_vccz .LBB265_12
; %bb.11:
	v_lshl_add_u64 v[0:1], v[36:37], 1, v[48:49]
	global_load_ushort v0, v[0:1], off
	s_waitcnt vmcnt(0)
	v_mul_f16_e32 v0, s15, v0
	v_cvt_f32_f16_e32 v43, v0
.LBB265_12:
	v_add_u32_e32 v4, 0x800, v76
	v_pk_add_f16 v40, v38, v46
	v_max_f16_e32 v41, v132, v132
	v_pk_add_f16 v45, v39, v47
	ds_read2_b64 v[0:3], v78 offset0:160 offset1:192
	ds_read_b64 v[32:33], v78 offset:1792
	ds_read2_b64 v[28:31], v4 offset0:136 offset1:144
	ds_read2_b64 v[24:27], v4 offset0:152 offset1:160
	;; [unrolled: 1-line block ×4, first 2 shown]
	s_load_dword s8, s[0:1], 0x68
	s_load_dwordx2 s[16:17], s[0:1], 0x70
	v_min_f16_e32 v44, v41, v40
	v_lshrrev_b32_e32 v41, 16, v132
	v_lshrrev_b32_e32 v40, 16, v40
	;; [unrolled: 1-line block ×3, first 2 shown]
	v_min3_f16 v50, v41, v40, v50
	v_min3_f16 v44, v44, v45, v50
	v_cvt_f32_f16_e32 v53, v44
	ds_read2_b64 v[12:15], v4 offset0:200 offset1:208
	ds_read2_b64 v[8:11], v4 offset0:216 offset1:224
	;; [unrolled: 1-line block ×3, first 2 shown]
	ds_read_b64 v[34:35], v76 offset:4032
	s_waitcnt lgkmcnt(0)
	s_mul_i32 s0, s17, s3
	s_mul_hi_u32 s1, s16, s3
	s_add_i32 s1, s1, s0
	s_mul_i32 s0, s16, s3
	v_max_f32_e32 v43, v43, v43
	s_lshl_b64 s[0:1], s[0:1], 1
	v_min_f32_e32 v43, v43, v53
	s_add_u32 s2, s10, s0
	v_cvt_f16_f32_e32 v43, v43
	s_addc_u32 s3, s11, s1
	v_mad_i64_i32 v[44:45], s[0:1], v52, s8, 0
	v_add_u32_e32 v40, 32, v36
	v_lshl_add_u64 v[50:51], v[44:45], 1, s[2:3]
	v_cndmask_b32_e64 v53, 0, 1, s[6:7]
	v_ashrrev_i32_e32 v41, 31, v40
	v_lshl_add_u64 v[44:45], v[36:37], 1, v[50:51]
	v_cmp_ne_u32_e64 s[0:1], 1, v53
	s_andn2_b64 vcc, exec, s[6:7]
	global_store_short v[44:45], v43, off
	s_cbranch_vccnz .LBB265_14
; %bb.13:
	v_lshl_add_u64 v[42:43], v[40:41], 1, v[48:49]
	global_load_ushort v42, v[42:43], off
	s_waitcnt vmcnt(0)
	v_mul_f16_e32 v42, s15, v42
	v_cvt_f32_f16_e32 v42, v42
.LBB265_14:
	v_pk_add_f16 v43, v0, v46
	v_max_f16_e32 v44, v131, v131
	v_pk_add_f16 v53, v1, v47
	v_min_f16_e32 v44, v44, v43
	v_lshrrev_b32_e32 v45, 16, v131
	v_lshrrev_b32_e32 v43, 16, v43
	v_lshrrev_b32_e32 v54, 16, v53
	v_min3_f16 v43, v45, v43, v54
	v_min3_f16 v43, v44, v53, v43
	v_cvt_f32_f16_e32 v43, v43
	v_max_f32_e32 v42, v42, v42
	v_lshl_add_u64 v[44:45], v[40:41], 1, v[50:51]
	s_and_b64 vcc, exec, s[0:1]
	v_min_f32_e32 v42, v42, v43
	v_cvt_f16_f32_e32 v53, v42
	v_add_u32_e32 v42, 64, v36
	v_ashrrev_i32_e32 v43, 31, v42
	global_store_short v[44:45], v53, off
	v_mov_b32_e32 v53, 0
	v_mov_b32_e32 v45, 0
	s_cbranch_vccnz .LBB265_16
; %bb.15:
	v_lshl_add_u64 v[44:45], v[42:43], 1, v[48:49]
	global_load_ushort v44, v[44:45], off
	s_waitcnt vmcnt(0)
	v_mul_f16_e32 v44, s15, v44
	v_cvt_f32_f16_e32 v45, v44
.LBB265_16:
	v_pk_add_f16 v44, v2, v46
	v_max_f16_e32 v54, v130, v130
	v_pk_add_f16 v56, v3, v47
	v_min_f16_e32 v54, v54, v44
	v_lshrrev_b32_e32 v55, 16, v130
	v_lshrrev_b32_e32 v44, 16, v44
	;; [unrolled: 1-line block ×3, first 2 shown]
	v_min3_f16 v44, v55, v44, v57
	v_min3_f16 v44, v54, v56, v44
	v_cvt_f32_f16_e32 v54, v44
	v_max_f32_e32 v45, v45, v45
	v_add_u32_e32 v44, 0x60, v36
	s_and_b64 vcc, exec, s[0:1]
	v_min_f32_e32 v45, v45, v54
	v_cvt_f16_f32_e32 v56, v45
	v_ashrrev_i32_e32 v45, 31, v44
	v_lshl_add_u64 v[54:55], v[42:43], 1, v[50:51]
	global_store_short v[54:55], v56, off
	s_cbranch_vccnz .LBB265_18
; %bb.17:
	v_lshl_add_u64 v[48:49], v[44:45], 1, v[48:49]
	global_load_ushort v48, v[48:49], off
	s_waitcnt vmcnt(0)
	v_mul_f16_e32 v48, s15, v48
	v_cvt_f32_f16_e32 v53, v48
.LBB265_18:
	v_pk_add_f16 v46, v32, v46
	v_max_f16_e32 v48, v129, v129
	v_pk_add_f16 v47, v33, v47
	v_min_f16_e32 v48, v48, v46
	v_lshrrev_b32_e32 v49, 16, v129
	v_lshrrev_b32_e32 v46, 16, v46
	;; [unrolled: 1-line block ×3, first 2 shown]
	v_min3_f16 v46, v49, v46, v54
	v_min3_f16 v46, v48, v47, v46
	v_cvt_f32_f16_e32 v46, v46
	v_max_f32_e32 v47, v53, v53
	s_and_b64 vcc, exec, s[0:1]
	v_mov_b32_e32 v49, 0
	v_min_f32_e32 v46, v47, v46
	v_cvt_f16_f32_e32 v48, v46
	v_lshl_add_u64 v[46:47], v[44:45], 1, v[50:51]
	v_mov_b32_e32 v50, 0
	global_store_short v[46:47], v48, off
	v_add_u32_e32 v48, 8, v52
	v_mad_i64_i32 v[46:47], s[6:7], v48, s9, 0
	v_lshl_add_u64 v[46:47], v[46:47], 1, s[12:13]
	s_cbranch_vccnz .LBB265_20
; %bb.19:
	v_lshl_add_u64 v[54:55], v[36:37], 1, v[46:47]
	global_load_ushort v49, v[54:55], off
	s_waitcnt vmcnt(0)
	v_mul_f16_e32 v49, s15, v49
	v_cvt_f32_f16_e32 v49, v49
.LBB265_20:
	v_pk_add_f16 v51, v38, v28
	v_max_f16_e32 v53, v128, v128
	v_pk_add_f16 v55, v39, v29
	v_min_f16_e32 v53, v53, v51
	v_lshrrev_b32_e32 v54, 16, v128
	v_lshrrev_b32_e32 v51, 16, v51
	v_lshrrev_b32_e32 v56, 16, v55
	v_min3_f16 v51, v54, v51, v56
	v_min3_f16 v51, v53, v55, v51
	v_cvt_f32_f16_e32 v51, v51
	v_mad_i64_i32 v[54:55], s[6:7], v48, s8, 0
	v_max_f32_e32 v48, v49, v49
	v_min_f32_e32 v48, v48, v51
	v_cvt_f16_f32_e32 v51, v48
	v_lshl_add_u64 v[48:49], v[54:55], 1, s[2:3]
	v_lshl_add_u64 v[54:55], v[36:37], 1, v[48:49]
	s_and_b64 vcc, exec, s[0:1]
	global_store_short v[54:55], v51, off
	s_cbranch_vccnz .LBB265_22
; %bb.21:
	v_lshl_add_u64 v[50:51], v[40:41], 1, v[46:47]
	global_load_ushort v50, v[50:51], off
	s_waitcnt vmcnt(0)
	v_mul_f16_e32 v50, s15, v50
	v_cvt_f32_f16_e32 v50, v50
.LBB265_22:
	v_pk_add_f16 v51, v0, v28
	v_max_f16_e32 v53, v127, v127
	v_pk_add_f16 v55, v1, v29
	v_min_f16_e32 v53, v53, v51
	v_lshrrev_b32_e32 v54, 16, v127
	v_lshrrev_b32_e32 v51, 16, v51
	;; [unrolled: 1-line block ×3, first 2 shown]
	v_min3_f16 v51, v54, v51, v56
	v_min3_f16 v51, v53, v55, v51
	v_cvt_f32_f16_e32 v51, v51
	v_max_f32_e32 v50, v50, v50
	s_and_b64 vcc, exec, s[0:1]
	v_min_f32_e32 v50, v50, v51
	v_cvt_f16_f32_e32 v53, v50
	v_lshl_add_u64 v[50:51], v[40:41], 1, v[48:49]
	global_store_short v[50:51], v53, off
	v_mov_b32_e32 v50, 0
	v_mov_b32_e32 v51, 0
	s_cbranch_vccnz .LBB265_24
; %bb.23:
	v_lshl_add_u64 v[54:55], v[42:43], 1, v[46:47]
	global_load_ushort v51, v[54:55], off
	s_waitcnt vmcnt(0)
	v_mul_f16_e32 v51, s15, v51
	v_cvt_f32_f16_e32 v51, v51
.LBB265_24:
	v_pk_add_f16 v53, v2, v28
	v_max_f16_e32 v54, v126, v126
	v_pk_add_f16 v56, v3, v29
	v_min_f16_e32 v54, v54, v53
	v_lshrrev_b32_e32 v55, 16, v126
	v_lshrrev_b32_e32 v53, 16, v53
	;; [unrolled: 1-line block ×3, first 2 shown]
	v_min3_f16 v53, v55, v53, v57
	v_min3_f16 v53, v54, v56, v53
	v_cvt_f32_f16_e32 v53, v53
	v_max_f32_e32 v51, v51, v51
	v_lshl_add_u64 v[54:55], v[42:43], 1, v[48:49]
	s_and_b64 vcc, exec, s[0:1]
	v_min_f32_e32 v51, v51, v53
	v_cvt_f16_f32_e32 v51, v51
	global_store_short v[54:55], v51, off
	s_cbranch_vccnz .LBB265_26
; %bb.25:
	v_lshl_add_u64 v[46:47], v[44:45], 1, v[46:47]
	global_load_ushort v46, v[46:47], off
	s_waitcnt vmcnt(0)
	v_mul_f16_e32 v46, s15, v46
	v_cvt_f32_f16_e32 v50, v46
.LBB265_26:
	v_pk_add_f16 v28, v32, v28
	v_max_f16_e32 v46, v125, v125
	v_pk_add_f16 v29, v33, v29
	v_min_f16_e32 v46, v46, v28
	v_lshrrev_b32_e32 v47, 16, v125
	v_lshrrev_b32_e32 v28, 16, v28
	;; [unrolled: 1-line block ×3, first 2 shown]
	v_min3_f16 v28, v47, v28, v51
	v_min3_f16 v28, v46, v29, v28
	v_cvt_f32_f16_e32 v28, v28
	v_max_f32_e32 v29, v50, v50
	s_and_b64 vcc, exec, s[0:1]
	v_mov_b32_e32 v47, 0
	v_min_f32_e32 v28, v29, v28
	v_cvt_f16_f32_e32 v46, v28
	v_lshl_add_u64 v[28:29], v[44:45], 1, v[48:49]
	v_mov_b32_e32 v48, 0
	global_store_short v[28:29], v46, off
	v_add_u32_e32 v46, 16, v52
	v_mad_i64_i32 v[28:29], s[6:7], v46, s9, 0
	v_lshl_add_u64 v[28:29], v[28:29], 1, s[12:13]
	s_cbranch_vccnz .LBB265_28
; %bb.27:
	v_lshl_add_u64 v[50:51], v[36:37], 1, v[28:29]
	global_load_ushort v47, v[50:51], off
	s_waitcnt vmcnt(0)
	v_mul_f16_e32 v47, s15, v47
	v_cvt_f32_f16_e32 v47, v47
.LBB265_28:
	v_pk_add_f16 v49, v38, v30
	v_max_f16_e32 v50, v124, v124
	v_pk_add_f16 v53, v39, v31
	v_min_f16_e32 v50, v50, v49
	v_lshrrev_b32_e32 v51, 16, v124
	v_lshrrev_b32_e32 v49, 16, v49
	;; [unrolled: 1-line block ×3, first 2 shown]
	v_min3_f16 v49, v51, v49, v54
	v_min3_f16 v49, v50, v53, v49
	v_cvt_f32_f16_e32 v49, v49
	v_mad_i64_i32 v[50:51], s[6:7], v46, s8, 0
	v_max_f32_e32 v46, v47, v47
	v_min_f32_e32 v46, v46, v49
	v_cvt_f16_f32_e32 v49, v46
	v_lshl_add_u64 v[46:47], v[50:51], 1, s[2:3]
	v_lshl_add_u64 v[50:51], v[36:37], 1, v[46:47]
	s_and_b64 vcc, exec, s[0:1]
	global_store_short v[50:51], v49, off
	s_cbranch_vccnz .LBB265_30
; %bb.29:
	v_lshl_add_u64 v[48:49], v[40:41], 1, v[28:29]
	global_load_ushort v48, v[48:49], off
	s_waitcnt vmcnt(0)
	v_mul_f16_e32 v48, s15, v48
	v_cvt_f32_f16_e32 v48, v48
.LBB265_30:
	v_pk_add_f16 v49, v0, v30
	v_max_f16_e32 v50, v123, v123
	v_pk_add_f16 v53, v1, v31
	v_min_f16_e32 v50, v50, v49
	v_lshrrev_b32_e32 v51, 16, v123
	v_lshrrev_b32_e32 v49, 16, v49
	;; [unrolled: 1-line block ×3, first 2 shown]
	v_min3_f16 v49, v51, v49, v54
	v_min3_f16 v49, v50, v53, v49
	v_cvt_f32_f16_e32 v49, v49
	v_max_f32_e32 v48, v48, v48
	s_and_b64 vcc, exec, s[0:1]
	v_min_f32_e32 v48, v48, v49
	v_cvt_f16_f32_e32 v50, v48
	v_lshl_add_u64 v[48:49], v[40:41], 1, v[46:47]
	global_store_short v[48:49], v50, off
	v_mov_b32_e32 v48, 0
	v_mov_b32_e32 v49, 0
	s_cbranch_vccnz .LBB265_32
; %bb.31:
	v_lshl_add_u64 v[50:51], v[42:43], 1, v[28:29]
	global_load_ushort v49, v[50:51], off
	s_waitcnt vmcnt(0)
	v_mul_f16_e32 v49, s15, v49
	v_cvt_f32_f16_e32 v49, v49
.LBB265_32:
	v_pk_add_f16 v50, v2, v30
	v_max_f16_e32 v51, v122, v122
	v_pk_add_f16 v54, v3, v31
	v_min_f16_e32 v51, v51, v50
	v_lshrrev_b32_e32 v53, 16, v122
	v_lshrrev_b32_e32 v50, 16, v50
	;; [unrolled: 1-line block ×3, first 2 shown]
	v_min3_f16 v50, v53, v50, v55
	v_min3_f16 v50, v51, v54, v50
	v_cvt_f32_f16_e32 v50, v50
	v_max_f32_e32 v49, v49, v49
	s_and_b64 vcc, exec, s[0:1]
	v_min_f32_e32 v49, v49, v50
	v_cvt_f16_f32_e32 v49, v49
	v_lshl_add_u64 v[50:51], v[42:43], 1, v[46:47]
	global_store_short v[50:51], v49, off
	s_cbranch_vccnz .LBB265_34
; %bb.33:
	v_lshl_add_u64 v[28:29], v[44:45], 1, v[28:29]
	global_load_ushort v28, v[28:29], off
	s_waitcnt vmcnt(0)
	v_mul_f16_e32 v28, s15, v28
	v_cvt_f32_f16_e32 v48, v28
.LBB265_34:
	v_pk_add_f16 v28, v32, v30
	v_max_f16_e32 v29, v121, v121
	v_pk_add_f16 v31, v33, v31
	v_min_f16_e32 v29, v29, v28
	v_lshrrev_b32_e32 v30, 16, v121
	v_lshrrev_b32_e32 v28, 16, v28
	;; [unrolled: 1-line block ×3, first 2 shown]
	v_min3_f16 v28, v30, v28, v49
	v_min3_f16 v28, v29, v31, v28
	v_cvt_f32_f16_e32 v28, v28
	v_max_f32_e32 v29, v48, v48
	s_and_b64 vcc, exec, s[0:1]
	v_mov_b32_e32 v31, 0
	v_min_f32_e32 v28, v29, v28
	v_cvt_f16_f32_e32 v30, v28
	v_lshl_add_u64 v[28:29], v[44:45], 1, v[46:47]
	v_mov_b32_e32 v46, 0
	global_store_short v[28:29], v30, off
	v_add_u32_e32 v30, 24, v52
	v_mad_i64_i32 v[28:29], s[6:7], v30, s9, 0
	v_lshl_add_u64 v[28:29], v[28:29], 1, s[12:13]
	s_cbranch_vccnz .LBB265_36
; %bb.35:
	v_lshl_add_u64 v[48:49], v[36:37], 1, v[28:29]
	global_load_ushort v31, v[48:49], off
	s_waitcnt vmcnt(0)
	v_mul_f16_e32 v31, s15, v31
	v_cvt_f32_f16_e32 v31, v31
.LBB265_36:
	v_pk_add_f16 v47, v38, v24
	v_max_f16_e32 v48, v120, v120
	v_pk_add_f16 v50, v39, v25
	v_min_f16_e32 v48, v48, v47
	v_lshrrev_b32_e32 v49, 16, v120
	v_lshrrev_b32_e32 v47, 16, v47
	;; [unrolled: 1-line block ×3, first 2 shown]
	v_min3_f16 v47, v49, v47, v51
	v_min3_f16 v47, v48, v50, v47
	v_cvt_f32_f16_e32 v47, v47
	v_mad_i64_i32 v[48:49], s[6:7], v30, s8, 0
	v_max_f32_e32 v30, v31, v31
	v_min_f32_e32 v30, v30, v47
	v_cvt_f16_f32_e32 v47, v30
	v_lshl_add_u64 v[30:31], v[48:49], 1, s[2:3]
	v_lshl_add_u64 v[48:49], v[36:37], 1, v[30:31]
	s_and_b64 vcc, exec, s[0:1]
	global_store_short v[48:49], v47, off
	s_cbranch_vccnz .LBB265_38
; %bb.37:
	v_lshl_add_u64 v[46:47], v[40:41], 1, v[28:29]
	global_load_ushort v46, v[46:47], off
	s_waitcnt vmcnt(0)
	v_mul_f16_e32 v46, s15, v46
	v_cvt_f32_f16_e32 v46, v46
.LBB265_38:
	v_pk_add_f16 v47, v0, v24
	v_max_f16_e32 v48, v119, v119
	v_pk_add_f16 v50, v1, v25
	v_min_f16_e32 v48, v48, v47
	v_lshrrev_b32_e32 v49, 16, v119
	v_lshrrev_b32_e32 v47, 16, v47
	;; [unrolled: 1-line block ×3, first 2 shown]
	v_min3_f16 v47, v49, v47, v51
	v_min3_f16 v47, v48, v50, v47
	v_cvt_f32_f16_e32 v47, v47
	v_max_f32_e32 v46, v46, v46
	s_and_b64 vcc, exec, s[0:1]
	v_min_f32_e32 v46, v46, v47
	v_cvt_f16_f32_e32 v48, v46
	v_lshl_add_u64 v[46:47], v[40:41], 1, v[30:31]
	global_store_short v[46:47], v48, off
	v_mov_b32_e32 v46, 0
	v_mov_b32_e32 v47, 0
	s_cbranch_vccnz .LBB265_40
; %bb.39:
	v_lshl_add_u64 v[48:49], v[42:43], 1, v[28:29]
	global_load_ushort v47, v[48:49], off
	s_waitcnt vmcnt(0)
	v_mul_f16_e32 v47, s15, v47
	v_cvt_f32_f16_e32 v47, v47
.LBB265_40:
	v_pk_add_f16 v48, v2, v24
	v_max_f16_e32 v49, v118, v118
	v_pk_add_f16 v51, v3, v25
	v_min_f16_e32 v49, v49, v48
	v_lshrrev_b32_e32 v50, 16, v118
	v_lshrrev_b32_e32 v48, 16, v48
	;; [unrolled: 1-line block ×3, first 2 shown]
	v_min3_f16 v48, v50, v48, v53
	v_min3_f16 v48, v49, v51, v48
	v_cvt_f32_f16_e32 v48, v48
	v_max_f32_e32 v47, v47, v47
	s_and_b64 vcc, exec, s[0:1]
	v_min_f32_e32 v47, v47, v48
	v_cvt_f16_f32_e32 v47, v47
	v_lshl_add_u64 v[48:49], v[42:43], 1, v[30:31]
	global_store_short v[48:49], v47, off
	s_cbranch_vccnz .LBB265_42
; %bb.41:
	v_lshl_add_u64 v[28:29], v[44:45], 1, v[28:29]
	global_load_ushort v28, v[28:29], off
	s_waitcnt vmcnt(0)
	v_mul_f16_e32 v28, s15, v28
	v_cvt_f32_f16_e32 v46, v28
.LBB265_42:
	v_pk_add_f16 v24, v32, v24
	v_max_f16_e32 v28, v117, v117
	v_pk_add_f16 v25, v33, v25
	v_min_f16_e32 v28, v28, v24
	v_lshrrev_b32_e32 v29, 16, v117
	v_lshrrev_b32_e32 v24, 16, v24
	;; [unrolled: 1-line block ×3, first 2 shown]
	v_min3_f16 v24, v29, v24, v47
	v_min3_f16 v24, v28, v25, v24
	v_cvt_f32_f16_e32 v24, v24
	v_max_f32_e32 v25, v46, v46
	s_and_b64 vcc, exec, s[0:1]
	v_mov_b32_e32 v29, 0
	v_min_f32_e32 v24, v25, v24
	v_cvt_f16_f32_e32 v28, v24
	v_lshl_add_u64 v[24:25], v[44:45], 1, v[30:31]
	v_mov_b32_e32 v30, 0
	global_store_short v[24:25], v28, off
	v_add_u32_e32 v28, 32, v52
	v_mad_i64_i32 v[24:25], s[6:7], v28, s9, 0
	v_lshl_add_u64 v[24:25], v[24:25], 1, s[12:13]
	s_cbranch_vccnz .LBB265_44
; %bb.43:
	v_lshl_add_u64 v[46:47], v[36:37], 1, v[24:25]
	global_load_ushort v29, v[46:47], off
	s_waitcnt vmcnt(0)
	v_mul_f16_e32 v29, s15, v29
	v_cvt_f32_f16_e32 v29, v29
.LBB265_44:
	v_pk_add_f16 v31, v38, v26
	v_max_f16_e32 v46, v116, v116
	v_pk_add_f16 v48, v39, v27
	v_min_f16_e32 v46, v46, v31
	v_lshrrev_b32_e32 v47, 16, v116
	v_lshrrev_b32_e32 v31, 16, v31
	;; [unrolled: 1-line block ×3, first 2 shown]
	v_min3_f16 v31, v47, v31, v49
	v_min3_f16 v31, v46, v48, v31
	v_cvt_f32_f16_e32 v31, v31
	v_mad_i64_i32 v[46:47], s[6:7], v28, s8, 0
	v_max_f32_e32 v28, v29, v29
	v_min_f32_e32 v28, v28, v31
	v_cvt_f16_f32_e32 v31, v28
	v_lshl_add_u64 v[28:29], v[46:47], 1, s[2:3]
	v_lshl_add_u64 v[46:47], v[36:37], 1, v[28:29]
	s_and_b64 vcc, exec, s[0:1]
	global_store_short v[46:47], v31, off
	s_cbranch_vccnz .LBB265_46
; %bb.45:
	v_lshl_add_u64 v[30:31], v[40:41], 1, v[24:25]
	global_load_ushort v30, v[30:31], off
	s_waitcnt vmcnt(0)
	v_mul_f16_e32 v30, s15, v30
	v_cvt_f32_f16_e32 v30, v30
.LBB265_46:
	v_pk_add_f16 v31, v0, v26
	v_max_f16_e32 v46, v115, v115
	v_pk_add_f16 v48, v1, v27
	v_min_f16_e32 v46, v46, v31
	v_lshrrev_b32_e32 v47, 16, v115
	v_lshrrev_b32_e32 v31, 16, v31
	;; [unrolled: 1-line block ×3, first 2 shown]
	v_min3_f16 v31, v47, v31, v49
	v_min3_f16 v31, v46, v48, v31
	v_cvt_f32_f16_e32 v31, v31
	v_max_f32_e32 v30, v30, v30
	s_and_b64 vcc, exec, s[0:1]
	v_min_f32_e32 v30, v30, v31
	v_cvt_f16_f32_e32 v46, v30
	v_lshl_add_u64 v[30:31], v[40:41], 1, v[28:29]
	global_store_short v[30:31], v46, off
	v_mov_b32_e32 v30, 0
	v_mov_b32_e32 v31, 0
	s_cbranch_vccnz .LBB265_48
; %bb.47:
	v_lshl_add_u64 v[46:47], v[42:43], 1, v[24:25]
	global_load_ushort v31, v[46:47], off
	s_waitcnt vmcnt(0)
	v_mul_f16_e32 v31, s15, v31
	v_cvt_f32_f16_e32 v31, v31
.LBB265_48:
	v_pk_add_f16 v46, v2, v26
	v_max_f16_e32 v47, v114, v114
	v_pk_add_f16 v49, v3, v27
	v_min_f16_e32 v47, v47, v46
	v_lshrrev_b32_e32 v48, 16, v114
	v_lshrrev_b32_e32 v46, 16, v46
	;; [unrolled: 1-line block ×3, first 2 shown]
	v_min3_f16 v46, v48, v46, v50
	v_min3_f16 v46, v47, v49, v46
	v_cvt_f32_f16_e32 v46, v46
	v_max_f32_e32 v31, v31, v31
	s_and_b64 vcc, exec, s[0:1]
	v_min_f32_e32 v31, v31, v46
	v_cvt_f16_f32_e32 v31, v31
	v_lshl_add_u64 v[46:47], v[42:43], 1, v[28:29]
	global_store_short v[46:47], v31, off
	s_cbranch_vccnz .LBB265_50
; %bb.49:
	v_lshl_add_u64 v[24:25], v[44:45], 1, v[24:25]
	global_load_ushort v24, v[24:25], off
	s_waitcnt vmcnt(0)
	v_mul_f16_e32 v24, s15, v24
	v_cvt_f32_f16_e32 v30, v24
.LBB265_50:
	v_pk_add_f16 v24, v32, v26
	v_max_f16_e32 v25, v113, v113
	v_pk_add_f16 v27, v33, v27
	v_min_f16_e32 v25, v25, v24
	v_lshrrev_b32_e32 v26, 16, v113
	v_lshrrev_b32_e32 v24, 16, v24
	;; [unrolled: 1-line block ×3, first 2 shown]
	v_min3_f16 v24, v26, v24, v31
	v_min3_f16 v24, v25, v27, v24
	v_cvt_f32_f16_e32 v24, v24
	v_max_f32_e32 v25, v30, v30
	s_and_b64 vcc, exec, s[0:1]
	v_mov_b32_e32 v27, 0
	v_min_f32_e32 v24, v25, v24
	v_cvt_f16_f32_e32 v26, v24
	v_lshl_add_u64 v[24:25], v[44:45], 1, v[28:29]
	v_mov_b32_e32 v28, 0
	global_store_short v[24:25], v26, off
	v_add_u32_e32 v26, 40, v52
	v_mad_i64_i32 v[24:25], s[6:7], v26, s9, 0
	v_lshl_add_u64 v[24:25], v[24:25], 1, s[12:13]
	s_cbranch_vccnz .LBB265_52
; %bb.51:
	v_lshl_add_u64 v[30:31], v[36:37], 1, v[24:25]
	global_load_ushort v27, v[30:31], off
	s_waitcnt vmcnt(0)
	v_mul_f16_e32 v27, s15, v27
	v_cvt_f32_f16_e32 v27, v27
.LBB265_52:
	v_pk_add_f16 v29, v38, v20
	v_max_f16_e32 v30, v112, v112
	v_pk_add_f16 v46, v39, v21
	v_min_f16_e32 v30, v30, v29
	v_lshrrev_b32_e32 v31, 16, v112
	v_lshrrev_b32_e32 v29, 16, v29
	;; [unrolled: 1-line block ×3, first 2 shown]
	v_min3_f16 v29, v31, v29, v47
	v_min3_f16 v29, v30, v46, v29
	v_cvt_f32_f16_e32 v29, v29
	v_mad_i64_i32 v[30:31], s[6:7], v26, s8, 0
	v_max_f32_e32 v26, v27, v27
	v_min_f32_e32 v26, v26, v29
	v_cvt_f16_f32_e32 v29, v26
	v_lshl_add_u64 v[26:27], v[30:31], 1, s[2:3]
	v_lshl_add_u64 v[30:31], v[36:37], 1, v[26:27]
	s_and_b64 vcc, exec, s[0:1]
	global_store_short v[30:31], v29, off
	s_cbranch_vccnz .LBB265_54
; %bb.53:
	v_lshl_add_u64 v[28:29], v[40:41], 1, v[24:25]
	global_load_ushort v28, v[28:29], off
	s_waitcnt vmcnt(0)
	v_mul_f16_e32 v28, s15, v28
	v_cvt_f32_f16_e32 v28, v28
.LBB265_54:
	v_pk_add_f16 v29, v0, v20
	v_max_f16_e32 v30, v106, v106
	v_pk_add_f16 v46, v1, v21
	v_min_f16_e32 v30, v30, v29
	v_lshrrev_b32_e32 v31, 16, v106
	v_lshrrev_b32_e32 v29, 16, v29
	;; [unrolled: 1-line block ×3, first 2 shown]
	v_min3_f16 v29, v31, v29, v47
	v_min3_f16 v29, v30, v46, v29
	v_cvt_f32_f16_e32 v29, v29
	v_max_f32_e32 v28, v28, v28
	s_and_b64 vcc, exec, s[0:1]
	v_min_f32_e32 v28, v28, v29
	v_cvt_f16_f32_e32 v30, v28
	v_lshl_add_u64 v[28:29], v[40:41], 1, v[26:27]
	global_store_short v[28:29], v30, off
	v_mov_b32_e32 v28, 0
	v_mov_b32_e32 v29, 0
	s_cbranch_vccnz .LBB265_56
; %bb.55:
	v_lshl_add_u64 v[30:31], v[42:43], 1, v[24:25]
	global_load_ushort v29, v[30:31], off
	s_waitcnt vmcnt(0)
	v_mul_f16_e32 v29, s15, v29
	v_cvt_f32_f16_e32 v29, v29
.LBB265_56:
	v_pk_add_f16 v30, v2, v20
	v_max_f16_e32 v31, v105, v105
	v_pk_add_f16 v47, v3, v21
	v_min_f16_e32 v31, v31, v30
	v_lshrrev_b32_e32 v46, 16, v105
	v_lshrrev_b32_e32 v30, 16, v30
	;; [unrolled: 1-line block ×3, first 2 shown]
	v_min3_f16 v30, v46, v30, v48
	v_min3_f16 v30, v31, v47, v30
	v_cvt_f32_f16_e32 v30, v30
	v_max_f32_e32 v29, v29, v29
	s_and_b64 vcc, exec, s[0:1]
	v_min_f32_e32 v29, v29, v30
	v_cvt_f16_f32_e32 v29, v29
	v_lshl_add_u64 v[30:31], v[42:43], 1, v[26:27]
	global_store_short v[30:31], v29, off
	s_cbranch_vccnz .LBB265_58
; %bb.57:
	v_lshl_add_u64 v[24:25], v[44:45], 1, v[24:25]
	global_load_ushort v24, v[24:25], off
	s_waitcnt vmcnt(0)
	v_mul_f16_e32 v24, s15, v24
	v_cvt_f32_f16_e32 v28, v24
.LBB265_58:
	v_pk_add_f16 v20, v32, v20
	v_max_f16_e32 v24, v104, v104
	v_pk_add_f16 v21, v33, v21
	v_min_f16_e32 v24, v24, v20
	v_lshrrev_b32_e32 v25, 16, v104
	v_lshrrev_b32_e32 v20, 16, v20
	;; [unrolled: 1-line block ×3, first 2 shown]
	v_min3_f16 v20, v25, v20, v29
	v_min3_f16 v20, v24, v21, v20
	v_cvt_f32_f16_e32 v20, v20
	v_max_f32_e32 v21, v28, v28
	s_and_b64 vcc, exec, s[0:1]
	v_mov_b32_e32 v25, 0
	v_min_f32_e32 v20, v21, v20
	v_cvt_f16_f32_e32 v24, v20
	v_lshl_add_u64 v[20:21], v[44:45], 1, v[26:27]
	v_mov_b32_e32 v26, 0
	global_store_short v[20:21], v24, off
	v_add_u32_e32 v24, 48, v52
	v_mad_i64_i32 v[20:21], s[6:7], v24, s9, 0
	v_lshl_add_u64 v[20:21], v[20:21], 1, s[12:13]
	s_cbranch_vccnz .LBB265_60
; %bb.59:
	v_lshl_add_u64 v[28:29], v[36:37], 1, v[20:21]
	global_load_ushort v25, v[28:29], off
	s_waitcnt vmcnt(0)
	v_mul_f16_e32 v25, s15, v25
	v_cvt_f32_f16_e32 v25, v25
.LBB265_60:
	v_pk_add_f16 v27, v38, v22
	v_max_f16_e32 v28, v103, v103
	v_pk_add_f16 v30, v39, v23
	v_min_f16_e32 v28, v28, v27
	v_lshrrev_b32_e32 v29, 16, v103
	v_lshrrev_b32_e32 v27, 16, v27
	;; [unrolled: 1-line block ×3, first 2 shown]
	v_min3_f16 v27, v29, v27, v31
	v_min3_f16 v27, v28, v30, v27
	v_cvt_f32_f16_e32 v27, v27
	v_mad_i64_i32 v[28:29], s[6:7], v24, s8, 0
	v_max_f32_e32 v24, v25, v25
	v_min_f32_e32 v24, v24, v27
	v_cvt_f16_f32_e32 v27, v24
	v_lshl_add_u64 v[24:25], v[28:29], 1, s[2:3]
	v_lshl_add_u64 v[28:29], v[36:37], 1, v[24:25]
	s_and_b64 vcc, exec, s[0:1]
	global_store_short v[28:29], v27, off
	s_cbranch_vccnz .LBB265_62
; %bb.61:
	v_lshl_add_u64 v[26:27], v[40:41], 1, v[20:21]
	global_load_ushort v26, v[26:27], off
	s_waitcnt vmcnt(0)
	v_mul_f16_e32 v26, s15, v26
	v_cvt_f32_f16_e32 v26, v26
.LBB265_62:
	v_pk_add_f16 v27, v0, v22
	v_max_f16_e32 v28, v102, v102
	v_pk_add_f16 v30, v1, v23
	v_min_f16_e32 v28, v28, v27
	v_lshrrev_b32_e32 v29, 16, v102
	v_lshrrev_b32_e32 v27, 16, v27
	;; [unrolled: 1-line block ×3, first 2 shown]
	v_min3_f16 v27, v29, v27, v31
	v_min3_f16 v27, v28, v30, v27
	v_cvt_f32_f16_e32 v27, v27
	v_max_f32_e32 v26, v26, v26
	s_and_b64 vcc, exec, s[0:1]
	v_min_f32_e32 v26, v26, v27
	v_cvt_f16_f32_e32 v28, v26
	v_lshl_add_u64 v[26:27], v[40:41], 1, v[24:25]
	global_store_short v[26:27], v28, off
	v_mov_b32_e32 v26, 0
	v_mov_b32_e32 v27, 0
	s_cbranch_vccnz .LBB265_64
; %bb.63:
	v_lshl_add_u64 v[28:29], v[42:43], 1, v[20:21]
	global_load_ushort v27, v[28:29], off
	s_waitcnt vmcnt(0)
	v_mul_f16_e32 v27, s15, v27
	v_cvt_f32_f16_e32 v27, v27
.LBB265_64:
	v_pk_add_f16 v28, v2, v22
	v_max_f16_e32 v29, v101, v101
	v_pk_add_f16 v31, v3, v23
	v_min_f16_e32 v29, v29, v28
	v_lshrrev_b32_e32 v30, 16, v101
	v_lshrrev_b32_e32 v28, 16, v28
	;; [unrolled: 1-line block ×3, first 2 shown]
	v_min3_f16 v28, v30, v28, v46
	v_min3_f16 v28, v29, v31, v28
	v_cvt_f32_f16_e32 v28, v28
	v_max_f32_e32 v27, v27, v27
	s_and_b64 vcc, exec, s[0:1]
	v_min_f32_e32 v27, v27, v28
	v_cvt_f16_f32_e32 v27, v27
	v_lshl_add_u64 v[28:29], v[42:43], 1, v[24:25]
	global_store_short v[28:29], v27, off
	s_cbranch_vccnz .LBB265_66
; %bb.65:
	v_lshl_add_u64 v[20:21], v[44:45], 1, v[20:21]
	global_load_ushort v20, v[20:21], off
	s_waitcnt vmcnt(0)
	v_mul_f16_e32 v20, s15, v20
	v_cvt_f32_f16_e32 v26, v20
.LBB265_66:
	v_pk_add_f16 v20, v32, v22
	v_max_f16_e32 v21, v100, v100
	v_pk_add_f16 v23, v33, v23
	v_min_f16_e32 v21, v21, v20
	v_lshrrev_b32_e32 v22, 16, v100
	v_lshrrev_b32_e32 v20, 16, v20
	;; [unrolled: 1-line block ×3, first 2 shown]
	v_min3_f16 v20, v22, v20, v27
	v_min3_f16 v20, v21, v23, v20
	v_cvt_f32_f16_e32 v20, v20
	v_max_f32_e32 v21, v26, v26
	s_and_b64 vcc, exec, s[0:1]
	v_mov_b32_e32 v23, 0
	v_min_f32_e32 v20, v21, v20
	v_cvt_f16_f32_e32 v22, v20
	v_lshl_add_u64 v[20:21], v[44:45], 1, v[24:25]
	v_mov_b32_e32 v24, 0
	global_store_short v[20:21], v22, off
	v_add_u32_e32 v22, 56, v52
	v_mad_i64_i32 v[20:21], s[6:7], v22, s9, 0
	v_lshl_add_u64 v[20:21], v[20:21], 1, s[12:13]
	s_cbranch_vccnz .LBB265_68
; %bb.67:
	v_lshl_add_u64 v[26:27], v[36:37], 1, v[20:21]
	global_load_ushort v23, v[26:27], off
	s_waitcnt vmcnt(0)
	v_mul_f16_e32 v23, s15, v23
	v_cvt_f32_f16_e32 v23, v23
.LBB265_68:
	v_pk_add_f16 v25, v38, v16
	v_max_f16_e32 v26, v99, v99
	v_pk_add_f16 v28, v39, v17
	v_min_f16_e32 v26, v26, v25
	v_lshrrev_b32_e32 v27, 16, v99
	v_lshrrev_b32_e32 v25, 16, v25
	;; [unrolled: 1-line block ×3, first 2 shown]
	v_min3_f16 v25, v27, v25, v29
	v_min3_f16 v25, v26, v28, v25
	v_cvt_f32_f16_e32 v25, v25
	v_mad_i64_i32 v[26:27], s[6:7], v22, s8, 0
	v_max_f32_e32 v22, v23, v23
	v_min_f32_e32 v22, v22, v25
	v_cvt_f16_f32_e32 v25, v22
	v_lshl_add_u64 v[22:23], v[26:27], 1, s[2:3]
	v_lshl_add_u64 v[26:27], v[36:37], 1, v[22:23]
	s_and_b64 vcc, exec, s[0:1]
	global_store_short v[26:27], v25, off
	s_cbranch_vccnz .LBB265_70
; %bb.69:
	v_lshl_add_u64 v[24:25], v[40:41], 1, v[20:21]
	global_load_ushort v24, v[24:25], off
	s_waitcnt vmcnt(0)
	v_mul_f16_e32 v24, s15, v24
	v_cvt_f32_f16_e32 v24, v24
.LBB265_70:
	v_pk_add_f16 v25, v0, v16
	v_max_f16_e32 v26, v98, v98
	v_pk_add_f16 v28, v1, v17
	v_min_f16_e32 v26, v26, v25
	v_lshrrev_b32_e32 v27, 16, v98
	v_lshrrev_b32_e32 v25, 16, v25
	;; [unrolled: 1-line block ×3, first 2 shown]
	v_min3_f16 v25, v27, v25, v29
	v_min3_f16 v25, v26, v28, v25
	v_cvt_f32_f16_e32 v25, v25
	v_max_f32_e32 v24, v24, v24
	s_and_b64 vcc, exec, s[0:1]
	v_min_f32_e32 v24, v24, v25
	v_cvt_f16_f32_e32 v26, v24
	v_lshl_add_u64 v[24:25], v[40:41], 1, v[22:23]
	global_store_short v[24:25], v26, off
	v_mov_b32_e32 v24, 0
	v_mov_b32_e32 v25, 0
	s_cbranch_vccnz .LBB265_72
; %bb.71:
	v_lshl_add_u64 v[26:27], v[42:43], 1, v[20:21]
	global_load_ushort v25, v[26:27], off
	s_waitcnt vmcnt(0)
	v_mul_f16_e32 v25, s15, v25
	v_cvt_f32_f16_e32 v25, v25
.LBB265_72:
	v_pk_add_f16 v26, v2, v16
	v_max_f16_e32 v27, v97, v97
	v_pk_add_f16 v29, v3, v17
	v_min_f16_e32 v27, v27, v26
	v_lshrrev_b32_e32 v28, 16, v97
	v_lshrrev_b32_e32 v26, 16, v26
	;; [unrolled: 1-line block ×3, first 2 shown]
	v_min3_f16 v26, v28, v26, v30
	v_min3_f16 v26, v27, v29, v26
	v_cvt_f32_f16_e32 v26, v26
	v_max_f32_e32 v25, v25, v25
	s_and_b64 vcc, exec, s[0:1]
	v_min_f32_e32 v25, v25, v26
	v_cvt_f16_f32_e32 v25, v25
	v_lshl_add_u64 v[26:27], v[42:43], 1, v[22:23]
	global_store_short v[26:27], v25, off
	s_cbranch_vccnz .LBB265_74
; %bb.73:
	v_lshl_add_u64 v[20:21], v[44:45], 1, v[20:21]
	global_load_ushort v20, v[20:21], off
	s_waitcnt vmcnt(0)
	v_mul_f16_e32 v20, s15, v20
	v_cvt_f32_f16_e32 v24, v20
.LBB265_74:
	v_pk_add_f16 v16, v32, v16
	v_max_f16_e32 v20, v96, v96
	v_pk_add_f16 v17, v33, v17
	v_min_f16_e32 v20, v20, v16
	v_lshrrev_b32_e32 v21, 16, v96
	v_lshrrev_b32_e32 v16, 16, v16
	;; [unrolled: 1-line block ×3, first 2 shown]
	v_min3_f16 v16, v21, v16, v25
	v_min3_f16 v16, v20, v17, v16
	v_cvt_f32_f16_e32 v16, v16
	v_max_f32_e32 v17, v24, v24
	s_and_b64 vcc, exec, s[0:1]
	v_mov_b32_e32 v21, 0
	v_min_f32_e32 v16, v17, v16
	v_cvt_f16_f32_e32 v20, v16
	v_lshl_add_u64 v[16:17], v[44:45], 1, v[22:23]
	v_mov_b32_e32 v22, 0
	global_store_short v[16:17], v20, off
	v_add_u32_e32 v20, 64, v52
	v_mad_i64_i32 v[16:17], s[6:7], v20, s9, 0
	v_lshl_add_u64 v[16:17], v[16:17], 1, s[12:13]
	s_cbranch_vccnz .LBB265_76
; %bb.75:
	v_lshl_add_u64 v[24:25], v[36:37], 1, v[16:17]
	global_load_ushort v21, v[24:25], off
	s_waitcnt vmcnt(0)
	v_mul_f16_e32 v21, s15, v21
	v_cvt_f32_f16_e32 v21, v21
.LBB265_76:
	v_pk_add_f16 v23, v38, v18
	v_max_f16_e32 v24, v95, v95
	v_pk_add_f16 v26, v39, v19
	v_min_f16_e32 v24, v24, v23
	v_lshrrev_b32_e32 v25, 16, v95
	v_lshrrev_b32_e32 v23, 16, v23
	;; [unrolled: 1-line block ×3, first 2 shown]
	v_min3_f16 v23, v25, v23, v27
	v_min3_f16 v23, v24, v26, v23
	v_cvt_f32_f16_e32 v23, v23
	v_mad_i64_i32 v[24:25], s[6:7], v20, s8, 0
	v_max_f32_e32 v20, v21, v21
	v_min_f32_e32 v20, v20, v23
	v_cvt_f16_f32_e32 v23, v20
	v_lshl_add_u64 v[20:21], v[24:25], 1, s[2:3]
	v_lshl_add_u64 v[24:25], v[36:37], 1, v[20:21]
	s_and_b64 vcc, exec, s[0:1]
	global_store_short v[24:25], v23, off
	s_cbranch_vccnz .LBB265_78
; %bb.77:
	v_lshl_add_u64 v[22:23], v[40:41], 1, v[16:17]
	global_load_ushort v22, v[22:23], off
	s_waitcnt vmcnt(0)
	v_mul_f16_e32 v22, s15, v22
	v_cvt_f32_f16_e32 v22, v22
.LBB265_78:
	v_pk_add_f16 v23, v0, v18
	v_max_f16_e32 v24, v94, v94
	v_pk_add_f16 v26, v1, v19
	v_min_f16_e32 v24, v24, v23
	v_lshrrev_b32_e32 v25, 16, v94
	v_lshrrev_b32_e32 v23, 16, v23
	;; [unrolled: 1-line block ×3, first 2 shown]
	v_min3_f16 v23, v25, v23, v27
	v_min3_f16 v23, v24, v26, v23
	v_cvt_f32_f16_e32 v23, v23
	v_max_f32_e32 v22, v22, v22
	s_and_b64 vcc, exec, s[0:1]
	v_min_f32_e32 v22, v22, v23
	v_cvt_f16_f32_e32 v24, v22
	v_lshl_add_u64 v[22:23], v[40:41], 1, v[20:21]
	global_store_short v[22:23], v24, off
	v_mov_b32_e32 v22, 0
	v_mov_b32_e32 v23, 0
	s_cbranch_vccnz .LBB265_80
; %bb.79:
	v_lshl_add_u64 v[24:25], v[42:43], 1, v[16:17]
	global_load_ushort v23, v[24:25], off
	s_waitcnt vmcnt(0)
	v_mul_f16_e32 v23, s15, v23
	v_cvt_f32_f16_e32 v23, v23
.LBB265_80:
	v_pk_add_f16 v24, v2, v18
	v_max_f16_e32 v25, v93, v93
	v_pk_add_f16 v27, v3, v19
	v_min_f16_e32 v25, v25, v24
	v_lshrrev_b32_e32 v26, 16, v93
	v_lshrrev_b32_e32 v24, 16, v24
	;; [unrolled: 1-line block ×3, first 2 shown]
	v_min3_f16 v24, v26, v24, v28
	v_min3_f16 v24, v25, v27, v24
	v_cvt_f32_f16_e32 v24, v24
	v_max_f32_e32 v23, v23, v23
	s_and_b64 vcc, exec, s[0:1]
	v_min_f32_e32 v23, v23, v24
	v_cvt_f16_f32_e32 v23, v23
	v_lshl_add_u64 v[24:25], v[42:43], 1, v[20:21]
	global_store_short v[24:25], v23, off
	s_cbranch_vccnz .LBB265_82
; %bb.81:
	v_lshl_add_u64 v[16:17], v[44:45], 1, v[16:17]
	global_load_ushort v16, v[16:17], off
	s_waitcnt vmcnt(0)
	v_mul_f16_e32 v16, s15, v16
	v_cvt_f32_f16_e32 v22, v16
.LBB265_82:
	v_pk_add_f16 v16, v32, v18
	v_max_f16_e32 v17, v92, v92
	v_pk_add_f16 v19, v33, v19
	v_min_f16_e32 v17, v17, v16
	v_lshrrev_b32_e32 v18, 16, v92
	v_lshrrev_b32_e32 v16, 16, v16
	;; [unrolled: 1-line block ×3, first 2 shown]
	v_min3_f16 v16, v18, v16, v23
	v_min3_f16 v16, v17, v19, v16
	v_cvt_f32_f16_e32 v16, v16
	v_max_f32_e32 v17, v22, v22
	s_and_b64 vcc, exec, s[0:1]
	v_mov_b32_e32 v19, 0
	v_min_f32_e32 v16, v17, v16
	v_cvt_f16_f32_e32 v18, v16
	v_lshl_add_u64 v[16:17], v[44:45], 1, v[20:21]
	v_mov_b32_e32 v20, 0
	global_store_short v[16:17], v18, off
	v_add_u32_e32 v18, 0x48, v52
	v_mad_i64_i32 v[16:17], s[6:7], v18, s9, 0
	v_lshl_add_u64 v[16:17], v[16:17], 1, s[12:13]
	s_cbranch_vccnz .LBB265_84
; %bb.83:
	v_lshl_add_u64 v[22:23], v[36:37], 1, v[16:17]
	global_load_ushort v19, v[22:23], off
	s_waitcnt vmcnt(0)
	v_mul_f16_e32 v19, s15, v19
	v_cvt_f32_f16_e32 v19, v19
.LBB265_84:
	v_pk_add_f16 v21, v38, v12
	v_max_f16_e32 v22, v91, v91
	v_pk_add_f16 v24, v39, v13
	v_min_f16_e32 v22, v22, v21
	v_lshrrev_b32_e32 v23, 16, v91
	v_lshrrev_b32_e32 v21, 16, v21
	;; [unrolled: 1-line block ×3, first 2 shown]
	v_min3_f16 v21, v23, v21, v25
	v_min3_f16 v21, v22, v24, v21
	v_cvt_f32_f16_e32 v21, v21
	v_mad_i64_i32 v[22:23], s[6:7], v18, s8, 0
	v_max_f32_e32 v18, v19, v19
	v_min_f32_e32 v18, v18, v21
	v_cvt_f16_f32_e32 v21, v18
	v_lshl_add_u64 v[18:19], v[22:23], 1, s[2:3]
	v_lshl_add_u64 v[22:23], v[36:37], 1, v[18:19]
	s_and_b64 vcc, exec, s[0:1]
	global_store_short v[22:23], v21, off
	s_cbranch_vccnz .LBB265_86
; %bb.85:
	v_lshl_add_u64 v[20:21], v[40:41], 1, v[16:17]
	global_load_ushort v20, v[20:21], off
	s_waitcnt vmcnt(0)
	v_mul_f16_e32 v20, s15, v20
	v_cvt_f32_f16_e32 v20, v20
.LBB265_86:
	v_pk_add_f16 v21, v0, v12
	v_max_f16_e32 v22, v90, v90
	v_pk_add_f16 v24, v1, v13
	v_min_f16_e32 v22, v22, v21
	v_lshrrev_b32_e32 v23, 16, v90
	v_lshrrev_b32_e32 v21, 16, v21
	;; [unrolled: 1-line block ×3, first 2 shown]
	v_min3_f16 v21, v23, v21, v25
	v_min3_f16 v21, v22, v24, v21
	v_cvt_f32_f16_e32 v21, v21
	v_max_f32_e32 v20, v20, v20
	s_and_b64 vcc, exec, s[0:1]
	v_min_f32_e32 v20, v20, v21
	v_cvt_f16_f32_e32 v22, v20
	v_lshl_add_u64 v[20:21], v[40:41], 1, v[18:19]
	global_store_short v[20:21], v22, off
	v_mov_b32_e32 v20, 0
	v_mov_b32_e32 v21, 0
	s_cbranch_vccnz .LBB265_88
; %bb.87:
	v_lshl_add_u64 v[22:23], v[42:43], 1, v[16:17]
	global_load_ushort v21, v[22:23], off
	s_waitcnt vmcnt(0)
	v_mul_f16_e32 v21, s15, v21
	v_cvt_f32_f16_e32 v21, v21
.LBB265_88:
	v_pk_add_f16 v22, v2, v12
	v_max_f16_e32 v23, v89, v89
	v_pk_add_f16 v25, v3, v13
	v_min_f16_e32 v23, v23, v22
	v_lshrrev_b32_e32 v24, 16, v89
	v_lshrrev_b32_e32 v22, 16, v22
	;; [unrolled: 1-line block ×3, first 2 shown]
	v_min3_f16 v22, v24, v22, v26
	v_min3_f16 v22, v23, v25, v22
	v_cvt_f32_f16_e32 v22, v22
	v_max_f32_e32 v21, v21, v21
	s_and_b64 vcc, exec, s[0:1]
	v_min_f32_e32 v21, v21, v22
	v_cvt_f16_f32_e32 v21, v21
	v_lshl_add_u64 v[22:23], v[42:43], 1, v[18:19]
	global_store_short v[22:23], v21, off
	s_cbranch_vccnz .LBB265_90
; %bb.89:
	v_lshl_add_u64 v[16:17], v[44:45], 1, v[16:17]
	global_load_ushort v16, v[16:17], off
	s_waitcnt vmcnt(0)
	v_mul_f16_e32 v16, s15, v16
	v_cvt_f32_f16_e32 v20, v16
.LBB265_90:
	v_pk_add_f16 v12, v32, v12
	v_max_f16_e32 v16, v88, v88
	v_pk_add_f16 v13, v33, v13
	v_min_f16_e32 v16, v16, v12
	v_lshrrev_b32_e32 v17, 16, v88
	v_lshrrev_b32_e32 v12, 16, v12
	;; [unrolled: 1-line block ×3, first 2 shown]
	v_min3_f16 v12, v17, v12, v21
	v_min3_f16 v12, v16, v13, v12
	v_cvt_f32_f16_e32 v12, v12
	v_max_f32_e32 v13, v20, v20
	s_and_b64 vcc, exec, s[0:1]
	v_mov_b32_e32 v17, 0
	v_min_f32_e32 v12, v13, v12
	v_cvt_f16_f32_e32 v16, v12
	v_lshl_add_u64 v[12:13], v[44:45], 1, v[18:19]
	v_mov_b32_e32 v18, 0
	global_store_short v[12:13], v16, off
	v_add_u32_e32 v16, 0x50, v52
	v_mad_i64_i32 v[12:13], s[6:7], v16, s9, 0
	v_lshl_add_u64 v[12:13], v[12:13], 1, s[12:13]
	s_cbranch_vccnz .LBB265_92
; %bb.91:
	v_lshl_add_u64 v[20:21], v[36:37], 1, v[12:13]
	global_load_ushort v17, v[20:21], off
	s_waitcnt vmcnt(0)
	v_mul_f16_e32 v17, s15, v17
	v_cvt_f32_f16_e32 v17, v17
.LBB265_92:
	v_pk_add_f16 v19, v38, v14
	v_max_f16_e32 v20, v85, v85
	v_pk_add_f16 v22, v39, v15
	v_min_f16_e32 v20, v20, v19
	v_lshrrev_b32_e32 v21, 16, v85
	v_lshrrev_b32_e32 v19, 16, v19
	;; [unrolled: 1-line block ×3, first 2 shown]
	v_min3_f16 v19, v21, v19, v23
	v_min3_f16 v19, v20, v22, v19
	v_cvt_f32_f16_e32 v19, v19
	v_mad_i64_i32 v[20:21], s[6:7], v16, s8, 0
	v_max_f32_e32 v16, v17, v17
	v_min_f32_e32 v16, v16, v19
	v_cvt_f16_f32_e32 v19, v16
	v_lshl_add_u64 v[16:17], v[20:21], 1, s[2:3]
	v_lshl_add_u64 v[20:21], v[36:37], 1, v[16:17]
	s_and_b64 vcc, exec, s[0:1]
	global_store_short v[20:21], v19, off
	s_cbranch_vccnz .LBB265_94
; %bb.93:
	v_lshl_add_u64 v[18:19], v[40:41], 1, v[12:13]
	global_load_ushort v18, v[18:19], off
	s_waitcnt vmcnt(0)
	v_mul_f16_e32 v18, s15, v18
	v_cvt_f32_f16_e32 v18, v18
.LBB265_94:
	v_pk_add_f16 v19, v0, v14
	v_max_f16_e32 v20, v84, v84
	v_pk_add_f16 v22, v1, v15
	v_min_f16_e32 v20, v20, v19
	v_lshrrev_b32_e32 v21, 16, v84
	v_lshrrev_b32_e32 v19, 16, v19
	;; [unrolled: 1-line block ×3, first 2 shown]
	v_min3_f16 v19, v21, v19, v23
	v_min3_f16 v19, v20, v22, v19
	v_cvt_f32_f16_e32 v19, v19
	v_max_f32_e32 v18, v18, v18
	s_and_b64 vcc, exec, s[0:1]
	v_min_f32_e32 v18, v18, v19
	v_cvt_f16_f32_e32 v20, v18
	v_lshl_add_u64 v[18:19], v[40:41], 1, v[16:17]
	global_store_short v[18:19], v20, off
	v_mov_b32_e32 v18, 0
	v_mov_b32_e32 v19, 0
	s_cbranch_vccnz .LBB265_96
; %bb.95:
	v_lshl_add_u64 v[20:21], v[42:43], 1, v[12:13]
	global_load_ushort v19, v[20:21], off
	s_waitcnt vmcnt(0)
	v_mul_f16_e32 v19, s15, v19
	v_cvt_f32_f16_e32 v19, v19
.LBB265_96:
	v_pk_add_f16 v20, v2, v14
	v_max_f16_e32 v21, v83, v83
	v_pk_add_f16 v23, v3, v15
	v_min_f16_e32 v21, v21, v20
	v_lshrrev_b32_e32 v22, 16, v83
	v_lshrrev_b32_e32 v20, 16, v20
	;; [unrolled: 1-line block ×3, first 2 shown]
	v_min3_f16 v20, v22, v20, v24
	v_min3_f16 v20, v21, v23, v20
	v_cvt_f32_f16_e32 v20, v20
	v_max_f32_e32 v19, v19, v19
	s_and_b64 vcc, exec, s[0:1]
	v_min_f32_e32 v19, v19, v20
	v_cvt_f16_f32_e32 v19, v19
	v_lshl_add_u64 v[20:21], v[42:43], 1, v[16:17]
	global_store_short v[20:21], v19, off
	s_cbranch_vccnz .LBB265_98
; %bb.97:
	v_lshl_add_u64 v[12:13], v[44:45], 1, v[12:13]
	global_load_ushort v12, v[12:13], off
	s_waitcnt vmcnt(0)
	v_mul_f16_e32 v12, s15, v12
	v_cvt_f32_f16_e32 v18, v12
.LBB265_98:
	v_pk_add_f16 v12, v32, v14
	v_max_f16_e32 v13, v82, v82
	v_pk_add_f16 v15, v33, v15
	v_min_f16_e32 v13, v13, v12
	v_lshrrev_b32_e32 v14, 16, v82
	v_lshrrev_b32_e32 v12, 16, v12
	;; [unrolled: 1-line block ×3, first 2 shown]
	v_min3_f16 v12, v14, v12, v19
	v_min3_f16 v12, v13, v15, v12
	v_cvt_f32_f16_e32 v12, v12
	v_max_f32_e32 v13, v18, v18
	s_and_b64 vcc, exec, s[0:1]
	v_mov_b32_e32 v15, 0
	v_min_f32_e32 v12, v13, v12
	v_cvt_f16_f32_e32 v14, v12
	v_lshl_add_u64 v[12:13], v[44:45], 1, v[16:17]
	v_mov_b32_e32 v16, 0
	global_store_short v[12:13], v14, off
	v_add_u32_e32 v14, 0x58, v52
	v_mad_i64_i32 v[12:13], s[6:7], v14, s9, 0
	v_lshl_add_u64 v[12:13], v[12:13], 1, s[12:13]
	s_cbranch_vccnz .LBB265_100
; %bb.99:
	v_lshl_add_u64 v[18:19], v[36:37], 1, v[12:13]
	global_load_ushort v15, v[18:19], off
	s_waitcnt vmcnt(0)
	v_mul_f16_e32 v15, s15, v15
	v_cvt_f32_f16_e32 v15, v15
.LBB265_100:
	v_pk_add_f16 v17, v38, v8
	v_max_f16_e32 v18, v81, v81
	v_pk_add_f16 v20, v39, v9
	v_min_f16_e32 v18, v18, v17
	v_lshrrev_b32_e32 v19, 16, v81
	v_lshrrev_b32_e32 v17, 16, v17
	;; [unrolled: 1-line block ×3, first 2 shown]
	v_min3_f16 v17, v19, v17, v21
	v_min3_f16 v17, v18, v20, v17
	v_cvt_f32_f16_e32 v17, v17
	v_mad_i64_i32 v[18:19], s[6:7], v14, s8, 0
	v_max_f32_e32 v14, v15, v15
	v_min_f32_e32 v14, v14, v17
	v_cvt_f16_f32_e32 v17, v14
	v_lshl_add_u64 v[14:15], v[18:19], 1, s[2:3]
	v_lshl_add_u64 v[18:19], v[36:37], 1, v[14:15]
	s_and_b64 vcc, exec, s[0:1]
	global_store_short v[18:19], v17, off
	s_cbranch_vccnz .LBB265_102
; %bb.101:
	v_lshl_add_u64 v[16:17], v[40:41], 1, v[12:13]
	global_load_ushort v16, v[16:17], off
	s_waitcnt vmcnt(0)
	v_mul_f16_e32 v16, s15, v16
	v_cvt_f32_f16_e32 v16, v16
.LBB265_102:
	v_pk_add_f16 v17, v0, v8
	v_max_f16_e32 v18, v80, v80
	v_pk_add_f16 v20, v1, v9
	v_min_f16_e32 v18, v18, v17
	v_lshrrev_b32_e32 v19, 16, v80
	v_lshrrev_b32_e32 v17, 16, v17
	;; [unrolled: 1-line block ×3, first 2 shown]
	v_min3_f16 v17, v19, v17, v21
	v_min3_f16 v17, v18, v20, v17
	v_cvt_f32_f16_e32 v17, v17
	v_max_f32_e32 v16, v16, v16
	s_and_b64 vcc, exec, s[0:1]
	v_min_f32_e32 v16, v16, v17
	v_cvt_f16_f32_e32 v18, v16
	v_lshl_add_u64 v[16:17], v[40:41], 1, v[14:15]
	global_store_short v[16:17], v18, off
	v_mov_b32_e32 v16, 0
	v_mov_b32_e32 v17, 0
	s_cbranch_vccnz .LBB265_104
; %bb.103:
	v_lshl_add_u64 v[18:19], v[42:43], 1, v[12:13]
	global_load_ushort v17, v[18:19], off
	s_waitcnt vmcnt(0)
	v_mul_f16_e32 v17, s15, v17
	v_cvt_f32_f16_e32 v17, v17
.LBB265_104:
	v_pk_add_f16 v18, v2, v8
	v_max_f16_e32 v19, v79, v79
	v_pk_add_f16 v21, v3, v9
	v_min_f16_e32 v19, v19, v18
	v_lshrrev_b32_e32 v20, 16, v79
	v_lshrrev_b32_e32 v18, 16, v18
	;; [unrolled: 1-line block ×3, first 2 shown]
	v_min3_f16 v18, v20, v18, v22
	v_min3_f16 v18, v19, v21, v18
	v_cvt_f32_f16_e32 v18, v18
	v_max_f32_e32 v17, v17, v17
	s_and_b64 vcc, exec, s[0:1]
	v_min_f32_e32 v17, v17, v18
	v_cvt_f16_f32_e32 v17, v17
	v_lshl_add_u64 v[18:19], v[42:43], 1, v[14:15]
	global_store_short v[18:19], v17, off
	s_cbranch_vccnz .LBB265_106
; %bb.105:
	v_lshl_add_u64 v[12:13], v[44:45], 1, v[12:13]
	global_load_ushort v12, v[12:13], off
	s_waitcnt vmcnt(0)
	v_mul_f16_e32 v12, s15, v12
	v_cvt_f32_f16_e32 v16, v12
.LBB265_106:
	v_pk_add_f16 v8, v32, v8
	v_max_f16_e32 v12, v77, v77
	v_pk_add_f16 v9, v33, v9
	v_min_f16_e32 v12, v12, v8
	v_lshrrev_b32_e32 v13, 16, v77
	v_lshrrev_b32_e32 v8, 16, v8
	;; [unrolled: 1-line block ×3, first 2 shown]
	v_min3_f16 v8, v13, v8, v17
	v_min3_f16 v8, v12, v9, v8
	v_cvt_f32_f16_e32 v8, v8
	v_max_f32_e32 v9, v16, v16
	s_and_b64 vcc, exec, s[0:1]
	v_mov_b32_e32 v13, 0
	v_min_f32_e32 v8, v9, v8
	v_cvt_f16_f32_e32 v12, v8
	v_lshl_add_u64 v[8:9], v[44:45], 1, v[14:15]
	v_mov_b32_e32 v14, 0
	global_store_short v[8:9], v12, off
	v_add_u32_e32 v12, 0x60, v52
	v_mad_i64_i32 v[8:9], s[6:7], v12, s9, 0
	v_lshl_add_u64 v[8:9], v[8:9], 1, s[12:13]
	s_cbranch_vccnz .LBB265_108
; %bb.107:
	v_lshl_add_u64 v[16:17], v[36:37], 1, v[8:9]
	global_load_ushort v13, v[16:17], off
	s_waitcnt vmcnt(0)
	v_mul_f16_e32 v13, s15, v13
	v_cvt_f32_f16_e32 v13, v13
.LBB265_108:
	v_pk_add_f16 v15, v38, v10
	v_max_f16_e32 v16, v75, v75
	v_pk_add_f16 v18, v39, v11
	v_min_f16_e32 v16, v16, v15
	v_lshrrev_b32_e32 v17, 16, v75
	v_lshrrev_b32_e32 v15, 16, v15
	;; [unrolled: 1-line block ×3, first 2 shown]
	v_min3_f16 v15, v17, v15, v19
	v_min3_f16 v15, v16, v18, v15
	v_cvt_f32_f16_e32 v15, v15
	v_mad_i64_i32 v[16:17], s[6:7], v12, s8, 0
	v_max_f32_e32 v12, v13, v13
	v_min_f32_e32 v12, v12, v15
	v_cvt_f16_f32_e32 v15, v12
	v_lshl_add_u64 v[12:13], v[16:17], 1, s[2:3]
	v_lshl_add_u64 v[16:17], v[36:37], 1, v[12:13]
	s_and_b64 vcc, exec, s[0:1]
	global_store_short v[16:17], v15, off
	s_cbranch_vccnz .LBB265_110
; %bb.109:
	v_lshl_add_u64 v[14:15], v[40:41], 1, v[8:9]
	global_load_ushort v14, v[14:15], off
	s_waitcnt vmcnt(0)
	v_mul_f16_e32 v14, s15, v14
	v_cvt_f32_f16_e32 v14, v14
.LBB265_110:
	v_pk_add_f16 v15, v0, v10
	v_max_f16_e32 v16, v74, v74
	v_pk_add_f16 v18, v1, v11
	v_min_f16_e32 v16, v16, v15
	v_lshrrev_b32_e32 v17, 16, v74
	v_lshrrev_b32_e32 v15, 16, v15
	;; [unrolled: 1-line block ×3, first 2 shown]
	v_min3_f16 v15, v17, v15, v19
	v_min3_f16 v15, v16, v18, v15
	v_cvt_f32_f16_e32 v15, v15
	v_max_f32_e32 v14, v14, v14
	s_and_b64 vcc, exec, s[0:1]
	v_min_f32_e32 v14, v14, v15
	v_cvt_f16_f32_e32 v16, v14
	v_lshl_add_u64 v[14:15], v[40:41], 1, v[12:13]
	global_store_short v[14:15], v16, off
	v_mov_b32_e32 v14, 0
	v_mov_b32_e32 v15, 0
	s_cbranch_vccnz .LBB265_112
; %bb.111:
	v_lshl_add_u64 v[16:17], v[42:43], 1, v[8:9]
	global_load_ushort v15, v[16:17], off
	s_waitcnt vmcnt(0)
	v_mul_f16_e32 v15, s15, v15
	v_cvt_f32_f16_e32 v15, v15
.LBB265_112:
	v_pk_add_f16 v16, v2, v10
	v_max_f16_e32 v17, v71, v71
	v_pk_add_f16 v19, v3, v11
	v_min_f16_e32 v17, v17, v16
	v_lshrrev_b32_e32 v18, 16, v71
	v_lshrrev_b32_e32 v16, 16, v16
	;; [unrolled: 1-line block ×3, first 2 shown]
	v_min3_f16 v16, v18, v16, v20
	v_min3_f16 v16, v17, v19, v16
	v_cvt_f32_f16_e32 v16, v16
	v_max_f32_e32 v15, v15, v15
	s_and_b64 vcc, exec, s[0:1]
	v_min_f32_e32 v15, v15, v16
	v_cvt_f16_f32_e32 v15, v15
	v_lshl_add_u64 v[16:17], v[42:43], 1, v[12:13]
	global_store_short v[16:17], v15, off
	s_cbranch_vccnz .LBB265_114
; %bb.113:
	v_lshl_add_u64 v[8:9], v[44:45], 1, v[8:9]
	global_load_ushort v8, v[8:9], off
	s_waitcnt vmcnt(0)
	v_mul_f16_e32 v8, s15, v8
	v_cvt_f32_f16_e32 v14, v8
.LBB265_114:
	v_pk_add_f16 v8, v32, v10
	v_max_f16_e32 v9, v70, v70
	v_pk_add_f16 v11, v33, v11
	v_min_f16_e32 v9, v9, v8
	v_lshrrev_b32_e32 v10, 16, v70
	v_lshrrev_b32_e32 v8, 16, v8
	;; [unrolled: 1-line block ×3, first 2 shown]
	v_min3_f16 v8, v10, v8, v15
	v_min3_f16 v8, v9, v11, v8
	v_cvt_f32_f16_e32 v8, v8
	v_max_f32_e32 v9, v14, v14
	s_and_b64 vcc, exec, s[0:1]
	v_mov_b32_e32 v11, 0
	v_min_f32_e32 v8, v9, v8
	v_cvt_f16_f32_e32 v10, v8
	v_lshl_add_u64 v[8:9], v[44:45], 1, v[12:13]
	v_mov_b32_e32 v12, 0
	global_store_short v[8:9], v10, off
	v_add_u32_e32 v10, 0x68, v52
	v_mad_i64_i32 v[8:9], s[6:7], v10, s9, 0
	v_lshl_add_u64 v[8:9], v[8:9], 1, s[12:13]
	s_cbranch_vccnz .LBB265_116
; %bb.115:
	v_lshl_add_u64 v[14:15], v[36:37], 1, v[8:9]
	global_load_ushort v11, v[14:15], off
	s_waitcnt vmcnt(0)
	v_mul_f16_e32 v11, s15, v11
	v_cvt_f32_f16_e32 v11, v11
.LBB265_116:
	v_pk_add_f16 v13, v38, v4
	v_max_f16_e32 v14, v69, v69
	v_pk_add_f16 v16, v39, v5
	v_min_f16_e32 v14, v14, v13
	v_lshrrev_b32_e32 v15, 16, v69
	v_lshrrev_b32_e32 v13, 16, v13
	;; [unrolled: 1-line block ×3, first 2 shown]
	v_min3_f16 v13, v15, v13, v17
	v_min3_f16 v13, v14, v16, v13
	v_cvt_f32_f16_e32 v13, v13
	v_mad_i64_i32 v[14:15], s[6:7], v10, s8, 0
	v_max_f32_e32 v10, v11, v11
	v_min_f32_e32 v10, v10, v13
	v_cvt_f16_f32_e32 v13, v10
	v_lshl_add_u64 v[10:11], v[14:15], 1, s[2:3]
	v_lshl_add_u64 v[14:15], v[36:37], 1, v[10:11]
	s_and_b64 vcc, exec, s[0:1]
	global_store_short v[14:15], v13, off
	s_cbranch_vccnz .LBB265_118
; %bb.117:
	v_lshl_add_u64 v[12:13], v[40:41], 1, v[8:9]
	global_load_ushort v12, v[12:13], off
	s_waitcnt vmcnt(0)
	v_mul_f16_e32 v12, s15, v12
	v_cvt_f32_f16_e32 v12, v12
.LBB265_118:
	v_pk_add_f16 v13, v0, v4
	v_max_f16_e32 v14, v68, v68
	v_pk_add_f16 v16, v1, v5
	v_min_f16_e32 v14, v14, v13
	v_lshrrev_b32_e32 v15, 16, v68
	v_lshrrev_b32_e32 v13, 16, v13
	;; [unrolled: 1-line block ×3, first 2 shown]
	v_min3_f16 v13, v15, v13, v17
	v_min3_f16 v13, v14, v16, v13
	v_cvt_f32_f16_e32 v13, v13
	v_max_f32_e32 v12, v12, v12
	s_and_b64 vcc, exec, s[0:1]
	v_min_f32_e32 v12, v12, v13
	v_cvt_f16_f32_e32 v14, v12
	v_lshl_add_u64 v[12:13], v[40:41], 1, v[10:11]
	global_store_short v[12:13], v14, off
	v_mov_b32_e32 v12, 0
	v_mov_b32_e32 v13, 0
	s_cbranch_vccnz .LBB265_120
; %bb.119:
	v_lshl_add_u64 v[14:15], v[42:43], 1, v[8:9]
	global_load_ushort v13, v[14:15], off
	s_waitcnt vmcnt(0)
	v_mul_f16_e32 v13, s15, v13
	v_cvt_f32_f16_e32 v13, v13
.LBB265_120:
	v_pk_add_f16 v14, v2, v4
	v_max_f16_e32 v15, v67, v67
	v_pk_add_f16 v17, v3, v5
	v_min_f16_e32 v15, v15, v14
	v_lshrrev_b32_e32 v16, 16, v67
	v_lshrrev_b32_e32 v14, 16, v14
	v_lshrrev_b32_e32 v18, 16, v17
	v_min3_f16 v14, v16, v14, v18
	v_min3_f16 v14, v15, v17, v14
	v_cvt_f32_f16_e32 v14, v14
	v_max_f32_e32 v13, v13, v13
	s_and_b64 vcc, exec, s[0:1]
	v_min_f32_e32 v13, v13, v14
	v_cvt_f16_f32_e32 v13, v13
	v_lshl_add_u64 v[14:15], v[42:43], 1, v[10:11]
	global_store_short v[14:15], v13, off
	s_cbranch_vccnz .LBB265_122
; %bb.121:
	v_lshl_add_u64 v[8:9], v[44:45], 1, v[8:9]
	global_load_ushort v8, v[8:9], off
	s_waitcnt vmcnt(0)
	v_mul_f16_e32 v8, s15, v8
	v_cvt_f32_f16_e32 v12, v8
.LBB265_122:
	v_pk_add_f16 v4, v32, v4
	v_max_f16_e32 v8, v66, v66
	v_pk_add_f16 v5, v33, v5
	v_min_f16_e32 v8, v8, v4
	v_lshrrev_b32_e32 v9, 16, v66
	v_lshrrev_b32_e32 v4, 16, v4
	;; [unrolled: 1-line block ×3, first 2 shown]
	v_min3_f16 v4, v9, v4, v13
	v_min3_f16 v4, v8, v5, v4
	v_cvt_f32_f16_e32 v4, v4
	v_max_f32_e32 v5, v12, v12
	s_and_b64 vcc, exec, s[0:1]
	v_mov_b32_e32 v9, 0
	v_min_f32_e32 v4, v5, v4
	v_cvt_f16_f32_e32 v8, v4
	v_lshl_add_u64 v[4:5], v[44:45], 1, v[10:11]
	v_mov_b32_e32 v10, 0
	global_store_short v[4:5], v8, off
	v_add_u32_e32 v8, 0x70, v52
	v_mad_i64_i32 v[4:5], s[6:7], v8, s9, 0
	v_lshl_add_u64 v[4:5], v[4:5], 1, s[12:13]
	s_cbranch_vccnz .LBB265_124
; %bb.123:
	v_lshl_add_u64 v[12:13], v[36:37], 1, v[4:5]
	global_load_ushort v9, v[12:13], off
	s_waitcnt vmcnt(0)
	v_mul_f16_e32 v9, s15, v9
	v_cvt_f32_f16_e32 v9, v9
.LBB265_124:
	v_pk_add_f16 v11, v38, v6
	v_max_f16_e32 v12, v65, v65
	v_pk_add_f16 v14, v39, v7
	v_min_f16_e32 v12, v12, v11
	v_lshrrev_b32_e32 v13, 16, v65
	v_lshrrev_b32_e32 v11, 16, v11
	;; [unrolled: 1-line block ×3, first 2 shown]
	v_min3_f16 v11, v13, v11, v15
	v_min3_f16 v11, v12, v14, v11
	v_cvt_f32_f16_e32 v11, v11
	v_mad_i64_i32 v[12:13], s[6:7], v8, s8, 0
	v_max_f32_e32 v8, v9, v9
	v_min_f32_e32 v8, v8, v11
	v_cvt_f16_f32_e32 v11, v8
	v_lshl_add_u64 v[8:9], v[12:13], 1, s[2:3]
	v_lshl_add_u64 v[12:13], v[36:37], 1, v[8:9]
	s_and_b64 vcc, exec, s[0:1]
	global_store_short v[12:13], v11, off
	s_cbranch_vccnz .LBB265_126
; %bb.125:
	v_lshl_add_u64 v[10:11], v[40:41], 1, v[4:5]
	global_load_ushort v10, v[10:11], off
	s_waitcnt vmcnt(0)
	v_mul_f16_e32 v10, s15, v10
	v_cvt_f32_f16_e32 v10, v10
.LBB265_126:
	v_pk_add_f16 v11, v0, v6
	v_max_f16_e32 v12, v64, v64
	v_pk_add_f16 v14, v1, v7
	v_min_f16_e32 v12, v12, v11
	v_lshrrev_b32_e32 v13, 16, v64
	v_lshrrev_b32_e32 v11, 16, v11
	;; [unrolled: 1-line block ×3, first 2 shown]
	v_min3_f16 v11, v13, v11, v15
	v_min3_f16 v11, v12, v14, v11
	v_cvt_f32_f16_e32 v11, v11
	v_max_f32_e32 v10, v10, v10
	s_and_b64 vcc, exec, s[0:1]
	v_min_f32_e32 v10, v10, v11
	v_cvt_f16_f32_e32 v12, v10
	v_lshl_add_u64 v[10:11], v[40:41], 1, v[8:9]
	global_store_short v[10:11], v12, off
	v_mov_b32_e32 v10, 0
	v_mov_b32_e32 v11, 0
	s_cbranch_vccnz .LBB265_128
; %bb.127:
	v_lshl_add_u64 v[12:13], v[42:43], 1, v[4:5]
	global_load_ushort v11, v[12:13], off
	s_waitcnt vmcnt(0)
	v_mul_f16_e32 v11, s15, v11
	v_cvt_f32_f16_e32 v11, v11
.LBB265_128:
	v_pk_add_f16 v12, v2, v6
	v_max_f16_e32 v13, v63, v63
	v_pk_add_f16 v15, v3, v7
	v_min_f16_e32 v13, v13, v12
	v_lshrrev_b32_e32 v14, 16, v63
	v_lshrrev_b32_e32 v12, 16, v12
	;; [unrolled: 1-line block ×3, first 2 shown]
	v_min3_f16 v12, v14, v12, v16
	v_min3_f16 v12, v13, v15, v12
	v_cvt_f32_f16_e32 v12, v12
	v_max_f32_e32 v11, v11, v11
	s_and_b64 vcc, exec, s[0:1]
	v_min_f32_e32 v11, v11, v12
	v_cvt_f16_f32_e32 v11, v11
	v_lshl_add_u64 v[12:13], v[42:43], 1, v[8:9]
	global_store_short v[12:13], v11, off
	s_cbranch_vccnz .LBB265_130
; %bb.129:
	v_lshl_add_u64 v[4:5], v[44:45], 1, v[4:5]
	global_load_ushort v4, v[4:5], off
	s_waitcnt vmcnt(0)
	v_mul_f16_e32 v4, s15, v4
	v_cvt_f32_f16_e32 v10, v4
.LBB265_130:
	v_pk_add_f16 v4, v32, v6
	v_max_f16_e32 v5, v62, v62
	v_pk_add_f16 v7, v33, v7
	v_min_f16_e32 v5, v5, v4
	v_lshrrev_b32_e32 v6, 16, v62
	v_lshrrev_b32_e32 v4, 16, v4
	v_lshrrev_b32_e32 v11, 16, v7
	v_min3_f16 v4, v6, v4, v11
	v_min3_f16 v4, v5, v7, v4
	v_cvt_f32_f16_e32 v4, v4
	v_max_f32_e32 v5, v10, v10
	s_and_b64 vcc, exec, s[0:1]
	v_mov_b32_e32 v7, 0
	v_min_f32_e32 v4, v5, v4
	v_cvt_f16_f32_e32 v6, v4
	v_lshl_add_u64 v[4:5], v[44:45], 1, v[8:9]
	v_mov_b32_e32 v8, 0
	global_store_short v[4:5], v6, off
	v_add_u32_e32 v6, 0x78, v52
	v_mad_i64_i32 v[4:5], s[6:7], v6, s9, 0
	v_lshl_add_u64 v[4:5], v[4:5], 1, s[12:13]
	s_cbranch_vccnz .LBB265_132
; %bb.131:
	v_lshl_add_u64 v[10:11], v[36:37], 1, v[4:5]
	global_load_ushort v7, v[10:11], off
	s_waitcnt vmcnt(0)
	v_mul_f16_e32 v7, s15, v7
	v_cvt_f32_f16_e32 v7, v7
.LBB265_132:
	v_pk_add_f16 v9, v38, v34
	v_max_f16_e32 v10, v61, v61
	v_pk_add_f16 v12, v39, v35
	v_min_f16_e32 v10, v10, v9
	v_lshrrev_b32_e32 v11, 16, v61
	v_lshrrev_b32_e32 v9, 16, v9
	;; [unrolled: 1-line block ×3, first 2 shown]
	v_min3_f16 v9, v11, v9, v13
	v_min3_f16 v9, v10, v12, v9
	v_cvt_f32_f16_e32 v9, v9
	v_mad_i64_i32 v[10:11], s[6:7], v6, s8, 0
	v_max_f32_e32 v6, v7, v7
	v_min_f32_e32 v6, v6, v9
	v_cvt_f16_f32_e32 v9, v6
	v_lshl_add_u64 v[6:7], v[10:11], 1, s[2:3]
	v_lshl_add_u64 v[10:11], v[36:37], 1, v[6:7]
	s_and_b64 vcc, exec, s[0:1]
	global_store_short v[10:11], v9, off
	s_cbranch_vccnz .LBB265_134
; %bb.133:
	v_lshl_add_u64 v[8:9], v[40:41], 1, v[4:5]
	global_load_ushort v8, v[8:9], off
	s_waitcnt vmcnt(0)
	v_mul_f16_e32 v8, s15, v8
	v_cvt_f32_f16_e32 v8, v8
.LBB265_134:
	v_pk_add_f16 v0, v0, v34
	v_max_f16_e32 v9, v60, v60
	v_pk_add_f16 v1, v1, v35
	v_min_f16_e32 v9, v9, v0
	v_lshrrev_b32_e32 v10, 16, v60
	v_lshrrev_b32_e32 v0, 16, v0
	;; [unrolled: 1-line block ×3, first 2 shown]
	v_min3_f16 v0, v10, v0, v11
	v_min3_f16 v0, v9, v1, v0
	v_cvt_f32_f16_e32 v0, v0
	v_max_f32_e32 v8, v8, v8
	v_pk_add_f16 v1, v2, v34
	v_max_f16_e32 v2, v58, v58
	v_min_f32_e32 v0, v8, v0
	v_cvt_f16_f32_e32 v8, v0
	v_pk_add_f16 v3, v3, v35
	v_min_f16_e32 v2, v2, v1
	v_lshrrev_b32_e32 v9, 16, v58
	v_lshrrev_b32_e32 v1, 16, v1
	;; [unrolled: 1-line block ×3, first 2 shown]
	v_min3_f16 v9, v9, v1, v0
	v_lshl_add_u64 v[0:1], v[40:41], 1, v[6:7]
	global_store_short v[0:1], v8, off
	v_min3_f16 v0, v2, v3, v9
	s_mov_b64 s[0:1], -1
	s_mov_b64 vcc, s[4:5]
	s_cbranch_vccz .LBB265_136
; %bb.135:
	v_cvt_f32_f16_e32 v1, v0
	v_lshl_add_u64 v[2:3], v[42:43], 1, v[6:7]
	s_mov_b64 s[0:1], 0
	v_min_f32_e32 v1, 0, v1
	v_cvt_f16_f32_e32 v1, v1
	global_store_short v[2:3], v1, off
.LBB265_136:
	s_andn2_b64 vcc, exec, s[0:1]
	v_mov_b32_e32 v1, 0
	s_cbranch_vccnz .LBB265_138
; %bb.137:
	v_lshlrev_b64 v[2:3], 1, v[42:43]
	v_lshl_add_u64 v[8:9], v[4:5], 0, v[2:3]
	global_load_ushort v8, v[8:9], off
	v_max_f16_e32 v9, v0, v0
	v_lshl_add_u64 v[0:1], v[6:7], 0, v[2:3]
	s_waitcnt vmcnt(0)
	v_mul_f16_e32 v2, s15, v8
	v_min_f16_e32 v2, v2, v9
	global_store_short v[0:1], v2, off
	v_lshl_add_u64 v[0:1], v[44:45], 1, v[4:5]
	global_load_ushort v0, v[0:1], off
	s_waitcnt vmcnt(0)
	v_mul_f16_e32 v0, s15, v0
	v_cvt_f32_f16_e32 v1, v0
.LBB265_138:
	v_pk_add_f16 v0, v32, v34
	v_max_f16_e32 v2, v59, v59
	v_pk_add_f16 v3, v33, v35
	v_min_f16_e32 v2, v2, v0
	v_lshrrev_b32_e32 v4, 16, v59
	v_lshrrev_b32_e32 v0, 16, v0
	;; [unrolled: 1-line block ×3, first 2 shown]
	v_min3_f16 v0, v4, v0, v5
	v_min3_f16 v0, v2, v3, v0
	v_cvt_f32_f16_e32 v0, v0
	v_max_f32_e32 v1, v1, v1
	v_min_f32_e32 v0, v1, v0
	v_cvt_f16_f32_e32 v2, v0
	v_lshl_add_u64 v[0:1], v[44:45], 1, v[6:7]
	global_store_short v[0:1], v2, off
	s_endpgm
.LBB265_139:
	s_mov_b64 s[16:17], 0
	s_andn2_b64 vcc, exec, s[8:9]
	s_mov_b64 s[4:5], -1
	s_cbranch_vccz .LBB265_2
	s_branch .LBB265_3
	.section	.rodata,"a",@progbits
	.p2align	6, 0x0
	.amdhsa_kernel _ZN12_GLOBAL__N_120geam_min_plus_kernelIDF16_Dv2_DF16_S1_Li32ELi8ELi128ELi128ELi4ELi4ELi64ELi4ELi64ELc84ELc78ELb1ELb0ELb1EDF16_KDF16_DF16_EEviiiT16_PT17_ilS5_ilS3_S5_ilPT18_ili26rocblas_geam_ex_operation_
		.amdhsa_group_segment_fixed_size 4096
		.amdhsa_private_segment_fixed_size 0
		.amdhsa_kernarg_size 128
		.amdhsa_user_sgpr_count 2
		.amdhsa_user_sgpr_dispatch_ptr 0
		.amdhsa_user_sgpr_queue_ptr 0
		.amdhsa_user_sgpr_kernarg_segment_ptr 1
		.amdhsa_user_sgpr_dispatch_id 0
		.amdhsa_user_sgpr_kernarg_preload_length 0
		.amdhsa_user_sgpr_kernarg_preload_offset 0
		.amdhsa_user_sgpr_private_segment_size 0
		.amdhsa_uses_dynamic_stack 0
		.amdhsa_enable_private_segment 0
		.amdhsa_system_sgpr_workgroup_id_x 1
		.amdhsa_system_sgpr_workgroup_id_y 0
		.amdhsa_system_sgpr_workgroup_id_z 1
		.amdhsa_system_sgpr_workgroup_info 0
		.amdhsa_system_vgpr_workitem_id 1
		.amdhsa_next_free_vgpr 226
		.amdhsa_next_free_sgpr 23
		.amdhsa_accum_offset 228
		.amdhsa_reserve_vcc 1
		.amdhsa_float_round_mode_32 0
		.amdhsa_float_round_mode_16_64 0
		.amdhsa_float_denorm_mode_32 3
		.amdhsa_float_denorm_mode_16_64 3
		.amdhsa_dx10_clamp 1
		.amdhsa_ieee_mode 1
		.amdhsa_fp16_overflow 0
		.amdhsa_tg_split 0
		.amdhsa_exception_fp_ieee_invalid_op 0
		.amdhsa_exception_fp_denorm_src 0
		.amdhsa_exception_fp_ieee_div_zero 0
		.amdhsa_exception_fp_ieee_overflow 0
		.amdhsa_exception_fp_ieee_underflow 0
		.amdhsa_exception_fp_ieee_inexact 0
		.amdhsa_exception_int_div_zero 0
	.end_amdhsa_kernel
	.section	.text._ZN12_GLOBAL__N_120geam_min_plus_kernelIDF16_Dv2_DF16_S1_Li32ELi8ELi128ELi128ELi4ELi4ELi64ELi4ELi64ELc84ELc78ELb1ELb0ELb1EDF16_KDF16_DF16_EEviiiT16_PT17_ilS5_ilS3_S5_ilPT18_ili26rocblas_geam_ex_operation_,"axG",@progbits,_ZN12_GLOBAL__N_120geam_min_plus_kernelIDF16_Dv2_DF16_S1_Li32ELi8ELi128ELi128ELi4ELi4ELi64ELi4ELi64ELc84ELc78ELb1ELb0ELb1EDF16_KDF16_DF16_EEviiiT16_PT17_ilS5_ilS3_S5_ilPT18_ili26rocblas_geam_ex_operation_,comdat
.Lfunc_end265:
	.size	_ZN12_GLOBAL__N_120geam_min_plus_kernelIDF16_Dv2_DF16_S1_Li32ELi8ELi128ELi128ELi4ELi4ELi64ELi4ELi64ELc84ELc78ELb1ELb0ELb1EDF16_KDF16_DF16_EEviiiT16_PT17_ilS5_ilS3_S5_ilPT18_ili26rocblas_geam_ex_operation_, .Lfunc_end265-_ZN12_GLOBAL__N_120geam_min_plus_kernelIDF16_Dv2_DF16_S1_Li32ELi8ELi128ELi128ELi4ELi4ELi64ELi4ELi64ELc84ELc78ELb1ELb0ELb1EDF16_KDF16_DF16_EEviiiT16_PT17_ilS5_ilS3_S5_ilPT18_ili26rocblas_geam_ex_operation_
                                        ; -- End function
	.set _ZN12_GLOBAL__N_120geam_min_plus_kernelIDF16_Dv2_DF16_S1_Li32ELi8ELi128ELi128ELi4ELi4ELi64ELi4ELi64ELc84ELc78ELb1ELb0ELb1EDF16_KDF16_DF16_EEviiiT16_PT17_ilS5_ilS3_S5_ilPT18_ili26rocblas_geam_ex_operation_.num_vgpr, 226
	.set _ZN12_GLOBAL__N_120geam_min_plus_kernelIDF16_Dv2_DF16_S1_Li32ELi8ELi128ELi128ELi4ELi4ELi64ELi4ELi64ELc84ELc78ELb1ELb0ELb1EDF16_KDF16_DF16_EEviiiT16_PT17_ilS5_ilS3_S5_ilPT18_ili26rocblas_geam_ex_operation_.num_agpr, 0
	.set _ZN12_GLOBAL__N_120geam_min_plus_kernelIDF16_Dv2_DF16_S1_Li32ELi8ELi128ELi128ELi4ELi4ELi64ELi4ELi64ELc84ELc78ELb1ELb0ELb1EDF16_KDF16_DF16_EEviiiT16_PT17_ilS5_ilS3_S5_ilPT18_ili26rocblas_geam_ex_operation_.numbered_sgpr, 23
	.set _ZN12_GLOBAL__N_120geam_min_plus_kernelIDF16_Dv2_DF16_S1_Li32ELi8ELi128ELi128ELi4ELi4ELi64ELi4ELi64ELc84ELc78ELb1ELb0ELb1EDF16_KDF16_DF16_EEviiiT16_PT17_ilS5_ilS3_S5_ilPT18_ili26rocblas_geam_ex_operation_.num_named_barrier, 0
	.set _ZN12_GLOBAL__N_120geam_min_plus_kernelIDF16_Dv2_DF16_S1_Li32ELi8ELi128ELi128ELi4ELi4ELi64ELi4ELi64ELc84ELc78ELb1ELb0ELb1EDF16_KDF16_DF16_EEviiiT16_PT17_ilS5_ilS3_S5_ilPT18_ili26rocblas_geam_ex_operation_.private_seg_size, 0
	.set _ZN12_GLOBAL__N_120geam_min_plus_kernelIDF16_Dv2_DF16_S1_Li32ELi8ELi128ELi128ELi4ELi4ELi64ELi4ELi64ELc84ELc78ELb1ELb0ELb1EDF16_KDF16_DF16_EEviiiT16_PT17_ilS5_ilS3_S5_ilPT18_ili26rocblas_geam_ex_operation_.uses_vcc, 1
	.set _ZN12_GLOBAL__N_120geam_min_plus_kernelIDF16_Dv2_DF16_S1_Li32ELi8ELi128ELi128ELi4ELi4ELi64ELi4ELi64ELc84ELc78ELb1ELb0ELb1EDF16_KDF16_DF16_EEviiiT16_PT17_ilS5_ilS3_S5_ilPT18_ili26rocblas_geam_ex_operation_.uses_flat_scratch, 0
	.set _ZN12_GLOBAL__N_120geam_min_plus_kernelIDF16_Dv2_DF16_S1_Li32ELi8ELi128ELi128ELi4ELi4ELi64ELi4ELi64ELc84ELc78ELb1ELb0ELb1EDF16_KDF16_DF16_EEviiiT16_PT17_ilS5_ilS3_S5_ilPT18_ili26rocblas_geam_ex_operation_.has_dyn_sized_stack, 0
	.set _ZN12_GLOBAL__N_120geam_min_plus_kernelIDF16_Dv2_DF16_S1_Li32ELi8ELi128ELi128ELi4ELi4ELi64ELi4ELi64ELc84ELc78ELb1ELb0ELb1EDF16_KDF16_DF16_EEviiiT16_PT17_ilS5_ilS3_S5_ilPT18_ili26rocblas_geam_ex_operation_.has_recursion, 0
	.set _ZN12_GLOBAL__N_120geam_min_plus_kernelIDF16_Dv2_DF16_S1_Li32ELi8ELi128ELi128ELi4ELi4ELi64ELi4ELi64ELc84ELc78ELb1ELb0ELb1EDF16_KDF16_DF16_EEviiiT16_PT17_ilS5_ilS3_S5_ilPT18_ili26rocblas_geam_ex_operation_.has_indirect_call, 0
	.section	.AMDGPU.csdata,"",@progbits
; Kernel info:
; codeLenInByte = 17104
; TotalNumSgprs: 29
; NumVgprs: 226
; NumAgprs: 0
; TotalNumVgprs: 226
; ScratchSize: 0
; MemoryBound: 0
; FloatMode: 240
; IeeeMode: 1
; LDSByteSize: 4096 bytes/workgroup (compile time only)
; SGPRBlocks: 3
; VGPRBlocks: 28
; NumSGPRsForWavesPerEU: 29
; NumVGPRsForWavesPerEU: 226
; AccumOffset: 228
; Occupancy: 2
; WaveLimiterHint : 0
; COMPUTE_PGM_RSRC2:SCRATCH_EN: 0
; COMPUTE_PGM_RSRC2:USER_SGPR: 2
; COMPUTE_PGM_RSRC2:TRAP_HANDLER: 0
; COMPUTE_PGM_RSRC2:TGID_X_EN: 1
; COMPUTE_PGM_RSRC2:TGID_Y_EN: 0
; COMPUTE_PGM_RSRC2:TGID_Z_EN: 1
; COMPUTE_PGM_RSRC2:TIDIG_COMP_CNT: 1
; COMPUTE_PGM_RSRC3_GFX90A:ACCUM_OFFSET: 56
; COMPUTE_PGM_RSRC3_GFX90A:TG_SPLIT: 0
	.section	.text._ZN12_GLOBAL__N_120geam_min_plus_kernelIDF16_Dv2_DF16_S1_Li32ELi8ELi128ELi128ELi4ELi4ELi64ELi4ELi64ELc84ELc78ELb0ELb0ELb1EDF16_KDF16_DF16_EEviiiT16_PT17_ilS5_ilS3_S5_ilPT18_ili26rocblas_geam_ex_operation_,"axG",@progbits,_ZN12_GLOBAL__N_120geam_min_plus_kernelIDF16_Dv2_DF16_S1_Li32ELi8ELi128ELi128ELi4ELi4ELi64ELi4ELi64ELc84ELc78ELb0ELb0ELb1EDF16_KDF16_DF16_EEviiiT16_PT17_ilS5_ilS3_S5_ilPT18_ili26rocblas_geam_ex_operation_,comdat
	.globl	_ZN12_GLOBAL__N_120geam_min_plus_kernelIDF16_Dv2_DF16_S1_Li32ELi8ELi128ELi128ELi4ELi4ELi64ELi4ELi64ELc84ELc78ELb0ELb0ELb1EDF16_KDF16_DF16_EEviiiT16_PT17_ilS5_ilS3_S5_ilPT18_ili26rocblas_geam_ex_operation_ ; -- Begin function _ZN12_GLOBAL__N_120geam_min_plus_kernelIDF16_Dv2_DF16_S1_Li32ELi8ELi128ELi128ELi4ELi4ELi64ELi4ELi64ELc84ELc78ELb0ELb0ELb1EDF16_KDF16_DF16_EEviiiT16_PT17_ilS5_ilS3_S5_ilPT18_ili26rocblas_geam_ex_operation_
	.p2align	8
	.type	_ZN12_GLOBAL__N_120geam_min_plus_kernelIDF16_Dv2_DF16_S1_Li32ELi8ELi128ELi128ELi4ELi4ELi64ELi4ELi64ELc84ELc78ELb0ELb0ELb1EDF16_KDF16_DF16_EEviiiT16_PT17_ilS5_ilS3_S5_ilPT18_ili26rocblas_geam_ex_operation_,@function
_ZN12_GLOBAL__N_120geam_min_plus_kernelIDF16_Dv2_DF16_S1_Li32ELi8ELi128ELi128ELi4ELi4ELi64ELi4ELi64ELc84ELc78ELb0ELb0ELb1EDF16_KDF16_DF16_EEviiiT16_PT17_ilS5_ilS3_S5_ilPT18_ili26rocblas_geam_ex_operation_: ; @_ZN12_GLOBAL__N_120geam_min_plus_kernelIDF16_Dv2_DF16_S1_Li32ELi8ELi128ELi128ELi4ELi4ELi64ELi4ELi64ELc84ELc78ELb0ELb0ELb1EDF16_KDF16_DF16_EEviiiT16_PT17_ilS5_ilS3_S5_ilPT18_ili26rocblas_geam_ex_operation_
; %bb.0:
	s_load_dwordx2 s[18:19], s[0:1], 0x8
	s_load_dwordx4 s[8:11], s[0:1], 0x20
	s_waitcnt lgkmcnt(0)
	v_cmp_eq_f16_e64 s[6:7], s19, 0
	s_and_b64 s[4:5], exec, s[6:7]
	s_mov_b64 vcc, s[4:5]
	s_cbranch_vccnz .LBB266_165
; %bb.1:
	s_load_dwordx2 s[12:13], s[0:1], 0x10
	s_mul_i32 s9, s9, s3
	s_mul_hi_u32 s14, s8, s3
	s_add_i32 s9, s14, s9
	s_mul_i32 s8, s8, s3
	s_lshl_b64 s[8:9], s[8:9], 1
	s_waitcnt lgkmcnt(0)
	s_add_u32 s20, s12, s8
	s_addc_u32 s21, s13, s9
	s_andn2_b64 vcc, exec, s[6:7]
	s_mov_b64 s[6:7], -1
	s_cbranch_vccnz .LBB266_3
.LBB266_2:
	s_mov_b64 s[6:7], 0
.LBB266_3:
	s_mov_b64 s[16:17], 0
	s_andn2_b64 vcc, exec, s[6:7]
	s_mov_b64 s[22:23], 0
	s_cbranch_vccnz .LBB266_5
; %bb.4:
	s_load_dwordx2 s[6:7], s[0:1], 0x38
	s_waitcnt lgkmcnt(0)
	s_mul_i32 s7, s7, s3
	s_mul_hi_u32 s8, s6, s3
	s_add_i32 s7, s8, s7
	s_mul_i32 s6, s6, s3
	s_lshl_b64 s[6:7], s[6:7], 1
	s_add_u32 s22, s10, s6
	s_addc_u32 s23, s11, s7
.LBB266_5:
	s_load_dword s24, s[0:1], 0x40
	s_load_dwordx4 s[12:15], s[0:1], 0x58
	v_cmp_neq_f16_e64 s[10:11], s19, 0
	s_waitcnt lgkmcnt(0)
	v_cmp_eq_f16_e64 s[6:7], s24, 0
	s_and_b64 s[8:9], exec, s[6:7]
	s_mov_b64 vcc, s[8:9]
	s_cbranch_vccnz .LBB266_7
; %bb.6:
	s_load_dwordx2 s[6:7], s[0:1], 0x48
	s_mul_i32 s13, s13, s3
	s_mul_hi_u32 s16, s12, s3
	s_add_i32 s13, s16, s13
	s_mul_i32 s12, s12, s3
	s_lshl_b64 s[12:13], s[12:13], 1
	s_waitcnt lgkmcnt(0)
	s_add_u32 s16, s6, s12
	s_addc_u32 s17, s7, s13
.LBB266_7:
	s_load_dword s6, s[0:1], 0x0
	s_load_dword s25, s[0:1], 0x18
	v_and_b32_e32 v87, 0x3ff, v0
	v_bfe_u32 v89, v0, 10, 10
	v_and_b32_e32 v4, 3, v0
	s_waitcnt lgkmcnt(0)
	s_add_i32 s6, s6, -1
	s_ashr_i32 s7, s6, 31
	s_lshr_b32 s7, s7, 25
	s_add_i32 s6, s6, s7
	s_ashr_i32 s12, s6, 7
	s_add_i32 s13, s12, 1
	v_cvt_f32_u32_e32 v2, s13
	s_not_b32 s12, s12
	v_lshl_add_u32 v5, v89, 5, v87
	v_mov_b32_e32 v1, 0
	v_rcp_iflag_f32_e32 v2, v2
	v_cndmask_b32_e64 v3, 0, 1, s[10:11]
	v_lshlrev_b32_e32 v0, 1, v4
	v_lshrrev_b32_e32 v5, 2, v5
	v_mul_f32_e32 v2, 0x4f7ffffe, v2
	v_cvt_u32_f32_e32 v2, v2
	v_cmp_ne_u32_e64 s[6:7], 1, v3
	v_readfirstlane_b32 s26, v2
	s_mul_i32 s12, s12, s26
	s_mul_hi_u32 s12, s26, s12
	s_add_i32 s26, s26, s12
	s_mul_hi_u32 s12, s2, s26
	s_mul_i32 s26, s12, s13
	s_sub_i32 s26, s2, s26
	s_add_i32 s27, s12, 1
	s_sub_i32 s28, s26, s13
	s_cmp_ge_u32 s26, s13
	s_cselect_b32 s12, s27, s12
	s_cselect_b32 s26, s28, s26
	s_add_i32 s27, s12, 1
	s_cmp_ge_u32 s26, s13
	s_cselect_b32 s12, s27, s12
	s_mul_i32 s13, s12, s13
	s_sub_i32 s2, s2, s13
	s_lshl_b32 s2, s2, 7
	v_add_u32_e32 v32, s2, v5
	s_andn2_b64 vcc, exec, s[10:11]
	v_lshl_add_u64 v[2:3], s[20:21], 0, v[0:1]
	s_cbranch_vccnz .LBB266_9
; %bb.8:
	v_mad_i64_i32 v[6:7], s[10:11], v32, s25, 0
	v_lshl_add_u64 v[6:7], v[6:7], 1, v[2:3]
	global_load_ushort v1, v[6:7], off
	s_waitcnt vmcnt(0)
	v_mul_f16_e32 v1, s19, v1
.LBB266_9:
	s_load_dword s26, s[0:1], 0x30
	s_lshl_b32 s12, s12, 7
	v_and_b32_e32 v7, 0xffff, v1
	s_mov_b64 vcc, s[4:5]
	s_cbranch_vccz .LBB266_11
; %bb.10:
	v_and_b32_e32 v105, 0xffff, v7
	s_mov_b64 s[10:11], 0
	s_branch .LBB266_12
.LBB266_11:
	s_mov_b64 s[10:11], -1
                                        ; implicit-def: $vgpr105
.LBB266_12:
	v_add_u32_e32 v34, s12, v5
	v_mov_b32_e32 v6, 0
	v_mov_b32_e32 v36, 0
	s_andn2_b64 vcc, exec, s[10:11]
	v_add_u32_e32 v33, 64, v32
	v_add_u32_e32 v35, 64, v34
	v_mov_b32_e32 v37, 0
	s_cbranch_vccnz .LBB266_14
; %bb.13:
	v_mad_i64_i32 v[8:9], s[10:11], v33, s25, 0
	v_lshl_add_u64 v[8:9], v[8:9], 1, v[2:3]
	v_mov_b32_e32 v1, 0
	global_load_ushort v12, v[8:9], off
	v_lshl_add_u64 v[8:9], s[22:23], 0, v[0:1]
	s_waitcnt lgkmcnt(0)
	v_mad_i64_i32 v[10:11], s[10:11], v34, s26, 0
	v_lshl_add_u64 v[10:11], v[10:11], 1, v[8:9]
	global_load_ushort v1, v[10:11], off
	v_mad_i64_i32 v[10:11], s[10:11], v35, s26, 0
	v_lshl_add_u64 v[8:9], v[10:11], 1, v[8:9]
	global_load_ushort v8, v[8:9], off
	s_mov_b32 s10, 0x5040100
	s_waitcnt vmcnt(2)
	v_mul_f16_e32 v9, s19, v12
	v_perm_b32 v105, v9, v7, s10
	s_waitcnt vmcnt(1)
	v_mul_f16_e32 v1, s19, v1
	v_pack_b32_f16 v36, v1, 0
	s_waitcnt vmcnt(0)
	v_mul_f16_e32 v37, s19, v8
.LBB266_14:
	s_and_b64 vcc, exec, s[6:7]
	s_cbranch_vccnz .LBB266_16
; %bb.15:
	v_mad_i64_i32 v[6:7], s[10:11], v32, s25, 0
	v_lshl_add_u64 v[6:7], v[6:7], 1, v[2:3]
	global_load_ushort v1, v[6:7], off offset:8
	s_waitcnt vmcnt(0)
	v_mul_f16_e32 v6, s19, v1
.LBB266_16:
	v_and_b32_e32 v6, 0xffff, v6
	s_mov_b64 vcc, s[4:5]
	s_cbranch_vccz .LBB266_19
; %bb.17:
	v_and_b32_e32 v109, 0xffff, v6
	s_cbranch_execz .LBB266_20
; %bb.18:
	v_mov_b32_e32 v39, 0
	v_mov_b32_e32 v38, 0
	s_branch .LBB266_21
.LBB266_19:
                                        ; implicit-def: $vgpr109
.LBB266_20:
	v_mad_i64_i32 v[8:9], s[10:11], v33, s25, 0
	v_lshl_add_u64 v[2:3], v[8:9], 1, v[2:3]
	v_mov_b32_e32 v1, 0
	global_load_ushort v7, v[2:3], off offset:8
	v_lshl_add_u64 v[0:1], s[22:23], 0, v[0:1]
	s_waitcnt lgkmcnt(0)
	v_mad_i64_i32 v[2:3], s[10:11], v34, s26, 0
	v_lshl_add_u64 v[2:3], v[2:3], 1, v[0:1]
	global_load_ushort v8, v[2:3], off offset:8
	v_mad_i64_i32 v[2:3], s[10:11], v35, s26, 0
	v_lshl_add_u64 v[0:1], v[2:3], 1, v[0:1]
	global_load_ushort v0, v[0:1], off offset:8
	s_mov_b32 s10, 0x5040100
	s_waitcnt vmcnt(2)
	v_mul_f16_e32 v1, s19, v7
	v_perm_b32 v109, v1, v6, s10
	s_waitcnt vmcnt(1)
	v_mul_f16_e32 v1, s19, v8
	v_pack_b32_f16 v38, v1, 0
	s_waitcnt vmcnt(0)
	v_mul_f16_e32 v39, s19, v0
.LBB266_21:
	v_lshlrev_b32_e32 v0, 3, v5
	v_lshlrev_b32_e32 v96, 3, v89
	v_lshl_or_b32 v111, v4, 1, v0
	v_lshlrev_b32_e32 v99, 3, v87
	v_add_u32_e32 v113, 0x800, v96
	ds_write_b16 v111, v105
	ds_write_b16_d16_hi v111, v105 offset:512
	ds_write_b16 v111, v36 offset:2048
	ds_write_b16 v111, v37 offset:2560
	s_waitcnt lgkmcnt(0)
	s_barrier
	ds_read2_b64 v[4:7], v99 offset1:32
	ds_read2_b64 v[0:3], v99 offset0:64 offset1:96
	ds_read2_b64 v[40:43], v113 offset1:8
	ds_read2_b64 v[44:47], v113 offset0:16 offset1:24
	ds_read2_b64 v[28:31], v113 offset0:32 offset1:40
	;; [unrolled: 1-line block ×7, first 2 shown]
	s_movk_i32 s10, 0x7c00
	s_cmp_lt_i32 s18, 9
	s_waitcnt lgkmcnt(7)
	v_pk_add_f16 v48, v4, v40
	v_pk_add_f16 v49, v6, v40
	v_pk_add_f16 v50, v0, v40
	v_pk_add_f16 v40, v2, v40
	v_pk_add_f16 v51, v4, v42
	v_pk_add_f16 v52, v6, v42
	v_pk_add_f16 v53, v0, v42
	v_pk_add_f16 v42, v2, v42
	s_waitcnt lgkmcnt(6)
	v_pk_add_f16 v54, v4, v44
	v_pk_add_f16 v55, v6, v44
	v_pk_add_f16 v56, v0, v44
	v_pk_add_f16 v44, v2, v44
	v_pk_add_f16 v57, v4, v46
	v_pk_add_f16 v58, v6, v46
	v_pk_add_f16 v59, v0, v46
	v_pk_add_f16 v46, v2, v46
	s_waitcnt lgkmcnt(5)
	v_pk_add_f16 v60, v4, v28
	v_pk_add_f16 v61, v6, v28
	v_pk_add_f16 v62, v0, v28
	v_pk_add_f16 v28, v2, v28
	v_pk_add_f16 v63, v4, v30
	v_pk_add_f16 v64, v6, v30
	v_pk_add_f16 v65, v0, v30
	v_pk_add_f16 v30, v2, v30
	s_waitcnt lgkmcnt(4)
	v_pk_add_f16 v66, v4, v24
	v_pk_add_f16 v67, v6, v24
	v_pk_add_f16 v68, v0, v24
	v_pk_add_f16 v24, v2, v24
	v_pk_add_f16 v69, v4, v26
	v_pk_add_f16 v70, v6, v26
	v_pk_add_f16 v71, v0, v26
	v_pk_add_f16 v26, v2, v26
	s_waitcnt lgkmcnt(3)
	v_pk_add_f16 v72, v4, v20
	v_pk_add_f16 v73, v6, v20
	v_pk_add_f16 v74, v0, v20
	v_pk_add_f16 v20, v2, v20
	v_pk_add_f16 v75, v4, v22
	v_pk_add_f16 v76, v6, v22
	v_pk_add_f16 v77, v0, v22
	v_pk_add_f16 v22, v2, v22
	s_waitcnt lgkmcnt(2)
	v_pk_add_f16 v78, v4, v16
	v_pk_add_f16 v79, v6, v16
	v_pk_add_f16 v130, v0, v16
	v_pk_add_f16 v16, v2, v16
	v_pk_add_f16 v131, v4, v18
	v_pk_add_f16 v132, v6, v18
	v_pk_add_f16 v133, v0, v18
	v_pk_add_f16 v18, v2, v18
	s_waitcnt lgkmcnt(1)
	v_pk_add_f16 v134, v4, v12
	v_pk_add_f16 v135, v6, v12
	v_pk_add_f16 v136, v0, v12
	v_pk_add_f16 v12, v2, v12
	v_pk_add_f16 v137, v4, v14
	v_pk_add_f16 v138, v6, v14
	v_pk_add_f16 v139, v0, v14
	v_pk_add_f16 v14, v2, v14
	s_waitcnt lgkmcnt(0)
	v_pk_add_f16 v140, v4, v8
	v_pk_add_f16 v141, v6, v8
	v_pk_add_f16 v142, v0, v8
	v_pk_add_f16 v8, v2, v8
	v_pk_add_f16 v4, v4, v10
	v_pk_add_f16 v6, v6, v10
	v_pk_add_f16 v143, v0, v10
	v_pk_add_f16 v0, v2, v10
	v_pk_add_f16 v2, v5, v41
	v_pk_min_f16 v10, v48, s10 op_sel_hi:[1,0]
	v_pk_min_f16 v8, v8, s10 op_sel_hi:[1,0]
	v_pk_min_f16 v129, v10, v2
	v_pk_add_f16 v2, v7, v41
	v_pk_min_f16 v10, v49, s10 op_sel_hi:[1,0]
	v_pk_min_f16 v4, v4, s10 op_sel_hi:[1,0]
	v_pk_min_f16 v128, v10, v2
	;; [unrolled: 4-line block ×3, first 2 shown]
	v_pk_add_f16 v2, v3, v41
	v_pk_min_f16 v10, v40, s10 op_sel_hi:[1,0]
	ds_write_b16 v111, v109 offset:1024
	ds_write_b16_d16_hi v111, v109 offset:1536
	ds_write_b16 v111, v38 offset:3072
	ds_write_b16 v111, v39 offset:3584
	v_pk_min_f16 v126, v10, v2
	v_pk_add_f16 v2, v5, v43
	v_pk_min_f16 v10, v51, s10 op_sel_hi:[1,0]
	s_waitcnt lgkmcnt(0)
	v_pk_min_f16 v125, v10, v2
	v_pk_add_f16 v2, v7, v43
	v_pk_min_f16 v10, v52, s10 op_sel_hi:[1,0]
	s_barrier
	v_pk_min_f16 v124, v10, v2
	v_pk_add_f16 v2, v1, v43
	v_pk_min_f16 v10, v53, s10 op_sel_hi:[1,0]
	s_nop 0
	v_pk_min_f16 v123, v10, v2
	v_pk_add_f16 v2, v3, v43
	v_pk_min_f16 v10, v42, s10 op_sel_hi:[1,0]
	s_nop 0
	;; [unrolled: 4-line block ×52, first 2 shown]
	v_pk_min_f16 v64, v10, v2
	v_pk_add_f16 v2, v1, v9
	v_pk_min_f16 v10, v142, s10 op_sel_hi:[1,0]
	v_pk_add_f16 v1, v1, v11
	v_pk_min_f16 v63, v10, v2
	v_pk_add_f16 v2, v3, v9
	s_nop 0
	v_pk_min_f16 v61, v8, v2
	v_pk_add_f16 v2, v5, v11
	s_nop 0
	v_pk_min_f16 v60, v4, v2
	v_pk_add_f16 v2, v7, v11
	v_pk_min_f16 v4, v6, s10 op_sel_hi:[1,0]
	s_nop 0
	v_pk_min_f16 v58, v4, v2
	v_pk_min_f16 v2, v143, s10 op_sel_hi:[1,0]
	s_nop 0
	v_pk_min_f16 v59, v2, v1
	v_pk_add_f16 v1, v3, v11
	s_nop 0
	v_pk_min_f16 v62, v0, v1
	s_cbranch_scc1 .LBB266_36
; %bb.22:
	v_mov_b32_e32 v0, 0x400
	v_lshl_add_u32 v133, v87, 3, v0
	v_mov_b32_e32 v0, 0xc00
	v_lshl_add_u32 v134, v89, 3, v0
	v_and_b32_e32 v0, 3, v87
	v_lshlrev_b32_e32 v40, 1, v0
	v_mad_i64_i32 v[0:1], s[10:11], s26, v35, 0
	v_lshl_add_u64 v[42:43], v[0:1], 1, s[22:23]
	v_mad_i64_i32 v[0:1], s[10:11], s26, v34, 0
	v_lshl_add_u64 v[44:45], v[0:1], 1, s[22:23]
	v_mad_i64_i32 v[0:1], s[10:11], s25, v33, 0
	s_add_i32 s13, s18, -8
	s_mov_b32 s18, 0x5040100
	v_lshl_add_u64 v[46:47], v[0:1], 1, s[20:21]
	v_mad_i64_i32 v[0:1], s[10:11], s25, v32, 0
	v_add_u32_e32 v130, 0x800, v111
	v_add_u32_e32 v131, 0x400, v111
	;; [unrolled: 1-line block ×3, first 2 shown]
	v_perm_b32 v36, v37, v36, s18
	v_perm_b32 v137, v39, v38, s18
	v_mov_b32_e32 v41, 0
	v_lshl_add_u64 v[48:49], v[0:1], 1, s[20:21]
	s_mov_b32 s20, 0
	s_mov_b32 s21, 0xffff
	s_branch .LBB266_24
.LBB266_23:                             ;   in Loop: Header=BB266_24 Depth=1
	v_pk_add_f16 v50, v4, v36
	v_pk_max_f16 v51, v129, v129
	v_pk_max_f16 v52, v128, v128
	v_pk_min_f16 v50, v51, v50
	v_pk_add_f16 v51, v6, v36
	v_pk_max_f16 v53, v127, v127
	v_pk_min_f16 v51, v52, v51
	v_pk_add_f16 v52, v0, v36
	v_pk_add_f16 v36, v2, v36
	v_pk_min_f16 v52, v53, v52
	v_pk_max_f16 v53, v126, v126
	v_pk_max_f16 v54, v125, v125
	v_pk_min_f16 v36, v53, v36
	v_pk_add_f16 v53, v4, v38
	v_pk_max_f16 v55, v124, v124
	v_pk_min_f16 v53, v54, v53
	v_pk_add_f16 v54, v6, v38
	v_pk_max_f16 v122, v122, v122
	v_pk_min_f16 v54, v55, v54
	v_pk_add_f16 v55, v0, v38
	v_pk_add_f16 v38, v2, v38
	v_pk_max_f16 v121, v121, v121
	v_pk_min_f16 v38, v122, v38
	v_pk_add_f16 v122, v4, v32
	v_pk_max_f16 v120, v120, v120
	v_pk_min_f16 v121, v121, v122
	v_pk_add_f16 v122, v6, v32
	v_pk_max_f16 v118, v118, v118
	v_pk_min_f16 v120, v120, v122
	v_pk_add_f16 v122, v0, v32
	v_pk_add_f16 v32, v2, v32
	;; [unrolled: 10-line block ×13, first 2 shown]
	v_pk_max_f16 v65, v65, v65
	v_pk_min_f16 v14, v66, v14
	v_pk_add_f16 v66, v4, v8
	v_pk_max_f16 v64, v64, v64
	v_pk_min_f16 v65, v65, v66
	v_pk_add_f16 v66, v6, v8
	v_pk_add_f16 v4, v4, v10
	v_pk_min_f16 v64, v64, v66
	v_pk_add_f16 v66, v0, v8
	v_pk_add_f16 v8, v2, v8
	;; [unrolled: 1-line block ×3, first 2 shown]
	v_pk_max_f16 v58, v58, v58
	v_pk_add_f16 v0, v0, v10
	v_pk_add_f16 v2, v2, v10
	v_pk_max_f16 v10, v62, v62
	v_pk_min_f16 v6, v58, v6
	v_pk_max_f16 v58, v59, v59
	v_pk_min_f16 v2, v10, v2
	v_pk_add_f16 v10, v5, v37
	v_pk_min_f16 v0, v58, v0
	v_pk_min_f16 v58, v50, v10
	v_pk_add_f16 v10, v7, v37
	v_pk_max_f16 v60, v60, v60
	v_pk_min_f16 v59, v51, v10
	v_pk_add_f16 v10, v1, v37
	v_pk_min_f16 v4, v60, v4
	v_pk_min_f16 v60, v52, v10
	v_pk_add_f16 v10, v3, v37
	v_pk_max_f16 v61, v61, v61
	v_pk_min_f16 v37, v36, v10
	v_pk_add_f16 v10, v5, v39
	v_pk_max_f16 v123, v123, v123
	v_pk_min_f16 v8, v61, v8
	v_pk_min_f16 v61, v53, v10
	v_pk_add_f16 v10, v7, v39
	v_pk_min_f16 v55, v123, v55
	v_pk_min_f16 v54, v54, v10
	v_pk_add_f16 v10, v1, v39
	v_pk_max_f16 v119, v119, v119
	v_pk_min_f16 v55, v55, v10
	v_pk_add_f16 v10, v3, v39
	v_pk_min_f16 v119, v119, v122
	v_pk_min_f16 v38, v38, v10
	v_pk_add_f16 v10, v5, v33
	v_pk_max_f16 v63, v63, v63
	v_pk_min_f16 v39, v121, v10
	v_pk_add_f16 v10, v7, v33
	v_pk_max_f16 v67, v67, v67
	v_pk_min_f16 v62, v120, v10
	v_pk_add_f16 v10, v1, v33
	v_pk_min_f16 v63, v63, v66
	v_pk_min_f16 v66, v119, v10
	v_pk_add_f16 v10, v3, v33
	v_pk_max_f16 v71, v71, v71
	v_pk_min_f16 v67, v67, v70
	v_pk_min_f16 v70, v32, v10
	v_pk_add_f16 v10, v5, v35
	v_pk_max_f16 v115, v115, v115
	v_pk_max_f16 v75, v75, v75
	v_pk_min_f16 v71, v71, v74
	v_pk_min_f16 v74, v117, v10
	v_pk_add_f16 v10, v7, v35
	v_pk_min_f16 v115, v115, v118
	v_pk_max_f16 v79, v79, v79
	v_pk_min_f16 v75, v75, v78
	v_pk_min_f16 v78, v116, v10
	v_pk_add_f16 v10, v1, v35
	v_pk_max_f16 v83, v83, v83
	v_pk_min_f16 v79, v79, v82
	v_pk_min_f16 v82, v115, v10
	v_pk_add_f16 v10, v3, v35
	;; [unrolled: 4-line block ×3, first 2 shown]
	v_pk_max_f16 v108, v108, v108
	v_pk_max_f16 v93, v93, v93
	v_pk_min_f16 v88, v88, v92
	v_pk_min_f16 v92, v112, v10
	v_pk_add_f16 v10, v7, v29
	v_pk_min_f16 v108, v108, v114
	v_pk_max_f16 v98, v98, v98
	v_pk_min_f16 v93, v93, v97
	v_pk_min_f16 v97, v110, v10
	v_pk_add_f16 v10, v1, v29
	v_pk_max_f16 v103, v103, v103
	v_pk_min_f16 v98, v98, v102
	v_pk_min_f16 v102, v108, v10
	v_pk_add_f16 v10, v3, v29
	v_pk_min_f16 v103, v103, v107
	v_pk_min_f16 v107, v28, v10
	v_pk_add_f16 v10, v5, v31
	v_pk_max_f16 v60, v60, v60
	v_pk_min_f16 v106, v106, v10
	v_pk_add_f16 v10, v7, v31
	v_pk_max_f16 v38, v38, v38
	;; [unrolled: 3-line block ×4, first 2 shown]
	v_pk_min_f16 v137, v30, v10
	v_pk_add_f16 v10, v5, v25
	v_perm_b32 v36, v136, v135, s18
	v_pk_min_f16 v101, v101, v10
	v_pk_add_f16 v10, v7, v25
	v_pk_max_f16 v58, v58, v58
	v_pk_min_f16 v100, v100, v10
	v_pk_add_f16 v10, v1, v25
	v_pk_max_f16 v59, v59, v59
	;; [unrolled: 3-line block ×4, first 2 shown]
	v_pk_min_f16 v95, v95, v10
	v_pk_add_f16 v10, v7, v27
	s_add_i32 s20, s20, 8
	v_pk_min_f16 v94, v94, v10
	v_pk_add_f16 v10, v1, v27
	v_lshl_add_u64 v[42:43], v[42:43], 0, 16
	v_pk_min_f16 v93, v93, v10
	v_pk_add_f16 v10, v3, v27
	v_lshl_add_u64 v[44:45], v[44:45], 0, 16
	;; [unrolled: 3-line block ×3, first 2 shown]
	v_pk_min_f16 v91, v91, v10
	v_pk_add_f16 v10, v7, v21
	s_cmp_ge_i32 s20, s13
	v_pk_min_f16 v90, v90, v10
	v_pk_add_f16 v10, v1, v21
	v_lshl_add_u64 v[48:49], v[48:49], 0, 16
	v_pk_min_f16 v88, v88, v10
	v_pk_add_f16 v10, v3, v21
	s_nop 0
	v_pk_min_f16 v140, v20, v10
	v_pk_add_f16 v10, v5, v23
	s_nop 0
	;; [unrolled: 3-line block ×21, first 2 shown]
	v_pk_min_f16 v145, v14, v10
	v_pk_add_f16 v10, v5, v9
	v_pk_add_f16 v5, v5, v11
	v_pk_min_f16 v65, v65, v10
	v_pk_add_f16 v10, v7, v9
	v_pk_min_f16 v147, v4, v5
	v_pk_min_f16 v64, v64, v10
	v_pk_add_f16 v10, v1, v9
	v_pk_add_f16 v1, v1, v11
	;; [unrolled: 1-line block ×4, first 2 shown]
	v_pk_min_f16 v149, v0, v1
	v_pk_add_f16 v0, v3, v11
	v_pk_min_f16 v63, v63, v10
	v_pk_min_f16 v146, v8, v9
	;; [unrolled: 1-line block ×4, first 2 shown]
	ds_read2_b64 v[4:7], v99 offset1:32
	ds_read2_b64 v[0:3], v99 offset0:64 offset1:96
	ds_read2_b64 v[32:35], v113 offset1:8
	ds_read2_b64 v[50:53], v113 offset0:16 offset1:24
	ds_read2_b64 v[28:31], v113 offset0:32 offset1:40
	;; [unrolled: 1-line block ×7, first 2 shown]
	s_waitcnt lgkmcnt(7)
	v_pk_add_f16 v112, v0, v32
	v_pk_add_f16 v114, v4, v34
	;; [unrolled: 1-line block ×8, first 2 shown]
	s_waitcnt lgkmcnt(6)
	v_pk_add_f16 v117, v4, v50
	v_pk_add_f16 v118, v6, v50
	;; [unrolled: 1-line block ×9, first 2 shown]
	v_pk_min_f16 v60, v60, v112
	v_pk_min_f16 v34, v38, v34
	v_pk_add_f16 v136, v6, v52
	v_pk_add_f16 v120, v5, v33
	;; [unrolled: 1-line block ×8, first 2 shown]
	v_pk_min_f16 v127, v60, v122
	v_pk_min_f16 v32, v37, v32
	;; [unrolled: 1-line block ×3, first 2 shown]
	v_pk_max_f16 v35, v39, v39
	v_pk_max_f16 v39, v62, v62
	v_pk_min_f16 v50, v70, v50
	v_pk_max_f16 v70, v78, v78
	v_pk_add_f16 v135, v4, v52
	v_pk_add_f16 v165, v7, v53
	v_pk_min_f16 v126, v32, v33
	v_pk_max_f16 v33, v61, v61
	v_pk_min_f16 v39, v39, v118
	v_pk_max_f16 v62, v66, v66
	;; [unrolled: 2-line block ×3, first 2 shown]
	v_pk_min_f16 v70, v70, v136
	v_pk_add_f16 v151, v0, v52
	v_pk_add_f16 v164, v5, v53
	v_pk_min_f16 v58, v58, v108
	v_pk_min_f16 v59, v59, v110
	;; [unrolled: 1-line block ×9, first 2 shown]
	v_pk_max_f16 v70, v82, v82
	v_pk_add_f16 v52, v2, v52
	s_waitcnt lgkmcnt(5)
	v_pk_add_f16 v152, v4, v28
	v_pk_add_f16 v153, v6, v28
	;; [unrolled: 1-line block ×8, first 2 shown]
	s_waitcnt lgkmcnt(4)
	v_pk_add_f16 v158, v4, v24
	v_pk_add_f16 v159, v6, v24
	;; [unrolled: 1-line block ×6, first 2 shown]
	v_pk_min_f16 v129, v58, v120
	v_pk_add_f16 v58, v0, v26
	v_pk_add_f16 v26, v2, v26
	v_pk_min_f16 v128, v59, v121
	s_waitcnt lgkmcnt(3)
	v_pk_add_f16 v59, v4, v20
	v_pk_add_f16 v170, v6, v20
	v_pk_add_f16 v60, v0, v20
	v_pk_add_f16 v20, v2, v20
	v_pk_add_f16 v32, v4, v22
	v_pk_add_f16 v37, v6, v22
	v_pk_min_f16 v125, v33, v123
	v_pk_add_f16 v33, v0, v22
	v_pk_add_f16 v22, v2, v22
	v_pk_min_f16 v124, v54, v124
	s_waitcnt lgkmcnt(2)
	v_pk_add_f16 v54, v4, v16
	v_pk_add_f16 v61, v6, v16
	v_pk_min_f16 v123, v55, v160
	v_pk_add_f16 v55, v0, v16
	v_pk_add_f16 v16, v2, v16
	;; [unrolled: 1-line block ×4, first 2 shown]
	v_pk_min_f16 v121, v35, v161
	v_pk_add_f16 v35, v0, v18
	v_pk_add_f16 v18, v2, v18
	v_pk_min_f16 v120, v39, v162
	s_waitcnt lgkmcnt(1)
	v_pk_add_f16 v39, v4, v12
	v_pk_add_f16 v66, v6, v12
	v_pk_min_f16 v119, v62, v163
	v_pk_add_f16 v62, v0, v12
	v_pk_add_f16 v12, v2, v12
	;; [unrolled: 1-line block ×4, first 2 shown]
	v_pk_min_f16 v117, v51, v164
	v_pk_add_f16 v51, v0, v14
	v_pk_add_f16 v14, v2, v14
	s_waitcnt lgkmcnt(0)
	v_pk_add_f16 v136, v4, v8
	v_pk_min_f16 v70, v70, v151
	v_pk_add_f16 v151, v6, v8
	v_pk_add_f16 v160, v0, v8
	;; [unrolled: 1-line block ×7, first 2 shown]
	v_pk_max_f16 v10, v107, v107
	v_pk_add_f16 v166, v1, v53
	v_pk_min_f16 v10, v10, v28
	v_pk_add_f16 v28, v3, v29
	v_pk_min_f16 v115, v70, v166
	v_pk_min_f16 v107, v10, v28
	v_pk_max_f16 v28, v106, v106
	v_pk_add_f16 v10, v5, v31
	v_pk_min_f16 v28, v28, v155
	v_pk_max_f16 v70, v86, v86
	v_pk_min_f16 v106, v28, v10
	v_pk_max_f16 v28, v104, v104
	v_pk_add_f16 v53, v3, v53
	v_pk_min_f16 v52, v70, v52
	v_pk_add_f16 v10, v7, v31
	v_pk_min_f16 v28, v28, v156
	v_pk_min_f16 v114, v52, v53
	v_pk_max_f16 v52, v92, v92
	v_pk_min_f16 v104, v28, v10
	v_pk_max_f16 v28, v103, v103
	v_pk_min_f16 v52, v52, v152
	v_pk_add_f16 v53, v5, v29
	v_pk_add_f16 v10, v1, v31
	v_pk_min_f16 v28, v28, v157
	v_pk_min_f16 v112, v52, v53
	v_pk_max_f16 v52, v97, v97
	v_pk_min_f16 v103, v28, v10
	v_pk_max_f16 v28, v137, v137
	v_pk_min_f16 v52, v52, v153
	v_pk_add_f16 v53, v7, v29
	v_pk_add_f16 v10, v3, v31
	v_pk_min_f16 v28, v28, v30
	v_pk_min_f16 v110, v52, v53
	v_pk_max_f16 v52, v102, v102
	v_pk_min_f16 v102, v28, v10
	v_pk_max_f16 v28, v101, v101
	v_pk_add_f16 v10, v5, v25
	v_pk_min_f16 v28, v28, v158
	v_pk_add_f16 v53, v1, v29
	v_pk_min_f16 v101, v28, v10
	v_pk_max_f16 v28, v100, v100
	v_pk_add_f16 v10, v7, v25
	v_pk_min_f16 v28, v28, v159
	v_pk_min_f16 v52, v52, v154
	;; [unrolled: 1-line block ×3, first 2 shown]
	v_pk_max_f16 v28, v98, v98
	v_pk_add_f16 v10, v1, v25
	v_pk_min_f16 v28, v28, v167
	v_pk_min_f16 v108, v52, v53
	;; [unrolled: 1-line block ×3, first 2 shown]
	v_pk_add_f16 v10, v3, v25
	v_pk_max_f16 v25, v138, v138
	v_perm_b32 v137, v57, v56, s18
	v_pk_min_f16 v24, v25, v24
	ds_write_b16 v131, v109
	ds_write_b16_d16_hi v131, v109 offset:512
	ds_write_b16 v132, v56
	ds_write_b16 v132, v57 offset:512
	v_pk_min_f16 v97, v24, v10
	v_pk_max_f16 v24, v95, v95
	v_pk_add_f16 v10, v5, v27
	v_pk_min_f16 v24, v24, v168
	s_waitcnt lgkmcnt(0)
	v_pk_min_f16 v95, v24, v10
	v_pk_max_f16 v24, v94, v94
	v_pk_add_f16 v10, v7, v27
	v_pk_min_f16 v24, v24, v169
	s_barrier
	v_pk_min_f16 v94, v24, v10
	v_pk_max_f16 v24, v93, v93
	v_pk_add_f16 v10, v1, v27
	v_pk_min_f16 v24, v24, v58
	s_nop 0
	v_pk_min_f16 v93, v24, v10
	v_pk_max_f16 v24, v139, v139
	v_pk_add_f16 v10, v3, v27
	v_pk_min_f16 v24, v24, v26
	s_nop 0
	v_pk_min_f16 v92, v24, v10
	v_pk_max_f16 v24, v91, v91
	v_pk_add_f16 v10, v5, v21
	v_pk_min_f16 v24, v24, v59
	s_nop 0
	v_pk_min_f16 v91, v24, v10
	v_pk_max_f16 v24, v90, v90
	v_pk_add_f16 v10, v7, v21
	v_pk_min_f16 v24, v24, v170
	s_nop 0
	v_pk_min_f16 v90, v24, v10
	v_pk_max_f16 v24, v88, v88
	v_pk_add_f16 v10, v1, v21
	v_pk_min_f16 v24, v24, v60
	s_nop 0
	v_pk_min_f16 v88, v24, v10
	v_pk_add_f16 v10, v3, v21
	v_pk_max_f16 v21, v140, v140
	s_nop 0
	v_pk_min_f16 v20, v21, v20
	s_nop 0
	v_pk_min_f16 v86, v20, v10
	v_pk_max_f16 v20, v85, v85
	v_pk_add_f16 v10, v5, v23
	v_pk_min_f16 v20, v20, v32
	s_nop 0
	v_pk_min_f16 v85, v20, v10
	v_pk_max_f16 v20, v84, v84
	v_pk_add_f16 v10, v7, v23
	v_pk_min_f16 v20, v20, v37
	s_nop 0
	v_pk_min_f16 v84, v20, v10
	v_pk_max_f16 v20, v83, v83
	v_pk_add_f16 v10, v1, v23
	v_pk_min_f16 v20, v20, v33
	s_nop 0
	v_pk_min_f16 v83, v20, v10
	v_pk_max_f16 v20, v141, v141
	v_pk_add_f16 v10, v3, v23
	v_pk_min_f16 v20, v20, v22
	s_nop 0
	v_pk_min_f16 v82, v20, v10
	v_pk_max_f16 v20, v81, v81
	v_pk_add_f16 v10, v5, v17
	v_pk_min_f16 v20, v20, v54
	s_nop 0
	v_pk_min_f16 v81, v20, v10
	v_pk_max_f16 v20, v80, v80
	v_pk_add_f16 v10, v7, v17
	v_pk_min_f16 v20, v20, v61
	s_nop 0
	v_pk_min_f16 v80, v20, v10
	v_pk_max_f16 v20, v79, v79
	v_pk_add_f16 v10, v1, v17
	v_pk_min_f16 v20, v20, v55
	s_nop 0
	v_pk_min_f16 v79, v20, v10
	v_pk_add_f16 v10, v3, v17
	v_pk_max_f16 v17, v142, v142
	s_nop 0
	v_pk_min_f16 v16, v17, v16
	s_nop 0
	v_pk_min_f16 v78, v16, v10
	v_pk_max_f16 v16, v77, v77
	v_pk_add_f16 v10, v5, v19
	v_pk_min_f16 v16, v16, v34
	s_nop 0
	v_pk_min_f16 v77, v16, v10
	v_pk_max_f16 v16, v76, v76
	v_pk_add_f16 v10, v7, v19
	v_pk_min_f16 v16, v16, v38
	s_nop 0
	v_pk_min_f16 v76, v16, v10
	v_pk_max_f16 v16, v75, v75
	v_pk_add_f16 v10, v1, v19
	v_pk_min_f16 v16, v16, v35
	s_nop 0
	v_pk_min_f16 v75, v16, v10
	v_pk_max_f16 v16, v143, v143
	v_pk_add_f16 v10, v3, v19
	v_pk_min_f16 v16, v16, v18
	s_nop 0
	v_pk_min_f16 v74, v16, v10
	v_pk_max_f16 v16, v73, v73
	v_pk_add_f16 v10, v5, v13
	v_pk_min_f16 v16, v16, v39
	s_nop 0
	v_pk_min_f16 v73, v16, v10
	v_pk_max_f16 v16, v72, v72
	v_pk_add_f16 v10, v7, v13
	v_pk_min_f16 v16, v16, v66
	s_nop 0
	v_pk_min_f16 v72, v16, v10
	v_pk_max_f16 v16, v71, v71
	v_pk_add_f16 v10, v1, v13
	v_pk_min_f16 v16, v16, v62
	s_nop 0
	v_pk_min_f16 v71, v16, v10
	v_pk_add_f16 v10, v3, v13
	v_pk_max_f16 v13, v144, v144
	s_nop 0
	v_pk_min_f16 v12, v13, v12
	s_nop 0
	v_pk_min_f16 v70, v12, v10
	v_pk_max_f16 v12, v69, v69
	v_pk_add_f16 v10, v5, v15
	v_pk_min_f16 v12, v12, v50
	s_nop 0
	v_pk_min_f16 v69, v12, v10
	v_pk_max_f16 v12, v68, v68
	v_pk_add_f16 v10, v7, v15
	v_pk_min_f16 v12, v12, v135
	s_nop 0
	v_pk_min_f16 v68, v12, v10
	v_pk_max_f16 v12, v67, v67
	v_pk_add_f16 v10, v1, v15
	v_pk_min_f16 v12, v12, v51
	s_nop 0
	v_pk_min_f16 v67, v12, v10
	v_pk_max_f16 v12, v145, v145
	v_pk_add_f16 v10, v3, v15
	v_pk_min_f16 v12, v12, v14
	s_nop 0
	v_pk_min_f16 v66, v12, v10
	v_pk_max_f16 v12, v65, v65
	v_pk_add_f16 v10, v5, v9
	v_pk_min_f16 v12, v12, v136
	v_pk_add_f16 v5, v5, v11
	v_pk_min_f16 v65, v12, v10
	v_pk_max_f16 v12, v64, v64
	v_pk_add_f16 v10, v7, v9
	v_pk_min_f16 v12, v12, v151
	s_nop 0
	v_pk_min_f16 v64, v12, v10
	v_pk_max_f16 v12, v63, v63
	v_pk_add_f16 v10, v1, v9
	v_pk_min_f16 v12, v12, v160
	v_pk_add_f16 v9, v3, v9
	v_pk_min_f16 v63, v12, v10
	v_pk_max_f16 v10, v146, v146
	v_pk_add_f16 v1, v1, v11
	v_pk_min_f16 v8, v10, v8
	s_nop 0
	v_pk_min_f16 v61, v8, v9
	v_pk_max_f16 v8, v147, v147
	s_nop 0
	v_pk_min_f16 v4, v8, v4
	s_nop 0
	v_pk_min_f16 v60, v4, v5
	v_pk_max_f16 v5, v148, v148
	v_pk_add_f16 v4, v7, v11
	v_pk_min_f16 v5, v5, v6
	s_nop 0
	v_pk_min_f16 v58, v5, v4
	v_pk_max_f16 v4, v149, v149
	s_nop 0
	v_pk_min_f16 v0, v4, v0
	s_nop 0
	v_pk_min_f16 v59, v0, v1
	v_pk_max_f16 v1, v150, v150
	v_pk_add_f16 v0, v3, v11
	v_pk_min_f16 v1, v1, v2
	s_nop 0
	v_pk_min_f16 v62, v1, v0
	s_cbranch_scc1 .LBB266_36
.LBB266_24:                             ; =>This Inner Loop Header: Depth=1
	s_and_b64 vcc, exec, s[6:7]
	v_lshl_add_u64 v[56:57], v[48:49], 0, v[40:41]
	v_mov_b32_e32 v0, 0
	s_cbranch_vccnz .LBB266_26
; %bb.25:                               ;   in Loop: Header=BB266_24 Depth=1
	global_load_ushort v0, v[56:57], off offset:16
	s_waitcnt vmcnt(0)
	v_mul_f16_e32 v0, s19, v0
.LBB266_26:                             ;   in Loop: Header=BB266_24 Depth=1
	v_bfi_b32 v0, s21, v0, v105
	s_mov_b64 s[10:11], -1
	s_mov_b64 vcc, s[4:5]
                                        ; implicit-def: $vgpr105
                                        ; implicit-def: $vgpr135
	s_cbranch_vccz .LBB266_28
; %bb.27:                               ;   in Loop: Header=BB266_24 Depth=1
	v_and_b32_e32 v105, 0xffff, v0
	v_and_b32_e32 v135, 0xffff0000, v36
	s_mov_b64 s[10:11], 0
.LBB266_28:                             ;   in Loop: Header=BB266_24 Depth=1
	v_mov_b32_e32 v138, 0
	s_andn2_b64 vcc, exec, s[10:11]
	v_lshl_add_u64 v[54:55], v[46:47], 0, v[40:41]
	v_lshl_add_u64 v[52:53], v[44:45], 0, v[40:41]
	;; [unrolled: 1-line block ×3, first 2 shown]
	v_mov_b32_e32 v136, 0
	s_cbranch_vccnz .LBB266_30
; %bb.29:                               ;   in Loop: Header=BB266_24 Depth=1
	global_load_ushort v1, v[54:55], off offset:16
	global_load_ushort v2, v[52:53], off offset:16
	;; [unrolled: 1-line block ×3, first 2 shown]
	s_waitcnt vmcnt(2)
	v_mul_f16_e32 v1, s19, v1
	s_waitcnt vmcnt(1)
	v_mul_f16_e32 v2, s19, v2
	v_perm_b32 v105, v1, v0, s18
	v_bfi_b32 v135, s21, v2, v36
	s_waitcnt vmcnt(0)
	v_mul_f16_e32 v136, s19, v3
.LBB266_30:                             ;   in Loop: Header=BB266_24 Depth=1
	ds_read2_b64 v[4:7], v133 offset1:32
	ds_read2_b64 v[0:3], v133 offset0:64 offset1:96
	ds_read2_b64 v[36:39], v134 offset1:8
	ds_read2_b64 v[32:35], v134 offset0:16 offset1:24
	ds_read2_b64 v[28:31], v134 offset0:32 offset1:40
	;; [unrolled: 1-line block ×7, first 2 shown]
	s_and_b64 vcc, exec, s[6:7]
	ds_write_b16 v111, v105
	ds_write_b16_d16_hi v111, v105 offset:512
	ds_write_b16 v130, v135
	ds_write_b16 v130, v136 offset:512
	s_waitcnt lgkmcnt(0)
	s_barrier
	s_cbranch_vccnz .LBB266_32
; %bb.31:                               ;   in Loop: Header=BB266_24 Depth=1
	global_load_ushort v56, v[56:57], off offset:24
	s_waitcnt vmcnt(0)
	v_mul_f16_e32 v138, s19, v56
.LBB266_32:                             ;   in Loop: Header=BB266_24 Depth=1
	v_bfi_b32 v138, s21, v138, v109
	s_mov_b64 s[10:11], -1
	s_mov_b64 vcc, s[4:5]
                                        ; implicit-def: $vgpr109
                                        ; implicit-def: $vgpr56
	s_cbranch_vccz .LBB266_34
; %bb.33:                               ;   in Loop: Header=BB266_24 Depth=1
	v_and_b32_e32 v109, 0xffff, v138
	v_and_b32_e32 v56, 0xffff0000, v137
	s_mov_b64 s[10:11], 0
.LBB266_34:                             ;   in Loop: Header=BB266_24 Depth=1
	s_andn2_b64 vcc, exec, s[10:11]
	v_mov_b32_e32 v57, 0
	s_cbranch_vccnz .LBB266_23
; %bb.35:                               ;   in Loop: Header=BB266_24 Depth=1
	global_load_ushort v54, v[54:55], off offset:24
	s_nop 0
	global_load_ushort v52, v[52:53], off offset:24
	s_nop 0
	global_load_ushort v50, v[50:51], off offset:24
	s_waitcnt vmcnt(2)
	v_mul_f16_e32 v51, s19, v54
	s_waitcnt vmcnt(1)
	v_mul_f16_e32 v52, s19, v52
	v_perm_b32 v109, v51, v138, s18
	v_bfi_b32 v56, s21, v52, v137
	s_waitcnt vmcnt(0)
	v_mul_f16_e32 v57, s19, v50
	s_branch .LBB266_23
.LBB266_36:
	s_load_dword s6, s[0:1], 0x50
	ds_read_b64 v[38:39], v99 offset:1024
	ds_read_b64 v[46:47], v96 offset:3072
	v_add_u32_e32 v52, s12, v89
	v_cmp_neq_f16_e64 s[4:5], s24, 0
	v_add_u32_e32 v36, s2, v87
	s_waitcnt lgkmcnt(0)
	v_mad_i64_i32 v[0:1], s[10:11], v52, s6, 0
	v_ashrrev_i32_e32 v37, 31, v36
	v_lshl_add_u64 v[48:49], v[0:1], 1, s[16:17]
	v_mov_b32_e32 v42, 0
	s_and_b64 vcc, exec, s[4:5]
	v_mov_b32_e32 v43, 0
	s_cbranch_vccz .LBB266_38
; %bb.37:
	v_lshl_add_u64 v[0:1], v[36:37], 1, v[48:49]
	global_load_ushort v0, v[0:1], off
	s_waitcnt vmcnt(0)
	v_mul_f16_e32 v0, s24, v0
	v_cvt_f32_f16_e32 v43, v0
.LBB266_38:
	v_add_u32_e32 v4, 0x800, v96
	v_pk_add_f16 v40, v38, v46
	v_max_f16_e32 v41, v129, v129
	v_pk_add_f16 v45, v39, v47
	ds_read2_b64 v[0:3], v99 offset0:160 offset1:192
	ds_read_b64 v[32:33], v99 offset:1792
	ds_read2_b64 v[28:31], v4 offset0:136 offset1:144
	ds_read2_b64 v[24:27], v4 offset0:152 offset1:160
	ds_read2_b64 v[20:23], v4 offset0:168 offset1:176
	ds_read2_b64 v[16:19], v4 offset0:184 offset1:192
	s_load_dword s7, s[0:1], 0x68
	s_load_dwordx2 s[10:11], s[0:1], 0x70
	v_min_f16_e32 v44, v41, v40
	v_lshrrev_b32_e32 v41, 16, v129
	v_lshrrev_b32_e32 v40, 16, v40
	;; [unrolled: 1-line block ×3, first 2 shown]
	v_min3_f16 v50, v41, v40, v50
	v_min3_f16 v44, v44, v45, v50
	v_cvt_f32_f16_e32 v53, v44
	ds_read2_b64 v[12:15], v4 offset0:200 offset1:208
	ds_read2_b64 v[8:11], v4 offset0:216 offset1:224
	ds_read2_b64 v[4:7], v4 offset0:232 offset1:240
	ds_read_b64 v[34:35], v96 offset:4032
	s_waitcnt lgkmcnt(0)
	s_mul_i32 s0, s11, s3
	s_mul_hi_u32 s1, s10, s3
	s_add_i32 s1, s1, s0
	s_mul_i32 s0, s10, s3
	v_max_f32_e32 v43, v43, v43
	s_lshl_b64 s[0:1], s[0:1], 1
	v_min_f32_e32 v43, v43, v53
	s_add_u32 s2, s14, s0
	v_cvt_f16_f32_e32 v43, v43
	s_addc_u32 s3, s15, s1
	v_mad_i64_i32 v[44:45], s[0:1], v52, s7, 0
	v_add_u32_e32 v40, 32, v36
	v_lshl_add_u64 v[50:51], v[44:45], 1, s[2:3]
	v_cndmask_b32_e64 v53, 0, 1, s[4:5]
	v_ashrrev_i32_e32 v41, 31, v40
	v_lshl_add_u64 v[44:45], v[36:37], 1, v[50:51]
	v_cmp_ne_u32_e64 s[0:1], 1, v53
	s_andn2_b64 vcc, exec, s[4:5]
	global_store_short v[44:45], v43, off
	s_cbranch_vccnz .LBB266_40
; %bb.39:
	v_lshl_add_u64 v[42:43], v[40:41], 1, v[48:49]
	global_load_ushort v42, v[42:43], off
	s_waitcnt vmcnt(0)
	v_mul_f16_e32 v42, s24, v42
	v_cvt_f32_f16_e32 v42, v42
.LBB266_40:
	v_pk_add_f16 v43, v0, v46
	v_max_f16_e32 v44, v128, v128
	v_pk_add_f16 v53, v1, v47
	v_min_f16_e32 v44, v44, v43
	v_lshrrev_b32_e32 v45, 16, v128
	v_lshrrev_b32_e32 v43, 16, v43
	;; [unrolled: 1-line block ×3, first 2 shown]
	v_min3_f16 v43, v45, v43, v54
	v_min3_f16 v43, v44, v53, v43
	v_cvt_f32_f16_e32 v43, v43
	v_max_f32_e32 v42, v42, v42
	v_lshl_add_u64 v[44:45], v[40:41], 1, v[50:51]
	s_and_b64 vcc, exec, s[0:1]
	v_min_f32_e32 v42, v42, v43
	v_cvt_f16_f32_e32 v53, v42
	v_add_u32_e32 v42, 64, v36
	v_ashrrev_i32_e32 v43, 31, v42
	global_store_short v[44:45], v53, off
	v_mov_b32_e32 v53, 0
	v_mov_b32_e32 v45, 0
	s_cbranch_vccnz .LBB266_42
; %bb.41:
	v_lshl_add_u64 v[44:45], v[42:43], 1, v[48:49]
	global_load_ushort v44, v[44:45], off
	s_waitcnt vmcnt(0)
	v_mul_f16_e32 v44, s24, v44
	v_cvt_f32_f16_e32 v45, v44
.LBB266_42:
	v_pk_add_f16 v44, v2, v46
	v_max_f16_e32 v54, v127, v127
	v_pk_add_f16 v56, v3, v47
	v_min_f16_e32 v54, v54, v44
	v_lshrrev_b32_e32 v55, 16, v127
	v_lshrrev_b32_e32 v44, 16, v44
	;; [unrolled: 1-line block ×3, first 2 shown]
	v_min3_f16 v44, v55, v44, v57
	v_min3_f16 v44, v54, v56, v44
	v_cvt_f32_f16_e32 v54, v44
	v_max_f32_e32 v45, v45, v45
	v_add_u32_e32 v44, 0x60, v36
	s_and_b64 vcc, exec, s[0:1]
	v_min_f32_e32 v45, v45, v54
	v_cvt_f16_f32_e32 v56, v45
	v_ashrrev_i32_e32 v45, 31, v44
	v_lshl_add_u64 v[54:55], v[42:43], 1, v[50:51]
	global_store_short v[54:55], v56, off
	s_cbranch_vccnz .LBB266_44
; %bb.43:
	v_lshl_add_u64 v[48:49], v[44:45], 1, v[48:49]
	global_load_ushort v48, v[48:49], off
	s_waitcnt vmcnt(0)
	v_mul_f16_e32 v48, s24, v48
	v_cvt_f32_f16_e32 v53, v48
.LBB266_44:
	v_pk_add_f16 v46, v32, v46
	v_max_f16_e32 v48, v126, v126
	v_pk_add_f16 v47, v33, v47
	v_min_f16_e32 v48, v48, v46
	v_lshrrev_b32_e32 v49, 16, v126
	v_lshrrev_b32_e32 v46, 16, v46
	;; [unrolled: 1-line block ×3, first 2 shown]
	v_min3_f16 v46, v49, v46, v54
	v_min3_f16 v46, v48, v47, v46
	v_cvt_f32_f16_e32 v46, v46
	v_max_f32_e32 v47, v53, v53
	s_and_b64 vcc, exec, s[0:1]
	v_mov_b32_e32 v49, 0
	v_min_f32_e32 v46, v47, v46
	v_cvt_f16_f32_e32 v48, v46
	v_lshl_add_u64 v[46:47], v[44:45], 1, v[50:51]
	v_mov_b32_e32 v50, 0
	global_store_short v[46:47], v48, off
	v_add_u32_e32 v48, 8, v52
	v_mad_i64_i32 v[46:47], s[4:5], v48, s6, 0
	v_lshl_add_u64 v[46:47], v[46:47], 1, s[16:17]
	s_cbranch_vccnz .LBB266_46
; %bb.45:
	v_lshl_add_u64 v[54:55], v[36:37], 1, v[46:47]
	global_load_ushort v49, v[54:55], off
	s_waitcnt vmcnt(0)
	v_mul_f16_e32 v49, s24, v49
	v_cvt_f32_f16_e32 v49, v49
.LBB266_46:
	v_pk_add_f16 v51, v38, v28
	v_max_f16_e32 v53, v125, v125
	v_pk_add_f16 v55, v39, v29
	v_min_f16_e32 v53, v53, v51
	v_lshrrev_b32_e32 v54, 16, v125
	v_lshrrev_b32_e32 v51, 16, v51
	;; [unrolled: 1-line block ×3, first 2 shown]
	v_min3_f16 v51, v54, v51, v56
	v_min3_f16 v51, v53, v55, v51
	v_cvt_f32_f16_e32 v51, v51
	v_mad_i64_i32 v[54:55], s[4:5], v48, s7, 0
	v_max_f32_e32 v48, v49, v49
	v_min_f32_e32 v48, v48, v51
	v_cvt_f16_f32_e32 v51, v48
	v_lshl_add_u64 v[48:49], v[54:55], 1, s[2:3]
	v_lshl_add_u64 v[54:55], v[36:37], 1, v[48:49]
	s_and_b64 vcc, exec, s[0:1]
	global_store_short v[54:55], v51, off
	s_cbranch_vccnz .LBB266_48
; %bb.47:
	v_lshl_add_u64 v[50:51], v[40:41], 1, v[46:47]
	global_load_ushort v50, v[50:51], off
	s_waitcnt vmcnt(0)
	v_mul_f16_e32 v50, s24, v50
	v_cvt_f32_f16_e32 v50, v50
.LBB266_48:
	v_pk_add_f16 v51, v0, v28
	v_max_f16_e32 v53, v124, v124
	v_pk_add_f16 v55, v1, v29
	v_min_f16_e32 v53, v53, v51
	v_lshrrev_b32_e32 v54, 16, v124
	v_lshrrev_b32_e32 v51, 16, v51
	;; [unrolled: 1-line block ×3, first 2 shown]
	v_min3_f16 v51, v54, v51, v56
	v_min3_f16 v51, v53, v55, v51
	v_cvt_f32_f16_e32 v51, v51
	v_max_f32_e32 v50, v50, v50
	s_and_b64 vcc, exec, s[0:1]
	v_min_f32_e32 v50, v50, v51
	v_cvt_f16_f32_e32 v53, v50
	v_lshl_add_u64 v[50:51], v[40:41], 1, v[48:49]
	global_store_short v[50:51], v53, off
	v_mov_b32_e32 v50, 0
	v_mov_b32_e32 v51, 0
	s_cbranch_vccnz .LBB266_50
; %bb.49:
	v_lshl_add_u64 v[54:55], v[42:43], 1, v[46:47]
	global_load_ushort v51, v[54:55], off
	s_waitcnt vmcnt(0)
	v_mul_f16_e32 v51, s24, v51
	v_cvt_f32_f16_e32 v51, v51
.LBB266_50:
	v_pk_add_f16 v53, v2, v28
	v_max_f16_e32 v54, v123, v123
	v_pk_add_f16 v56, v3, v29
	v_min_f16_e32 v54, v54, v53
	v_lshrrev_b32_e32 v55, 16, v123
	v_lshrrev_b32_e32 v53, 16, v53
	v_lshrrev_b32_e32 v57, 16, v56
	v_min3_f16 v53, v55, v53, v57
	v_min3_f16 v53, v54, v56, v53
	v_cvt_f32_f16_e32 v53, v53
	v_max_f32_e32 v51, v51, v51
	v_lshl_add_u64 v[54:55], v[42:43], 1, v[48:49]
	s_and_b64 vcc, exec, s[0:1]
	v_min_f32_e32 v51, v51, v53
	v_cvt_f16_f32_e32 v51, v51
	global_store_short v[54:55], v51, off
	s_cbranch_vccnz .LBB266_52
; %bb.51:
	v_lshl_add_u64 v[46:47], v[44:45], 1, v[46:47]
	global_load_ushort v46, v[46:47], off
	s_waitcnt vmcnt(0)
	v_mul_f16_e32 v46, s24, v46
	v_cvt_f32_f16_e32 v50, v46
.LBB266_52:
	v_pk_add_f16 v28, v32, v28
	v_max_f16_e32 v46, v122, v122
	v_pk_add_f16 v29, v33, v29
	v_min_f16_e32 v46, v46, v28
	v_lshrrev_b32_e32 v47, 16, v122
	v_lshrrev_b32_e32 v28, 16, v28
	;; [unrolled: 1-line block ×3, first 2 shown]
	v_min3_f16 v28, v47, v28, v51
	v_min3_f16 v28, v46, v29, v28
	v_cvt_f32_f16_e32 v28, v28
	v_max_f32_e32 v29, v50, v50
	s_and_b64 vcc, exec, s[0:1]
	v_mov_b32_e32 v47, 0
	v_min_f32_e32 v28, v29, v28
	v_cvt_f16_f32_e32 v46, v28
	v_lshl_add_u64 v[28:29], v[44:45], 1, v[48:49]
	v_mov_b32_e32 v48, 0
	global_store_short v[28:29], v46, off
	v_add_u32_e32 v46, 16, v52
	v_mad_i64_i32 v[28:29], s[4:5], v46, s6, 0
	v_lshl_add_u64 v[28:29], v[28:29], 1, s[16:17]
	s_cbranch_vccnz .LBB266_54
; %bb.53:
	v_lshl_add_u64 v[50:51], v[36:37], 1, v[28:29]
	global_load_ushort v47, v[50:51], off
	s_waitcnt vmcnt(0)
	v_mul_f16_e32 v47, s24, v47
	v_cvt_f32_f16_e32 v47, v47
.LBB266_54:
	v_pk_add_f16 v49, v38, v30
	v_max_f16_e32 v50, v121, v121
	v_pk_add_f16 v53, v39, v31
	v_min_f16_e32 v50, v50, v49
	v_lshrrev_b32_e32 v51, 16, v121
	v_lshrrev_b32_e32 v49, 16, v49
	v_lshrrev_b32_e32 v54, 16, v53
	v_min3_f16 v49, v51, v49, v54
	v_min3_f16 v49, v50, v53, v49
	v_cvt_f32_f16_e32 v49, v49
	v_mad_i64_i32 v[50:51], s[4:5], v46, s7, 0
	v_max_f32_e32 v46, v47, v47
	v_min_f32_e32 v46, v46, v49
	v_cvt_f16_f32_e32 v49, v46
	v_lshl_add_u64 v[46:47], v[50:51], 1, s[2:3]
	v_lshl_add_u64 v[50:51], v[36:37], 1, v[46:47]
	s_and_b64 vcc, exec, s[0:1]
	global_store_short v[50:51], v49, off
	s_cbranch_vccnz .LBB266_56
; %bb.55:
	v_lshl_add_u64 v[48:49], v[40:41], 1, v[28:29]
	global_load_ushort v48, v[48:49], off
	s_waitcnt vmcnt(0)
	v_mul_f16_e32 v48, s24, v48
	v_cvt_f32_f16_e32 v48, v48
.LBB266_56:
	v_pk_add_f16 v49, v0, v30
	v_max_f16_e32 v50, v120, v120
	v_pk_add_f16 v53, v1, v31
	v_min_f16_e32 v50, v50, v49
	v_lshrrev_b32_e32 v51, 16, v120
	v_lshrrev_b32_e32 v49, 16, v49
	;; [unrolled: 1-line block ×3, first 2 shown]
	v_min3_f16 v49, v51, v49, v54
	v_min3_f16 v49, v50, v53, v49
	v_cvt_f32_f16_e32 v49, v49
	v_max_f32_e32 v48, v48, v48
	s_and_b64 vcc, exec, s[0:1]
	v_min_f32_e32 v48, v48, v49
	v_cvt_f16_f32_e32 v50, v48
	v_lshl_add_u64 v[48:49], v[40:41], 1, v[46:47]
	global_store_short v[48:49], v50, off
	v_mov_b32_e32 v48, 0
	v_mov_b32_e32 v49, 0
	s_cbranch_vccnz .LBB266_58
; %bb.57:
	v_lshl_add_u64 v[50:51], v[42:43], 1, v[28:29]
	global_load_ushort v49, v[50:51], off
	s_waitcnt vmcnt(0)
	v_mul_f16_e32 v49, s24, v49
	v_cvt_f32_f16_e32 v49, v49
.LBB266_58:
	v_pk_add_f16 v50, v2, v30
	v_max_f16_e32 v51, v119, v119
	v_pk_add_f16 v54, v3, v31
	v_min_f16_e32 v51, v51, v50
	v_lshrrev_b32_e32 v53, 16, v119
	v_lshrrev_b32_e32 v50, 16, v50
	;; [unrolled: 1-line block ×3, first 2 shown]
	v_min3_f16 v50, v53, v50, v55
	v_min3_f16 v50, v51, v54, v50
	v_cvt_f32_f16_e32 v50, v50
	v_max_f32_e32 v49, v49, v49
	s_and_b64 vcc, exec, s[0:1]
	v_min_f32_e32 v49, v49, v50
	v_cvt_f16_f32_e32 v49, v49
	v_lshl_add_u64 v[50:51], v[42:43], 1, v[46:47]
	global_store_short v[50:51], v49, off
	s_cbranch_vccnz .LBB266_60
; %bb.59:
	v_lshl_add_u64 v[28:29], v[44:45], 1, v[28:29]
	global_load_ushort v28, v[28:29], off
	s_waitcnt vmcnt(0)
	v_mul_f16_e32 v28, s24, v28
	v_cvt_f32_f16_e32 v48, v28
.LBB266_60:
	v_pk_add_f16 v28, v32, v30
	v_max_f16_e32 v29, v118, v118
	v_pk_add_f16 v31, v33, v31
	v_min_f16_e32 v29, v29, v28
	v_lshrrev_b32_e32 v30, 16, v118
	v_lshrrev_b32_e32 v28, 16, v28
	;; [unrolled: 1-line block ×3, first 2 shown]
	v_min3_f16 v28, v30, v28, v49
	v_min3_f16 v28, v29, v31, v28
	v_cvt_f32_f16_e32 v28, v28
	v_max_f32_e32 v29, v48, v48
	s_and_b64 vcc, exec, s[0:1]
	v_mov_b32_e32 v31, 0
	v_min_f32_e32 v28, v29, v28
	v_cvt_f16_f32_e32 v30, v28
	v_lshl_add_u64 v[28:29], v[44:45], 1, v[46:47]
	v_mov_b32_e32 v46, 0
	global_store_short v[28:29], v30, off
	v_add_u32_e32 v30, 24, v52
	v_mad_i64_i32 v[28:29], s[4:5], v30, s6, 0
	v_lshl_add_u64 v[28:29], v[28:29], 1, s[16:17]
	s_cbranch_vccnz .LBB266_62
; %bb.61:
	v_lshl_add_u64 v[48:49], v[36:37], 1, v[28:29]
	global_load_ushort v31, v[48:49], off
	s_waitcnt vmcnt(0)
	v_mul_f16_e32 v31, s24, v31
	v_cvt_f32_f16_e32 v31, v31
.LBB266_62:
	v_pk_add_f16 v47, v38, v24
	v_max_f16_e32 v48, v117, v117
	v_pk_add_f16 v50, v39, v25
	v_min_f16_e32 v48, v48, v47
	v_lshrrev_b32_e32 v49, 16, v117
	v_lshrrev_b32_e32 v47, 16, v47
	;; [unrolled: 1-line block ×3, first 2 shown]
	v_min3_f16 v47, v49, v47, v51
	v_min3_f16 v47, v48, v50, v47
	v_cvt_f32_f16_e32 v47, v47
	v_mad_i64_i32 v[48:49], s[4:5], v30, s7, 0
	v_max_f32_e32 v30, v31, v31
	v_min_f32_e32 v30, v30, v47
	v_cvt_f16_f32_e32 v47, v30
	v_lshl_add_u64 v[30:31], v[48:49], 1, s[2:3]
	v_lshl_add_u64 v[48:49], v[36:37], 1, v[30:31]
	s_and_b64 vcc, exec, s[0:1]
	global_store_short v[48:49], v47, off
	s_cbranch_vccnz .LBB266_64
; %bb.63:
	v_lshl_add_u64 v[46:47], v[40:41], 1, v[28:29]
	global_load_ushort v46, v[46:47], off
	s_waitcnt vmcnt(0)
	v_mul_f16_e32 v46, s24, v46
	v_cvt_f32_f16_e32 v46, v46
.LBB266_64:
	v_pk_add_f16 v47, v0, v24
	v_max_f16_e32 v48, v116, v116
	v_pk_add_f16 v50, v1, v25
	v_min_f16_e32 v48, v48, v47
	v_lshrrev_b32_e32 v49, 16, v116
	v_lshrrev_b32_e32 v47, 16, v47
	;; [unrolled: 1-line block ×3, first 2 shown]
	v_min3_f16 v47, v49, v47, v51
	v_min3_f16 v47, v48, v50, v47
	v_cvt_f32_f16_e32 v47, v47
	v_max_f32_e32 v46, v46, v46
	s_and_b64 vcc, exec, s[0:1]
	v_min_f32_e32 v46, v46, v47
	v_cvt_f16_f32_e32 v48, v46
	v_lshl_add_u64 v[46:47], v[40:41], 1, v[30:31]
	global_store_short v[46:47], v48, off
	v_mov_b32_e32 v46, 0
	v_mov_b32_e32 v47, 0
	s_cbranch_vccnz .LBB266_66
; %bb.65:
	v_lshl_add_u64 v[48:49], v[42:43], 1, v[28:29]
	global_load_ushort v47, v[48:49], off
	s_waitcnt vmcnt(0)
	v_mul_f16_e32 v47, s24, v47
	v_cvt_f32_f16_e32 v47, v47
.LBB266_66:
	v_pk_add_f16 v48, v2, v24
	v_max_f16_e32 v49, v115, v115
	v_pk_add_f16 v51, v3, v25
	v_min_f16_e32 v49, v49, v48
	v_lshrrev_b32_e32 v50, 16, v115
	v_lshrrev_b32_e32 v48, 16, v48
	;; [unrolled: 1-line block ×3, first 2 shown]
	v_min3_f16 v48, v50, v48, v53
	v_min3_f16 v48, v49, v51, v48
	v_cvt_f32_f16_e32 v48, v48
	v_max_f32_e32 v47, v47, v47
	s_and_b64 vcc, exec, s[0:1]
	v_min_f32_e32 v47, v47, v48
	v_cvt_f16_f32_e32 v47, v47
	v_lshl_add_u64 v[48:49], v[42:43], 1, v[30:31]
	global_store_short v[48:49], v47, off
	s_cbranch_vccnz .LBB266_68
; %bb.67:
	v_lshl_add_u64 v[28:29], v[44:45], 1, v[28:29]
	global_load_ushort v28, v[28:29], off
	s_waitcnt vmcnt(0)
	v_mul_f16_e32 v28, s24, v28
	v_cvt_f32_f16_e32 v46, v28
.LBB266_68:
	v_pk_add_f16 v24, v32, v24
	v_max_f16_e32 v28, v114, v114
	v_pk_add_f16 v25, v33, v25
	v_min_f16_e32 v28, v28, v24
	v_lshrrev_b32_e32 v29, 16, v114
	v_lshrrev_b32_e32 v24, 16, v24
	;; [unrolled: 1-line block ×3, first 2 shown]
	v_min3_f16 v24, v29, v24, v47
	v_min3_f16 v24, v28, v25, v24
	v_cvt_f32_f16_e32 v24, v24
	v_max_f32_e32 v25, v46, v46
	s_and_b64 vcc, exec, s[0:1]
	v_mov_b32_e32 v29, 0
	v_min_f32_e32 v24, v25, v24
	v_cvt_f16_f32_e32 v28, v24
	v_lshl_add_u64 v[24:25], v[44:45], 1, v[30:31]
	v_mov_b32_e32 v30, 0
	global_store_short v[24:25], v28, off
	v_add_u32_e32 v28, 32, v52
	v_mad_i64_i32 v[24:25], s[4:5], v28, s6, 0
	v_lshl_add_u64 v[24:25], v[24:25], 1, s[16:17]
	s_cbranch_vccnz .LBB266_70
; %bb.69:
	v_lshl_add_u64 v[46:47], v[36:37], 1, v[24:25]
	global_load_ushort v29, v[46:47], off
	s_waitcnt vmcnt(0)
	v_mul_f16_e32 v29, s24, v29
	v_cvt_f32_f16_e32 v29, v29
.LBB266_70:
	v_pk_add_f16 v31, v38, v26
	v_max_f16_e32 v46, v112, v112
	v_pk_add_f16 v48, v39, v27
	v_min_f16_e32 v46, v46, v31
	v_lshrrev_b32_e32 v47, 16, v112
	v_lshrrev_b32_e32 v31, 16, v31
	;; [unrolled: 1-line block ×3, first 2 shown]
	v_min3_f16 v31, v47, v31, v49
	v_min3_f16 v31, v46, v48, v31
	v_cvt_f32_f16_e32 v31, v31
	v_mad_i64_i32 v[46:47], s[4:5], v28, s7, 0
	v_max_f32_e32 v28, v29, v29
	v_min_f32_e32 v28, v28, v31
	v_cvt_f16_f32_e32 v31, v28
	v_lshl_add_u64 v[28:29], v[46:47], 1, s[2:3]
	v_lshl_add_u64 v[46:47], v[36:37], 1, v[28:29]
	s_and_b64 vcc, exec, s[0:1]
	global_store_short v[46:47], v31, off
	s_cbranch_vccnz .LBB266_72
; %bb.71:
	v_lshl_add_u64 v[30:31], v[40:41], 1, v[24:25]
	global_load_ushort v30, v[30:31], off
	s_waitcnt vmcnt(0)
	v_mul_f16_e32 v30, s24, v30
	v_cvt_f32_f16_e32 v30, v30
.LBB266_72:
	v_pk_add_f16 v31, v0, v26
	v_max_f16_e32 v46, v110, v110
	v_pk_add_f16 v48, v1, v27
	v_min_f16_e32 v46, v46, v31
	v_lshrrev_b32_e32 v47, 16, v110
	v_lshrrev_b32_e32 v31, 16, v31
	v_lshrrev_b32_e32 v49, 16, v48
	v_min3_f16 v31, v47, v31, v49
	v_min3_f16 v31, v46, v48, v31
	v_cvt_f32_f16_e32 v31, v31
	v_max_f32_e32 v30, v30, v30
	s_and_b64 vcc, exec, s[0:1]
	v_min_f32_e32 v30, v30, v31
	v_cvt_f16_f32_e32 v46, v30
	v_lshl_add_u64 v[30:31], v[40:41], 1, v[28:29]
	global_store_short v[30:31], v46, off
	v_mov_b32_e32 v30, 0
	v_mov_b32_e32 v31, 0
	s_cbranch_vccnz .LBB266_74
; %bb.73:
	v_lshl_add_u64 v[46:47], v[42:43], 1, v[24:25]
	global_load_ushort v31, v[46:47], off
	s_waitcnt vmcnt(0)
	v_mul_f16_e32 v31, s24, v31
	v_cvt_f32_f16_e32 v31, v31
.LBB266_74:
	v_pk_add_f16 v46, v2, v26
	v_max_f16_e32 v47, v108, v108
	v_pk_add_f16 v49, v3, v27
	v_min_f16_e32 v47, v47, v46
	v_lshrrev_b32_e32 v48, 16, v108
	v_lshrrev_b32_e32 v46, 16, v46
	;; [unrolled: 1-line block ×3, first 2 shown]
	v_min3_f16 v46, v48, v46, v50
	v_min3_f16 v46, v47, v49, v46
	v_cvt_f32_f16_e32 v46, v46
	v_max_f32_e32 v31, v31, v31
	s_and_b64 vcc, exec, s[0:1]
	v_min_f32_e32 v31, v31, v46
	v_cvt_f16_f32_e32 v31, v31
	v_lshl_add_u64 v[46:47], v[42:43], 1, v[28:29]
	global_store_short v[46:47], v31, off
	s_cbranch_vccnz .LBB266_76
; %bb.75:
	v_lshl_add_u64 v[24:25], v[44:45], 1, v[24:25]
	global_load_ushort v24, v[24:25], off
	s_waitcnt vmcnt(0)
	v_mul_f16_e32 v24, s24, v24
	v_cvt_f32_f16_e32 v30, v24
.LBB266_76:
	v_pk_add_f16 v24, v32, v26
	v_max_f16_e32 v25, v107, v107
	v_pk_add_f16 v27, v33, v27
	v_min_f16_e32 v25, v25, v24
	v_lshrrev_b32_e32 v26, 16, v107
	v_lshrrev_b32_e32 v24, 16, v24
	;; [unrolled: 1-line block ×3, first 2 shown]
	v_min3_f16 v24, v26, v24, v31
	v_min3_f16 v24, v25, v27, v24
	v_cvt_f32_f16_e32 v24, v24
	v_max_f32_e32 v25, v30, v30
	s_and_b64 vcc, exec, s[0:1]
	v_mov_b32_e32 v27, 0
	v_min_f32_e32 v24, v25, v24
	v_cvt_f16_f32_e32 v26, v24
	v_lshl_add_u64 v[24:25], v[44:45], 1, v[28:29]
	v_mov_b32_e32 v28, 0
	global_store_short v[24:25], v26, off
	v_add_u32_e32 v26, 40, v52
	v_mad_i64_i32 v[24:25], s[4:5], v26, s6, 0
	v_lshl_add_u64 v[24:25], v[24:25], 1, s[16:17]
	s_cbranch_vccnz .LBB266_78
; %bb.77:
	v_lshl_add_u64 v[30:31], v[36:37], 1, v[24:25]
	global_load_ushort v27, v[30:31], off
	s_waitcnt vmcnt(0)
	v_mul_f16_e32 v27, s24, v27
	v_cvt_f32_f16_e32 v27, v27
.LBB266_78:
	v_pk_add_f16 v29, v38, v20
	v_max_f16_e32 v30, v106, v106
	v_pk_add_f16 v46, v39, v21
	v_min_f16_e32 v30, v30, v29
	v_lshrrev_b32_e32 v31, 16, v106
	v_lshrrev_b32_e32 v29, 16, v29
	;; [unrolled: 1-line block ×3, first 2 shown]
	v_min3_f16 v29, v31, v29, v47
	v_min3_f16 v29, v30, v46, v29
	v_cvt_f32_f16_e32 v29, v29
	v_mad_i64_i32 v[30:31], s[4:5], v26, s7, 0
	v_max_f32_e32 v26, v27, v27
	v_min_f32_e32 v26, v26, v29
	v_cvt_f16_f32_e32 v29, v26
	v_lshl_add_u64 v[26:27], v[30:31], 1, s[2:3]
	v_lshl_add_u64 v[30:31], v[36:37], 1, v[26:27]
	s_and_b64 vcc, exec, s[0:1]
	global_store_short v[30:31], v29, off
	s_cbranch_vccnz .LBB266_80
; %bb.79:
	v_lshl_add_u64 v[28:29], v[40:41], 1, v[24:25]
	global_load_ushort v28, v[28:29], off
	s_waitcnt vmcnt(0)
	v_mul_f16_e32 v28, s24, v28
	v_cvt_f32_f16_e32 v28, v28
.LBB266_80:
	v_pk_add_f16 v29, v0, v20
	v_max_f16_e32 v30, v104, v104
	v_pk_add_f16 v46, v1, v21
	v_min_f16_e32 v30, v30, v29
	v_lshrrev_b32_e32 v31, 16, v104
	v_lshrrev_b32_e32 v29, 16, v29
	;; [unrolled: 1-line block ×3, first 2 shown]
	v_min3_f16 v29, v31, v29, v47
	v_min3_f16 v29, v30, v46, v29
	v_cvt_f32_f16_e32 v29, v29
	v_max_f32_e32 v28, v28, v28
	s_and_b64 vcc, exec, s[0:1]
	v_min_f32_e32 v28, v28, v29
	v_cvt_f16_f32_e32 v30, v28
	v_lshl_add_u64 v[28:29], v[40:41], 1, v[26:27]
	global_store_short v[28:29], v30, off
	v_mov_b32_e32 v28, 0
	v_mov_b32_e32 v29, 0
	s_cbranch_vccnz .LBB266_82
; %bb.81:
	v_lshl_add_u64 v[30:31], v[42:43], 1, v[24:25]
	global_load_ushort v29, v[30:31], off
	s_waitcnt vmcnt(0)
	v_mul_f16_e32 v29, s24, v29
	v_cvt_f32_f16_e32 v29, v29
.LBB266_82:
	v_pk_add_f16 v30, v2, v20
	v_max_f16_e32 v31, v103, v103
	v_pk_add_f16 v47, v3, v21
	v_min_f16_e32 v31, v31, v30
	v_lshrrev_b32_e32 v46, 16, v103
	v_lshrrev_b32_e32 v30, 16, v30
	;; [unrolled: 1-line block ×3, first 2 shown]
	v_min3_f16 v30, v46, v30, v48
	v_min3_f16 v30, v31, v47, v30
	v_cvt_f32_f16_e32 v30, v30
	v_max_f32_e32 v29, v29, v29
	s_and_b64 vcc, exec, s[0:1]
	v_min_f32_e32 v29, v29, v30
	v_cvt_f16_f32_e32 v29, v29
	v_lshl_add_u64 v[30:31], v[42:43], 1, v[26:27]
	global_store_short v[30:31], v29, off
	s_cbranch_vccnz .LBB266_84
; %bb.83:
	v_lshl_add_u64 v[24:25], v[44:45], 1, v[24:25]
	global_load_ushort v24, v[24:25], off
	s_waitcnt vmcnt(0)
	v_mul_f16_e32 v24, s24, v24
	v_cvt_f32_f16_e32 v28, v24
.LBB266_84:
	v_pk_add_f16 v20, v32, v20
	v_max_f16_e32 v24, v102, v102
	v_pk_add_f16 v21, v33, v21
	v_min_f16_e32 v24, v24, v20
	v_lshrrev_b32_e32 v25, 16, v102
	v_lshrrev_b32_e32 v20, 16, v20
	;; [unrolled: 1-line block ×3, first 2 shown]
	v_min3_f16 v20, v25, v20, v29
	v_min3_f16 v20, v24, v21, v20
	v_cvt_f32_f16_e32 v20, v20
	v_max_f32_e32 v21, v28, v28
	s_and_b64 vcc, exec, s[0:1]
	v_mov_b32_e32 v25, 0
	v_min_f32_e32 v20, v21, v20
	v_cvt_f16_f32_e32 v24, v20
	v_lshl_add_u64 v[20:21], v[44:45], 1, v[26:27]
	v_mov_b32_e32 v26, 0
	global_store_short v[20:21], v24, off
	v_add_u32_e32 v24, 48, v52
	v_mad_i64_i32 v[20:21], s[4:5], v24, s6, 0
	v_lshl_add_u64 v[20:21], v[20:21], 1, s[16:17]
	s_cbranch_vccnz .LBB266_86
; %bb.85:
	v_lshl_add_u64 v[28:29], v[36:37], 1, v[20:21]
	global_load_ushort v25, v[28:29], off
	s_waitcnt vmcnt(0)
	v_mul_f16_e32 v25, s24, v25
	v_cvt_f32_f16_e32 v25, v25
.LBB266_86:
	v_pk_add_f16 v27, v38, v22
	v_max_f16_e32 v28, v101, v101
	v_pk_add_f16 v30, v39, v23
	v_min_f16_e32 v28, v28, v27
	v_lshrrev_b32_e32 v29, 16, v101
	v_lshrrev_b32_e32 v27, 16, v27
	;; [unrolled: 1-line block ×3, first 2 shown]
	v_min3_f16 v27, v29, v27, v31
	v_min3_f16 v27, v28, v30, v27
	v_cvt_f32_f16_e32 v27, v27
	v_mad_i64_i32 v[28:29], s[4:5], v24, s7, 0
	v_max_f32_e32 v24, v25, v25
	v_min_f32_e32 v24, v24, v27
	v_cvt_f16_f32_e32 v27, v24
	v_lshl_add_u64 v[24:25], v[28:29], 1, s[2:3]
	v_lshl_add_u64 v[28:29], v[36:37], 1, v[24:25]
	s_and_b64 vcc, exec, s[0:1]
	global_store_short v[28:29], v27, off
	s_cbranch_vccnz .LBB266_88
; %bb.87:
	v_lshl_add_u64 v[26:27], v[40:41], 1, v[20:21]
	global_load_ushort v26, v[26:27], off
	s_waitcnt vmcnt(0)
	v_mul_f16_e32 v26, s24, v26
	v_cvt_f32_f16_e32 v26, v26
.LBB266_88:
	v_pk_add_f16 v27, v0, v22
	v_max_f16_e32 v28, v100, v100
	v_pk_add_f16 v30, v1, v23
	v_min_f16_e32 v28, v28, v27
	v_lshrrev_b32_e32 v29, 16, v100
	v_lshrrev_b32_e32 v27, 16, v27
	;; [unrolled: 1-line block ×3, first 2 shown]
	v_min3_f16 v27, v29, v27, v31
	v_min3_f16 v27, v28, v30, v27
	v_cvt_f32_f16_e32 v27, v27
	v_max_f32_e32 v26, v26, v26
	s_and_b64 vcc, exec, s[0:1]
	v_min_f32_e32 v26, v26, v27
	v_cvt_f16_f32_e32 v28, v26
	v_lshl_add_u64 v[26:27], v[40:41], 1, v[24:25]
	global_store_short v[26:27], v28, off
	v_mov_b32_e32 v26, 0
	v_mov_b32_e32 v27, 0
	s_cbranch_vccnz .LBB266_90
; %bb.89:
	v_lshl_add_u64 v[28:29], v[42:43], 1, v[20:21]
	global_load_ushort v27, v[28:29], off
	s_waitcnt vmcnt(0)
	v_mul_f16_e32 v27, s24, v27
	v_cvt_f32_f16_e32 v27, v27
.LBB266_90:
	v_pk_add_f16 v28, v2, v22
	v_max_f16_e32 v29, v98, v98
	v_pk_add_f16 v31, v3, v23
	v_min_f16_e32 v29, v29, v28
	v_lshrrev_b32_e32 v30, 16, v98
	v_lshrrev_b32_e32 v28, 16, v28
	;; [unrolled: 1-line block ×3, first 2 shown]
	v_min3_f16 v28, v30, v28, v46
	v_min3_f16 v28, v29, v31, v28
	v_cvt_f32_f16_e32 v28, v28
	v_max_f32_e32 v27, v27, v27
	s_and_b64 vcc, exec, s[0:1]
	v_min_f32_e32 v27, v27, v28
	v_cvt_f16_f32_e32 v27, v27
	v_lshl_add_u64 v[28:29], v[42:43], 1, v[24:25]
	global_store_short v[28:29], v27, off
	s_cbranch_vccnz .LBB266_92
; %bb.91:
	v_lshl_add_u64 v[20:21], v[44:45], 1, v[20:21]
	global_load_ushort v20, v[20:21], off
	s_waitcnt vmcnt(0)
	v_mul_f16_e32 v20, s24, v20
	v_cvt_f32_f16_e32 v26, v20
.LBB266_92:
	v_pk_add_f16 v20, v32, v22
	v_max_f16_e32 v21, v97, v97
	v_pk_add_f16 v23, v33, v23
	v_min_f16_e32 v21, v21, v20
	v_lshrrev_b32_e32 v22, 16, v97
	v_lshrrev_b32_e32 v20, 16, v20
	;; [unrolled: 1-line block ×3, first 2 shown]
	v_min3_f16 v20, v22, v20, v27
	v_min3_f16 v20, v21, v23, v20
	v_cvt_f32_f16_e32 v20, v20
	v_max_f32_e32 v21, v26, v26
	s_and_b64 vcc, exec, s[0:1]
	v_mov_b32_e32 v23, 0
	v_min_f32_e32 v20, v21, v20
	v_cvt_f16_f32_e32 v22, v20
	v_lshl_add_u64 v[20:21], v[44:45], 1, v[24:25]
	v_mov_b32_e32 v24, 0
	global_store_short v[20:21], v22, off
	v_add_u32_e32 v22, 56, v52
	v_mad_i64_i32 v[20:21], s[4:5], v22, s6, 0
	v_lshl_add_u64 v[20:21], v[20:21], 1, s[16:17]
	s_cbranch_vccnz .LBB266_94
; %bb.93:
	v_lshl_add_u64 v[26:27], v[36:37], 1, v[20:21]
	global_load_ushort v23, v[26:27], off
	s_waitcnt vmcnt(0)
	v_mul_f16_e32 v23, s24, v23
	v_cvt_f32_f16_e32 v23, v23
.LBB266_94:
	v_pk_add_f16 v25, v38, v16
	v_max_f16_e32 v26, v95, v95
	v_pk_add_f16 v28, v39, v17
	v_min_f16_e32 v26, v26, v25
	v_lshrrev_b32_e32 v27, 16, v95
	v_lshrrev_b32_e32 v25, 16, v25
	;; [unrolled: 1-line block ×3, first 2 shown]
	v_min3_f16 v25, v27, v25, v29
	v_min3_f16 v25, v26, v28, v25
	v_cvt_f32_f16_e32 v25, v25
	v_mad_i64_i32 v[26:27], s[4:5], v22, s7, 0
	v_max_f32_e32 v22, v23, v23
	v_min_f32_e32 v22, v22, v25
	v_cvt_f16_f32_e32 v25, v22
	v_lshl_add_u64 v[22:23], v[26:27], 1, s[2:3]
	v_lshl_add_u64 v[26:27], v[36:37], 1, v[22:23]
	s_and_b64 vcc, exec, s[0:1]
	global_store_short v[26:27], v25, off
	s_cbranch_vccnz .LBB266_96
; %bb.95:
	v_lshl_add_u64 v[24:25], v[40:41], 1, v[20:21]
	global_load_ushort v24, v[24:25], off
	s_waitcnt vmcnt(0)
	v_mul_f16_e32 v24, s24, v24
	v_cvt_f32_f16_e32 v24, v24
.LBB266_96:
	v_pk_add_f16 v25, v0, v16
	v_max_f16_e32 v26, v94, v94
	v_pk_add_f16 v28, v1, v17
	v_min_f16_e32 v26, v26, v25
	v_lshrrev_b32_e32 v27, 16, v94
	v_lshrrev_b32_e32 v25, 16, v25
	;; [unrolled: 1-line block ×3, first 2 shown]
	v_min3_f16 v25, v27, v25, v29
	v_min3_f16 v25, v26, v28, v25
	v_cvt_f32_f16_e32 v25, v25
	v_max_f32_e32 v24, v24, v24
	s_and_b64 vcc, exec, s[0:1]
	v_min_f32_e32 v24, v24, v25
	v_cvt_f16_f32_e32 v26, v24
	v_lshl_add_u64 v[24:25], v[40:41], 1, v[22:23]
	global_store_short v[24:25], v26, off
	v_mov_b32_e32 v24, 0
	v_mov_b32_e32 v25, 0
	s_cbranch_vccnz .LBB266_98
; %bb.97:
	v_lshl_add_u64 v[26:27], v[42:43], 1, v[20:21]
	global_load_ushort v25, v[26:27], off
	s_waitcnt vmcnt(0)
	v_mul_f16_e32 v25, s24, v25
	v_cvt_f32_f16_e32 v25, v25
.LBB266_98:
	v_pk_add_f16 v26, v2, v16
	v_max_f16_e32 v27, v93, v93
	v_pk_add_f16 v29, v3, v17
	v_min_f16_e32 v27, v27, v26
	v_lshrrev_b32_e32 v28, 16, v93
	v_lshrrev_b32_e32 v26, 16, v26
	;; [unrolled: 1-line block ×3, first 2 shown]
	v_min3_f16 v26, v28, v26, v30
	v_min3_f16 v26, v27, v29, v26
	v_cvt_f32_f16_e32 v26, v26
	v_max_f32_e32 v25, v25, v25
	s_and_b64 vcc, exec, s[0:1]
	v_min_f32_e32 v25, v25, v26
	v_cvt_f16_f32_e32 v25, v25
	v_lshl_add_u64 v[26:27], v[42:43], 1, v[22:23]
	global_store_short v[26:27], v25, off
	s_cbranch_vccnz .LBB266_100
; %bb.99:
	v_lshl_add_u64 v[20:21], v[44:45], 1, v[20:21]
	global_load_ushort v20, v[20:21], off
	s_waitcnt vmcnt(0)
	v_mul_f16_e32 v20, s24, v20
	v_cvt_f32_f16_e32 v24, v20
.LBB266_100:
	v_pk_add_f16 v16, v32, v16
	v_max_f16_e32 v20, v92, v92
	v_pk_add_f16 v17, v33, v17
	v_min_f16_e32 v20, v20, v16
	v_lshrrev_b32_e32 v21, 16, v92
	v_lshrrev_b32_e32 v16, 16, v16
	;; [unrolled: 1-line block ×3, first 2 shown]
	v_min3_f16 v16, v21, v16, v25
	v_min3_f16 v16, v20, v17, v16
	v_cvt_f32_f16_e32 v16, v16
	v_max_f32_e32 v17, v24, v24
	s_and_b64 vcc, exec, s[0:1]
	v_mov_b32_e32 v21, 0
	v_min_f32_e32 v16, v17, v16
	v_cvt_f16_f32_e32 v20, v16
	v_lshl_add_u64 v[16:17], v[44:45], 1, v[22:23]
	v_mov_b32_e32 v22, 0
	global_store_short v[16:17], v20, off
	v_add_u32_e32 v20, 64, v52
	v_mad_i64_i32 v[16:17], s[4:5], v20, s6, 0
	v_lshl_add_u64 v[16:17], v[16:17], 1, s[16:17]
	s_cbranch_vccnz .LBB266_102
; %bb.101:
	v_lshl_add_u64 v[24:25], v[36:37], 1, v[16:17]
	global_load_ushort v21, v[24:25], off
	s_waitcnt vmcnt(0)
	v_mul_f16_e32 v21, s24, v21
	v_cvt_f32_f16_e32 v21, v21
.LBB266_102:
	v_pk_add_f16 v23, v38, v18
	v_max_f16_e32 v24, v91, v91
	v_pk_add_f16 v26, v39, v19
	v_min_f16_e32 v24, v24, v23
	v_lshrrev_b32_e32 v25, 16, v91
	v_lshrrev_b32_e32 v23, 16, v23
	v_lshrrev_b32_e32 v27, 16, v26
	v_min3_f16 v23, v25, v23, v27
	v_min3_f16 v23, v24, v26, v23
	v_cvt_f32_f16_e32 v23, v23
	v_mad_i64_i32 v[24:25], s[4:5], v20, s7, 0
	v_max_f32_e32 v20, v21, v21
	v_min_f32_e32 v20, v20, v23
	v_cvt_f16_f32_e32 v23, v20
	v_lshl_add_u64 v[20:21], v[24:25], 1, s[2:3]
	v_lshl_add_u64 v[24:25], v[36:37], 1, v[20:21]
	s_and_b64 vcc, exec, s[0:1]
	global_store_short v[24:25], v23, off
	s_cbranch_vccnz .LBB266_104
; %bb.103:
	v_lshl_add_u64 v[22:23], v[40:41], 1, v[16:17]
	global_load_ushort v22, v[22:23], off
	s_waitcnt vmcnt(0)
	v_mul_f16_e32 v22, s24, v22
	v_cvt_f32_f16_e32 v22, v22
.LBB266_104:
	v_pk_add_f16 v23, v0, v18
	v_max_f16_e32 v24, v90, v90
	v_pk_add_f16 v26, v1, v19
	v_min_f16_e32 v24, v24, v23
	v_lshrrev_b32_e32 v25, 16, v90
	v_lshrrev_b32_e32 v23, 16, v23
	;; [unrolled: 1-line block ×3, first 2 shown]
	v_min3_f16 v23, v25, v23, v27
	v_min3_f16 v23, v24, v26, v23
	v_cvt_f32_f16_e32 v23, v23
	v_max_f32_e32 v22, v22, v22
	s_and_b64 vcc, exec, s[0:1]
	v_min_f32_e32 v22, v22, v23
	v_cvt_f16_f32_e32 v24, v22
	v_lshl_add_u64 v[22:23], v[40:41], 1, v[20:21]
	global_store_short v[22:23], v24, off
	v_mov_b32_e32 v22, 0
	v_mov_b32_e32 v23, 0
	s_cbranch_vccnz .LBB266_106
; %bb.105:
	v_lshl_add_u64 v[24:25], v[42:43], 1, v[16:17]
	global_load_ushort v23, v[24:25], off
	s_waitcnt vmcnt(0)
	v_mul_f16_e32 v23, s24, v23
	v_cvt_f32_f16_e32 v23, v23
.LBB266_106:
	v_pk_add_f16 v24, v2, v18
	v_max_f16_e32 v25, v88, v88
	v_pk_add_f16 v27, v3, v19
	v_min_f16_e32 v25, v25, v24
	v_lshrrev_b32_e32 v26, 16, v88
	v_lshrrev_b32_e32 v24, 16, v24
	;; [unrolled: 1-line block ×3, first 2 shown]
	v_min3_f16 v24, v26, v24, v28
	v_min3_f16 v24, v25, v27, v24
	v_cvt_f32_f16_e32 v24, v24
	v_max_f32_e32 v23, v23, v23
	s_and_b64 vcc, exec, s[0:1]
	v_min_f32_e32 v23, v23, v24
	v_cvt_f16_f32_e32 v23, v23
	v_lshl_add_u64 v[24:25], v[42:43], 1, v[20:21]
	global_store_short v[24:25], v23, off
	s_cbranch_vccnz .LBB266_108
; %bb.107:
	v_lshl_add_u64 v[16:17], v[44:45], 1, v[16:17]
	global_load_ushort v16, v[16:17], off
	s_waitcnt vmcnt(0)
	v_mul_f16_e32 v16, s24, v16
	v_cvt_f32_f16_e32 v22, v16
.LBB266_108:
	v_pk_add_f16 v16, v32, v18
	v_max_f16_e32 v17, v86, v86
	v_pk_add_f16 v19, v33, v19
	v_min_f16_e32 v17, v17, v16
	v_lshrrev_b32_e32 v18, 16, v86
	v_lshrrev_b32_e32 v16, 16, v16
	;; [unrolled: 1-line block ×3, first 2 shown]
	v_min3_f16 v16, v18, v16, v23
	v_min3_f16 v16, v17, v19, v16
	v_cvt_f32_f16_e32 v16, v16
	v_max_f32_e32 v17, v22, v22
	s_and_b64 vcc, exec, s[0:1]
	v_mov_b32_e32 v19, 0
	v_min_f32_e32 v16, v17, v16
	v_cvt_f16_f32_e32 v18, v16
	v_lshl_add_u64 v[16:17], v[44:45], 1, v[20:21]
	v_mov_b32_e32 v20, 0
	global_store_short v[16:17], v18, off
	v_add_u32_e32 v18, 0x48, v52
	v_mad_i64_i32 v[16:17], s[4:5], v18, s6, 0
	v_lshl_add_u64 v[16:17], v[16:17], 1, s[16:17]
	s_cbranch_vccnz .LBB266_110
; %bb.109:
	v_lshl_add_u64 v[22:23], v[36:37], 1, v[16:17]
	global_load_ushort v19, v[22:23], off
	s_waitcnt vmcnt(0)
	v_mul_f16_e32 v19, s24, v19
	v_cvt_f32_f16_e32 v19, v19
.LBB266_110:
	v_pk_add_f16 v21, v38, v12
	v_max_f16_e32 v22, v85, v85
	v_pk_add_f16 v24, v39, v13
	v_min_f16_e32 v22, v22, v21
	v_lshrrev_b32_e32 v23, 16, v85
	v_lshrrev_b32_e32 v21, 16, v21
	;; [unrolled: 1-line block ×3, first 2 shown]
	v_min3_f16 v21, v23, v21, v25
	v_min3_f16 v21, v22, v24, v21
	v_cvt_f32_f16_e32 v21, v21
	v_mad_i64_i32 v[22:23], s[4:5], v18, s7, 0
	v_max_f32_e32 v18, v19, v19
	v_min_f32_e32 v18, v18, v21
	v_cvt_f16_f32_e32 v21, v18
	v_lshl_add_u64 v[18:19], v[22:23], 1, s[2:3]
	v_lshl_add_u64 v[22:23], v[36:37], 1, v[18:19]
	s_and_b64 vcc, exec, s[0:1]
	global_store_short v[22:23], v21, off
	s_cbranch_vccnz .LBB266_112
; %bb.111:
	v_lshl_add_u64 v[20:21], v[40:41], 1, v[16:17]
	global_load_ushort v20, v[20:21], off
	s_waitcnt vmcnt(0)
	v_mul_f16_e32 v20, s24, v20
	v_cvt_f32_f16_e32 v20, v20
.LBB266_112:
	v_pk_add_f16 v21, v0, v12
	v_max_f16_e32 v22, v84, v84
	v_pk_add_f16 v24, v1, v13
	v_min_f16_e32 v22, v22, v21
	v_lshrrev_b32_e32 v23, 16, v84
	v_lshrrev_b32_e32 v21, 16, v21
	v_lshrrev_b32_e32 v25, 16, v24
	v_min3_f16 v21, v23, v21, v25
	v_min3_f16 v21, v22, v24, v21
	v_cvt_f32_f16_e32 v21, v21
	v_max_f32_e32 v20, v20, v20
	s_and_b64 vcc, exec, s[0:1]
	v_min_f32_e32 v20, v20, v21
	v_cvt_f16_f32_e32 v22, v20
	v_lshl_add_u64 v[20:21], v[40:41], 1, v[18:19]
	global_store_short v[20:21], v22, off
	v_mov_b32_e32 v20, 0
	v_mov_b32_e32 v21, 0
	s_cbranch_vccnz .LBB266_114
; %bb.113:
	v_lshl_add_u64 v[22:23], v[42:43], 1, v[16:17]
	global_load_ushort v21, v[22:23], off
	s_waitcnt vmcnt(0)
	v_mul_f16_e32 v21, s24, v21
	v_cvt_f32_f16_e32 v21, v21
.LBB266_114:
	v_pk_add_f16 v22, v2, v12
	v_max_f16_e32 v23, v83, v83
	v_pk_add_f16 v25, v3, v13
	v_min_f16_e32 v23, v23, v22
	v_lshrrev_b32_e32 v24, 16, v83
	v_lshrrev_b32_e32 v22, 16, v22
	;; [unrolled: 1-line block ×3, first 2 shown]
	v_min3_f16 v22, v24, v22, v26
	v_min3_f16 v22, v23, v25, v22
	v_cvt_f32_f16_e32 v22, v22
	v_max_f32_e32 v21, v21, v21
	s_and_b64 vcc, exec, s[0:1]
	v_min_f32_e32 v21, v21, v22
	v_cvt_f16_f32_e32 v21, v21
	v_lshl_add_u64 v[22:23], v[42:43], 1, v[18:19]
	global_store_short v[22:23], v21, off
	s_cbranch_vccnz .LBB266_116
; %bb.115:
	v_lshl_add_u64 v[16:17], v[44:45], 1, v[16:17]
	global_load_ushort v16, v[16:17], off
	s_waitcnt vmcnt(0)
	v_mul_f16_e32 v16, s24, v16
	v_cvt_f32_f16_e32 v20, v16
.LBB266_116:
	v_pk_add_f16 v12, v32, v12
	v_max_f16_e32 v16, v82, v82
	v_pk_add_f16 v13, v33, v13
	v_min_f16_e32 v16, v16, v12
	v_lshrrev_b32_e32 v17, 16, v82
	v_lshrrev_b32_e32 v12, 16, v12
	;; [unrolled: 1-line block ×3, first 2 shown]
	v_min3_f16 v12, v17, v12, v21
	v_min3_f16 v12, v16, v13, v12
	v_cvt_f32_f16_e32 v12, v12
	v_max_f32_e32 v13, v20, v20
	s_and_b64 vcc, exec, s[0:1]
	v_mov_b32_e32 v17, 0
	v_min_f32_e32 v12, v13, v12
	v_cvt_f16_f32_e32 v16, v12
	v_lshl_add_u64 v[12:13], v[44:45], 1, v[18:19]
	v_mov_b32_e32 v18, 0
	global_store_short v[12:13], v16, off
	v_add_u32_e32 v16, 0x50, v52
	v_mad_i64_i32 v[12:13], s[4:5], v16, s6, 0
	v_lshl_add_u64 v[12:13], v[12:13], 1, s[16:17]
	s_cbranch_vccnz .LBB266_118
; %bb.117:
	v_lshl_add_u64 v[20:21], v[36:37], 1, v[12:13]
	global_load_ushort v17, v[20:21], off
	s_waitcnt vmcnt(0)
	v_mul_f16_e32 v17, s24, v17
	v_cvt_f32_f16_e32 v17, v17
.LBB266_118:
	v_pk_add_f16 v19, v38, v14
	v_max_f16_e32 v20, v81, v81
	v_pk_add_f16 v22, v39, v15
	v_min_f16_e32 v20, v20, v19
	v_lshrrev_b32_e32 v21, 16, v81
	v_lshrrev_b32_e32 v19, 16, v19
	;; [unrolled: 1-line block ×3, first 2 shown]
	v_min3_f16 v19, v21, v19, v23
	v_min3_f16 v19, v20, v22, v19
	v_cvt_f32_f16_e32 v19, v19
	v_mad_i64_i32 v[20:21], s[4:5], v16, s7, 0
	v_max_f32_e32 v16, v17, v17
	v_min_f32_e32 v16, v16, v19
	v_cvt_f16_f32_e32 v19, v16
	v_lshl_add_u64 v[16:17], v[20:21], 1, s[2:3]
	v_lshl_add_u64 v[20:21], v[36:37], 1, v[16:17]
	s_and_b64 vcc, exec, s[0:1]
	global_store_short v[20:21], v19, off
	s_cbranch_vccnz .LBB266_120
; %bb.119:
	v_lshl_add_u64 v[18:19], v[40:41], 1, v[12:13]
	global_load_ushort v18, v[18:19], off
	s_waitcnt vmcnt(0)
	v_mul_f16_e32 v18, s24, v18
	v_cvt_f32_f16_e32 v18, v18
.LBB266_120:
	v_pk_add_f16 v19, v0, v14
	v_max_f16_e32 v20, v80, v80
	v_pk_add_f16 v22, v1, v15
	v_min_f16_e32 v20, v20, v19
	v_lshrrev_b32_e32 v21, 16, v80
	v_lshrrev_b32_e32 v19, 16, v19
	;; [unrolled: 1-line block ×3, first 2 shown]
	v_min3_f16 v19, v21, v19, v23
	v_min3_f16 v19, v20, v22, v19
	v_cvt_f32_f16_e32 v19, v19
	v_max_f32_e32 v18, v18, v18
	s_and_b64 vcc, exec, s[0:1]
	v_min_f32_e32 v18, v18, v19
	v_cvt_f16_f32_e32 v20, v18
	v_lshl_add_u64 v[18:19], v[40:41], 1, v[16:17]
	global_store_short v[18:19], v20, off
	v_mov_b32_e32 v18, 0
	v_mov_b32_e32 v19, 0
	s_cbranch_vccnz .LBB266_122
; %bb.121:
	v_lshl_add_u64 v[20:21], v[42:43], 1, v[12:13]
	global_load_ushort v19, v[20:21], off
	s_waitcnt vmcnt(0)
	v_mul_f16_e32 v19, s24, v19
	v_cvt_f32_f16_e32 v19, v19
.LBB266_122:
	v_pk_add_f16 v20, v2, v14
	v_max_f16_e32 v21, v79, v79
	v_pk_add_f16 v23, v3, v15
	v_min_f16_e32 v21, v21, v20
	v_lshrrev_b32_e32 v22, 16, v79
	v_lshrrev_b32_e32 v20, 16, v20
	;; [unrolled: 1-line block ×3, first 2 shown]
	v_min3_f16 v20, v22, v20, v24
	v_min3_f16 v20, v21, v23, v20
	v_cvt_f32_f16_e32 v20, v20
	v_max_f32_e32 v19, v19, v19
	s_and_b64 vcc, exec, s[0:1]
	v_min_f32_e32 v19, v19, v20
	v_cvt_f16_f32_e32 v19, v19
	v_lshl_add_u64 v[20:21], v[42:43], 1, v[16:17]
	global_store_short v[20:21], v19, off
	s_cbranch_vccnz .LBB266_124
; %bb.123:
	v_lshl_add_u64 v[12:13], v[44:45], 1, v[12:13]
	global_load_ushort v12, v[12:13], off
	s_waitcnt vmcnt(0)
	v_mul_f16_e32 v12, s24, v12
	v_cvt_f32_f16_e32 v18, v12
.LBB266_124:
	v_pk_add_f16 v12, v32, v14
	v_max_f16_e32 v13, v78, v78
	v_pk_add_f16 v15, v33, v15
	v_min_f16_e32 v13, v13, v12
	v_lshrrev_b32_e32 v14, 16, v78
	v_lshrrev_b32_e32 v12, 16, v12
	;; [unrolled: 1-line block ×3, first 2 shown]
	v_min3_f16 v12, v14, v12, v19
	v_min3_f16 v12, v13, v15, v12
	v_cvt_f32_f16_e32 v12, v12
	v_max_f32_e32 v13, v18, v18
	s_and_b64 vcc, exec, s[0:1]
	v_mov_b32_e32 v15, 0
	v_min_f32_e32 v12, v13, v12
	v_cvt_f16_f32_e32 v14, v12
	v_lshl_add_u64 v[12:13], v[44:45], 1, v[16:17]
	v_mov_b32_e32 v16, 0
	global_store_short v[12:13], v14, off
	v_add_u32_e32 v14, 0x58, v52
	v_mad_i64_i32 v[12:13], s[4:5], v14, s6, 0
	v_lshl_add_u64 v[12:13], v[12:13], 1, s[16:17]
	s_cbranch_vccnz .LBB266_126
; %bb.125:
	v_lshl_add_u64 v[18:19], v[36:37], 1, v[12:13]
	global_load_ushort v15, v[18:19], off
	s_waitcnt vmcnt(0)
	v_mul_f16_e32 v15, s24, v15
	v_cvt_f32_f16_e32 v15, v15
.LBB266_126:
	v_pk_add_f16 v17, v38, v8
	v_max_f16_e32 v18, v77, v77
	v_pk_add_f16 v20, v39, v9
	v_min_f16_e32 v18, v18, v17
	v_lshrrev_b32_e32 v19, 16, v77
	v_lshrrev_b32_e32 v17, 16, v17
	;; [unrolled: 1-line block ×3, first 2 shown]
	v_min3_f16 v17, v19, v17, v21
	v_min3_f16 v17, v18, v20, v17
	v_cvt_f32_f16_e32 v17, v17
	v_mad_i64_i32 v[18:19], s[4:5], v14, s7, 0
	v_max_f32_e32 v14, v15, v15
	v_min_f32_e32 v14, v14, v17
	v_cvt_f16_f32_e32 v17, v14
	v_lshl_add_u64 v[14:15], v[18:19], 1, s[2:3]
	v_lshl_add_u64 v[18:19], v[36:37], 1, v[14:15]
	s_and_b64 vcc, exec, s[0:1]
	global_store_short v[18:19], v17, off
	s_cbranch_vccnz .LBB266_128
; %bb.127:
	v_lshl_add_u64 v[16:17], v[40:41], 1, v[12:13]
	global_load_ushort v16, v[16:17], off
	s_waitcnt vmcnt(0)
	v_mul_f16_e32 v16, s24, v16
	v_cvt_f32_f16_e32 v16, v16
.LBB266_128:
	v_pk_add_f16 v17, v0, v8
	v_max_f16_e32 v18, v76, v76
	v_pk_add_f16 v20, v1, v9
	v_min_f16_e32 v18, v18, v17
	v_lshrrev_b32_e32 v19, 16, v76
	v_lshrrev_b32_e32 v17, 16, v17
	;; [unrolled: 1-line block ×3, first 2 shown]
	v_min3_f16 v17, v19, v17, v21
	v_min3_f16 v17, v18, v20, v17
	v_cvt_f32_f16_e32 v17, v17
	v_max_f32_e32 v16, v16, v16
	s_and_b64 vcc, exec, s[0:1]
	v_min_f32_e32 v16, v16, v17
	v_cvt_f16_f32_e32 v18, v16
	v_lshl_add_u64 v[16:17], v[40:41], 1, v[14:15]
	global_store_short v[16:17], v18, off
	v_mov_b32_e32 v16, 0
	v_mov_b32_e32 v17, 0
	s_cbranch_vccnz .LBB266_130
; %bb.129:
	v_lshl_add_u64 v[18:19], v[42:43], 1, v[12:13]
	global_load_ushort v17, v[18:19], off
	s_waitcnt vmcnt(0)
	v_mul_f16_e32 v17, s24, v17
	v_cvt_f32_f16_e32 v17, v17
.LBB266_130:
	v_pk_add_f16 v18, v2, v8
	v_max_f16_e32 v19, v75, v75
	v_pk_add_f16 v21, v3, v9
	v_min_f16_e32 v19, v19, v18
	v_lshrrev_b32_e32 v20, 16, v75
	v_lshrrev_b32_e32 v18, 16, v18
	v_lshrrev_b32_e32 v22, 16, v21
	v_min3_f16 v18, v20, v18, v22
	v_min3_f16 v18, v19, v21, v18
	v_cvt_f32_f16_e32 v18, v18
	v_max_f32_e32 v17, v17, v17
	s_and_b64 vcc, exec, s[0:1]
	v_min_f32_e32 v17, v17, v18
	v_cvt_f16_f32_e32 v17, v17
	v_lshl_add_u64 v[18:19], v[42:43], 1, v[14:15]
	global_store_short v[18:19], v17, off
	s_cbranch_vccnz .LBB266_132
; %bb.131:
	v_lshl_add_u64 v[12:13], v[44:45], 1, v[12:13]
	global_load_ushort v12, v[12:13], off
	s_waitcnt vmcnt(0)
	v_mul_f16_e32 v12, s24, v12
	v_cvt_f32_f16_e32 v16, v12
.LBB266_132:
	v_pk_add_f16 v8, v32, v8
	v_max_f16_e32 v12, v74, v74
	v_pk_add_f16 v9, v33, v9
	v_min_f16_e32 v12, v12, v8
	v_lshrrev_b32_e32 v13, 16, v74
	v_lshrrev_b32_e32 v8, 16, v8
	;; [unrolled: 1-line block ×3, first 2 shown]
	v_min3_f16 v8, v13, v8, v17
	v_min3_f16 v8, v12, v9, v8
	v_cvt_f32_f16_e32 v8, v8
	v_max_f32_e32 v9, v16, v16
	s_and_b64 vcc, exec, s[0:1]
	v_mov_b32_e32 v13, 0
	v_min_f32_e32 v8, v9, v8
	v_cvt_f16_f32_e32 v12, v8
	v_lshl_add_u64 v[8:9], v[44:45], 1, v[14:15]
	v_mov_b32_e32 v14, 0
	global_store_short v[8:9], v12, off
	v_add_u32_e32 v12, 0x60, v52
	v_mad_i64_i32 v[8:9], s[4:5], v12, s6, 0
	v_lshl_add_u64 v[8:9], v[8:9], 1, s[16:17]
	s_cbranch_vccnz .LBB266_134
; %bb.133:
	v_lshl_add_u64 v[16:17], v[36:37], 1, v[8:9]
	global_load_ushort v13, v[16:17], off
	s_waitcnt vmcnt(0)
	v_mul_f16_e32 v13, s24, v13
	v_cvt_f32_f16_e32 v13, v13
.LBB266_134:
	v_pk_add_f16 v15, v38, v10
	v_max_f16_e32 v16, v73, v73
	v_pk_add_f16 v18, v39, v11
	v_min_f16_e32 v16, v16, v15
	v_lshrrev_b32_e32 v17, 16, v73
	v_lshrrev_b32_e32 v15, 16, v15
	;; [unrolled: 1-line block ×3, first 2 shown]
	v_min3_f16 v15, v17, v15, v19
	v_min3_f16 v15, v16, v18, v15
	v_cvt_f32_f16_e32 v15, v15
	v_mad_i64_i32 v[16:17], s[4:5], v12, s7, 0
	v_max_f32_e32 v12, v13, v13
	v_min_f32_e32 v12, v12, v15
	v_cvt_f16_f32_e32 v15, v12
	v_lshl_add_u64 v[12:13], v[16:17], 1, s[2:3]
	v_lshl_add_u64 v[16:17], v[36:37], 1, v[12:13]
	s_and_b64 vcc, exec, s[0:1]
	global_store_short v[16:17], v15, off
	s_cbranch_vccnz .LBB266_136
; %bb.135:
	v_lshl_add_u64 v[14:15], v[40:41], 1, v[8:9]
	global_load_ushort v14, v[14:15], off
	s_waitcnt vmcnt(0)
	v_mul_f16_e32 v14, s24, v14
	v_cvt_f32_f16_e32 v14, v14
.LBB266_136:
	v_pk_add_f16 v15, v0, v10
	v_max_f16_e32 v16, v72, v72
	v_pk_add_f16 v18, v1, v11
	v_min_f16_e32 v16, v16, v15
	v_lshrrev_b32_e32 v17, 16, v72
	v_lshrrev_b32_e32 v15, 16, v15
	v_lshrrev_b32_e32 v19, 16, v18
	v_min3_f16 v15, v17, v15, v19
	v_min3_f16 v15, v16, v18, v15
	v_cvt_f32_f16_e32 v15, v15
	v_max_f32_e32 v14, v14, v14
	s_and_b64 vcc, exec, s[0:1]
	v_min_f32_e32 v14, v14, v15
	v_cvt_f16_f32_e32 v16, v14
	v_lshl_add_u64 v[14:15], v[40:41], 1, v[12:13]
	global_store_short v[14:15], v16, off
	v_mov_b32_e32 v14, 0
	v_mov_b32_e32 v15, 0
	s_cbranch_vccnz .LBB266_138
; %bb.137:
	v_lshl_add_u64 v[16:17], v[42:43], 1, v[8:9]
	global_load_ushort v15, v[16:17], off
	s_waitcnt vmcnt(0)
	v_mul_f16_e32 v15, s24, v15
	v_cvt_f32_f16_e32 v15, v15
.LBB266_138:
	v_pk_add_f16 v16, v2, v10
	v_max_f16_e32 v17, v71, v71
	v_pk_add_f16 v19, v3, v11
	v_min_f16_e32 v17, v17, v16
	v_lshrrev_b32_e32 v18, 16, v71
	v_lshrrev_b32_e32 v16, 16, v16
	;; [unrolled: 1-line block ×3, first 2 shown]
	v_min3_f16 v16, v18, v16, v20
	v_min3_f16 v16, v17, v19, v16
	v_cvt_f32_f16_e32 v16, v16
	v_max_f32_e32 v15, v15, v15
	s_and_b64 vcc, exec, s[0:1]
	v_min_f32_e32 v15, v15, v16
	v_cvt_f16_f32_e32 v15, v15
	v_lshl_add_u64 v[16:17], v[42:43], 1, v[12:13]
	global_store_short v[16:17], v15, off
	s_cbranch_vccnz .LBB266_140
; %bb.139:
	v_lshl_add_u64 v[8:9], v[44:45], 1, v[8:9]
	global_load_ushort v8, v[8:9], off
	s_waitcnt vmcnt(0)
	v_mul_f16_e32 v8, s24, v8
	v_cvt_f32_f16_e32 v14, v8
.LBB266_140:
	v_pk_add_f16 v8, v32, v10
	v_max_f16_e32 v9, v70, v70
	v_pk_add_f16 v11, v33, v11
	v_min_f16_e32 v9, v9, v8
	v_lshrrev_b32_e32 v10, 16, v70
	v_lshrrev_b32_e32 v8, 16, v8
	v_lshrrev_b32_e32 v15, 16, v11
	v_min3_f16 v8, v10, v8, v15
	v_min3_f16 v8, v9, v11, v8
	v_cvt_f32_f16_e32 v8, v8
	v_max_f32_e32 v9, v14, v14
	s_and_b64 vcc, exec, s[0:1]
	v_mov_b32_e32 v11, 0
	v_min_f32_e32 v8, v9, v8
	v_cvt_f16_f32_e32 v10, v8
	v_lshl_add_u64 v[8:9], v[44:45], 1, v[12:13]
	v_mov_b32_e32 v12, 0
	global_store_short v[8:9], v10, off
	v_add_u32_e32 v10, 0x68, v52
	v_mad_i64_i32 v[8:9], s[4:5], v10, s6, 0
	v_lshl_add_u64 v[8:9], v[8:9], 1, s[16:17]
	s_cbranch_vccnz .LBB266_142
; %bb.141:
	v_lshl_add_u64 v[14:15], v[36:37], 1, v[8:9]
	global_load_ushort v11, v[14:15], off
	s_waitcnt vmcnt(0)
	v_mul_f16_e32 v11, s24, v11
	v_cvt_f32_f16_e32 v11, v11
.LBB266_142:
	v_pk_add_f16 v13, v38, v4
	v_max_f16_e32 v14, v69, v69
	v_pk_add_f16 v16, v39, v5
	v_min_f16_e32 v14, v14, v13
	v_lshrrev_b32_e32 v15, 16, v69
	v_lshrrev_b32_e32 v13, 16, v13
	;; [unrolled: 1-line block ×3, first 2 shown]
	v_min3_f16 v13, v15, v13, v17
	v_min3_f16 v13, v14, v16, v13
	v_cvt_f32_f16_e32 v13, v13
	v_mad_i64_i32 v[14:15], s[4:5], v10, s7, 0
	v_max_f32_e32 v10, v11, v11
	v_min_f32_e32 v10, v10, v13
	v_cvt_f16_f32_e32 v13, v10
	v_lshl_add_u64 v[10:11], v[14:15], 1, s[2:3]
	v_lshl_add_u64 v[14:15], v[36:37], 1, v[10:11]
	s_and_b64 vcc, exec, s[0:1]
	global_store_short v[14:15], v13, off
	s_cbranch_vccnz .LBB266_144
; %bb.143:
	v_lshl_add_u64 v[12:13], v[40:41], 1, v[8:9]
	global_load_ushort v12, v[12:13], off
	s_waitcnt vmcnt(0)
	v_mul_f16_e32 v12, s24, v12
	v_cvt_f32_f16_e32 v12, v12
.LBB266_144:
	v_pk_add_f16 v13, v0, v4
	v_max_f16_e32 v14, v68, v68
	v_pk_add_f16 v16, v1, v5
	v_min_f16_e32 v14, v14, v13
	v_lshrrev_b32_e32 v15, 16, v68
	v_lshrrev_b32_e32 v13, 16, v13
	;; [unrolled: 1-line block ×3, first 2 shown]
	v_min3_f16 v13, v15, v13, v17
	v_min3_f16 v13, v14, v16, v13
	v_cvt_f32_f16_e32 v13, v13
	v_max_f32_e32 v12, v12, v12
	s_and_b64 vcc, exec, s[0:1]
	v_min_f32_e32 v12, v12, v13
	v_cvt_f16_f32_e32 v14, v12
	v_lshl_add_u64 v[12:13], v[40:41], 1, v[10:11]
	global_store_short v[12:13], v14, off
	v_mov_b32_e32 v12, 0
	v_mov_b32_e32 v13, 0
	s_cbranch_vccnz .LBB266_146
; %bb.145:
	v_lshl_add_u64 v[14:15], v[42:43], 1, v[8:9]
	global_load_ushort v13, v[14:15], off
	s_waitcnt vmcnt(0)
	v_mul_f16_e32 v13, s24, v13
	v_cvt_f32_f16_e32 v13, v13
.LBB266_146:
	v_pk_add_f16 v14, v2, v4
	v_max_f16_e32 v15, v67, v67
	v_pk_add_f16 v17, v3, v5
	v_min_f16_e32 v15, v15, v14
	v_lshrrev_b32_e32 v16, 16, v67
	v_lshrrev_b32_e32 v14, 16, v14
	;; [unrolled: 1-line block ×3, first 2 shown]
	v_min3_f16 v14, v16, v14, v18
	v_min3_f16 v14, v15, v17, v14
	v_cvt_f32_f16_e32 v14, v14
	v_max_f32_e32 v13, v13, v13
	s_and_b64 vcc, exec, s[0:1]
	v_min_f32_e32 v13, v13, v14
	v_cvt_f16_f32_e32 v13, v13
	v_lshl_add_u64 v[14:15], v[42:43], 1, v[10:11]
	global_store_short v[14:15], v13, off
	s_cbranch_vccnz .LBB266_148
; %bb.147:
	v_lshl_add_u64 v[8:9], v[44:45], 1, v[8:9]
	global_load_ushort v8, v[8:9], off
	s_waitcnt vmcnt(0)
	v_mul_f16_e32 v8, s24, v8
	v_cvt_f32_f16_e32 v12, v8
.LBB266_148:
	v_pk_add_f16 v4, v32, v4
	v_max_f16_e32 v8, v66, v66
	v_pk_add_f16 v5, v33, v5
	v_min_f16_e32 v8, v8, v4
	v_lshrrev_b32_e32 v9, 16, v66
	v_lshrrev_b32_e32 v4, 16, v4
	;; [unrolled: 1-line block ×3, first 2 shown]
	v_min3_f16 v4, v9, v4, v13
	v_min3_f16 v4, v8, v5, v4
	v_cvt_f32_f16_e32 v4, v4
	v_max_f32_e32 v5, v12, v12
	s_and_b64 vcc, exec, s[0:1]
	v_mov_b32_e32 v9, 0
	v_min_f32_e32 v4, v5, v4
	v_cvt_f16_f32_e32 v8, v4
	v_lshl_add_u64 v[4:5], v[44:45], 1, v[10:11]
	v_mov_b32_e32 v10, 0
	global_store_short v[4:5], v8, off
	v_add_u32_e32 v8, 0x70, v52
	v_mad_i64_i32 v[4:5], s[4:5], v8, s6, 0
	v_lshl_add_u64 v[4:5], v[4:5], 1, s[16:17]
	s_cbranch_vccnz .LBB266_150
; %bb.149:
	v_lshl_add_u64 v[12:13], v[36:37], 1, v[4:5]
	global_load_ushort v9, v[12:13], off
	s_waitcnt vmcnt(0)
	v_mul_f16_e32 v9, s24, v9
	v_cvt_f32_f16_e32 v9, v9
.LBB266_150:
	v_pk_add_f16 v11, v38, v6
	v_max_f16_e32 v12, v65, v65
	v_pk_add_f16 v14, v39, v7
	v_min_f16_e32 v12, v12, v11
	v_lshrrev_b32_e32 v13, 16, v65
	v_lshrrev_b32_e32 v11, 16, v11
	v_lshrrev_b32_e32 v15, 16, v14
	v_min3_f16 v11, v13, v11, v15
	v_min3_f16 v11, v12, v14, v11
	v_cvt_f32_f16_e32 v11, v11
	v_mad_i64_i32 v[12:13], s[4:5], v8, s7, 0
	v_max_f32_e32 v8, v9, v9
	v_min_f32_e32 v8, v8, v11
	v_cvt_f16_f32_e32 v11, v8
	v_lshl_add_u64 v[8:9], v[12:13], 1, s[2:3]
	v_lshl_add_u64 v[12:13], v[36:37], 1, v[8:9]
	s_and_b64 vcc, exec, s[0:1]
	global_store_short v[12:13], v11, off
	s_cbranch_vccnz .LBB266_152
; %bb.151:
	v_lshl_add_u64 v[10:11], v[40:41], 1, v[4:5]
	global_load_ushort v10, v[10:11], off
	s_waitcnt vmcnt(0)
	v_mul_f16_e32 v10, s24, v10
	v_cvt_f32_f16_e32 v10, v10
.LBB266_152:
	v_pk_add_f16 v11, v0, v6
	v_max_f16_e32 v12, v64, v64
	v_pk_add_f16 v14, v1, v7
	v_min_f16_e32 v12, v12, v11
	v_lshrrev_b32_e32 v13, 16, v64
	v_lshrrev_b32_e32 v11, 16, v11
	;; [unrolled: 1-line block ×3, first 2 shown]
	v_min3_f16 v11, v13, v11, v15
	v_min3_f16 v11, v12, v14, v11
	v_cvt_f32_f16_e32 v11, v11
	v_max_f32_e32 v10, v10, v10
	s_and_b64 vcc, exec, s[0:1]
	v_min_f32_e32 v10, v10, v11
	v_cvt_f16_f32_e32 v12, v10
	v_lshl_add_u64 v[10:11], v[40:41], 1, v[8:9]
	global_store_short v[10:11], v12, off
	v_mov_b32_e32 v10, 0
	v_mov_b32_e32 v11, 0
	s_cbranch_vccnz .LBB266_154
; %bb.153:
	v_lshl_add_u64 v[12:13], v[42:43], 1, v[4:5]
	global_load_ushort v11, v[12:13], off
	s_waitcnt vmcnt(0)
	v_mul_f16_e32 v11, s24, v11
	v_cvt_f32_f16_e32 v11, v11
.LBB266_154:
	v_pk_add_f16 v12, v2, v6
	v_max_f16_e32 v13, v63, v63
	v_pk_add_f16 v15, v3, v7
	v_min_f16_e32 v13, v13, v12
	v_lshrrev_b32_e32 v14, 16, v63
	v_lshrrev_b32_e32 v12, 16, v12
	;; [unrolled: 1-line block ×3, first 2 shown]
	v_min3_f16 v12, v14, v12, v16
	v_min3_f16 v12, v13, v15, v12
	v_cvt_f32_f16_e32 v12, v12
	v_max_f32_e32 v11, v11, v11
	s_and_b64 vcc, exec, s[0:1]
	v_min_f32_e32 v11, v11, v12
	v_cvt_f16_f32_e32 v11, v11
	v_lshl_add_u64 v[12:13], v[42:43], 1, v[8:9]
	global_store_short v[12:13], v11, off
	s_cbranch_vccnz .LBB266_156
; %bb.155:
	v_lshl_add_u64 v[4:5], v[44:45], 1, v[4:5]
	global_load_ushort v4, v[4:5], off
	s_waitcnt vmcnt(0)
	v_mul_f16_e32 v4, s24, v4
	v_cvt_f32_f16_e32 v10, v4
.LBB266_156:
	v_pk_add_f16 v4, v32, v6
	v_max_f16_e32 v5, v61, v61
	v_pk_add_f16 v7, v33, v7
	v_min_f16_e32 v5, v5, v4
	v_lshrrev_b32_e32 v6, 16, v61
	v_lshrrev_b32_e32 v4, 16, v4
	;; [unrolled: 1-line block ×3, first 2 shown]
	v_min3_f16 v4, v6, v4, v11
	v_min3_f16 v4, v5, v7, v4
	v_cvt_f32_f16_e32 v4, v4
	v_max_f32_e32 v5, v10, v10
	s_and_b64 vcc, exec, s[0:1]
	v_mov_b32_e32 v7, 0
	v_min_f32_e32 v4, v5, v4
	v_cvt_f16_f32_e32 v6, v4
	v_lshl_add_u64 v[4:5], v[44:45], 1, v[8:9]
	v_mov_b32_e32 v8, 0
	global_store_short v[4:5], v6, off
	v_add_u32_e32 v6, 0x78, v52
	v_mad_i64_i32 v[4:5], s[4:5], v6, s6, 0
	v_lshl_add_u64 v[4:5], v[4:5], 1, s[16:17]
	s_cbranch_vccnz .LBB266_158
; %bb.157:
	v_lshl_add_u64 v[10:11], v[36:37], 1, v[4:5]
	global_load_ushort v7, v[10:11], off
	s_waitcnt vmcnt(0)
	v_mul_f16_e32 v7, s24, v7
	v_cvt_f32_f16_e32 v7, v7
.LBB266_158:
	v_pk_add_f16 v9, v38, v34
	v_max_f16_e32 v10, v60, v60
	v_pk_add_f16 v12, v39, v35
	v_min_f16_e32 v10, v10, v9
	v_lshrrev_b32_e32 v11, 16, v60
	v_lshrrev_b32_e32 v9, 16, v9
	;; [unrolled: 1-line block ×3, first 2 shown]
	v_min3_f16 v9, v11, v9, v13
	v_min3_f16 v9, v10, v12, v9
	v_cvt_f32_f16_e32 v9, v9
	v_mad_i64_i32 v[10:11], s[4:5], v6, s7, 0
	v_max_f32_e32 v6, v7, v7
	v_min_f32_e32 v6, v6, v9
	v_cvt_f16_f32_e32 v9, v6
	v_lshl_add_u64 v[6:7], v[10:11], 1, s[2:3]
	v_lshl_add_u64 v[10:11], v[36:37], 1, v[6:7]
	s_and_b64 vcc, exec, s[0:1]
	global_store_short v[10:11], v9, off
	s_cbranch_vccnz .LBB266_160
; %bb.159:
	v_lshl_add_u64 v[8:9], v[40:41], 1, v[4:5]
	global_load_ushort v8, v[8:9], off
	s_waitcnt vmcnt(0)
	v_mul_f16_e32 v8, s24, v8
	v_cvt_f32_f16_e32 v8, v8
.LBB266_160:
	v_pk_add_f16 v0, v0, v34
	v_max_f16_e32 v9, v58, v58
	v_pk_add_f16 v1, v1, v35
	v_min_f16_e32 v9, v9, v0
	v_lshrrev_b32_e32 v10, 16, v58
	v_lshrrev_b32_e32 v0, 16, v0
	;; [unrolled: 1-line block ×3, first 2 shown]
	v_min3_f16 v0, v10, v0, v11
	v_min3_f16 v0, v9, v1, v0
	v_cvt_f32_f16_e32 v0, v0
	v_max_f32_e32 v8, v8, v8
	v_pk_add_f16 v1, v2, v34
	v_max_f16_e32 v2, v59, v59
	v_min_f32_e32 v0, v8, v0
	v_cvt_f16_f32_e32 v8, v0
	v_pk_add_f16 v3, v3, v35
	v_min_f16_e32 v2, v2, v1
	v_lshrrev_b32_e32 v9, 16, v59
	v_lshrrev_b32_e32 v1, 16, v1
	v_lshrrev_b32_e32 v0, 16, v3
	v_min3_f16 v9, v9, v1, v0
	v_lshl_add_u64 v[0:1], v[40:41], 1, v[6:7]
	global_store_short v[0:1], v8, off
	v_min3_f16 v0, v2, v3, v9
	s_mov_b64 s[0:1], -1
	s_mov_b64 vcc, s[8:9]
	s_cbranch_vccz .LBB266_162
; %bb.161:
	v_cvt_f32_f16_e32 v1, v0
	v_lshl_add_u64 v[2:3], v[42:43], 1, v[6:7]
	s_mov_b64 s[0:1], 0
	v_min_f32_e32 v1, 0, v1
	v_cvt_f16_f32_e32 v1, v1
	global_store_short v[2:3], v1, off
.LBB266_162:
	s_andn2_b64 vcc, exec, s[0:1]
	v_mov_b32_e32 v1, 0
	s_cbranch_vccnz .LBB266_164
; %bb.163:
	v_lshlrev_b64 v[2:3], 1, v[42:43]
	v_lshl_add_u64 v[8:9], v[4:5], 0, v[2:3]
	global_load_ushort v8, v[8:9], off
	v_max_f16_e32 v9, v0, v0
	v_lshl_add_u64 v[0:1], v[6:7], 0, v[2:3]
	s_waitcnt vmcnt(0)
	v_mul_f16_e32 v2, s24, v8
	v_min_f16_e32 v2, v2, v9
	global_store_short v[0:1], v2, off
	v_lshl_add_u64 v[0:1], v[44:45], 1, v[4:5]
	global_load_ushort v0, v[0:1], off
	s_waitcnt vmcnt(0)
	v_mul_f16_e32 v0, s24, v0
	v_cvt_f32_f16_e32 v1, v0
.LBB266_164:
	v_pk_add_f16 v0, v32, v34
	v_max_f16_e32 v2, v62, v62
	v_pk_add_f16 v3, v33, v35
	v_min_f16_e32 v2, v2, v0
	v_lshrrev_b32_e32 v4, 16, v62
	v_lshrrev_b32_e32 v0, 16, v0
	;; [unrolled: 1-line block ×3, first 2 shown]
	v_min3_f16 v0, v4, v0, v5
	v_min3_f16 v0, v2, v3, v0
	v_cvt_f32_f16_e32 v0, v0
	v_max_f32_e32 v1, v1, v1
	v_min_f32_e32 v0, v1, v0
	v_cvt_f16_f32_e32 v2, v0
	v_lshl_add_u64 v[0:1], v[44:45], 1, v[6:7]
	global_store_short v[0:1], v2, off
	s_endpgm
.LBB266_165:
	s_mov_b64 s[20:21], 0
	s_andn2_b64 vcc, exec, s[6:7]
	s_mov_b64 s[6:7], -1
	s_cbranch_vccz .LBB266_2
	s_branch .LBB266_3
	.section	.rodata,"a",@progbits
	.p2align	6, 0x0
	.amdhsa_kernel _ZN12_GLOBAL__N_120geam_min_plus_kernelIDF16_Dv2_DF16_S1_Li32ELi8ELi128ELi128ELi4ELi4ELi64ELi4ELi64ELc84ELc78ELb0ELb0ELb1EDF16_KDF16_DF16_EEviiiT16_PT17_ilS5_ilS3_S5_ilPT18_ili26rocblas_geam_ex_operation_
		.amdhsa_group_segment_fixed_size 4096
		.amdhsa_private_segment_fixed_size 0
		.amdhsa_kernarg_size 128
		.amdhsa_user_sgpr_count 2
		.amdhsa_user_sgpr_dispatch_ptr 0
		.amdhsa_user_sgpr_queue_ptr 0
		.amdhsa_user_sgpr_kernarg_segment_ptr 1
		.amdhsa_user_sgpr_dispatch_id 0
		.amdhsa_user_sgpr_kernarg_preload_length 0
		.amdhsa_user_sgpr_kernarg_preload_offset 0
		.amdhsa_user_sgpr_private_segment_size 0
		.amdhsa_uses_dynamic_stack 0
		.amdhsa_enable_private_segment 0
		.amdhsa_system_sgpr_workgroup_id_x 1
		.amdhsa_system_sgpr_workgroup_id_y 0
		.amdhsa_system_sgpr_workgroup_id_z 1
		.amdhsa_system_sgpr_workgroup_info 0
		.amdhsa_system_vgpr_workitem_id 1
		.amdhsa_next_free_vgpr 171
		.amdhsa_next_free_sgpr 29
		.amdhsa_accum_offset 172
		.amdhsa_reserve_vcc 1
		.amdhsa_float_round_mode_32 0
		.amdhsa_float_round_mode_16_64 0
		.amdhsa_float_denorm_mode_32 3
		.amdhsa_float_denorm_mode_16_64 3
		.amdhsa_dx10_clamp 1
		.amdhsa_ieee_mode 1
		.amdhsa_fp16_overflow 0
		.amdhsa_tg_split 0
		.amdhsa_exception_fp_ieee_invalid_op 0
		.amdhsa_exception_fp_denorm_src 0
		.amdhsa_exception_fp_ieee_div_zero 0
		.amdhsa_exception_fp_ieee_overflow 0
		.amdhsa_exception_fp_ieee_underflow 0
		.amdhsa_exception_fp_ieee_inexact 0
		.amdhsa_exception_int_div_zero 0
	.end_amdhsa_kernel
	.section	.text._ZN12_GLOBAL__N_120geam_min_plus_kernelIDF16_Dv2_DF16_S1_Li32ELi8ELi128ELi128ELi4ELi4ELi64ELi4ELi64ELc84ELc78ELb0ELb0ELb1EDF16_KDF16_DF16_EEviiiT16_PT17_ilS5_ilS3_S5_ilPT18_ili26rocblas_geam_ex_operation_,"axG",@progbits,_ZN12_GLOBAL__N_120geam_min_plus_kernelIDF16_Dv2_DF16_S1_Li32ELi8ELi128ELi128ELi4ELi4ELi64ELi4ELi64ELc84ELc78ELb0ELb0ELb1EDF16_KDF16_DF16_EEviiiT16_PT17_ilS5_ilS3_S5_ilPT18_ili26rocblas_geam_ex_operation_,comdat
.Lfunc_end266:
	.size	_ZN12_GLOBAL__N_120geam_min_plus_kernelIDF16_Dv2_DF16_S1_Li32ELi8ELi128ELi128ELi4ELi4ELi64ELi4ELi64ELc84ELc78ELb0ELb0ELb1EDF16_KDF16_DF16_EEviiiT16_PT17_ilS5_ilS3_S5_ilPT18_ili26rocblas_geam_ex_operation_, .Lfunc_end266-_ZN12_GLOBAL__N_120geam_min_plus_kernelIDF16_Dv2_DF16_S1_Li32ELi8ELi128ELi128ELi4ELi4ELi64ELi4ELi64ELc84ELc78ELb0ELb0ELb1EDF16_KDF16_DF16_EEviiiT16_PT17_ilS5_ilS3_S5_ilPT18_ili26rocblas_geam_ex_operation_
                                        ; -- End function
	.set _ZN12_GLOBAL__N_120geam_min_plus_kernelIDF16_Dv2_DF16_S1_Li32ELi8ELi128ELi128ELi4ELi4ELi64ELi4ELi64ELc84ELc78ELb0ELb0ELb1EDF16_KDF16_DF16_EEviiiT16_PT17_ilS5_ilS3_S5_ilPT18_ili26rocblas_geam_ex_operation_.num_vgpr, 171
	.set _ZN12_GLOBAL__N_120geam_min_plus_kernelIDF16_Dv2_DF16_S1_Li32ELi8ELi128ELi128ELi4ELi4ELi64ELi4ELi64ELc84ELc78ELb0ELb0ELb1EDF16_KDF16_DF16_EEviiiT16_PT17_ilS5_ilS3_S5_ilPT18_ili26rocblas_geam_ex_operation_.num_agpr, 0
	.set _ZN12_GLOBAL__N_120geam_min_plus_kernelIDF16_Dv2_DF16_S1_Li32ELi8ELi128ELi128ELi4ELi4ELi64ELi4ELi64ELc84ELc78ELb0ELb0ELb1EDF16_KDF16_DF16_EEviiiT16_PT17_ilS5_ilS3_S5_ilPT18_ili26rocblas_geam_ex_operation_.numbered_sgpr, 29
	.set _ZN12_GLOBAL__N_120geam_min_plus_kernelIDF16_Dv2_DF16_S1_Li32ELi8ELi128ELi128ELi4ELi4ELi64ELi4ELi64ELc84ELc78ELb0ELb0ELb1EDF16_KDF16_DF16_EEviiiT16_PT17_ilS5_ilS3_S5_ilPT18_ili26rocblas_geam_ex_operation_.num_named_barrier, 0
	.set _ZN12_GLOBAL__N_120geam_min_plus_kernelIDF16_Dv2_DF16_S1_Li32ELi8ELi128ELi128ELi4ELi4ELi64ELi4ELi64ELc84ELc78ELb0ELb0ELb1EDF16_KDF16_DF16_EEviiiT16_PT17_ilS5_ilS3_S5_ilPT18_ili26rocblas_geam_ex_operation_.private_seg_size, 0
	.set _ZN12_GLOBAL__N_120geam_min_plus_kernelIDF16_Dv2_DF16_S1_Li32ELi8ELi128ELi128ELi4ELi4ELi64ELi4ELi64ELc84ELc78ELb0ELb0ELb1EDF16_KDF16_DF16_EEviiiT16_PT17_ilS5_ilS3_S5_ilPT18_ili26rocblas_geam_ex_operation_.uses_vcc, 1
	.set _ZN12_GLOBAL__N_120geam_min_plus_kernelIDF16_Dv2_DF16_S1_Li32ELi8ELi128ELi128ELi4ELi4ELi64ELi4ELi64ELc84ELc78ELb0ELb0ELb1EDF16_KDF16_DF16_EEviiiT16_PT17_ilS5_ilS3_S5_ilPT18_ili26rocblas_geam_ex_operation_.uses_flat_scratch, 0
	.set _ZN12_GLOBAL__N_120geam_min_plus_kernelIDF16_Dv2_DF16_S1_Li32ELi8ELi128ELi128ELi4ELi4ELi64ELi4ELi64ELc84ELc78ELb0ELb0ELb1EDF16_KDF16_DF16_EEviiiT16_PT17_ilS5_ilS3_S5_ilPT18_ili26rocblas_geam_ex_operation_.has_dyn_sized_stack, 0
	.set _ZN12_GLOBAL__N_120geam_min_plus_kernelIDF16_Dv2_DF16_S1_Li32ELi8ELi128ELi128ELi4ELi4ELi64ELi4ELi64ELc84ELc78ELb0ELb0ELb1EDF16_KDF16_DF16_EEviiiT16_PT17_ilS5_ilS3_S5_ilPT18_ili26rocblas_geam_ex_operation_.has_recursion, 0
	.set _ZN12_GLOBAL__N_120geam_min_plus_kernelIDF16_Dv2_DF16_S1_Li32ELi8ELi128ELi128ELi4ELi4ELi64ELi4ELi64ELc84ELc78ELb0ELb0ELb1EDF16_KDF16_DF16_EEviiiT16_PT17_ilS5_ilS3_S5_ilPT18_ili26rocblas_geam_ex_operation_.has_indirect_call, 0
	.section	.AMDGPU.csdata,"",@progbits
; Kernel info:
; codeLenInByte = 18436
; TotalNumSgprs: 35
; NumVgprs: 171
; NumAgprs: 0
; TotalNumVgprs: 171
; ScratchSize: 0
; MemoryBound: 0
; FloatMode: 240
; IeeeMode: 1
; LDSByteSize: 4096 bytes/workgroup (compile time only)
; SGPRBlocks: 4
; VGPRBlocks: 21
; NumSGPRsForWavesPerEU: 35
; NumVGPRsForWavesPerEU: 171
; AccumOffset: 172
; Occupancy: 2
; WaveLimiterHint : 0
; COMPUTE_PGM_RSRC2:SCRATCH_EN: 0
; COMPUTE_PGM_RSRC2:USER_SGPR: 2
; COMPUTE_PGM_RSRC2:TRAP_HANDLER: 0
; COMPUTE_PGM_RSRC2:TGID_X_EN: 1
; COMPUTE_PGM_RSRC2:TGID_Y_EN: 0
; COMPUTE_PGM_RSRC2:TGID_Z_EN: 1
; COMPUTE_PGM_RSRC2:TIDIG_COMP_CNT: 1
; COMPUTE_PGM_RSRC3_GFX90A:ACCUM_OFFSET: 42
; COMPUTE_PGM_RSRC3_GFX90A:TG_SPLIT: 0
	.section	.text._ZN12_GLOBAL__N_120geam_min_plus_kernelIDF16_Dv2_DF16_S1_Li32ELi8ELi128ELi128ELi4ELi4ELi64ELi4ELi64ELc84ELc78ELb0ELb1ELb1EPKDF16_S2_DF16_EEviiiT16_PT17_ilS6_ilS4_S6_ilPT18_ili26rocblas_geam_ex_operation_,"axG",@progbits,_ZN12_GLOBAL__N_120geam_min_plus_kernelIDF16_Dv2_DF16_S1_Li32ELi8ELi128ELi128ELi4ELi4ELi64ELi4ELi64ELc84ELc78ELb0ELb1ELb1EPKDF16_S2_DF16_EEviiiT16_PT17_ilS6_ilS4_S6_ilPT18_ili26rocblas_geam_ex_operation_,comdat
	.globl	_ZN12_GLOBAL__N_120geam_min_plus_kernelIDF16_Dv2_DF16_S1_Li32ELi8ELi128ELi128ELi4ELi4ELi64ELi4ELi64ELc84ELc78ELb0ELb1ELb1EPKDF16_S2_DF16_EEviiiT16_PT17_ilS6_ilS4_S6_ilPT18_ili26rocblas_geam_ex_operation_ ; -- Begin function _ZN12_GLOBAL__N_120geam_min_plus_kernelIDF16_Dv2_DF16_S1_Li32ELi8ELi128ELi128ELi4ELi4ELi64ELi4ELi64ELc84ELc78ELb0ELb1ELb1EPKDF16_S2_DF16_EEviiiT16_PT17_ilS6_ilS4_S6_ilPT18_ili26rocblas_geam_ex_operation_
	.p2align	8
	.type	_ZN12_GLOBAL__N_120geam_min_plus_kernelIDF16_Dv2_DF16_S1_Li32ELi8ELi128ELi128ELi4ELi4ELi64ELi4ELi64ELc84ELc78ELb0ELb1ELb1EPKDF16_S2_DF16_EEviiiT16_PT17_ilS6_ilS4_S6_ilPT18_ili26rocblas_geam_ex_operation_,@function
_ZN12_GLOBAL__N_120geam_min_plus_kernelIDF16_Dv2_DF16_S1_Li32ELi8ELi128ELi128ELi4ELi4ELi64ELi4ELi64ELc84ELc78ELb0ELb1ELb1EPKDF16_S2_DF16_EEviiiT16_PT17_ilS6_ilS4_S6_ilPT18_ili26rocblas_geam_ex_operation_: ; @_ZN12_GLOBAL__N_120geam_min_plus_kernelIDF16_Dv2_DF16_S1_Li32ELi8ELi128ELi128ELi4ELi4ELi64ELi4ELi64ELc84ELc78ELb0ELb1ELb1EPKDF16_S2_DF16_EEviiiT16_PT17_ilS6_ilS4_S6_ilPT18_ili26rocblas_geam_ex_operation_
; %bb.0:
	s_load_dwordx4 s[4:7], s[0:1], 0x10
	s_load_dwordx4 s[8:11], s[0:1], 0x28
	;; [unrolled: 1-line block ×3, first 2 shown]
	s_mov_b32 s24, s3
	s_mov_b32 s25, 0
	s_lshl_b64 s[18:19], s[24:25], 1
	s_waitcnt lgkmcnt(0)
	s_add_u32 s4, s4, s18
	s_addc_u32 s5, s5, s19
	v_mov_b32_e32 v1, 0
	global_load_ushort v100, v1, s[4:5]
	s_add_u32 s4, s14, s18
	s_addc_u32 s5, s15, s19
	global_load_ushort v52, v1, s[4:5]
	s_load_dwordx2 s[16:17], s[0:1], 0x50
	s_mov_b64 s[26:27], 0
	s_mov_b64 s[28:29], 0
	s_waitcnt vmcnt(1)
	v_cmp_eq_f16_e32 vcc, 0, v100
	v_cmp_neq_f16_e64 s[4:5], 0, v100
	s_cbranch_vccnz .LBB267_2
; %bb.1:
	s_mul_i32 s3, s9, s24
	s_mul_hi_u32 s9, s8, s24
	s_add_i32 s9, s9, s3
	s_mul_i32 s8, s8, s24
	s_lshl_b64 s[8:9], s[8:9], 1
	s_add_u32 s28, s6, s8
	s_addc_u32 s29, s7, s9
.LBB267_2:
	s_andn2_b64 vcc, exec, s[4:5]
	s_cbranch_vccnz .LBB267_4
; %bb.3:
	s_mul_i32 s3, s13, s24
	s_mul_hi_u32 s4, s12, s24
	s_add_i32 s5, s4, s3
	s_mul_i32 s4, s12, s24
	s_lshl_b64 s[4:5], s[4:5], 1
	s_add_u32 s26, s10, s4
	s_addc_u32 s27, s11, s5
.LBB267_4:
	s_load_dwordx4 s[20:23], s[0:1], 0x60
	s_waitcnt vmcnt(0)
	v_cmp_eq_f16_e32 vcc, 0, v52
	v_cmp_neq_f16_e64 s[4:5], 0, v52
	s_cbranch_vccnz .LBB267_6
; %bb.5:
	s_waitcnt lgkmcnt(0)
	s_mul_i32 s3, s21, s24
	s_mul_hi_u32 s6, s20, s24
	s_add_i32 s7, s6, s3
	s_mul_i32 s6, s20, s24
	s_lshl_b64 s[6:7], s[6:7], 1
	s_add_u32 s20, s16, s6
	s_addc_u32 s21, s17, s7
	s_branch .LBB267_7
.LBB267_6:
	s_waitcnt lgkmcnt(0)
	s_mov_b64 s[20:21], 0
.LBB267_7:
	s_load_dwordx4 s[16:19], s[0:1], 0x0
	s_load_dword s33, s[0:1], 0x20
	v_and_b32_e32 v85, 0x3ff, v0
	v_bfe_u32 v96, v0, 10, 10
	v_and_b32_e32 v104, 3, v0
	s_waitcnt lgkmcnt(0)
	s_add_i32 s3, s16, -1
	s_ashr_i32 s6, s3, 31
	s_lshr_b32 s6, s6, 25
	s_add_i32 s3, s3, s6
	s_ashr_i32 s3, s3, 7
	s_add_i32 s6, s3, 1
	v_cvt_f32_u32_e32 v1, s6
	s_not_b32 s3, s3
	v_lshl_add_u32 v0, v96, 5, v85
	v_lshrrev_b32_e32 v4, 2, v0
	v_rcp_iflag_f32_e32 v1, v1
	v_cmp_le_i32_e64 s[12:13], s18, v104
	v_cmp_eq_f16_e32 vcc, 0, v100
	v_mov_b32_e32 v6, 0x7c00
	v_mul_f32_e32 v1, 0x4f7ffffe, v1
	v_cvt_u32_f32_e32 v1, v1
	s_nop 0
	v_readfirstlane_b32 s7, v1
	s_mul_i32 s3, s3, s7
	s_mul_hi_u32 s3, s7, s3
	s_add_i32 s7, s7, s3
	s_mul_hi_u32 s3, s2, s7
	s_mul_i32 s7, s3, s6
	s_sub_i32 s7, s2, s7
	s_add_i32 s8, s3, 1
	s_sub_i32 s9, s7, s6
	s_cmp_ge_u32 s7, s6
	s_cselect_b32 s3, s8, s3
	s_cselect_b32 s7, s9, s7
	s_add_i32 s8, s3, 1
	s_cmp_ge_u32 s7, s6
	s_cselect_b32 s10, s8, s3
	s_mul_i32 s3, s10, s6
	s_sub_i32 s2, s2, s3
	s_lshl_b32 s25, s2, 7
	s_add_i32 s19, s18, -1
	v_add_u32_e32 v28, s25, v4
	v_min_i32_e32 v0, s19, v104
	v_cmp_le_i32_e64 s[2:3], s16, v28
	v_ashrrev_i32_e32 v1, 31, v0
	s_or_b64 s[6:7], s[12:13], s[2:3]
	v_lshl_add_u64 v[2:3], v[0:1], 1, s[28:29]
	v_cndmask_b32_e64 v5, 0, v6, s[6:7]
	s_nor_b64 s[8:9], vcc, s[6:7]
	s_and_saveexec_b64 s[6:7], s[8:9]
	s_cbranch_execz .LBB267_9
; %bb.8:
	v_mad_i64_i32 v[8:9], s[8:9], v28, s33, 0
	v_lshl_add_u64 v[8:9], v[8:9], 1, v[2:3]
	global_load_ushort v5, v[8:9], off
	s_waitcnt vmcnt(0)
	v_mul_f16_e32 v5, v100, v5
.LBB267_9:
	s_or_b64 exec, exec, s[6:7]
	v_add_u32_e32 v29, 64, v28
	v_cmp_le_i32_e64 s[6:7], s16, v29
	s_or_b64 s[8:9], s[12:13], s[6:7]
	v_cndmask_b32_e64 v6, 0, v6, s[8:9]
	s_nor_b64 s[14:15], vcc, s[8:9]
	s_and_saveexec_b64 s[8:9], s[14:15]
	s_cbranch_execz .LBB267_11
; %bb.10:
	v_mad_i64_i32 v[6:7], s[14:15], v29, s33, 0
	v_lshl_add_u64 v[2:3], v[6:7], 1, v[2:3]
	global_load_ushort v2, v[2:3], off
	s_waitcnt vmcnt(0)
	v_mul_f16_e32 v6, v100, v2
.LBB267_11:
	s_or_b64 exec, exec, s[8:9]
	s_load_dword s34, s[0:1], 0x38
	s_lshl_b32 s30, s10, 7
	v_add_u32_e32 v30, s30, v4
	v_cmp_le_i32_e64 s[8:9], s17, v30
	v_mov_b32_e32 v2, 0x7c00
	s_or_b64 s[10:11], s[12:13], s[8:9]
	v_lshl_add_u64 v[0:1], v[0:1], 1, s[26:27]
	v_cndmask_b32_e64 v7, 0, v2, s[10:11]
	s_nor_b64 s[14:15], vcc, s[10:11]
	s_and_saveexec_b64 s[10:11], s[14:15]
	s_cbranch_execz .LBB267_13
; %bb.12:
	s_waitcnt lgkmcnt(0)
	v_mad_i64_i32 v[8:9], s[14:15], v30, s34, 0
	v_lshl_add_u64 v[8:9], v[8:9], 1, v[0:1]
	global_load_ushort v3, v[8:9], off
	s_waitcnt vmcnt(0)
	v_mul_f16_e32 v7, v100, v3
.LBB267_13:
	s_or_b64 exec, exec, s[10:11]
	v_add_u32_e32 v31, 64, v30
	v_cmp_le_i32_e64 s[10:11], s17, v31
	s_or_b64 s[12:13], s[12:13], s[10:11]
	v_cndmask_b32_e64 v8, 0, v2, s[12:13]
	s_nor_b64 s[14:15], vcc, s[12:13]
	s_and_saveexec_b64 s[12:13], s[14:15]
	s_cbranch_execz .LBB267_15
; %bb.14:
	s_waitcnt lgkmcnt(0)
	v_mad_i64_i32 v[2:3], s[14:15], v31, s34, 0
	v_lshl_add_u64 v[0:1], v[2:3], 1, v[0:1]
	global_load_ushort v0, v[0:1], off
	s_waitcnt vmcnt(0)
	v_mul_f16_e32 v8, v100, v0
.LBB267_15:
	s_or_b64 exec, exec, s[12:13]
	v_or_b32_e32 v0, 4, v104
	v_cmp_le_i32_e64 s[12:13], s18, v0
	v_min_i32_e32 v0, s19, v0
	v_ashrrev_i32_e32 v1, 31, v0
	v_mov_b32_e32 v9, 0x7c00
	s_or_b64 s[14:15], s[12:13], s[2:3]
	v_lshl_add_u64 v[2:3], v[0:1], 1, s[28:29]
	v_cndmask_b32_e64 v32, 0, v9, s[14:15]
	s_nor_b64 s[36:37], vcc, s[14:15]
	s_and_saveexec_b64 s[14:15], s[36:37]
	s_cbranch_execz .LBB267_17
; %bb.16:
	v_mad_i64_i32 v[10:11], s[36:37], v28, s33, 0
	v_lshl_add_u64 v[10:11], v[10:11], 1, v[2:3]
	global_load_ushort v10, v[10:11], off
	s_waitcnt vmcnt(0)
	v_mul_f16_e32 v32, v100, v10
.LBB267_17:
	s_or_b64 exec, exec, s[14:15]
	s_or_b64 s[14:15], s[12:13], s[6:7]
	v_cndmask_b32_e64 v33, 0, v9, s[14:15]
	s_nor_b64 s[36:37], vcc, s[14:15]
	s_and_saveexec_b64 s[14:15], s[36:37]
	s_cbranch_execz .LBB267_19
; %bb.18:
	v_mad_i64_i32 v[10:11], s[36:37], v29, s33, 0
	v_lshl_add_u64 v[2:3], v[10:11], 1, v[2:3]
	global_load_ushort v2, v[2:3], off
	s_waitcnt vmcnt(0)
	v_mul_f16_e32 v33, v100, v2
.LBB267_19:
	s_or_b64 exec, exec, s[14:15]
	v_mov_b32_e32 v2, 0x7c00
	s_or_b64 s[14:15], s[12:13], s[8:9]
	v_lshl_add_u64 v[0:1], v[0:1], 1, s[26:27]
	v_cndmask_b32_e64 v34, 0, v2, s[14:15]
	s_nor_b64 s[36:37], vcc, s[14:15]
	s_and_saveexec_b64 s[14:15], s[36:37]
	s_cbranch_execz .LBB267_21
; %bb.20:
	s_waitcnt lgkmcnt(0)
	v_mad_i64_i32 v[10:11], s[36:37], v30, s34, 0
	v_lshl_add_u64 v[10:11], v[10:11], 1, v[0:1]
	global_load_ushort v3, v[10:11], off
	s_waitcnt vmcnt(0)
	v_mul_f16_e32 v34, v100, v3
.LBB267_21:
	s_or_b64 exec, exec, s[14:15]
	s_or_b64 s[12:13], s[12:13], s[10:11]
	v_cndmask_b32_e64 v35, 0, v2, s[12:13]
	s_nor_b64 s[36:37], vcc, s[12:13]
	s_movk_i32 s14, 0x7c00
	s_and_saveexec_b64 s[12:13], s[36:37]
	s_cbranch_execz .LBB267_23
; %bb.22:
	s_waitcnt lgkmcnt(0)
	v_mad_i64_i32 v[2:3], s[36:37], v31, s34, 0
	v_lshl_add_u64 v[0:1], v[2:3], 1, v[0:1]
	global_load_ushort v0, v[0:1], off
	s_waitcnt vmcnt(0)
	v_mul_f16_e32 v35, v100, v0
.LBB267_23:
	s_or_b64 exec, exec, s[12:13]
	v_lshlrev_b32_e32 v0, 3, v4
	v_lshlrev_b32_e32 v106, 3, v96
	v_lshl_or_b32 v114, v104, 1, v0
	v_lshlrev_b32_e32 v107, 3, v85
	v_add_u32_e32 v115, 0x800, v106
	ds_write_b16 v114, v5
	ds_write_b16 v114, v6 offset:512
	ds_write_b16 v114, v7 offset:2048
	;; [unrolled: 1-line block ×3, first 2 shown]
	s_waitcnt lgkmcnt(0)
	s_barrier
	ds_read2_b64 v[4:7], v107 offset1:32
	ds_read2_b64 v[0:3], v107 offset0:64 offset1:96
	ds_read2_b64 v[36:39], v115 offset1:8
	ds_read2_b64 v[40:43], v115 offset0:16 offset1:24
	ds_read2_b64 v[44:47], v115 offset0:32 offset1:40
	;; [unrolled: 1-line block ×7, first 2 shown]
	s_cmp_lt_i32 s18, 9
	ds_write_b16 v114, v32 offset:1024
	ds_write_b16 v114, v33 offset:1536
	;; [unrolled: 1-line block ×4, first 2 shown]
	s_waitcnt lgkmcnt(11)
	v_pk_add_f16 v48, v4, v36
	v_pk_add_f16 v49, v6, v36
	v_pk_add_f16 v50, v0, v36
	v_pk_add_f16 v36, v2, v36
	v_pk_add_f16 v51, v4, v38
	v_pk_add_f16 v53, v6, v38
	v_pk_add_f16 v54, v0, v38
	v_pk_add_f16 v38, v2, v38
	s_waitcnt lgkmcnt(10)
	v_pk_add_f16 v55, v4, v40
	v_pk_add_f16 v56, v6, v40
	v_pk_add_f16 v57, v0, v40
	v_pk_add_f16 v40, v2, v40
	v_pk_add_f16 v58, v4, v42
	v_pk_add_f16 v59, v6, v42
	v_pk_add_f16 v60, v0, v42
	v_pk_add_f16 v42, v2, v42
	;; [unrolled: 9-line block ×8, first 2 shown]
	v_pk_add_f16 v2, v5, v37
	v_pk_min_f16 v10, v48, s14 op_sel_hi:[1,0]
	v_pk_min_f16 v8, v8, s14 op_sel_hi:[1,0]
	v_pk_min_f16 v124, v10, v2
	v_pk_add_f16 v2, v7, v37
	v_pk_min_f16 v10, v49, s14 op_sel_hi:[1,0]
	v_pk_min_f16 v4, v4, s14 op_sel_hi:[1,0]
	v_pk_min_f16 v123, v10, v2
	;; [unrolled: 4-line block ×3, first 2 shown]
	v_pk_add_f16 v2, v3, v37
	v_pk_min_f16 v10, v36, s14 op_sel_hi:[1,0]
	s_waitcnt lgkmcnt(0)
	v_pk_min_f16 v121, v10, v2
	v_pk_add_f16 v2, v5, v39
	v_pk_min_f16 v10, v51, s14 op_sel_hi:[1,0]
	s_barrier
	v_pk_min_f16 v120, v10, v2
	v_pk_add_f16 v2, v7, v39
	v_pk_min_f16 v10, v53, s14 op_sel_hi:[1,0]
	s_nop 0
	v_pk_min_f16 v119, v10, v2
	v_pk_add_f16 v2, v1, v39
	v_pk_min_f16 v10, v54, s14 op_sel_hi:[1,0]
	s_nop 0
	;; [unrolled: 4-line block ×53, first 2 shown]
	v_pk_min_f16 v59, v10, v2
	v_pk_add_f16 v2, v1, v9
	v_pk_min_f16 v10, v139, s14 op_sel_hi:[1,0]
	v_pk_add_f16 v1, v1, v11
	v_pk_min_f16 v58, v10, v2
	v_pk_add_f16 v2, v3, v9
	s_nop 0
	v_pk_min_f16 v57, v8, v2
	v_pk_add_f16 v2, v5, v11
	s_nop 0
	v_pk_min_f16 v55, v4, v2
	v_pk_add_f16 v2, v7, v11
	v_pk_min_f16 v4, v6, s14 op_sel_hi:[1,0]
	s_nop 0
	v_pk_min_f16 v54, v4, v2
	v_pk_min_f16 v2, v140, s14 op_sel_hi:[1,0]
	s_nop 0
	v_pk_min_f16 v53, v2, v1
	v_pk_add_f16 v1, v3, v11
	s_nop 0
	v_pk_min_f16 v56, v0, v1
	s_cbranch_scc1 .LBB267_42
; %bb.24:
	v_mov_b32_e32 v0, 0x400
	v_lshl_add_u32 v128, v85, 3, v0
	v_mov_b32_e32 v0, 0xc00
	v_add_u32_e32 v125, 0x800, v114
	v_add_u32_e32 v126, 0x400, v114
	;; [unrolled: 1-line block ×3, first 2 shown]
	s_add_i32 s31, s18, -8
	v_mad_i64_i32 v[40:41], s[12:13], v28, s33, 0
	v_mad_i64_i32 v[42:43], s[12:13], v29, s33, 0
	;; [unrolled: 1-line block ×4, first 2 shown]
	v_lshl_add_u32 v129, v96, 3, v0
	s_mov_b32 s33, 0
	v_mov_b32_e32 v130, 0x7c00
	s_branch .LBB267_26
.LBB267_25:                             ;   in Loop: Header=BB267_26 Depth=1
	s_or_b64 exec, exec, s[12:13]
	v_pk_add_f16 v48, v4, v36
	v_pk_max_f16 v49, v124, v124
	v_pk_max_f16 v123, v123, v123
	v_pk_min_f16 v48, v49, v48
	v_pk_add_f16 v49, v6, v36
	v_pk_max_f16 v121, v121, v121
	v_pk_min_f16 v49, v123, v49
	v_pk_add_f16 v123, v0, v36
	v_pk_add_f16 v36, v2, v36
	v_pk_max_f16 v120, v120, v120
	v_pk_min_f16 v36, v121, v36
	v_pk_add_f16 v121, v4, v38
	v_pk_max_f16 v119, v119, v119
	v_pk_min_f16 v120, v120, v121
	v_pk_add_f16 v121, v6, v38
	v_pk_max_f16 v117, v117, v117
	v_pk_min_f16 v119, v119, v121
	v_pk_add_f16 v121, v0, v38
	v_pk_add_f16 v38, v2, v38
	v_pk_max_f16 v116, v116, v116
	v_pk_min_f16 v38, v117, v38
	v_pk_add_f16 v117, v4, v32
	;; [unrolled: 10-line block ×14, first 2 shown]
	v_pk_max_f16 v59, v59, v59
	v_pk_min_f16 v60, v60, v61
	v_pk_add_f16 v61, v6, v8
	v_pk_add_f16 v4, v4, v10
	v_pk_min_f16 v59, v59, v61
	v_pk_add_f16 v61, v0, v8
	v_pk_add_f16 v8, v2, v8
	;; [unrolled: 1-line block ×5, first 2 shown]
	v_pk_max_f16 v10, v56, v56
	v_pk_max_f16 v122, v122, v122
	v_pk_min_f16 v2, v10, v2
	v_pk_add_f16 v10, v5, v37
	v_pk_min_f16 v122, v122, v123
	v_pk_min_f16 v48, v48, v10
	v_pk_add_f16 v10, v7, v37
	v_pk_max_f16 v53, v53, v53
	v_pk_min_f16 v49, v49, v10
	v_pk_add_f16 v10, v1, v37
	v_pk_max_f16 v54, v54, v54
	v_pk_min_f16 v0, v53, v0
	v_pk_min_f16 v53, v122, v10
	v_pk_add_f16 v10, v3, v37
	v_pk_max_f16 v55, v55, v55
	v_pk_min_f16 v6, v54, v6
	;; [unrolled: 4-line block ×3, first 2 shown]
	v_pk_min_f16 v55, v120, v10
	v_pk_add_f16 v10, v7, v39
	v_pk_min_f16 v118, v118, v121
	v_pk_max_f16 v57, v57, v57
	v_pk_min_f16 v56, v119, v10
	v_pk_add_f16 v10, v1, v39
	v_pk_max_f16 v58, v58, v58
	v_pk_min_f16 v8, v57, v8
	v_pk_min_f16 v57, v118, v10
	v_pk_add_f16 v10, v3, v39
	v_pk_max_f16 v62, v62, v62
	v_pk_min_f16 v58, v58, v61
	v_pk_min_f16 v61, v38, v10
	v_pk_add_f16 v10, v5, v33
	v_pk_max_f16 v112, v112, v112
	v_pk_max_f16 v66, v66, v66
	v_pk_min_f16 v62, v62, v65
	v_pk_min_f16 v65, v116, v10
	v_pk_add_f16 v10, v7, v33
	v_pk_min_f16 v112, v112, v117
	v_pk_max_f16 v70, v70, v70
	v_pk_min_f16 v66, v66, v69
	v_pk_min_f16 v69, v113, v10
	v_pk_add_f16 v10, v1, v33
	v_pk_max_f16 v74, v74, v74
	v_pk_min_f16 v70, v70, v73
	v_pk_min_f16 v73, v112, v10
	v_pk_add_f16 v10, v3, v33
	;; [unrolled: 4-line block ×3, first 2 shown]
	v_pk_max_f16 v108, v108, v108
	v_pk_max_f16 v82, v82, v82
	v_pk_min_f16 v78, v78, v81
	v_pk_min_f16 v81, v110, v10
	v_pk_add_f16 v10, v7, v35
	v_pk_min_f16 v108, v108, v111
	v_pk_max_f16 v87, v87, v87
	v_pk_min_f16 v82, v82, v86
	v_pk_min_f16 v86, v109, v10
	v_pk_add_f16 v10, v1, v35
	v_pk_max_f16 v91, v91, v91
	v_pk_min_f16 v87, v87, v90
	v_pk_min_f16 v90, v108, v10
	v_pk_add_f16 v10, v3, v35
	;; [unrolled: 4-line block ×4, first 2 shown]
	v_pk_min_f16 v101, v101, v105
	v_pk_min_f16 v102, v102, v10
	v_pk_add_f16 v10, v1, v29
	v_pk_max_f16 v49, v49, v49
	v_pk_min_f16 v101, v101, v10
	v_pk_add_f16 v10, v3, v29
	v_pk_max_f16 v61, v61, v61
	;; [unrolled: 3-line block ×5, first 2 shown]
	v_pk_min_f16 v95, v95, v10
	v_pk_add_f16 v10, v3, v31
	s_add_i32 s33, s33, 8
	v_pk_min_f16 v134, v30, v10
	v_pk_add_f16 v10, v5, v25
	s_cmp_ge_i32 s33, s31
	v_pk_min_f16 v93, v93, v10
	v_pk_add_f16 v10, v7, v25
	s_nop 0
	v_pk_min_f16 v92, v92, v10
	v_pk_add_f16 v10, v1, v25
	s_nop 0
	;; [unrolled: 3-line block ×31, first 2 shown]
	v_pk_min_f16 v142, v14, v10
	v_pk_add_f16 v10, v5, v9
	v_pk_add_f16 v5, v5, v11
	v_pk_min_f16 v60, v60, v10
	v_pk_add_f16 v10, v7, v9
	v_pk_min_f16 v144, v4, v5
	v_pk_min_f16 v59, v59, v10
	v_pk_add_f16 v10, v1, v9
	v_pk_add_f16 v1, v1, v11
	;; [unrolled: 1-line block ×4, first 2 shown]
	v_pk_min_f16 v146, v0, v1
	v_pk_add_f16 v0, v3, v11
	v_pk_min_f16 v58, v58, v10
	v_pk_min_f16 v143, v8, v9
	v_pk_min_f16 v145, v6, v4
	v_pk_min_f16 v147, v2, v0
	ds_read2_b64 v[4:7], v107 offset1:32
	ds_read2_b64 v[0:3], v107 offset0:64 offset1:96
	ds_read2_b64 v[28:31], v115 offset1:8
	ds_read2_b64 v[32:35], v115 offset0:16 offset1:24
	ds_read2_b64 v[36:39], v115 offset0:32 offset1:40
	;; [unrolled: 1-line block ×7, first 2 shown]
	s_waitcnt lgkmcnt(7)
	v_pk_add_f16 v105, v6, v28
	v_pk_add_f16 v109, v4, v30
	;; [unrolled: 1-line block ×10, first 2 shown]
	v_pk_min_f16 v49, v49, v105
	v_pk_min_f16 v30, v61, v30
	v_pk_add_f16 v103, v4, v28
	s_waitcnt lgkmcnt(6)
	v_pk_add_f16 v112, v4, v32
	v_pk_min_f16 v123, v49, v117
	v_pk_min_f16 v117, v30, v31
	v_pk_max_f16 v31, v65, v65
	v_pk_add_f16 v116, v5, v29
	v_pk_min_f16 v48, v48, v103
	v_pk_min_f16 v31, v31, v112
	v_pk_add_f16 v61, v5, v33
	v_pk_add_f16 v113, v6, v32
	v_pk_min_f16 v124, v48, v116
	v_pk_min_f16 v116, v31, v61
	v_pk_max_f16 v61, v69, v69
	v_pk_add_f16 v65, v7, v33
	v_pk_min_f16 v61, v61, v113
	v_pk_add_f16 v148, v0, v32
	v_pk_min_f16 v113, v61, v65
	v_pk_max_f16 v61, v73, v73
	v_pk_add_f16 v108, v0, v28
	v_pk_add_f16 v28, v2, v28
	v_pk_min_f16 v61, v61, v148
	v_pk_add_f16 v65, v1, v33
	v_pk_add_f16 v32, v2, v32
	;; [unrolled: 1-line block ×4, first 2 shown]
	v_pk_min_f16 v28, v54, v28
	v_pk_min_f16 v112, v61, v65
	v_pk_max_f16 v61, v77, v77
	v_pk_min_f16 v121, v28, v29
	v_pk_max_f16 v29, v55, v55
	v_pk_max_f16 v55, v56, v56
	;; [unrolled: 1-line block ×3, first 2 shown]
	v_pk_min_f16 v32, v61, v32
	v_pk_add_f16 v33, v3, v33
	v_pk_add_f16 v149, v4, v34
	v_pk_min_f16 v56, v56, v111
	v_pk_min_f16 v111, v32, v33
	v_pk_max_f16 v32, v81, v81
	v_pk_add_f16 v33, v5, v35
	v_pk_min_f16 v32, v32, v149
	v_pk_add_f16 v150, v6, v34
	v_pk_min_f16 v55, v55, v110
	v_pk_min_f16 v110, v32, v33
	v_pk_max_f16 v32, v86, v86
	v_pk_add_f16 v33, v7, v35
	v_pk_min_f16 v32, v32, v150
	;; [unrolled: 6-line block ×3, first 2 shown]
	v_pk_add_f16 v34, v2, v34
	v_pk_min_f16 v53, v53, v108
	v_pk_min_f16 v108, v32, v33
	v_pk_max_f16 v32, v94, v94
	s_waitcnt lgkmcnt(5)
	v_pk_add_f16 v152, v4, v36
	v_pk_add_f16 v153, v6, v36
	v_pk_add_f16 v154, v0, v36
	v_pk_add_f16 v36, v2, v36
	v_pk_add_f16 v155, v4, v38
	v_pk_add_f16 v156, v6, v38
	v_pk_add_f16 v157, v0, v38
	v_pk_add_f16 v38, v2, v38
	s_waitcnt lgkmcnt(4)
	v_pk_add_f16 v158, v4, v24
	v_pk_add_f16 v159, v6, v24
	v_pk_add_f16 v160, v0, v24
	v_pk_add_f16 v24, v2, v24
	v_pk_add_f16 v161, v4, v26
	v_pk_add_f16 v162, v6, v26
	v_pk_add_f16 v163, v0, v26
	v_pk_add_f16 v26, v2, v26
	;; [unrolled: 9-line block ×3, first 2 shown]
	s_waitcnt lgkmcnt(2)
	v_pk_add_f16 v172, v4, v16
	v_pk_add_f16 v173, v6, v16
	;; [unrolled: 1-line block ×6, first 2 shown]
	v_pk_min_f16 v122, v53, v118
	v_pk_add_f16 v53, v0, v18
	v_pk_add_f16 v18, v2, v18
	s_waitcnt lgkmcnt(1)
	v_pk_add_f16 v28, v4, v12
	v_pk_add_f16 v54, v6, v12
	v_pk_min_f16 v120, v29, v119
	v_pk_add_f16 v29, v0, v12
	v_pk_add_f16 v12, v2, v12
	v_pk_min_f16 v119, v55, v169
	;; [unrolled: 3-line block ×3, first 2 shown]
	v_pk_add_f16 v56, v0, v14
	v_pk_add_f16 v14, v2, v14
	s_waitcnt lgkmcnt(0)
	v_pk_add_f16 v30, v4, v8
	v_pk_add_f16 v31, v6, v8
	;; [unrolled: 1-line block ×9, first 2 shown]
	v_pk_min_f16 v32, v32, v34
	ds_write_b16 v126, v131
	ds_write_b16 v126, v132 offset:512
	ds_write_b16 v127, v50
	ds_write_b16 v127, v51 offset:512
	v_pk_min_f16 v105, v32, v10
	v_pk_max_f16 v32, v99, v99
	v_pk_add_f16 v10, v5, v37
	v_pk_min_f16 v32, v32, v152
	s_waitcnt lgkmcnt(0)
	v_pk_min_f16 v103, v32, v10
	v_pk_max_f16 v32, v102, v102
	v_pk_add_f16 v10, v7, v37
	v_pk_min_f16 v32, v32, v153
	s_barrier
	v_pk_min_f16 v102, v32, v10
	v_pk_max_f16 v32, v101, v101
	v_pk_add_f16 v10, v1, v37
	v_pk_min_f16 v32, v32, v154
	s_nop 0
	v_pk_min_f16 v101, v32, v10
	v_pk_max_f16 v32, v133, v133
	v_pk_add_f16 v10, v3, v37
	v_pk_min_f16 v32, v32, v36
	s_nop 0
	;; [unrolled: 5-line block ×9, first 2 shown]
	v_pk_min_f16 v91, v32, v10
	v_pk_add_f16 v10, v3, v25
	v_pk_max_f16 v25, v135, v135
	s_nop 0
	v_pk_min_f16 v24, v25, v24
	s_nop 0
	v_pk_min_f16 v90, v24, v10
	v_pk_max_f16 v24, v89, v89
	v_pk_add_f16 v10, v5, v27
	v_pk_min_f16 v24, v24, v161
	s_nop 0
	v_pk_min_f16 v89, v24, v10
	v_pk_max_f16 v24, v88, v88
	v_pk_add_f16 v10, v7, v27
	v_pk_min_f16 v24, v24, v162
	s_nop 0
	v_pk_min_f16 v88, v24, v10
	v_pk_max_f16 v24, v87, v87
	v_pk_add_f16 v10, v1, v27
	v_pk_min_f16 v24, v24, v163
	s_nop 0
	v_pk_min_f16 v87, v24, v10
	v_pk_max_f16 v24, v136, v136
	v_pk_add_f16 v10, v3, v27
	v_pk_min_f16 v24, v24, v26
	s_nop 0
	v_pk_min_f16 v86, v24, v10
	v_pk_max_f16 v24, v84, v84
	v_pk_add_f16 v10, v5, v21
	v_pk_min_f16 v24, v24, v164
	s_nop 0
	v_pk_min_f16 v84, v24, v10
	v_pk_max_f16 v24, v83, v83
	v_pk_add_f16 v10, v7, v21
	v_pk_min_f16 v24, v24, v165
	s_nop 0
	v_pk_min_f16 v83, v24, v10
	v_pk_max_f16 v24, v82, v82
	v_pk_add_f16 v10, v1, v21
	v_pk_min_f16 v24, v24, v166
	s_nop 0
	v_pk_min_f16 v82, v24, v10
	v_pk_add_f16 v10, v3, v21
	v_pk_max_f16 v21, v137, v137
	s_nop 0
	v_pk_min_f16 v20, v21, v20
	s_nop 0
	v_pk_min_f16 v81, v20, v10
	v_pk_max_f16 v20, v80, v80
	v_pk_add_f16 v10, v5, v23
	v_pk_min_f16 v20, v20, v167
	s_nop 0
	v_pk_min_f16 v80, v20, v10
	v_pk_max_f16 v20, v79, v79
	v_pk_add_f16 v10, v7, v23
	v_pk_min_f16 v20, v20, v168
	s_nop 0
	v_pk_min_f16 v79, v20, v10
	v_pk_max_f16 v20, v78, v78
	v_pk_add_f16 v10, v1, v23
	v_pk_min_f16 v20, v20, v171
	s_nop 0
	v_pk_min_f16 v78, v20, v10
	v_pk_max_f16 v20, v138, v138
	v_pk_add_f16 v10, v3, v23
	v_pk_min_f16 v20, v20, v22
	s_nop 0
	v_pk_min_f16 v77, v20, v10
	v_pk_max_f16 v20, v76, v76
	v_pk_add_f16 v10, v5, v17
	v_pk_min_f16 v20, v20, v172
	s_nop 0
	v_pk_min_f16 v76, v20, v10
	v_pk_max_f16 v20, v75, v75
	v_pk_add_f16 v10, v7, v17
	v_pk_min_f16 v20, v20, v173
	s_nop 0
	v_pk_min_f16 v75, v20, v10
	v_pk_max_f16 v20, v74, v74
	v_pk_add_f16 v10, v1, v17
	v_pk_min_f16 v20, v20, v48
	s_nop 0
	;; [unrolled: 41-line block ×3, first 2 shown]
	v_pk_min_f16 v66, v16, v10
	v_pk_add_f16 v10, v3, v13
	v_pk_max_f16 v13, v141, v141
	s_nop 0
	v_pk_min_f16 v12, v13, v12
	s_nop 0
	v_pk_min_f16 v65, v12, v10
	v_pk_max_f16 v12, v64, v64
	v_pk_add_f16 v10, v5, v15
	v_pk_min_f16 v12, v12, v55
	s_nop 0
	v_pk_min_f16 v64, v12, v10
	v_pk_max_f16 v12, v63, v63
	v_pk_add_f16 v10, v7, v15
	;; [unrolled: 5-line block ×5, first 2 shown]
	v_pk_min_f16 v12, v12, v30
	v_pk_add_f16 v5, v5, v11
	v_pk_min_f16 v60, v12, v10
	v_pk_max_f16 v12, v59, v59
	v_pk_add_f16 v10, v7, v9
	v_pk_min_f16 v12, v12, v31
	s_nop 0
	v_pk_min_f16 v59, v12, v10
	v_pk_max_f16 v12, v58, v58
	v_pk_add_f16 v10, v1, v9
	v_pk_min_f16 v12, v12, v169
	v_pk_add_f16 v9, v3, v9
	v_pk_min_f16 v58, v12, v10
	v_pk_max_f16 v10, v143, v143
	v_pk_add_f16 v1, v1, v11
	v_pk_min_f16 v8, v10, v8
	s_nop 0
	v_pk_min_f16 v57, v8, v9
	v_pk_max_f16 v8, v144, v144
	s_nop 0
	v_pk_min_f16 v4, v8, v4
	s_nop 0
	v_pk_min_f16 v55, v4, v5
	v_pk_max_f16 v5, v145, v145
	v_pk_add_f16 v4, v7, v11
	v_pk_min_f16 v5, v5, v6
	s_nop 0
	v_pk_min_f16 v54, v5, v4
	v_pk_max_f16 v4, v146, v146
	s_nop 0
	v_pk_min_f16 v0, v4, v0
	s_nop 0
	v_pk_min_f16 v53, v0, v1
	v_pk_max_f16 v1, v147, v147
	v_pk_add_f16 v0, v3, v11
	v_pk_min_f16 v1, v1, v2
	s_nop 0
	v_pk_min_f16 v56, v1, v0
	s_cbranch_scc1 .LBB267_42
.LBB267_26:                             ; =>This Inner Loop Header: Depth=1
	v_add_u32_e32 v48, s33, v104
	v_add_u32_e32 v0, 8, v48
	v_cmp_le_i32_e64 s[12:13], s18, v0
	v_min_i32_e32 v0, s19, v0
	v_ashrrev_i32_e32 v1, 31, v0
	s_or_b64 s[14:15], s[2:3], s[12:13]
	v_lshl_add_u64 v[2:3], v[0:1], 1, s[28:29]
	v_cndmask_b32_e64 v49, 0, v130, s[14:15]
	s_nor_b64 s[34:35], vcc, s[14:15]
	s_and_saveexec_b64 s[14:15], s[34:35]
	s_cbranch_execz .LBB267_28
; %bb.27:                               ;   in Loop: Header=BB267_26 Depth=1
	v_lshl_add_u64 v[4:5], v[40:41], 1, v[2:3]
	global_load_ushort v4, v[4:5], off
	s_waitcnt vmcnt(0)
	v_mul_f16_e32 v49, v100, v4
.LBB267_28:                             ;   in Loop: Header=BB267_26 Depth=1
	s_or_b64 exec, exec, s[14:15]
	s_or_b64 s[14:15], s[6:7], s[12:13]
	v_cndmask_b32_e64 v50, 0, v130, s[14:15]
	s_nor_b64 s[34:35], vcc, s[14:15]
	s_and_saveexec_b64 s[14:15], s[34:35]
	s_cbranch_execz .LBB267_30
; %bb.29:                               ;   in Loop: Header=BB267_26 Depth=1
	v_lshl_add_u64 v[2:3], v[42:43], 1, v[2:3]
	global_load_ushort v2, v[2:3], off
	s_waitcnt vmcnt(0)
	v_mul_f16_e32 v50, v100, v2
.LBB267_30:                             ;   in Loop: Header=BB267_26 Depth=1
	s_or_b64 exec, exec, s[14:15]
	s_or_b64 s[14:15], s[8:9], s[12:13]
	v_lshl_add_u64 v[0:1], v[0:1], 1, s[26:27]
	v_cndmask_b32_e64 v51, 0, v130, s[14:15]
	s_nor_b64 s[34:35], vcc, s[14:15]
	s_and_saveexec_b64 s[14:15], s[34:35]
	s_cbranch_execz .LBB267_32
; %bb.31:                               ;   in Loop: Header=BB267_26 Depth=1
	v_lshl_add_u64 v[2:3], v[44:45], 1, v[0:1]
	global_load_ushort v2, v[2:3], off
	s_waitcnt vmcnt(0)
	v_mul_f16_e32 v51, v100, v2
.LBB267_32:                             ;   in Loop: Header=BB267_26 Depth=1
	s_or_b64 exec, exec, s[14:15]
	s_or_b64 s[12:13], s[10:11], s[12:13]
	v_cndmask_b32_e64 v131, 0, v130, s[12:13]
	s_nor_b64 s[14:15], vcc, s[12:13]
	s_and_saveexec_b64 s[12:13], s[14:15]
	s_cbranch_execz .LBB267_34
; %bb.33:                               ;   in Loop: Header=BB267_26 Depth=1
	v_lshl_add_u64 v[0:1], v[46:47], 1, v[0:1]
	global_load_ushort v0, v[0:1], off
	s_waitcnt vmcnt(0)
	v_mul_f16_e32 v131, v100, v0
.LBB267_34:                             ;   in Loop: Header=BB267_26 Depth=1
	s_or_b64 exec, exec, s[12:13]
	ds_read2_b64 v[4:7], v128 offset1:32
	ds_read2_b64 v[0:3], v128 offset0:64 offset1:96
	ds_read2_b64 v[36:39], v129 offset1:8
	ds_read2_b64 v[32:35], v129 offset0:16 offset1:24
	ds_read2_b64 v[28:31], v129 offset0:32 offset1:40
	;; [unrolled: 1-line block ×7, first 2 shown]
	v_add_u32_e32 v48, 12, v48
	v_cmp_le_i32_e64 s[12:13], s18, v48
	v_min_i32_e32 v48, s19, v48
	ds_write_b16 v114, v49
	ds_write_b16 v114, v50 offset:512
	ds_write_b16 v125, v51
	ds_write_b16 v125, v131 offset:512
	v_ashrrev_i32_e32 v49, 31, v48
	s_or_b64 s[14:15], s[2:3], s[12:13]
	v_lshl_add_u64 v[50:51], v[48:49], 1, s[28:29]
	v_cndmask_b32_e64 v131, 0, v130, s[14:15]
	s_nor_b64 s[34:35], vcc, s[14:15]
	s_waitcnt lgkmcnt(0)
	s_barrier
	s_and_saveexec_b64 s[14:15], s[34:35]
	s_cbranch_execz .LBB267_36
; %bb.35:                               ;   in Loop: Header=BB267_26 Depth=1
	v_lshl_add_u64 v[132:133], v[40:41], 1, v[50:51]
	global_load_ushort v131, v[132:133], off
	s_waitcnt vmcnt(0)
	v_mul_f16_e32 v131, v100, v131
.LBB267_36:                             ;   in Loop: Header=BB267_26 Depth=1
	s_or_b64 exec, exec, s[14:15]
	s_or_b64 s[14:15], s[6:7], s[12:13]
	v_cndmask_b32_e64 v132, 0, v130, s[14:15]
	s_nor_b64 s[34:35], vcc, s[14:15]
	s_and_saveexec_b64 s[14:15], s[34:35]
	s_cbranch_execz .LBB267_38
; %bb.37:                               ;   in Loop: Header=BB267_26 Depth=1
	v_lshl_add_u64 v[50:51], v[42:43], 1, v[50:51]
	global_load_ushort v50, v[50:51], off
	s_waitcnt vmcnt(0)
	v_mul_f16_e32 v132, v100, v50
.LBB267_38:                             ;   in Loop: Header=BB267_26 Depth=1
	s_or_b64 exec, exec, s[14:15]
	s_or_b64 s[14:15], s[8:9], s[12:13]
	v_lshl_add_u64 v[48:49], v[48:49], 1, s[26:27]
	v_cndmask_b32_e64 v50, 0, v130, s[14:15]
	s_nor_b64 s[34:35], vcc, s[14:15]
	s_and_saveexec_b64 s[14:15], s[34:35]
	s_cbranch_execz .LBB267_40
; %bb.39:                               ;   in Loop: Header=BB267_26 Depth=1
	v_lshl_add_u64 v[50:51], v[44:45], 1, v[48:49]
	global_load_ushort v50, v[50:51], off
	s_waitcnt vmcnt(0)
	v_mul_f16_e32 v50, v100, v50
.LBB267_40:                             ;   in Loop: Header=BB267_26 Depth=1
	s_or_b64 exec, exec, s[14:15]
	s_or_b64 s[12:13], s[10:11], s[12:13]
	v_cndmask_b32_e64 v51, 0, v130, s[12:13]
	s_nor_b64 s[14:15], vcc, s[12:13]
	s_and_saveexec_b64 s[12:13], s[14:15]
	s_cbranch_execz .LBB267_25
; %bb.41:                               ;   in Loop: Header=BB267_26 Depth=1
	v_lshl_add_u64 v[48:49], v[46:47], 1, v[48:49]
	global_load_ushort v48, v[48:49], off
	s_waitcnt vmcnt(0)
	v_mul_f16_e32 v51, v100, v48
	s_branch .LBB267_25
.LBB267_42:
	v_add_u32_e32 v4, 0x800, v106
	s_load_dwordx2 s[2:3], s[0:1], 0x78
	s_load_dword s19, s[0:1], 0x58
	s_load_dword s18, s[0:1], 0x70
	ds_read2_b64 v[8:11], v107 offset0:128 offset1:160
	ds_read2_b64 v[0:3], v107 offset0:192 offset1:224
	;; [unrolled: 1-line block ×10, first 2 shown]
	s_waitcnt lgkmcnt(0)
	s_mul_i32 s1, s3, s24
	s_mul_hi_u32 s3, s2, s24
	s_mul_i32 s0, s2, s24
	s_add_i32 s1, s3, s1
	s_lshl_b64 s[0:1], s[0:1], 1
	s_add_u32 s12, s22, s0
	v_add_u32_e32 v40, s25, v85
	v_add_u32_e32 v85, s30, v96
	s_addc_u32 s13, s23, s1
	v_mad_i64_i32 v[42:43], s[0:1], v85, s19, 0
	v_lshl_add_u64 v[50:51], v[42:43], 1, s[20:21]
	v_mad_i64_i32 v[42:43], s[0:1], v85, s18, 0
	v_cmp_gt_i32_e64 s[2:3], s16, v40
	v_cmp_gt_i32_e64 s[10:11], s17, v85
	v_lshl_add_u64 v[48:49], v[42:43], 1, s[12:13]
	v_cndmask_b32_e64 v42, 0, 1, s[4:5]
	v_ashrrev_i32_e32 v41, 31, v40
	s_and_b64 s[6:7], s[2:3], s[10:11]
	v_cmp_ne_u32_e64 s[0:1], 1, v42
	s_and_saveexec_b64 s[4:5], s[6:7]
	s_cbranch_execz .LBB267_47
; %bb.43:
	s_and_b64 vcc, exec, s[0:1]
	s_cbranch_vccnz .LBB267_45
; %bb.44:
	v_lshl_add_u64 v[42:43], v[40:41], 1, v[50:51]
	global_load_ushort v42, v[42:43], off
	s_waitcnt vmcnt(0)
	v_mul_f16_e32 v42, v52, v42
	v_cvt_f32_f16_e32 v42, v42
	s_branch .LBB267_46
.LBB267_45:
	v_mov_b32_e32 v42, 0
.LBB267_46:
	v_pk_add_f16 v43, v8, v36
	v_max_f16_e32 v44, v124, v124
	v_pk_add_f16 v46, v9, v37
	v_min_f16_e32 v44, v44, v43
	v_lshrrev_b32_e32 v45, 16, v124
	v_lshrrev_b32_e32 v43, 16, v43
	v_lshrrev_b32_e32 v47, 16, v46
	v_min3_f16 v43, v45, v43, v47
	v_min3_f16 v43, v44, v46, v43
	v_cvt_f32_f16_e32 v43, v43
	v_max_f32_e32 v42, v42, v42
	v_min_f32_e32 v42, v42, v43
	v_cvt_f16_f32_e32 v44, v42
	v_lshl_add_u64 v[42:43], v[40:41], 1, v[48:49]
	global_store_short v[42:43], v44, off
.LBB267_47:
	s_or_b64 exec, exec, s[4:5]
	v_add_u32_e32 v42, 32, v40
	v_cmp_gt_i32_e64 s[4:5], s16, v42
	v_ashrrev_i32_e32 v43, 31, v42
	s_and_b64 s[8:9], s[4:5], s[10:11]
	s_and_saveexec_b64 s[6:7], s[8:9]
	s_cbranch_execz .LBB267_52
; %bb.48:
	s_and_b64 vcc, exec, s[0:1]
	s_cbranch_vccnz .LBB267_50
; %bb.49:
	v_lshl_add_u64 v[44:45], v[42:43], 1, v[50:51]
	global_load_ushort v44, v[44:45], off
	s_waitcnt vmcnt(0)
	v_mul_f16_e32 v44, v52, v44
	v_cvt_f32_f16_e32 v44, v44
	s_branch .LBB267_51
.LBB267_50:
	v_mov_b32_e32 v44, 0
.LBB267_51:
	v_pk_add_f16 v45, v10, v36
	v_max_f16_e32 v46, v123, v123
	v_pk_add_f16 v96, v11, v37
	v_min_f16_e32 v46, v46, v45
	v_lshrrev_b32_e32 v47, 16, v123
	v_lshrrev_b32_e32 v45, 16, v45
	v_lshrrev_b32_e32 v100, 16, v96
	v_min3_f16 v45, v47, v45, v100
	v_min3_f16 v45, v46, v96, v45
	v_cvt_f32_f16_e32 v45, v45
	v_max_f32_e32 v44, v44, v44
	v_min_f32_e32 v44, v44, v45
	v_cvt_f16_f32_e32 v46, v44
	v_lshl_add_u64 v[44:45], v[42:43], 1, v[48:49]
	global_store_short v[44:45], v46, off
.LBB267_52:
	s_or_b64 exec, exec, s[6:7]
	v_add_u32_e32 v44, 64, v40
	v_cmp_gt_i32_e64 s[6:7], s16, v44
	v_ashrrev_i32_e32 v45, 31, v44
	s_and_b64 s[14:15], s[6:7], s[10:11]
	;; [unrolled: 36-line block ×3, first 2 shown]
	s_and_saveexec_b64 s[10:11], s[14:15]
	s_cbranch_execz .LBB267_62
; %bb.58:
	s_and_b64 vcc, exec, s[0:1]
	s_cbranch_vccnz .LBB267_60
; %bb.59:
	v_lshl_add_u64 v[50:51], v[46:47], 1, v[50:51]
	global_load_ushort v50, v[50:51], off
	s_waitcnt vmcnt(0)
	v_mul_f16_e32 v50, v52, v50
	v_cvt_f32_f16_e32 v50, v50
	s_branch .LBB267_61
.LBB267_60:
	v_mov_b32_e32 v50, 0
.LBB267_61:
	v_pk_add_f16 v36, v2, v36
	v_max_f16_e32 v51, v121, v121
	v_pk_add_f16 v37, v3, v37
	v_min_f16_e32 v51, v51, v36
	v_lshrrev_b32_e32 v96, 16, v121
	v_lshrrev_b32_e32 v36, 16, v36
	;; [unrolled: 1-line block ×3, first 2 shown]
	v_min3_f16 v36, v96, v36, v100
	v_min3_f16 v36, v51, v37, v36
	v_cvt_f32_f16_e32 v36, v36
	v_max_f32_e32 v37, v50, v50
	v_min_f32_e32 v36, v37, v36
	v_cvt_f16_f32_e32 v50, v36
	v_lshl_add_u64 v[36:37], v[46:47], 1, v[48:49]
	global_store_short v[36:37], v50, off
.LBB267_62:
	s_or_b64 exec, exec, s[10:11]
	v_add_u32_e32 v50, 8, v85
	v_mad_i64_i32 v[36:37], s[14:15], v50, s19, 0
	v_cmp_gt_i32_e64 s[10:11], s17, v50
	v_lshl_add_u64 v[48:49], v[36:37], 1, s[20:21]
	v_mad_i64_i32 v[36:37], s[14:15], v50, s18, 0
	v_lshl_add_u64 v[36:37], v[36:37], 1, s[12:13]
	s_and_b64 s[22:23], s[2:3], s[10:11]
	s_and_saveexec_b64 s[14:15], s[22:23]
	s_cbranch_execnz .LBB267_66
; %bb.63:
	s_or_b64 exec, exec, s[14:15]
	s_and_b64 s[22:23], s[4:5], s[10:11]
	s_and_saveexec_b64 s[14:15], s[22:23]
	s_cbranch_execnz .LBB267_70
.LBB267_64:
	s_or_b64 exec, exec, s[14:15]
	s_and_b64 s[22:23], s[6:7], s[10:11]
	s_and_saveexec_b64 s[14:15], s[22:23]
	s_cbranch_execnz .LBB267_74
.LBB267_65:
	s_or_b64 exec, exec, s[14:15]
	s_and_b64 s[14:15], s[8:9], s[10:11]
	s_and_saveexec_b64 s[10:11], s[14:15]
	s_cbranch_execnz .LBB267_78
	s_branch .LBB267_82
.LBB267_66:
	s_and_b64 vcc, exec, s[0:1]
	s_cbranch_vccnz .LBB267_68
; %bb.67:
	v_lshl_add_u64 v[50:51], v[40:41], 1, v[48:49]
	global_load_ushort v50, v[50:51], off
	s_waitcnt vmcnt(0)
	v_mul_f16_e32 v50, v52, v50
	v_cvt_f32_f16_e32 v50, v50
	s_branch .LBB267_69
.LBB267_68:
	v_mov_b32_e32 v50, 0
.LBB267_69:
	v_pk_add_f16 v51, v8, v38
	v_max_f16_e32 v96, v120, v120
	v_pk_add_f16 v104, v9, v39
	v_min_f16_e32 v96, v96, v51
	v_lshrrev_b32_e32 v100, 16, v120
	v_lshrrev_b32_e32 v51, 16, v51
	;; [unrolled: 1-line block ×3, first 2 shown]
	v_min3_f16 v51, v100, v51, v106
	v_min3_f16 v51, v96, v104, v51
	v_cvt_f32_f16_e32 v51, v51
	v_max_f32_e32 v50, v50, v50
	v_min_f32_e32 v50, v50, v51
	v_cvt_f16_f32_e32 v96, v50
	v_lshl_add_u64 v[50:51], v[40:41], 1, v[36:37]
	global_store_short v[50:51], v96, off
	s_or_b64 exec, exec, s[14:15]
	s_and_b64 s[22:23], s[4:5], s[10:11]
	s_and_saveexec_b64 s[14:15], s[22:23]
	s_cbranch_execz .LBB267_64
.LBB267_70:
	s_and_b64 vcc, exec, s[0:1]
	s_cbranch_vccnz .LBB267_72
; %bb.71:
	v_lshl_add_u64 v[50:51], v[42:43], 1, v[48:49]
	global_load_ushort v50, v[50:51], off
	s_waitcnt vmcnt(0)
	v_mul_f16_e32 v50, v52, v50
	v_cvt_f32_f16_e32 v50, v50
	s_branch .LBB267_73
.LBB267_72:
	v_mov_b32_e32 v50, 0
.LBB267_73:
	v_pk_add_f16 v51, v10, v38
	v_max_f16_e32 v96, v119, v119
	v_pk_add_f16 v104, v11, v39
	v_min_f16_e32 v96, v96, v51
	v_lshrrev_b32_e32 v100, 16, v119
	v_lshrrev_b32_e32 v51, 16, v51
	;; [unrolled: 1-line block ×3, first 2 shown]
	v_min3_f16 v51, v100, v51, v106
	v_min3_f16 v51, v96, v104, v51
	v_cvt_f32_f16_e32 v51, v51
	v_max_f32_e32 v50, v50, v50
	v_min_f32_e32 v50, v50, v51
	v_cvt_f16_f32_e32 v96, v50
	v_lshl_add_u64 v[50:51], v[42:43], 1, v[36:37]
	global_store_short v[50:51], v96, off
	s_or_b64 exec, exec, s[14:15]
	s_and_b64 s[22:23], s[6:7], s[10:11]
	s_and_saveexec_b64 s[14:15], s[22:23]
	s_cbranch_execz .LBB267_65
.LBB267_74:
	s_and_b64 vcc, exec, s[0:1]
	s_cbranch_vccnz .LBB267_76
; %bb.75:
	v_lshl_add_u64 v[50:51], v[44:45], 1, v[48:49]
	global_load_ushort v50, v[50:51], off
	s_waitcnt vmcnt(0)
	v_mul_f16_e32 v50, v52, v50
	v_cvt_f32_f16_e32 v50, v50
	s_branch .LBB267_77
.LBB267_76:
	v_mov_b32_e32 v50, 0
.LBB267_77:
	v_pk_add_f16 v51, v0, v38
	v_max_f16_e32 v96, v118, v118
	v_pk_add_f16 v104, v1, v39
	v_min_f16_e32 v96, v96, v51
	v_lshrrev_b32_e32 v100, 16, v118
	v_lshrrev_b32_e32 v51, 16, v51
	;; [unrolled: 1-line block ×3, first 2 shown]
	v_min3_f16 v51, v100, v51, v106
	v_min3_f16 v51, v96, v104, v51
	v_cvt_f32_f16_e32 v51, v51
	v_max_f32_e32 v50, v50, v50
	v_min_f32_e32 v50, v50, v51
	v_cvt_f16_f32_e32 v96, v50
	v_lshl_add_u64 v[50:51], v[44:45], 1, v[36:37]
	global_store_short v[50:51], v96, off
	s_or_b64 exec, exec, s[14:15]
	s_and_b64 s[14:15], s[8:9], s[10:11]
	s_and_saveexec_b64 s[10:11], s[14:15]
	s_cbranch_execz .LBB267_82
.LBB267_78:
	s_and_b64 vcc, exec, s[0:1]
	s_cbranch_vccnz .LBB267_80
; %bb.79:
	v_lshl_add_u64 v[48:49], v[46:47], 1, v[48:49]
	global_load_ushort v48, v[48:49], off
	s_waitcnt vmcnt(0)
	v_mul_f16_e32 v48, v52, v48
	v_cvt_f32_f16_e32 v48, v48
	s_branch .LBB267_81
.LBB267_80:
	v_mov_b32_e32 v48, 0
.LBB267_81:
	v_pk_add_f16 v38, v2, v38
	v_max_f16_e32 v49, v117, v117
	v_pk_add_f16 v39, v3, v39
	v_min_f16_e32 v49, v49, v38
	v_lshrrev_b32_e32 v50, 16, v117
	v_lshrrev_b32_e32 v38, 16, v38
	;; [unrolled: 1-line block ×3, first 2 shown]
	v_min3_f16 v38, v50, v38, v51
	v_min3_f16 v38, v49, v39, v38
	v_cvt_f32_f16_e32 v38, v38
	v_max_f32_e32 v39, v48, v48
	v_lshl_add_u64 v[36:37], v[46:47], 1, v[36:37]
	v_min_f32_e32 v38, v39, v38
	v_cvt_f16_f32_e32 v38, v38
	global_store_short v[36:37], v38, off
.LBB267_82:
	s_or_b64 exec, exec, s[10:11]
	v_add_u32_e32 v48, 16, v85
	v_mad_i64_i32 v[36:37], s[14:15], v48, s19, 0
	v_cmp_gt_i32_e64 s[10:11], s17, v48
	v_lshl_add_u64 v[38:39], v[36:37], 1, s[20:21]
	v_mad_i64_i32 v[36:37], s[14:15], v48, s18, 0
	v_lshl_add_u64 v[36:37], v[36:37], 1, s[12:13]
	s_and_b64 s[22:23], s[2:3], s[10:11]
	s_and_saveexec_b64 s[14:15], s[22:23]
	s_cbranch_execnz .LBB267_86
; %bb.83:
	s_or_b64 exec, exec, s[14:15]
	s_and_b64 s[22:23], s[4:5], s[10:11]
	s_and_saveexec_b64 s[14:15], s[22:23]
	s_cbranch_execnz .LBB267_90
.LBB267_84:
	s_or_b64 exec, exec, s[14:15]
	s_and_b64 s[22:23], s[6:7], s[10:11]
	s_and_saveexec_b64 s[14:15], s[22:23]
	s_cbranch_execnz .LBB267_94
.LBB267_85:
	s_or_b64 exec, exec, s[14:15]
	s_and_b64 s[14:15], s[8:9], s[10:11]
	s_and_saveexec_b64 s[10:11], s[14:15]
	s_cbranch_execnz .LBB267_98
	s_branch .LBB267_102
.LBB267_86:
	s_and_b64 vcc, exec, s[0:1]
	s_cbranch_vccnz .LBB267_88
; %bb.87:
	v_lshl_add_u64 v[48:49], v[40:41], 1, v[38:39]
	global_load_ushort v48, v[48:49], off
	s_waitcnt vmcnt(0)
	v_mul_f16_e32 v48, v52, v48
	v_cvt_f32_f16_e32 v48, v48
	s_branch .LBB267_89
.LBB267_88:
	v_mov_b32_e32 v48, 0
.LBB267_89:
	v_pk_add_f16 v49, v8, v32
	v_max_f16_e32 v50, v116, v116
	v_pk_add_f16 v96, v9, v33
	v_min_f16_e32 v50, v50, v49
	v_lshrrev_b32_e32 v51, 16, v116
	v_lshrrev_b32_e32 v49, 16, v49
	;; [unrolled: 1-line block ×3, first 2 shown]
	v_min3_f16 v49, v51, v49, v100
	v_min3_f16 v49, v50, v96, v49
	v_cvt_f32_f16_e32 v49, v49
	v_max_f32_e32 v48, v48, v48
	v_min_f32_e32 v48, v48, v49
	v_cvt_f16_f32_e32 v50, v48
	v_lshl_add_u64 v[48:49], v[40:41], 1, v[36:37]
	global_store_short v[48:49], v50, off
	s_or_b64 exec, exec, s[14:15]
	s_and_b64 s[22:23], s[4:5], s[10:11]
	s_and_saveexec_b64 s[14:15], s[22:23]
	s_cbranch_execz .LBB267_84
.LBB267_90:
	s_and_b64 vcc, exec, s[0:1]
	s_cbranch_vccnz .LBB267_92
; %bb.91:
	v_lshl_add_u64 v[48:49], v[42:43], 1, v[38:39]
	global_load_ushort v48, v[48:49], off
	s_waitcnt vmcnt(0)
	v_mul_f16_e32 v48, v52, v48
	v_cvt_f32_f16_e32 v48, v48
	s_branch .LBB267_93
.LBB267_92:
	v_mov_b32_e32 v48, 0
.LBB267_93:
	v_pk_add_f16 v49, v10, v32
	v_max_f16_e32 v50, v113, v113
	v_pk_add_f16 v96, v11, v33
	v_min_f16_e32 v50, v50, v49
	v_lshrrev_b32_e32 v51, 16, v113
	v_lshrrev_b32_e32 v49, 16, v49
	;; [unrolled: 1-line block ×3, first 2 shown]
	v_min3_f16 v49, v51, v49, v100
	v_min3_f16 v49, v50, v96, v49
	v_cvt_f32_f16_e32 v49, v49
	v_max_f32_e32 v48, v48, v48
	v_min_f32_e32 v48, v48, v49
	v_cvt_f16_f32_e32 v50, v48
	v_lshl_add_u64 v[48:49], v[42:43], 1, v[36:37]
	global_store_short v[48:49], v50, off
	s_or_b64 exec, exec, s[14:15]
	s_and_b64 s[22:23], s[6:7], s[10:11]
	s_and_saveexec_b64 s[14:15], s[22:23]
	s_cbranch_execz .LBB267_85
.LBB267_94:
	s_and_b64 vcc, exec, s[0:1]
	s_cbranch_vccnz .LBB267_96
; %bb.95:
	v_lshl_add_u64 v[48:49], v[44:45], 1, v[38:39]
	global_load_ushort v48, v[48:49], off
	s_waitcnt vmcnt(0)
	v_mul_f16_e32 v48, v52, v48
	v_cvt_f32_f16_e32 v48, v48
	s_branch .LBB267_97
.LBB267_96:
	v_mov_b32_e32 v48, 0
.LBB267_97:
	v_pk_add_f16 v49, v0, v32
	v_max_f16_e32 v50, v112, v112
	v_pk_add_f16 v96, v1, v33
	v_min_f16_e32 v50, v50, v49
	v_lshrrev_b32_e32 v51, 16, v112
	v_lshrrev_b32_e32 v49, 16, v49
	;; [unrolled: 1-line block ×3, first 2 shown]
	v_min3_f16 v49, v51, v49, v100
	v_min3_f16 v49, v50, v96, v49
	v_cvt_f32_f16_e32 v49, v49
	v_max_f32_e32 v48, v48, v48
	v_min_f32_e32 v48, v48, v49
	v_cvt_f16_f32_e32 v50, v48
	v_lshl_add_u64 v[48:49], v[44:45], 1, v[36:37]
	global_store_short v[48:49], v50, off
	s_or_b64 exec, exec, s[14:15]
	s_and_b64 s[14:15], s[8:9], s[10:11]
	s_and_saveexec_b64 s[10:11], s[14:15]
	s_cbranch_execz .LBB267_102
.LBB267_98:
	s_and_b64 vcc, exec, s[0:1]
	s_cbranch_vccnz .LBB267_100
; %bb.99:
	v_lshl_add_u64 v[38:39], v[46:47], 1, v[38:39]
	global_load_ushort v38, v[38:39], off
	s_waitcnt vmcnt(0)
	v_mul_f16_e32 v38, v52, v38
	v_cvt_f32_f16_e32 v38, v38
	s_branch .LBB267_101
.LBB267_100:
	v_mov_b32_e32 v38, 0
.LBB267_101:
	v_pk_add_f16 v32, v2, v32
	v_max_f16_e32 v39, v111, v111
	v_pk_add_f16 v33, v3, v33
	v_min_f16_e32 v39, v39, v32
	v_lshrrev_b32_e32 v48, 16, v111
	v_lshrrev_b32_e32 v32, 16, v32
	;; [unrolled: 1-line block ×3, first 2 shown]
	v_min3_f16 v32, v48, v32, v49
	v_min3_f16 v32, v39, v33, v32
	v_cvt_f32_f16_e32 v32, v32
	v_max_f32_e32 v33, v38, v38
	v_min_f32_e32 v32, v33, v32
	v_cvt_f16_f32_e32 v38, v32
	v_lshl_add_u64 v[32:33], v[46:47], 1, v[36:37]
	global_store_short v[32:33], v38, off
.LBB267_102:
	s_or_b64 exec, exec, s[10:11]
	v_add_u32_e32 v38, 24, v85
	v_mad_i64_i32 v[32:33], s[14:15], v38, s19, 0
	v_cmp_gt_i32_e64 s[10:11], s17, v38
	v_lshl_add_u64 v[36:37], v[32:33], 1, s[20:21]
	v_mad_i64_i32 v[32:33], s[14:15], v38, s18, 0
	v_lshl_add_u64 v[32:33], v[32:33], 1, s[12:13]
	s_and_b64 s[22:23], s[2:3], s[10:11]
	s_and_saveexec_b64 s[14:15], s[22:23]
	s_cbranch_execnz .LBB267_106
; %bb.103:
	s_or_b64 exec, exec, s[14:15]
	s_and_b64 s[22:23], s[4:5], s[10:11]
	s_and_saveexec_b64 s[14:15], s[22:23]
	s_cbranch_execnz .LBB267_110
.LBB267_104:
	s_or_b64 exec, exec, s[14:15]
	s_and_b64 s[22:23], s[6:7], s[10:11]
	s_and_saveexec_b64 s[14:15], s[22:23]
	s_cbranch_execnz .LBB267_114
.LBB267_105:
	s_or_b64 exec, exec, s[14:15]
	s_and_b64 s[14:15], s[8:9], s[10:11]
	s_and_saveexec_b64 s[10:11], s[14:15]
	s_cbranch_execnz .LBB267_118
	s_branch .LBB267_122
.LBB267_106:
	s_and_b64 vcc, exec, s[0:1]
	s_cbranch_vccnz .LBB267_108
; %bb.107:
	v_lshl_add_u64 v[38:39], v[40:41], 1, v[36:37]
	global_load_ushort v38, v[38:39], off
	s_waitcnt vmcnt(0)
	v_mul_f16_e32 v38, v52, v38
	v_cvt_f32_f16_e32 v38, v38
	s_branch .LBB267_109
.LBB267_108:
	v_mov_b32_e32 v38, 0
.LBB267_109:
	v_pk_add_f16 v39, v8, v34
	v_max_f16_e32 v48, v110, v110
	v_pk_add_f16 v50, v9, v35
	v_min_f16_e32 v48, v48, v39
	v_lshrrev_b32_e32 v49, 16, v110
	v_lshrrev_b32_e32 v39, 16, v39
	;; [unrolled: 1-line block ×3, first 2 shown]
	v_min3_f16 v39, v49, v39, v51
	v_min3_f16 v39, v48, v50, v39
	v_cvt_f32_f16_e32 v39, v39
	v_max_f32_e32 v38, v38, v38
	v_min_f32_e32 v38, v38, v39
	v_cvt_f16_f32_e32 v48, v38
	v_lshl_add_u64 v[38:39], v[40:41], 1, v[32:33]
	global_store_short v[38:39], v48, off
	s_or_b64 exec, exec, s[14:15]
	s_and_b64 s[22:23], s[4:5], s[10:11]
	s_and_saveexec_b64 s[14:15], s[22:23]
	s_cbranch_execz .LBB267_104
.LBB267_110:
	s_and_b64 vcc, exec, s[0:1]
	s_cbranch_vccnz .LBB267_112
; %bb.111:
	v_lshl_add_u64 v[38:39], v[42:43], 1, v[36:37]
	global_load_ushort v38, v[38:39], off
	s_waitcnt vmcnt(0)
	v_mul_f16_e32 v38, v52, v38
	v_cvt_f32_f16_e32 v38, v38
	s_branch .LBB267_113
.LBB267_112:
	v_mov_b32_e32 v38, 0
.LBB267_113:
	v_pk_add_f16 v39, v10, v34
	v_max_f16_e32 v48, v109, v109
	v_pk_add_f16 v50, v11, v35
	v_min_f16_e32 v48, v48, v39
	v_lshrrev_b32_e32 v49, 16, v109
	v_lshrrev_b32_e32 v39, 16, v39
	;; [unrolled: 1-line block ×3, first 2 shown]
	v_min3_f16 v39, v49, v39, v51
	v_min3_f16 v39, v48, v50, v39
	v_cvt_f32_f16_e32 v39, v39
	v_max_f32_e32 v38, v38, v38
	v_min_f32_e32 v38, v38, v39
	v_cvt_f16_f32_e32 v48, v38
	v_lshl_add_u64 v[38:39], v[42:43], 1, v[32:33]
	global_store_short v[38:39], v48, off
	s_or_b64 exec, exec, s[14:15]
	s_and_b64 s[22:23], s[6:7], s[10:11]
	s_and_saveexec_b64 s[14:15], s[22:23]
	s_cbranch_execz .LBB267_105
.LBB267_114:
	s_and_b64 vcc, exec, s[0:1]
	s_cbranch_vccnz .LBB267_116
; %bb.115:
	v_lshl_add_u64 v[38:39], v[44:45], 1, v[36:37]
	global_load_ushort v38, v[38:39], off
	s_waitcnt vmcnt(0)
	v_mul_f16_e32 v38, v52, v38
	v_cvt_f32_f16_e32 v38, v38
	s_branch .LBB267_117
.LBB267_116:
	v_mov_b32_e32 v38, 0
.LBB267_117:
	v_pk_add_f16 v39, v0, v34
	v_max_f16_e32 v48, v108, v108
	v_pk_add_f16 v50, v1, v35
	v_min_f16_e32 v48, v48, v39
	v_lshrrev_b32_e32 v49, 16, v108
	v_lshrrev_b32_e32 v39, 16, v39
	v_lshrrev_b32_e32 v51, 16, v50
	v_min3_f16 v39, v49, v39, v51
	v_min3_f16 v39, v48, v50, v39
	v_cvt_f32_f16_e32 v39, v39
	v_max_f32_e32 v38, v38, v38
	v_min_f32_e32 v38, v38, v39
	v_cvt_f16_f32_e32 v48, v38
	v_lshl_add_u64 v[38:39], v[44:45], 1, v[32:33]
	global_store_short v[38:39], v48, off
	s_or_b64 exec, exec, s[14:15]
	s_and_b64 s[14:15], s[8:9], s[10:11]
	s_and_saveexec_b64 s[10:11], s[14:15]
	s_cbranch_execz .LBB267_122
.LBB267_118:
	s_and_b64 vcc, exec, s[0:1]
	s_cbranch_vccnz .LBB267_120
; %bb.119:
	v_lshl_add_u64 v[36:37], v[46:47], 1, v[36:37]
	global_load_ushort v36, v[36:37], off
	s_waitcnt vmcnt(0)
	v_mul_f16_e32 v36, v52, v36
	v_cvt_f32_f16_e32 v36, v36
	s_branch .LBB267_121
.LBB267_120:
	v_mov_b32_e32 v36, 0
.LBB267_121:
	v_pk_add_f16 v34, v2, v34
	v_max_f16_e32 v37, v105, v105
	v_pk_add_f16 v35, v3, v35
	v_min_f16_e32 v37, v37, v34
	v_lshrrev_b32_e32 v38, 16, v105
	v_lshrrev_b32_e32 v34, 16, v34
	;; [unrolled: 1-line block ×3, first 2 shown]
	v_min3_f16 v34, v38, v34, v39
	v_min3_f16 v34, v37, v35, v34
	v_cvt_f32_f16_e32 v34, v34
	v_max_f32_e32 v35, v36, v36
	v_lshl_add_u64 v[32:33], v[46:47], 1, v[32:33]
	v_min_f32_e32 v34, v35, v34
	v_cvt_f16_f32_e32 v34, v34
	global_store_short v[32:33], v34, off
.LBB267_122:
	s_or_b64 exec, exec, s[10:11]
	v_add_u32_e32 v36, 32, v85
	v_mad_i64_i32 v[32:33], s[14:15], v36, s19, 0
	v_cmp_gt_i32_e64 s[10:11], s17, v36
	v_lshl_add_u64 v[34:35], v[32:33], 1, s[20:21]
	v_mad_i64_i32 v[32:33], s[14:15], v36, s18, 0
	v_lshl_add_u64 v[32:33], v[32:33], 1, s[12:13]
	s_and_b64 s[22:23], s[2:3], s[10:11]
	s_and_saveexec_b64 s[14:15], s[22:23]
	s_cbranch_execnz .LBB267_126
; %bb.123:
	s_or_b64 exec, exec, s[14:15]
	s_and_b64 s[22:23], s[4:5], s[10:11]
	s_and_saveexec_b64 s[14:15], s[22:23]
	s_cbranch_execnz .LBB267_130
.LBB267_124:
	s_or_b64 exec, exec, s[14:15]
	s_and_b64 s[22:23], s[6:7], s[10:11]
	s_and_saveexec_b64 s[14:15], s[22:23]
	s_cbranch_execnz .LBB267_134
.LBB267_125:
	s_or_b64 exec, exec, s[14:15]
	s_and_b64 s[14:15], s[8:9], s[10:11]
	s_and_saveexec_b64 s[10:11], s[14:15]
	s_cbranch_execnz .LBB267_138
	s_branch .LBB267_142
.LBB267_126:
	s_and_b64 vcc, exec, s[0:1]
	s_cbranch_vccnz .LBB267_128
; %bb.127:
	v_lshl_add_u64 v[36:37], v[40:41], 1, v[34:35]
	global_load_ushort v36, v[36:37], off
	s_waitcnt vmcnt(0)
	v_mul_f16_e32 v36, v52, v36
	v_cvt_f32_f16_e32 v36, v36
	s_branch .LBB267_129
.LBB267_128:
	v_mov_b32_e32 v36, 0
.LBB267_129:
	v_pk_add_f16 v37, v8, v28
	v_max_f16_e32 v38, v103, v103
	v_pk_add_f16 v48, v9, v29
	v_min_f16_e32 v38, v38, v37
	v_lshrrev_b32_e32 v39, 16, v103
	v_lshrrev_b32_e32 v37, 16, v37
	;; [unrolled: 1-line block ×3, first 2 shown]
	v_min3_f16 v37, v39, v37, v49
	v_min3_f16 v37, v38, v48, v37
	v_cvt_f32_f16_e32 v37, v37
	v_max_f32_e32 v36, v36, v36
	v_min_f32_e32 v36, v36, v37
	v_cvt_f16_f32_e32 v38, v36
	v_lshl_add_u64 v[36:37], v[40:41], 1, v[32:33]
	global_store_short v[36:37], v38, off
	s_or_b64 exec, exec, s[14:15]
	s_and_b64 s[22:23], s[4:5], s[10:11]
	s_and_saveexec_b64 s[14:15], s[22:23]
	s_cbranch_execz .LBB267_124
.LBB267_130:
	s_and_b64 vcc, exec, s[0:1]
	s_cbranch_vccnz .LBB267_132
; %bb.131:
	v_lshl_add_u64 v[36:37], v[42:43], 1, v[34:35]
	global_load_ushort v36, v[36:37], off
	s_waitcnt vmcnt(0)
	v_mul_f16_e32 v36, v52, v36
	v_cvt_f32_f16_e32 v36, v36
	s_branch .LBB267_133
.LBB267_132:
	v_mov_b32_e32 v36, 0
.LBB267_133:
	v_pk_add_f16 v37, v10, v28
	v_max_f16_e32 v38, v102, v102
	v_pk_add_f16 v48, v11, v29
	v_min_f16_e32 v38, v38, v37
	v_lshrrev_b32_e32 v39, 16, v102
	v_lshrrev_b32_e32 v37, 16, v37
	;; [unrolled: 1-line block ×3, first 2 shown]
	v_min3_f16 v37, v39, v37, v49
	v_min3_f16 v37, v38, v48, v37
	v_cvt_f32_f16_e32 v37, v37
	v_max_f32_e32 v36, v36, v36
	v_min_f32_e32 v36, v36, v37
	v_cvt_f16_f32_e32 v38, v36
	v_lshl_add_u64 v[36:37], v[42:43], 1, v[32:33]
	global_store_short v[36:37], v38, off
	s_or_b64 exec, exec, s[14:15]
	s_and_b64 s[22:23], s[6:7], s[10:11]
	s_and_saveexec_b64 s[14:15], s[22:23]
	s_cbranch_execz .LBB267_125
.LBB267_134:
	s_and_b64 vcc, exec, s[0:1]
	s_cbranch_vccnz .LBB267_136
; %bb.135:
	v_lshl_add_u64 v[36:37], v[44:45], 1, v[34:35]
	global_load_ushort v36, v[36:37], off
	s_waitcnt vmcnt(0)
	v_mul_f16_e32 v36, v52, v36
	v_cvt_f32_f16_e32 v36, v36
	s_branch .LBB267_137
.LBB267_136:
	v_mov_b32_e32 v36, 0
.LBB267_137:
	v_pk_add_f16 v37, v0, v28
	v_max_f16_e32 v38, v101, v101
	v_pk_add_f16 v48, v1, v29
	v_min_f16_e32 v38, v38, v37
	v_lshrrev_b32_e32 v39, 16, v101
	v_lshrrev_b32_e32 v37, 16, v37
	;; [unrolled: 1-line block ×3, first 2 shown]
	v_min3_f16 v37, v39, v37, v49
	v_min3_f16 v37, v38, v48, v37
	v_cvt_f32_f16_e32 v37, v37
	v_max_f32_e32 v36, v36, v36
	v_min_f32_e32 v36, v36, v37
	v_cvt_f16_f32_e32 v38, v36
	v_lshl_add_u64 v[36:37], v[44:45], 1, v[32:33]
	global_store_short v[36:37], v38, off
	s_or_b64 exec, exec, s[14:15]
	s_and_b64 s[14:15], s[8:9], s[10:11]
	s_and_saveexec_b64 s[10:11], s[14:15]
	s_cbranch_execz .LBB267_142
.LBB267_138:
	s_and_b64 vcc, exec, s[0:1]
	s_cbranch_vccnz .LBB267_140
; %bb.139:
	v_lshl_add_u64 v[34:35], v[46:47], 1, v[34:35]
	global_load_ushort v34, v[34:35], off
	s_waitcnt vmcnt(0)
	v_mul_f16_e32 v34, v52, v34
	v_cvt_f32_f16_e32 v34, v34
	s_branch .LBB267_141
.LBB267_140:
	v_mov_b32_e32 v34, 0
.LBB267_141:
	v_pk_add_f16 v28, v2, v28
	v_max_f16_e32 v35, v99, v99
	v_pk_add_f16 v29, v3, v29
	v_min_f16_e32 v35, v35, v28
	v_lshrrev_b32_e32 v36, 16, v99
	v_lshrrev_b32_e32 v28, 16, v28
	;; [unrolled: 1-line block ×3, first 2 shown]
	v_min3_f16 v28, v36, v28, v37
	v_min3_f16 v28, v35, v29, v28
	v_cvt_f32_f16_e32 v28, v28
	v_max_f32_e32 v29, v34, v34
	v_min_f32_e32 v28, v29, v28
	v_cvt_f16_f32_e32 v34, v28
	v_lshl_add_u64 v[28:29], v[46:47], 1, v[32:33]
	global_store_short v[28:29], v34, off
.LBB267_142:
	s_or_b64 exec, exec, s[10:11]
	v_add_u32_e32 v34, 40, v85
	v_mad_i64_i32 v[28:29], s[14:15], v34, s19, 0
	v_cmp_gt_i32_e64 s[10:11], s17, v34
	v_lshl_add_u64 v[32:33], v[28:29], 1, s[20:21]
	v_mad_i64_i32 v[28:29], s[14:15], v34, s18, 0
	v_lshl_add_u64 v[28:29], v[28:29], 1, s[12:13]
	s_and_b64 s[22:23], s[2:3], s[10:11]
	s_and_saveexec_b64 s[14:15], s[22:23]
	s_cbranch_execnz .LBB267_146
; %bb.143:
	s_or_b64 exec, exec, s[14:15]
	s_and_b64 s[22:23], s[4:5], s[10:11]
	s_and_saveexec_b64 s[14:15], s[22:23]
	s_cbranch_execnz .LBB267_150
.LBB267_144:
	s_or_b64 exec, exec, s[14:15]
	s_and_b64 s[22:23], s[6:7], s[10:11]
	s_and_saveexec_b64 s[14:15], s[22:23]
	s_cbranch_execnz .LBB267_154
.LBB267_145:
	s_or_b64 exec, exec, s[14:15]
	s_and_b64 s[14:15], s[8:9], s[10:11]
	s_and_saveexec_b64 s[10:11], s[14:15]
	s_cbranch_execnz .LBB267_158
	s_branch .LBB267_162
.LBB267_146:
	s_and_b64 vcc, exec, s[0:1]
	s_cbranch_vccnz .LBB267_148
; %bb.147:
	v_lshl_add_u64 v[34:35], v[40:41], 1, v[32:33]
	global_load_ushort v34, v[34:35], off
	s_waitcnt vmcnt(0)
	v_mul_f16_e32 v34, v52, v34
	v_cvt_f32_f16_e32 v34, v34
	s_branch .LBB267_149
.LBB267_148:
	v_mov_b32_e32 v34, 0
.LBB267_149:
	v_pk_add_f16 v35, v8, v30
	v_max_f16_e32 v36, v98, v98
	v_pk_add_f16 v38, v9, v31
	v_min_f16_e32 v36, v36, v35
	v_lshrrev_b32_e32 v37, 16, v98
	v_lshrrev_b32_e32 v35, 16, v35
	;; [unrolled: 1-line block ×3, first 2 shown]
	v_min3_f16 v35, v37, v35, v39
	v_min3_f16 v35, v36, v38, v35
	v_cvt_f32_f16_e32 v35, v35
	v_max_f32_e32 v34, v34, v34
	v_min_f32_e32 v34, v34, v35
	v_cvt_f16_f32_e32 v36, v34
	v_lshl_add_u64 v[34:35], v[40:41], 1, v[28:29]
	global_store_short v[34:35], v36, off
	s_or_b64 exec, exec, s[14:15]
	s_and_b64 s[22:23], s[4:5], s[10:11]
	s_and_saveexec_b64 s[14:15], s[22:23]
	s_cbranch_execz .LBB267_144
.LBB267_150:
	s_and_b64 vcc, exec, s[0:1]
	s_cbranch_vccnz .LBB267_152
; %bb.151:
	v_lshl_add_u64 v[34:35], v[42:43], 1, v[32:33]
	global_load_ushort v34, v[34:35], off
	s_waitcnt vmcnt(0)
	v_mul_f16_e32 v34, v52, v34
	v_cvt_f32_f16_e32 v34, v34
	s_branch .LBB267_153
.LBB267_152:
	v_mov_b32_e32 v34, 0
.LBB267_153:
	v_pk_add_f16 v35, v10, v30
	v_max_f16_e32 v36, v97, v97
	v_pk_add_f16 v38, v11, v31
	v_min_f16_e32 v36, v36, v35
	v_lshrrev_b32_e32 v37, 16, v97
	v_lshrrev_b32_e32 v35, 16, v35
	;; [unrolled: 1-line block ×3, first 2 shown]
	v_min3_f16 v35, v37, v35, v39
	v_min3_f16 v35, v36, v38, v35
	v_cvt_f32_f16_e32 v35, v35
	v_max_f32_e32 v34, v34, v34
	v_min_f32_e32 v34, v34, v35
	v_cvt_f16_f32_e32 v36, v34
	v_lshl_add_u64 v[34:35], v[42:43], 1, v[28:29]
	global_store_short v[34:35], v36, off
	s_or_b64 exec, exec, s[14:15]
	s_and_b64 s[22:23], s[6:7], s[10:11]
	s_and_saveexec_b64 s[14:15], s[22:23]
	s_cbranch_execz .LBB267_145
.LBB267_154:
	s_and_b64 vcc, exec, s[0:1]
	s_cbranch_vccnz .LBB267_156
; %bb.155:
	v_lshl_add_u64 v[34:35], v[44:45], 1, v[32:33]
	global_load_ushort v34, v[34:35], off
	s_waitcnt vmcnt(0)
	v_mul_f16_e32 v34, v52, v34
	v_cvt_f32_f16_e32 v34, v34
	s_branch .LBB267_157
.LBB267_156:
	v_mov_b32_e32 v34, 0
.LBB267_157:
	v_pk_add_f16 v35, v0, v30
	v_max_f16_e32 v36, v95, v95
	v_pk_add_f16 v38, v1, v31
	v_min_f16_e32 v36, v36, v35
	v_lshrrev_b32_e32 v37, 16, v95
	v_lshrrev_b32_e32 v35, 16, v35
	;; [unrolled: 1-line block ×3, first 2 shown]
	v_min3_f16 v35, v37, v35, v39
	v_min3_f16 v35, v36, v38, v35
	v_cvt_f32_f16_e32 v35, v35
	v_max_f32_e32 v34, v34, v34
	v_min_f32_e32 v34, v34, v35
	v_cvt_f16_f32_e32 v36, v34
	v_lshl_add_u64 v[34:35], v[44:45], 1, v[28:29]
	global_store_short v[34:35], v36, off
	s_or_b64 exec, exec, s[14:15]
	s_and_b64 s[14:15], s[8:9], s[10:11]
	s_and_saveexec_b64 s[10:11], s[14:15]
	s_cbranch_execz .LBB267_162
.LBB267_158:
	s_and_b64 vcc, exec, s[0:1]
	s_cbranch_vccnz .LBB267_160
; %bb.159:
	v_lshl_add_u64 v[32:33], v[46:47], 1, v[32:33]
	global_load_ushort v32, v[32:33], off
	s_waitcnt vmcnt(0)
	v_mul_f16_e32 v32, v52, v32
	v_cvt_f32_f16_e32 v32, v32
	s_branch .LBB267_161
.LBB267_160:
	v_mov_b32_e32 v32, 0
.LBB267_161:
	v_pk_add_f16 v30, v2, v30
	v_max_f16_e32 v33, v94, v94
	v_pk_add_f16 v31, v3, v31
	v_min_f16_e32 v33, v33, v30
	v_lshrrev_b32_e32 v34, 16, v94
	v_lshrrev_b32_e32 v30, 16, v30
	;; [unrolled: 1-line block ×3, first 2 shown]
	v_min3_f16 v30, v34, v30, v35
	v_min3_f16 v30, v33, v31, v30
	v_cvt_f32_f16_e32 v30, v30
	v_max_f32_e32 v31, v32, v32
	v_lshl_add_u64 v[28:29], v[46:47], 1, v[28:29]
	v_min_f32_e32 v30, v31, v30
	v_cvt_f16_f32_e32 v30, v30
	global_store_short v[28:29], v30, off
.LBB267_162:
	s_or_b64 exec, exec, s[10:11]
	v_add_u32_e32 v32, 48, v85
	v_mad_i64_i32 v[28:29], s[14:15], v32, s19, 0
	v_cmp_gt_i32_e64 s[10:11], s17, v32
	v_lshl_add_u64 v[30:31], v[28:29], 1, s[20:21]
	v_mad_i64_i32 v[28:29], s[14:15], v32, s18, 0
	v_lshl_add_u64 v[28:29], v[28:29], 1, s[12:13]
	s_and_b64 s[22:23], s[2:3], s[10:11]
	s_and_saveexec_b64 s[14:15], s[22:23]
	s_cbranch_execnz .LBB267_166
; %bb.163:
	s_or_b64 exec, exec, s[14:15]
	s_and_b64 s[22:23], s[4:5], s[10:11]
	s_and_saveexec_b64 s[14:15], s[22:23]
	s_cbranch_execnz .LBB267_170
.LBB267_164:
	s_or_b64 exec, exec, s[14:15]
	s_and_b64 s[22:23], s[6:7], s[10:11]
	s_and_saveexec_b64 s[14:15], s[22:23]
	s_cbranch_execnz .LBB267_174
.LBB267_165:
	s_or_b64 exec, exec, s[14:15]
	s_and_b64 s[14:15], s[8:9], s[10:11]
	s_and_saveexec_b64 s[10:11], s[14:15]
	s_cbranch_execnz .LBB267_178
	s_branch .LBB267_182
.LBB267_166:
	s_and_b64 vcc, exec, s[0:1]
	s_cbranch_vccnz .LBB267_168
; %bb.167:
	v_lshl_add_u64 v[32:33], v[40:41], 1, v[30:31]
	global_load_ushort v32, v[32:33], off
	s_waitcnt vmcnt(0)
	v_mul_f16_e32 v32, v52, v32
	v_cvt_f32_f16_e32 v32, v32
	s_branch .LBB267_169
.LBB267_168:
	v_mov_b32_e32 v32, 0
.LBB267_169:
	v_pk_add_f16 v33, v8, v24
	v_max_f16_e32 v34, v93, v93
	v_pk_add_f16 v36, v9, v25
	v_min_f16_e32 v34, v34, v33
	v_lshrrev_b32_e32 v35, 16, v93
	v_lshrrev_b32_e32 v33, 16, v33
	;; [unrolled: 1-line block ×3, first 2 shown]
	v_min3_f16 v33, v35, v33, v37
	v_min3_f16 v33, v34, v36, v33
	v_cvt_f32_f16_e32 v33, v33
	v_max_f32_e32 v32, v32, v32
	v_min_f32_e32 v32, v32, v33
	v_cvt_f16_f32_e32 v34, v32
	v_lshl_add_u64 v[32:33], v[40:41], 1, v[28:29]
	global_store_short v[32:33], v34, off
	s_or_b64 exec, exec, s[14:15]
	s_and_b64 s[22:23], s[4:5], s[10:11]
	s_and_saveexec_b64 s[14:15], s[22:23]
	s_cbranch_execz .LBB267_164
.LBB267_170:
	s_and_b64 vcc, exec, s[0:1]
	s_cbranch_vccnz .LBB267_172
; %bb.171:
	v_lshl_add_u64 v[32:33], v[42:43], 1, v[30:31]
	global_load_ushort v32, v[32:33], off
	s_waitcnt vmcnt(0)
	v_mul_f16_e32 v32, v52, v32
	v_cvt_f32_f16_e32 v32, v32
	s_branch .LBB267_173
.LBB267_172:
	v_mov_b32_e32 v32, 0
.LBB267_173:
	v_pk_add_f16 v33, v10, v24
	v_max_f16_e32 v34, v92, v92
	v_pk_add_f16 v36, v11, v25
	v_min_f16_e32 v34, v34, v33
	v_lshrrev_b32_e32 v35, 16, v92
	v_lshrrev_b32_e32 v33, 16, v33
	v_lshrrev_b32_e32 v37, 16, v36
	v_min3_f16 v33, v35, v33, v37
	v_min3_f16 v33, v34, v36, v33
	v_cvt_f32_f16_e32 v33, v33
	v_max_f32_e32 v32, v32, v32
	v_min_f32_e32 v32, v32, v33
	v_cvt_f16_f32_e32 v34, v32
	v_lshl_add_u64 v[32:33], v[42:43], 1, v[28:29]
	global_store_short v[32:33], v34, off
	s_or_b64 exec, exec, s[14:15]
	s_and_b64 s[22:23], s[6:7], s[10:11]
	s_and_saveexec_b64 s[14:15], s[22:23]
	s_cbranch_execz .LBB267_165
.LBB267_174:
	s_and_b64 vcc, exec, s[0:1]
	s_cbranch_vccnz .LBB267_176
; %bb.175:
	v_lshl_add_u64 v[32:33], v[44:45], 1, v[30:31]
	global_load_ushort v32, v[32:33], off
	s_waitcnt vmcnt(0)
	v_mul_f16_e32 v32, v52, v32
	v_cvt_f32_f16_e32 v32, v32
	s_branch .LBB267_177
.LBB267_176:
	v_mov_b32_e32 v32, 0
.LBB267_177:
	v_pk_add_f16 v33, v0, v24
	v_max_f16_e32 v34, v91, v91
	v_pk_add_f16 v36, v1, v25
	v_min_f16_e32 v34, v34, v33
	v_lshrrev_b32_e32 v35, 16, v91
	v_lshrrev_b32_e32 v33, 16, v33
	;; [unrolled: 1-line block ×3, first 2 shown]
	v_min3_f16 v33, v35, v33, v37
	v_min3_f16 v33, v34, v36, v33
	v_cvt_f32_f16_e32 v33, v33
	v_max_f32_e32 v32, v32, v32
	v_min_f32_e32 v32, v32, v33
	v_cvt_f16_f32_e32 v34, v32
	v_lshl_add_u64 v[32:33], v[44:45], 1, v[28:29]
	global_store_short v[32:33], v34, off
	s_or_b64 exec, exec, s[14:15]
	s_and_b64 s[14:15], s[8:9], s[10:11]
	s_and_saveexec_b64 s[10:11], s[14:15]
	s_cbranch_execz .LBB267_182
.LBB267_178:
	s_and_b64 vcc, exec, s[0:1]
	s_cbranch_vccnz .LBB267_180
; %bb.179:
	v_lshl_add_u64 v[30:31], v[46:47], 1, v[30:31]
	global_load_ushort v30, v[30:31], off
	s_waitcnt vmcnt(0)
	v_mul_f16_e32 v30, v52, v30
	v_cvt_f32_f16_e32 v30, v30
	s_branch .LBB267_181
.LBB267_180:
	v_mov_b32_e32 v30, 0
.LBB267_181:
	v_pk_add_f16 v24, v2, v24
	v_max_f16_e32 v31, v90, v90
	v_pk_add_f16 v25, v3, v25
	v_min_f16_e32 v31, v31, v24
	v_lshrrev_b32_e32 v32, 16, v90
	v_lshrrev_b32_e32 v24, 16, v24
	;; [unrolled: 1-line block ×3, first 2 shown]
	v_min3_f16 v24, v32, v24, v33
	v_min3_f16 v24, v31, v25, v24
	v_cvt_f32_f16_e32 v24, v24
	v_max_f32_e32 v25, v30, v30
	v_min_f32_e32 v24, v25, v24
	v_cvt_f16_f32_e32 v30, v24
	v_lshl_add_u64 v[24:25], v[46:47], 1, v[28:29]
	global_store_short v[24:25], v30, off
.LBB267_182:
	s_or_b64 exec, exec, s[10:11]
	v_add_u32_e32 v30, 56, v85
	v_mad_i64_i32 v[24:25], s[14:15], v30, s19, 0
	v_cmp_gt_i32_e64 s[10:11], s17, v30
	v_lshl_add_u64 v[28:29], v[24:25], 1, s[20:21]
	v_mad_i64_i32 v[24:25], s[14:15], v30, s18, 0
	v_lshl_add_u64 v[24:25], v[24:25], 1, s[12:13]
	s_and_b64 s[22:23], s[2:3], s[10:11]
	s_and_saveexec_b64 s[14:15], s[22:23]
	s_cbranch_execnz .LBB267_186
; %bb.183:
	s_or_b64 exec, exec, s[14:15]
	s_and_b64 s[22:23], s[4:5], s[10:11]
	s_and_saveexec_b64 s[14:15], s[22:23]
	s_cbranch_execnz .LBB267_190
.LBB267_184:
	s_or_b64 exec, exec, s[14:15]
	s_and_b64 s[22:23], s[6:7], s[10:11]
	s_and_saveexec_b64 s[14:15], s[22:23]
	s_cbranch_execnz .LBB267_194
.LBB267_185:
	s_or_b64 exec, exec, s[14:15]
	s_and_b64 s[14:15], s[8:9], s[10:11]
	s_and_saveexec_b64 s[10:11], s[14:15]
	s_cbranch_execnz .LBB267_198
	s_branch .LBB267_202
.LBB267_186:
	s_and_b64 vcc, exec, s[0:1]
	s_cbranch_vccnz .LBB267_188
; %bb.187:
	v_lshl_add_u64 v[30:31], v[40:41], 1, v[28:29]
	global_load_ushort v30, v[30:31], off
	s_waitcnt vmcnt(0)
	v_mul_f16_e32 v30, v52, v30
	v_cvt_f32_f16_e32 v30, v30
	s_branch .LBB267_189
.LBB267_188:
	v_mov_b32_e32 v30, 0
.LBB267_189:
	v_pk_add_f16 v31, v8, v26
	v_max_f16_e32 v32, v89, v89
	v_pk_add_f16 v34, v9, v27
	v_min_f16_e32 v32, v32, v31
	v_lshrrev_b32_e32 v33, 16, v89
	v_lshrrev_b32_e32 v31, 16, v31
	;; [unrolled: 1-line block ×3, first 2 shown]
	v_min3_f16 v31, v33, v31, v35
	v_min3_f16 v31, v32, v34, v31
	v_cvt_f32_f16_e32 v31, v31
	v_max_f32_e32 v30, v30, v30
	v_min_f32_e32 v30, v30, v31
	v_cvt_f16_f32_e32 v32, v30
	v_lshl_add_u64 v[30:31], v[40:41], 1, v[24:25]
	global_store_short v[30:31], v32, off
	s_or_b64 exec, exec, s[14:15]
	s_and_b64 s[22:23], s[4:5], s[10:11]
	s_and_saveexec_b64 s[14:15], s[22:23]
	s_cbranch_execz .LBB267_184
.LBB267_190:
	s_and_b64 vcc, exec, s[0:1]
	s_cbranch_vccnz .LBB267_192
; %bb.191:
	v_lshl_add_u64 v[30:31], v[42:43], 1, v[28:29]
	global_load_ushort v30, v[30:31], off
	s_waitcnt vmcnt(0)
	v_mul_f16_e32 v30, v52, v30
	v_cvt_f32_f16_e32 v30, v30
	s_branch .LBB267_193
.LBB267_192:
	v_mov_b32_e32 v30, 0
.LBB267_193:
	v_pk_add_f16 v31, v10, v26
	v_max_f16_e32 v32, v88, v88
	v_pk_add_f16 v34, v11, v27
	v_min_f16_e32 v32, v32, v31
	v_lshrrev_b32_e32 v33, 16, v88
	v_lshrrev_b32_e32 v31, 16, v31
	;; [unrolled: 1-line block ×3, first 2 shown]
	v_min3_f16 v31, v33, v31, v35
	v_min3_f16 v31, v32, v34, v31
	v_cvt_f32_f16_e32 v31, v31
	v_max_f32_e32 v30, v30, v30
	v_min_f32_e32 v30, v30, v31
	v_cvt_f16_f32_e32 v32, v30
	v_lshl_add_u64 v[30:31], v[42:43], 1, v[24:25]
	global_store_short v[30:31], v32, off
	s_or_b64 exec, exec, s[14:15]
	s_and_b64 s[22:23], s[6:7], s[10:11]
	s_and_saveexec_b64 s[14:15], s[22:23]
	s_cbranch_execz .LBB267_185
.LBB267_194:
	s_and_b64 vcc, exec, s[0:1]
	s_cbranch_vccnz .LBB267_196
; %bb.195:
	v_lshl_add_u64 v[30:31], v[44:45], 1, v[28:29]
	global_load_ushort v30, v[30:31], off
	s_waitcnt vmcnt(0)
	v_mul_f16_e32 v30, v52, v30
	v_cvt_f32_f16_e32 v30, v30
	s_branch .LBB267_197
.LBB267_196:
	v_mov_b32_e32 v30, 0
.LBB267_197:
	v_pk_add_f16 v31, v0, v26
	v_max_f16_e32 v32, v87, v87
	v_pk_add_f16 v34, v1, v27
	v_min_f16_e32 v32, v32, v31
	v_lshrrev_b32_e32 v33, 16, v87
	v_lshrrev_b32_e32 v31, 16, v31
	;; [unrolled: 1-line block ×3, first 2 shown]
	v_min3_f16 v31, v33, v31, v35
	v_min3_f16 v31, v32, v34, v31
	v_cvt_f32_f16_e32 v31, v31
	v_max_f32_e32 v30, v30, v30
	v_min_f32_e32 v30, v30, v31
	v_cvt_f16_f32_e32 v32, v30
	v_lshl_add_u64 v[30:31], v[44:45], 1, v[24:25]
	global_store_short v[30:31], v32, off
	s_or_b64 exec, exec, s[14:15]
	s_and_b64 s[14:15], s[8:9], s[10:11]
	s_and_saveexec_b64 s[10:11], s[14:15]
	s_cbranch_execz .LBB267_202
.LBB267_198:
	s_and_b64 vcc, exec, s[0:1]
	s_cbranch_vccnz .LBB267_200
; %bb.199:
	v_lshl_add_u64 v[28:29], v[46:47], 1, v[28:29]
	global_load_ushort v28, v[28:29], off
	s_waitcnt vmcnt(0)
	v_mul_f16_e32 v28, v52, v28
	v_cvt_f32_f16_e32 v28, v28
	s_branch .LBB267_201
.LBB267_200:
	v_mov_b32_e32 v28, 0
.LBB267_201:
	v_pk_add_f16 v26, v2, v26
	v_max_f16_e32 v29, v86, v86
	v_pk_add_f16 v27, v3, v27
	v_min_f16_e32 v29, v29, v26
	v_lshrrev_b32_e32 v30, 16, v86
	v_lshrrev_b32_e32 v26, 16, v26
	;; [unrolled: 1-line block ×3, first 2 shown]
	v_min3_f16 v26, v30, v26, v31
	v_min3_f16 v26, v29, v27, v26
	v_cvt_f32_f16_e32 v26, v26
	v_max_f32_e32 v27, v28, v28
	v_lshl_add_u64 v[24:25], v[46:47], 1, v[24:25]
	v_min_f32_e32 v26, v27, v26
	v_cvt_f16_f32_e32 v26, v26
	global_store_short v[24:25], v26, off
.LBB267_202:
	s_or_b64 exec, exec, s[10:11]
	v_add_u32_e32 v28, 64, v85
	v_mad_i64_i32 v[24:25], s[14:15], v28, s19, 0
	v_cmp_gt_i32_e64 s[10:11], s17, v28
	v_lshl_add_u64 v[26:27], v[24:25], 1, s[20:21]
	v_mad_i64_i32 v[24:25], s[14:15], v28, s18, 0
	v_lshl_add_u64 v[24:25], v[24:25], 1, s[12:13]
	s_and_b64 s[22:23], s[2:3], s[10:11]
	s_and_saveexec_b64 s[14:15], s[22:23]
	s_cbranch_execnz .LBB267_206
; %bb.203:
	s_or_b64 exec, exec, s[14:15]
	s_and_b64 s[22:23], s[4:5], s[10:11]
	s_and_saveexec_b64 s[14:15], s[22:23]
	s_cbranch_execnz .LBB267_210
.LBB267_204:
	s_or_b64 exec, exec, s[14:15]
	s_and_b64 s[22:23], s[6:7], s[10:11]
	s_and_saveexec_b64 s[14:15], s[22:23]
	s_cbranch_execnz .LBB267_214
.LBB267_205:
	s_or_b64 exec, exec, s[14:15]
	s_and_b64 s[14:15], s[8:9], s[10:11]
	s_and_saveexec_b64 s[10:11], s[14:15]
	s_cbranch_execnz .LBB267_218
	s_branch .LBB267_222
.LBB267_206:
	s_and_b64 vcc, exec, s[0:1]
	s_cbranch_vccnz .LBB267_208
; %bb.207:
	v_lshl_add_u64 v[28:29], v[40:41], 1, v[26:27]
	global_load_ushort v28, v[28:29], off
	s_waitcnt vmcnt(0)
	v_mul_f16_e32 v28, v52, v28
	v_cvt_f32_f16_e32 v28, v28
	s_branch .LBB267_209
.LBB267_208:
	v_mov_b32_e32 v28, 0
.LBB267_209:
	v_pk_add_f16 v29, v8, v20
	v_max_f16_e32 v30, v84, v84
	v_pk_add_f16 v32, v9, v21
	v_min_f16_e32 v30, v30, v29
	v_lshrrev_b32_e32 v31, 16, v84
	v_lshrrev_b32_e32 v29, 16, v29
	v_lshrrev_b32_e32 v33, 16, v32
	v_min3_f16 v29, v31, v29, v33
	v_min3_f16 v29, v30, v32, v29
	v_cvt_f32_f16_e32 v29, v29
	v_max_f32_e32 v28, v28, v28
	v_min_f32_e32 v28, v28, v29
	v_cvt_f16_f32_e32 v30, v28
	v_lshl_add_u64 v[28:29], v[40:41], 1, v[24:25]
	global_store_short v[28:29], v30, off
	s_or_b64 exec, exec, s[14:15]
	s_and_b64 s[22:23], s[4:5], s[10:11]
	s_and_saveexec_b64 s[14:15], s[22:23]
	s_cbranch_execz .LBB267_204
.LBB267_210:
	s_and_b64 vcc, exec, s[0:1]
	s_cbranch_vccnz .LBB267_212
; %bb.211:
	v_lshl_add_u64 v[28:29], v[42:43], 1, v[26:27]
	global_load_ushort v28, v[28:29], off
	s_waitcnt vmcnt(0)
	v_mul_f16_e32 v28, v52, v28
	v_cvt_f32_f16_e32 v28, v28
	s_branch .LBB267_213
.LBB267_212:
	v_mov_b32_e32 v28, 0
.LBB267_213:
	v_pk_add_f16 v29, v10, v20
	v_max_f16_e32 v30, v83, v83
	v_pk_add_f16 v32, v11, v21
	v_min_f16_e32 v30, v30, v29
	v_lshrrev_b32_e32 v31, 16, v83
	v_lshrrev_b32_e32 v29, 16, v29
	;; [unrolled: 1-line block ×3, first 2 shown]
	v_min3_f16 v29, v31, v29, v33
	v_min3_f16 v29, v30, v32, v29
	v_cvt_f32_f16_e32 v29, v29
	v_max_f32_e32 v28, v28, v28
	v_min_f32_e32 v28, v28, v29
	v_cvt_f16_f32_e32 v30, v28
	v_lshl_add_u64 v[28:29], v[42:43], 1, v[24:25]
	global_store_short v[28:29], v30, off
	s_or_b64 exec, exec, s[14:15]
	s_and_b64 s[22:23], s[6:7], s[10:11]
	s_and_saveexec_b64 s[14:15], s[22:23]
	s_cbranch_execz .LBB267_205
.LBB267_214:
	s_and_b64 vcc, exec, s[0:1]
	s_cbranch_vccnz .LBB267_216
; %bb.215:
	v_lshl_add_u64 v[28:29], v[44:45], 1, v[26:27]
	global_load_ushort v28, v[28:29], off
	s_waitcnt vmcnt(0)
	v_mul_f16_e32 v28, v52, v28
	v_cvt_f32_f16_e32 v28, v28
	s_branch .LBB267_217
.LBB267_216:
	v_mov_b32_e32 v28, 0
.LBB267_217:
	v_pk_add_f16 v29, v0, v20
	v_max_f16_e32 v30, v82, v82
	v_pk_add_f16 v32, v1, v21
	v_min_f16_e32 v30, v30, v29
	v_lshrrev_b32_e32 v31, 16, v82
	v_lshrrev_b32_e32 v29, 16, v29
	;; [unrolled: 1-line block ×3, first 2 shown]
	v_min3_f16 v29, v31, v29, v33
	v_min3_f16 v29, v30, v32, v29
	v_cvt_f32_f16_e32 v29, v29
	v_max_f32_e32 v28, v28, v28
	v_min_f32_e32 v28, v28, v29
	v_cvt_f16_f32_e32 v30, v28
	v_lshl_add_u64 v[28:29], v[44:45], 1, v[24:25]
	global_store_short v[28:29], v30, off
	s_or_b64 exec, exec, s[14:15]
	s_and_b64 s[14:15], s[8:9], s[10:11]
	s_and_saveexec_b64 s[10:11], s[14:15]
	s_cbranch_execz .LBB267_222
.LBB267_218:
	s_and_b64 vcc, exec, s[0:1]
	s_cbranch_vccnz .LBB267_220
; %bb.219:
	v_lshl_add_u64 v[26:27], v[46:47], 1, v[26:27]
	global_load_ushort v26, v[26:27], off
	s_waitcnt vmcnt(0)
	v_mul_f16_e32 v26, v52, v26
	v_cvt_f32_f16_e32 v26, v26
	s_branch .LBB267_221
.LBB267_220:
	v_mov_b32_e32 v26, 0
.LBB267_221:
	v_pk_add_f16 v20, v2, v20
	v_max_f16_e32 v27, v81, v81
	v_pk_add_f16 v21, v3, v21
	v_min_f16_e32 v27, v27, v20
	v_lshrrev_b32_e32 v28, 16, v81
	v_lshrrev_b32_e32 v20, 16, v20
	;; [unrolled: 1-line block ×3, first 2 shown]
	v_min3_f16 v20, v28, v20, v29
	v_min3_f16 v20, v27, v21, v20
	v_cvt_f32_f16_e32 v20, v20
	v_max_f32_e32 v21, v26, v26
	v_min_f32_e32 v20, v21, v20
	v_cvt_f16_f32_e32 v26, v20
	v_lshl_add_u64 v[20:21], v[46:47], 1, v[24:25]
	global_store_short v[20:21], v26, off
.LBB267_222:
	s_or_b64 exec, exec, s[10:11]
	v_add_u32_e32 v26, 0x48, v85
	v_mad_i64_i32 v[20:21], s[14:15], v26, s19, 0
	v_cmp_gt_i32_e64 s[10:11], s17, v26
	v_lshl_add_u64 v[24:25], v[20:21], 1, s[20:21]
	v_mad_i64_i32 v[20:21], s[14:15], v26, s18, 0
	v_lshl_add_u64 v[20:21], v[20:21], 1, s[12:13]
	s_and_b64 s[22:23], s[2:3], s[10:11]
	s_and_saveexec_b64 s[14:15], s[22:23]
	s_cbranch_execnz .LBB267_226
; %bb.223:
	s_or_b64 exec, exec, s[14:15]
	s_and_b64 s[22:23], s[4:5], s[10:11]
	s_and_saveexec_b64 s[14:15], s[22:23]
	s_cbranch_execnz .LBB267_230
.LBB267_224:
	s_or_b64 exec, exec, s[14:15]
	s_and_b64 s[22:23], s[6:7], s[10:11]
	s_and_saveexec_b64 s[14:15], s[22:23]
	s_cbranch_execnz .LBB267_234
.LBB267_225:
	s_or_b64 exec, exec, s[14:15]
	s_and_b64 s[14:15], s[8:9], s[10:11]
	s_and_saveexec_b64 s[10:11], s[14:15]
	s_cbranch_execnz .LBB267_238
	s_branch .LBB267_242
.LBB267_226:
	s_and_b64 vcc, exec, s[0:1]
	s_cbranch_vccnz .LBB267_228
; %bb.227:
	v_lshl_add_u64 v[26:27], v[40:41], 1, v[24:25]
	global_load_ushort v26, v[26:27], off
	s_waitcnt vmcnt(0)
	v_mul_f16_e32 v26, v52, v26
	v_cvt_f32_f16_e32 v26, v26
	s_branch .LBB267_229
.LBB267_228:
	v_mov_b32_e32 v26, 0
.LBB267_229:
	v_pk_add_f16 v27, v8, v22
	v_max_f16_e32 v28, v80, v80
	v_pk_add_f16 v30, v9, v23
	v_min_f16_e32 v28, v28, v27
	v_lshrrev_b32_e32 v29, 16, v80
	v_lshrrev_b32_e32 v27, 16, v27
	;; [unrolled: 1-line block ×3, first 2 shown]
	v_min3_f16 v27, v29, v27, v31
	v_min3_f16 v27, v28, v30, v27
	v_cvt_f32_f16_e32 v27, v27
	v_max_f32_e32 v26, v26, v26
	v_min_f32_e32 v26, v26, v27
	v_cvt_f16_f32_e32 v28, v26
	v_lshl_add_u64 v[26:27], v[40:41], 1, v[20:21]
	global_store_short v[26:27], v28, off
	s_or_b64 exec, exec, s[14:15]
	s_and_b64 s[22:23], s[4:5], s[10:11]
	s_and_saveexec_b64 s[14:15], s[22:23]
	s_cbranch_execz .LBB267_224
.LBB267_230:
	s_and_b64 vcc, exec, s[0:1]
	s_cbranch_vccnz .LBB267_232
; %bb.231:
	v_lshl_add_u64 v[26:27], v[42:43], 1, v[24:25]
	global_load_ushort v26, v[26:27], off
	s_waitcnt vmcnt(0)
	v_mul_f16_e32 v26, v52, v26
	v_cvt_f32_f16_e32 v26, v26
	s_branch .LBB267_233
.LBB267_232:
	v_mov_b32_e32 v26, 0
.LBB267_233:
	v_pk_add_f16 v27, v10, v22
	v_max_f16_e32 v28, v79, v79
	v_pk_add_f16 v30, v11, v23
	v_min_f16_e32 v28, v28, v27
	v_lshrrev_b32_e32 v29, 16, v79
	v_lshrrev_b32_e32 v27, 16, v27
	;; [unrolled: 1-line block ×3, first 2 shown]
	v_min3_f16 v27, v29, v27, v31
	v_min3_f16 v27, v28, v30, v27
	v_cvt_f32_f16_e32 v27, v27
	v_max_f32_e32 v26, v26, v26
	v_min_f32_e32 v26, v26, v27
	v_cvt_f16_f32_e32 v28, v26
	v_lshl_add_u64 v[26:27], v[42:43], 1, v[20:21]
	global_store_short v[26:27], v28, off
	s_or_b64 exec, exec, s[14:15]
	s_and_b64 s[22:23], s[6:7], s[10:11]
	s_and_saveexec_b64 s[14:15], s[22:23]
	s_cbranch_execz .LBB267_225
.LBB267_234:
	s_and_b64 vcc, exec, s[0:1]
	s_cbranch_vccnz .LBB267_236
; %bb.235:
	v_lshl_add_u64 v[26:27], v[44:45], 1, v[24:25]
	global_load_ushort v26, v[26:27], off
	s_waitcnt vmcnt(0)
	v_mul_f16_e32 v26, v52, v26
	v_cvt_f32_f16_e32 v26, v26
	s_branch .LBB267_237
.LBB267_236:
	v_mov_b32_e32 v26, 0
.LBB267_237:
	v_pk_add_f16 v27, v0, v22
	v_max_f16_e32 v28, v78, v78
	v_pk_add_f16 v30, v1, v23
	v_min_f16_e32 v28, v28, v27
	v_lshrrev_b32_e32 v29, 16, v78
	v_lshrrev_b32_e32 v27, 16, v27
	;; [unrolled: 1-line block ×3, first 2 shown]
	v_min3_f16 v27, v29, v27, v31
	v_min3_f16 v27, v28, v30, v27
	v_cvt_f32_f16_e32 v27, v27
	v_max_f32_e32 v26, v26, v26
	v_min_f32_e32 v26, v26, v27
	v_cvt_f16_f32_e32 v28, v26
	v_lshl_add_u64 v[26:27], v[44:45], 1, v[20:21]
	global_store_short v[26:27], v28, off
	s_or_b64 exec, exec, s[14:15]
	s_and_b64 s[14:15], s[8:9], s[10:11]
	s_and_saveexec_b64 s[10:11], s[14:15]
	s_cbranch_execz .LBB267_242
.LBB267_238:
	s_and_b64 vcc, exec, s[0:1]
	s_cbranch_vccnz .LBB267_240
; %bb.239:
	v_lshl_add_u64 v[24:25], v[46:47], 1, v[24:25]
	global_load_ushort v24, v[24:25], off
	s_waitcnt vmcnt(0)
	v_mul_f16_e32 v24, v52, v24
	v_cvt_f32_f16_e32 v24, v24
	s_branch .LBB267_241
.LBB267_240:
	v_mov_b32_e32 v24, 0
.LBB267_241:
	v_pk_add_f16 v22, v2, v22
	v_max_f16_e32 v25, v77, v77
	v_pk_add_f16 v23, v3, v23
	v_min_f16_e32 v25, v25, v22
	v_lshrrev_b32_e32 v26, 16, v77
	v_lshrrev_b32_e32 v22, 16, v22
	v_lshrrev_b32_e32 v27, 16, v23
	v_min3_f16 v22, v26, v22, v27
	v_min3_f16 v22, v25, v23, v22
	v_cvt_f32_f16_e32 v22, v22
	v_max_f32_e32 v23, v24, v24
	v_lshl_add_u64 v[20:21], v[46:47], 1, v[20:21]
	v_min_f32_e32 v22, v23, v22
	v_cvt_f16_f32_e32 v22, v22
	global_store_short v[20:21], v22, off
.LBB267_242:
	s_or_b64 exec, exec, s[10:11]
	v_add_u32_e32 v24, 0x50, v85
	v_mad_i64_i32 v[20:21], s[14:15], v24, s19, 0
	v_cmp_gt_i32_e64 s[10:11], s17, v24
	v_lshl_add_u64 v[22:23], v[20:21], 1, s[20:21]
	v_mad_i64_i32 v[20:21], s[14:15], v24, s18, 0
	v_lshl_add_u64 v[20:21], v[20:21], 1, s[12:13]
	s_and_b64 s[22:23], s[2:3], s[10:11]
	s_and_saveexec_b64 s[14:15], s[22:23]
	s_cbranch_execnz .LBB267_246
; %bb.243:
	s_or_b64 exec, exec, s[14:15]
	s_and_b64 s[22:23], s[4:5], s[10:11]
	s_and_saveexec_b64 s[14:15], s[22:23]
	s_cbranch_execnz .LBB267_250
.LBB267_244:
	s_or_b64 exec, exec, s[14:15]
	s_and_b64 s[22:23], s[6:7], s[10:11]
	s_and_saveexec_b64 s[14:15], s[22:23]
	s_cbranch_execnz .LBB267_254
.LBB267_245:
	s_or_b64 exec, exec, s[14:15]
	s_and_b64 s[14:15], s[8:9], s[10:11]
	s_and_saveexec_b64 s[10:11], s[14:15]
	s_cbranch_execnz .LBB267_258
	s_branch .LBB267_262
.LBB267_246:
	s_and_b64 vcc, exec, s[0:1]
	s_cbranch_vccnz .LBB267_248
; %bb.247:
	v_lshl_add_u64 v[24:25], v[40:41], 1, v[22:23]
	global_load_ushort v24, v[24:25], off
	s_waitcnt vmcnt(0)
	v_mul_f16_e32 v24, v52, v24
	v_cvt_f32_f16_e32 v24, v24
	s_branch .LBB267_249
.LBB267_248:
	v_mov_b32_e32 v24, 0
.LBB267_249:
	v_pk_add_f16 v25, v8, v16
	v_max_f16_e32 v26, v76, v76
	v_pk_add_f16 v28, v9, v17
	v_min_f16_e32 v26, v26, v25
	v_lshrrev_b32_e32 v27, 16, v76
	v_lshrrev_b32_e32 v25, 16, v25
	;; [unrolled: 1-line block ×3, first 2 shown]
	v_min3_f16 v25, v27, v25, v29
	v_min3_f16 v25, v26, v28, v25
	v_cvt_f32_f16_e32 v25, v25
	v_max_f32_e32 v24, v24, v24
	v_min_f32_e32 v24, v24, v25
	v_cvt_f16_f32_e32 v26, v24
	v_lshl_add_u64 v[24:25], v[40:41], 1, v[20:21]
	global_store_short v[24:25], v26, off
	s_or_b64 exec, exec, s[14:15]
	s_and_b64 s[22:23], s[4:5], s[10:11]
	s_and_saveexec_b64 s[14:15], s[22:23]
	s_cbranch_execz .LBB267_244
.LBB267_250:
	s_and_b64 vcc, exec, s[0:1]
	s_cbranch_vccnz .LBB267_252
; %bb.251:
	v_lshl_add_u64 v[24:25], v[42:43], 1, v[22:23]
	global_load_ushort v24, v[24:25], off
	s_waitcnt vmcnt(0)
	v_mul_f16_e32 v24, v52, v24
	v_cvt_f32_f16_e32 v24, v24
	s_branch .LBB267_253
.LBB267_252:
	v_mov_b32_e32 v24, 0
.LBB267_253:
	v_pk_add_f16 v25, v10, v16
	v_max_f16_e32 v26, v75, v75
	v_pk_add_f16 v28, v11, v17
	v_min_f16_e32 v26, v26, v25
	v_lshrrev_b32_e32 v27, 16, v75
	v_lshrrev_b32_e32 v25, 16, v25
	;; [unrolled: 1-line block ×3, first 2 shown]
	v_min3_f16 v25, v27, v25, v29
	v_min3_f16 v25, v26, v28, v25
	v_cvt_f32_f16_e32 v25, v25
	v_max_f32_e32 v24, v24, v24
	v_min_f32_e32 v24, v24, v25
	v_cvt_f16_f32_e32 v26, v24
	v_lshl_add_u64 v[24:25], v[42:43], 1, v[20:21]
	global_store_short v[24:25], v26, off
	s_or_b64 exec, exec, s[14:15]
	s_and_b64 s[22:23], s[6:7], s[10:11]
	s_and_saveexec_b64 s[14:15], s[22:23]
	s_cbranch_execz .LBB267_245
.LBB267_254:
	s_and_b64 vcc, exec, s[0:1]
	s_cbranch_vccnz .LBB267_256
; %bb.255:
	v_lshl_add_u64 v[24:25], v[44:45], 1, v[22:23]
	global_load_ushort v24, v[24:25], off
	s_waitcnt vmcnt(0)
	v_mul_f16_e32 v24, v52, v24
	v_cvt_f32_f16_e32 v24, v24
	s_branch .LBB267_257
.LBB267_256:
	v_mov_b32_e32 v24, 0
.LBB267_257:
	v_pk_add_f16 v25, v0, v16
	v_max_f16_e32 v26, v74, v74
	v_pk_add_f16 v28, v1, v17
	v_min_f16_e32 v26, v26, v25
	v_lshrrev_b32_e32 v27, 16, v74
	v_lshrrev_b32_e32 v25, 16, v25
	;; [unrolled: 1-line block ×3, first 2 shown]
	v_min3_f16 v25, v27, v25, v29
	v_min3_f16 v25, v26, v28, v25
	v_cvt_f32_f16_e32 v25, v25
	v_max_f32_e32 v24, v24, v24
	v_min_f32_e32 v24, v24, v25
	v_cvt_f16_f32_e32 v26, v24
	v_lshl_add_u64 v[24:25], v[44:45], 1, v[20:21]
	global_store_short v[24:25], v26, off
	s_or_b64 exec, exec, s[14:15]
	s_and_b64 s[14:15], s[8:9], s[10:11]
	s_and_saveexec_b64 s[10:11], s[14:15]
	s_cbranch_execz .LBB267_262
.LBB267_258:
	s_and_b64 vcc, exec, s[0:1]
	s_cbranch_vccnz .LBB267_260
; %bb.259:
	v_lshl_add_u64 v[22:23], v[46:47], 1, v[22:23]
	global_load_ushort v22, v[22:23], off
	s_waitcnt vmcnt(0)
	v_mul_f16_e32 v22, v52, v22
	v_cvt_f32_f16_e32 v22, v22
	s_branch .LBB267_261
.LBB267_260:
	v_mov_b32_e32 v22, 0
.LBB267_261:
	v_pk_add_f16 v16, v2, v16
	v_max_f16_e32 v23, v73, v73
	v_pk_add_f16 v17, v3, v17
	v_min_f16_e32 v23, v23, v16
	v_lshrrev_b32_e32 v24, 16, v73
	v_lshrrev_b32_e32 v16, 16, v16
	;; [unrolled: 1-line block ×3, first 2 shown]
	v_min3_f16 v16, v24, v16, v25
	v_min3_f16 v16, v23, v17, v16
	v_cvt_f32_f16_e32 v16, v16
	v_max_f32_e32 v17, v22, v22
	v_min_f32_e32 v16, v17, v16
	v_cvt_f16_f32_e32 v22, v16
	v_lshl_add_u64 v[16:17], v[46:47], 1, v[20:21]
	global_store_short v[16:17], v22, off
.LBB267_262:
	s_or_b64 exec, exec, s[10:11]
	v_add_u32_e32 v22, 0x58, v85
	v_mad_i64_i32 v[16:17], s[14:15], v22, s19, 0
	v_cmp_gt_i32_e64 s[10:11], s17, v22
	v_lshl_add_u64 v[20:21], v[16:17], 1, s[20:21]
	v_mad_i64_i32 v[16:17], s[14:15], v22, s18, 0
	v_lshl_add_u64 v[16:17], v[16:17], 1, s[12:13]
	s_and_b64 s[22:23], s[2:3], s[10:11]
	s_and_saveexec_b64 s[14:15], s[22:23]
	s_cbranch_execnz .LBB267_266
; %bb.263:
	s_or_b64 exec, exec, s[14:15]
	s_and_b64 s[22:23], s[4:5], s[10:11]
	s_and_saveexec_b64 s[14:15], s[22:23]
	s_cbranch_execnz .LBB267_270
.LBB267_264:
	s_or_b64 exec, exec, s[14:15]
	s_and_b64 s[22:23], s[6:7], s[10:11]
	s_and_saveexec_b64 s[14:15], s[22:23]
	s_cbranch_execnz .LBB267_274
.LBB267_265:
	s_or_b64 exec, exec, s[14:15]
	s_and_b64 s[14:15], s[8:9], s[10:11]
	s_and_saveexec_b64 s[10:11], s[14:15]
	s_cbranch_execnz .LBB267_278
	s_branch .LBB267_282
.LBB267_266:
	s_and_b64 vcc, exec, s[0:1]
	s_cbranch_vccnz .LBB267_268
; %bb.267:
	v_lshl_add_u64 v[22:23], v[40:41], 1, v[20:21]
	global_load_ushort v22, v[22:23], off
	s_waitcnt vmcnt(0)
	v_mul_f16_e32 v22, v52, v22
	v_cvt_f32_f16_e32 v22, v22
	s_branch .LBB267_269
.LBB267_268:
	v_mov_b32_e32 v22, 0
.LBB267_269:
	v_pk_add_f16 v23, v8, v18
	v_max_f16_e32 v24, v72, v72
	v_pk_add_f16 v26, v9, v19
	v_min_f16_e32 v24, v24, v23
	v_lshrrev_b32_e32 v25, 16, v72
	v_lshrrev_b32_e32 v23, 16, v23
	;; [unrolled: 1-line block ×3, first 2 shown]
	v_min3_f16 v23, v25, v23, v27
	v_min3_f16 v23, v24, v26, v23
	v_cvt_f32_f16_e32 v23, v23
	v_max_f32_e32 v22, v22, v22
	v_min_f32_e32 v22, v22, v23
	v_cvt_f16_f32_e32 v24, v22
	v_lshl_add_u64 v[22:23], v[40:41], 1, v[16:17]
	global_store_short v[22:23], v24, off
	s_or_b64 exec, exec, s[14:15]
	s_and_b64 s[22:23], s[4:5], s[10:11]
	s_and_saveexec_b64 s[14:15], s[22:23]
	s_cbranch_execz .LBB267_264
.LBB267_270:
	s_and_b64 vcc, exec, s[0:1]
	s_cbranch_vccnz .LBB267_272
; %bb.271:
	v_lshl_add_u64 v[22:23], v[42:43], 1, v[20:21]
	global_load_ushort v22, v[22:23], off
	s_waitcnt vmcnt(0)
	v_mul_f16_e32 v22, v52, v22
	v_cvt_f32_f16_e32 v22, v22
	s_branch .LBB267_273
.LBB267_272:
	v_mov_b32_e32 v22, 0
.LBB267_273:
	v_pk_add_f16 v23, v10, v18
	v_max_f16_e32 v24, v71, v71
	v_pk_add_f16 v26, v11, v19
	v_min_f16_e32 v24, v24, v23
	v_lshrrev_b32_e32 v25, 16, v71
	v_lshrrev_b32_e32 v23, 16, v23
	;; [unrolled: 1-line block ×3, first 2 shown]
	v_min3_f16 v23, v25, v23, v27
	v_min3_f16 v23, v24, v26, v23
	v_cvt_f32_f16_e32 v23, v23
	v_max_f32_e32 v22, v22, v22
	v_min_f32_e32 v22, v22, v23
	v_cvt_f16_f32_e32 v24, v22
	v_lshl_add_u64 v[22:23], v[42:43], 1, v[16:17]
	global_store_short v[22:23], v24, off
	s_or_b64 exec, exec, s[14:15]
	s_and_b64 s[22:23], s[6:7], s[10:11]
	s_and_saveexec_b64 s[14:15], s[22:23]
	s_cbranch_execz .LBB267_265
.LBB267_274:
	s_and_b64 vcc, exec, s[0:1]
	s_cbranch_vccnz .LBB267_276
; %bb.275:
	v_lshl_add_u64 v[22:23], v[44:45], 1, v[20:21]
	global_load_ushort v22, v[22:23], off
	s_waitcnt vmcnt(0)
	v_mul_f16_e32 v22, v52, v22
	v_cvt_f32_f16_e32 v22, v22
	s_branch .LBB267_277
.LBB267_276:
	v_mov_b32_e32 v22, 0
.LBB267_277:
	v_pk_add_f16 v23, v0, v18
	v_max_f16_e32 v24, v70, v70
	v_pk_add_f16 v26, v1, v19
	v_min_f16_e32 v24, v24, v23
	v_lshrrev_b32_e32 v25, 16, v70
	v_lshrrev_b32_e32 v23, 16, v23
	;; [unrolled: 1-line block ×3, first 2 shown]
	v_min3_f16 v23, v25, v23, v27
	v_min3_f16 v23, v24, v26, v23
	v_cvt_f32_f16_e32 v23, v23
	v_max_f32_e32 v22, v22, v22
	v_min_f32_e32 v22, v22, v23
	v_cvt_f16_f32_e32 v24, v22
	v_lshl_add_u64 v[22:23], v[44:45], 1, v[16:17]
	global_store_short v[22:23], v24, off
	s_or_b64 exec, exec, s[14:15]
	s_and_b64 s[14:15], s[8:9], s[10:11]
	s_and_saveexec_b64 s[10:11], s[14:15]
	s_cbranch_execz .LBB267_282
.LBB267_278:
	s_and_b64 vcc, exec, s[0:1]
	s_cbranch_vccnz .LBB267_280
; %bb.279:
	v_lshl_add_u64 v[20:21], v[46:47], 1, v[20:21]
	global_load_ushort v20, v[20:21], off
	s_waitcnt vmcnt(0)
	v_mul_f16_e32 v20, v52, v20
	v_cvt_f32_f16_e32 v20, v20
	s_branch .LBB267_281
.LBB267_280:
	v_mov_b32_e32 v20, 0
.LBB267_281:
	v_pk_add_f16 v18, v2, v18
	v_max_f16_e32 v21, v69, v69
	v_pk_add_f16 v19, v3, v19
	v_min_f16_e32 v21, v21, v18
	v_lshrrev_b32_e32 v22, 16, v69
	v_lshrrev_b32_e32 v18, 16, v18
	;; [unrolled: 1-line block ×3, first 2 shown]
	v_min3_f16 v18, v22, v18, v23
	v_min3_f16 v18, v21, v19, v18
	v_cvt_f32_f16_e32 v18, v18
	v_max_f32_e32 v19, v20, v20
	v_lshl_add_u64 v[16:17], v[46:47], 1, v[16:17]
	v_min_f32_e32 v18, v19, v18
	v_cvt_f16_f32_e32 v18, v18
	global_store_short v[16:17], v18, off
.LBB267_282:
	s_or_b64 exec, exec, s[10:11]
	v_add_u32_e32 v20, 0x60, v85
	v_mad_i64_i32 v[16:17], s[14:15], v20, s19, 0
	v_cmp_gt_i32_e64 s[10:11], s17, v20
	v_lshl_add_u64 v[18:19], v[16:17], 1, s[20:21]
	v_mad_i64_i32 v[16:17], s[14:15], v20, s18, 0
	v_lshl_add_u64 v[16:17], v[16:17], 1, s[12:13]
	s_and_b64 s[22:23], s[2:3], s[10:11]
	s_and_saveexec_b64 s[14:15], s[22:23]
	s_cbranch_execnz .LBB267_286
; %bb.283:
	s_or_b64 exec, exec, s[14:15]
	s_and_b64 s[22:23], s[4:5], s[10:11]
	s_and_saveexec_b64 s[14:15], s[22:23]
	s_cbranch_execnz .LBB267_290
.LBB267_284:
	s_or_b64 exec, exec, s[14:15]
	s_and_b64 s[22:23], s[6:7], s[10:11]
	s_and_saveexec_b64 s[14:15], s[22:23]
	s_cbranch_execnz .LBB267_294
.LBB267_285:
	s_or_b64 exec, exec, s[14:15]
	s_and_b64 s[14:15], s[8:9], s[10:11]
	s_and_saveexec_b64 s[10:11], s[14:15]
	s_cbranch_execnz .LBB267_298
	s_branch .LBB267_302
.LBB267_286:
	s_and_b64 vcc, exec, s[0:1]
	s_cbranch_vccnz .LBB267_288
; %bb.287:
	v_lshl_add_u64 v[20:21], v[40:41], 1, v[18:19]
	global_load_ushort v20, v[20:21], off
	s_waitcnt vmcnt(0)
	v_mul_f16_e32 v20, v52, v20
	v_cvt_f32_f16_e32 v20, v20
	s_branch .LBB267_289
.LBB267_288:
	v_mov_b32_e32 v20, 0
.LBB267_289:
	v_pk_add_f16 v21, v8, v12
	v_max_f16_e32 v22, v68, v68
	v_pk_add_f16 v24, v9, v13
	v_min_f16_e32 v22, v22, v21
	v_lshrrev_b32_e32 v23, 16, v68
	v_lshrrev_b32_e32 v21, 16, v21
	;; [unrolled: 1-line block ×3, first 2 shown]
	v_min3_f16 v21, v23, v21, v25
	v_min3_f16 v21, v22, v24, v21
	v_cvt_f32_f16_e32 v21, v21
	v_max_f32_e32 v20, v20, v20
	v_min_f32_e32 v20, v20, v21
	v_cvt_f16_f32_e32 v22, v20
	v_lshl_add_u64 v[20:21], v[40:41], 1, v[16:17]
	global_store_short v[20:21], v22, off
	s_or_b64 exec, exec, s[14:15]
	s_and_b64 s[22:23], s[4:5], s[10:11]
	s_and_saveexec_b64 s[14:15], s[22:23]
	s_cbranch_execz .LBB267_284
.LBB267_290:
	s_and_b64 vcc, exec, s[0:1]
	s_cbranch_vccnz .LBB267_292
; %bb.291:
	v_lshl_add_u64 v[20:21], v[42:43], 1, v[18:19]
	global_load_ushort v20, v[20:21], off
	s_waitcnt vmcnt(0)
	v_mul_f16_e32 v20, v52, v20
	v_cvt_f32_f16_e32 v20, v20
	s_branch .LBB267_293
.LBB267_292:
	v_mov_b32_e32 v20, 0
.LBB267_293:
	v_pk_add_f16 v21, v10, v12
	v_max_f16_e32 v22, v67, v67
	v_pk_add_f16 v24, v11, v13
	v_min_f16_e32 v22, v22, v21
	v_lshrrev_b32_e32 v23, 16, v67
	v_lshrrev_b32_e32 v21, 16, v21
	v_lshrrev_b32_e32 v25, 16, v24
	v_min3_f16 v21, v23, v21, v25
	v_min3_f16 v21, v22, v24, v21
	v_cvt_f32_f16_e32 v21, v21
	v_max_f32_e32 v20, v20, v20
	v_min_f32_e32 v20, v20, v21
	v_cvt_f16_f32_e32 v22, v20
	v_lshl_add_u64 v[20:21], v[42:43], 1, v[16:17]
	global_store_short v[20:21], v22, off
	s_or_b64 exec, exec, s[14:15]
	s_and_b64 s[22:23], s[6:7], s[10:11]
	s_and_saveexec_b64 s[14:15], s[22:23]
	s_cbranch_execz .LBB267_285
.LBB267_294:
	s_and_b64 vcc, exec, s[0:1]
	s_cbranch_vccnz .LBB267_296
; %bb.295:
	v_lshl_add_u64 v[20:21], v[44:45], 1, v[18:19]
	global_load_ushort v20, v[20:21], off
	s_waitcnt vmcnt(0)
	v_mul_f16_e32 v20, v52, v20
	v_cvt_f32_f16_e32 v20, v20
	s_branch .LBB267_297
.LBB267_296:
	v_mov_b32_e32 v20, 0
.LBB267_297:
	v_pk_add_f16 v21, v0, v12
	v_max_f16_e32 v22, v66, v66
	v_pk_add_f16 v24, v1, v13
	v_min_f16_e32 v22, v22, v21
	v_lshrrev_b32_e32 v23, 16, v66
	v_lshrrev_b32_e32 v21, 16, v21
	;; [unrolled: 1-line block ×3, first 2 shown]
	v_min3_f16 v21, v23, v21, v25
	v_min3_f16 v21, v22, v24, v21
	v_cvt_f32_f16_e32 v21, v21
	v_max_f32_e32 v20, v20, v20
	v_min_f32_e32 v20, v20, v21
	v_cvt_f16_f32_e32 v22, v20
	v_lshl_add_u64 v[20:21], v[44:45], 1, v[16:17]
	global_store_short v[20:21], v22, off
	s_or_b64 exec, exec, s[14:15]
	s_and_b64 s[14:15], s[8:9], s[10:11]
	s_and_saveexec_b64 s[10:11], s[14:15]
	s_cbranch_execz .LBB267_302
.LBB267_298:
	s_and_b64 vcc, exec, s[0:1]
	s_cbranch_vccnz .LBB267_300
; %bb.299:
	v_lshl_add_u64 v[18:19], v[46:47], 1, v[18:19]
	global_load_ushort v18, v[18:19], off
	s_waitcnt vmcnt(0)
	v_mul_f16_e32 v18, v52, v18
	v_cvt_f32_f16_e32 v18, v18
	s_branch .LBB267_301
.LBB267_300:
	v_mov_b32_e32 v18, 0
.LBB267_301:
	v_pk_add_f16 v12, v2, v12
	v_max_f16_e32 v19, v65, v65
	v_pk_add_f16 v13, v3, v13
	v_min_f16_e32 v19, v19, v12
	v_lshrrev_b32_e32 v20, 16, v65
	v_lshrrev_b32_e32 v12, 16, v12
	v_lshrrev_b32_e32 v21, 16, v13
	v_min3_f16 v12, v20, v12, v21
	v_min3_f16 v12, v19, v13, v12
	v_cvt_f32_f16_e32 v12, v12
	v_max_f32_e32 v13, v18, v18
	v_min_f32_e32 v12, v13, v12
	v_cvt_f16_f32_e32 v18, v12
	v_lshl_add_u64 v[12:13], v[46:47], 1, v[16:17]
	global_store_short v[12:13], v18, off
.LBB267_302:
	s_or_b64 exec, exec, s[10:11]
	v_add_u32_e32 v18, 0x68, v85
	v_mad_i64_i32 v[12:13], s[14:15], v18, s19, 0
	v_cmp_gt_i32_e64 s[10:11], s17, v18
	v_lshl_add_u64 v[16:17], v[12:13], 1, s[20:21]
	v_mad_i64_i32 v[12:13], s[14:15], v18, s18, 0
	v_lshl_add_u64 v[12:13], v[12:13], 1, s[12:13]
	s_and_b64 s[22:23], s[2:3], s[10:11]
	s_and_saveexec_b64 s[14:15], s[22:23]
	s_cbranch_execnz .LBB267_306
; %bb.303:
	s_or_b64 exec, exec, s[14:15]
	s_and_b64 s[22:23], s[4:5], s[10:11]
	s_and_saveexec_b64 s[14:15], s[22:23]
	s_cbranch_execnz .LBB267_310
.LBB267_304:
	s_or_b64 exec, exec, s[14:15]
	s_and_b64 s[22:23], s[6:7], s[10:11]
	s_and_saveexec_b64 s[14:15], s[22:23]
	s_cbranch_execnz .LBB267_314
.LBB267_305:
	s_or_b64 exec, exec, s[14:15]
	s_and_b64 s[14:15], s[8:9], s[10:11]
	s_and_saveexec_b64 s[10:11], s[14:15]
	s_cbranch_execnz .LBB267_318
	s_branch .LBB267_322
.LBB267_306:
	s_and_b64 vcc, exec, s[0:1]
	s_cbranch_vccnz .LBB267_308
; %bb.307:
	v_lshl_add_u64 v[18:19], v[40:41], 1, v[16:17]
	global_load_ushort v18, v[18:19], off
	s_waitcnt vmcnt(0)
	v_mul_f16_e32 v18, v52, v18
	v_cvt_f32_f16_e32 v18, v18
	s_branch .LBB267_309
.LBB267_308:
	v_mov_b32_e32 v18, 0
.LBB267_309:
	v_pk_add_f16 v19, v8, v14
	v_max_f16_e32 v20, v64, v64
	v_pk_add_f16 v22, v9, v15
	v_min_f16_e32 v20, v20, v19
	v_lshrrev_b32_e32 v21, 16, v64
	v_lshrrev_b32_e32 v19, 16, v19
	;; [unrolled: 1-line block ×3, first 2 shown]
	v_min3_f16 v19, v21, v19, v23
	v_min3_f16 v19, v20, v22, v19
	v_cvt_f32_f16_e32 v19, v19
	v_max_f32_e32 v18, v18, v18
	v_min_f32_e32 v18, v18, v19
	v_cvt_f16_f32_e32 v20, v18
	v_lshl_add_u64 v[18:19], v[40:41], 1, v[12:13]
	global_store_short v[18:19], v20, off
	s_or_b64 exec, exec, s[14:15]
	s_and_b64 s[22:23], s[4:5], s[10:11]
	s_and_saveexec_b64 s[14:15], s[22:23]
	s_cbranch_execz .LBB267_304
.LBB267_310:
	s_and_b64 vcc, exec, s[0:1]
	s_cbranch_vccnz .LBB267_312
; %bb.311:
	v_lshl_add_u64 v[18:19], v[42:43], 1, v[16:17]
	global_load_ushort v18, v[18:19], off
	s_waitcnt vmcnt(0)
	v_mul_f16_e32 v18, v52, v18
	v_cvt_f32_f16_e32 v18, v18
	s_branch .LBB267_313
.LBB267_312:
	v_mov_b32_e32 v18, 0
.LBB267_313:
	v_pk_add_f16 v19, v10, v14
	v_max_f16_e32 v20, v63, v63
	v_pk_add_f16 v22, v11, v15
	v_min_f16_e32 v20, v20, v19
	v_lshrrev_b32_e32 v21, 16, v63
	v_lshrrev_b32_e32 v19, 16, v19
	;; [unrolled: 1-line block ×3, first 2 shown]
	v_min3_f16 v19, v21, v19, v23
	v_min3_f16 v19, v20, v22, v19
	v_cvt_f32_f16_e32 v19, v19
	v_max_f32_e32 v18, v18, v18
	v_min_f32_e32 v18, v18, v19
	v_cvt_f16_f32_e32 v20, v18
	v_lshl_add_u64 v[18:19], v[42:43], 1, v[12:13]
	global_store_short v[18:19], v20, off
	s_or_b64 exec, exec, s[14:15]
	s_and_b64 s[22:23], s[6:7], s[10:11]
	s_and_saveexec_b64 s[14:15], s[22:23]
	s_cbranch_execz .LBB267_305
.LBB267_314:
	s_and_b64 vcc, exec, s[0:1]
	s_cbranch_vccnz .LBB267_316
; %bb.315:
	v_lshl_add_u64 v[18:19], v[44:45], 1, v[16:17]
	global_load_ushort v18, v[18:19], off
	s_waitcnt vmcnt(0)
	v_mul_f16_e32 v18, v52, v18
	v_cvt_f32_f16_e32 v18, v18
	s_branch .LBB267_317
.LBB267_316:
	v_mov_b32_e32 v18, 0
.LBB267_317:
	v_pk_add_f16 v19, v0, v14
	v_max_f16_e32 v20, v62, v62
	v_pk_add_f16 v22, v1, v15
	v_min_f16_e32 v20, v20, v19
	v_lshrrev_b32_e32 v21, 16, v62
	v_lshrrev_b32_e32 v19, 16, v19
	;; [unrolled: 1-line block ×3, first 2 shown]
	v_min3_f16 v19, v21, v19, v23
	v_min3_f16 v19, v20, v22, v19
	v_cvt_f32_f16_e32 v19, v19
	v_max_f32_e32 v18, v18, v18
	v_min_f32_e32 v18, v18, v19
	v_cvt_f16_f32_e32 v20, v18
	v_lshl_add_u64 v[18:19], v[44:45], 1, v[12:13]
	global_store_short v[18:19], v20, off
	s_or_b64 exec, exec, s[14:15]
	s_and_b64 s[14:15], s[8:9], s[10:11]
	s_and_saveexec_b64 s[10:11], s[14:15]
	s_cbranch_execz .LBB267_322
.LBB267_318:
	s_and_b64 vcc, exec, s[0:1]
	s_cbranch_vccnz .LBB267_320
; %bb.319:
	v_lshl_add_u64 v[16:17], v[46:47], 1, v[16:17]
	global_load_ushort v16, v[16:17], off
	s_waitcnt vmcnt(0)
	v_mul_f16_e32 v16, v52, v16
	v_cvt_f32_f16_e32 v16, v16
	s_branch .LBB267_321
.LBB267_320:
	v_mov_b32_e32 v16, 0
.LBB267_321:
	v_pk_add_f16 v14, v2, v14
	v_max_f16_e32 v17, v61, v61
	v_pk_add_f16 v15, v3, v15
	v_min_f16_e32 v17, v17, v14
	v_lshrrev_b32_e32 v18, 16, v61
	v_lshrrev_b32_e32 v14, 16, v14
	;; [unrolled: 1-line block ×3, first 2 shown]
	v_min3_f16 v14, v18, v14, v19
	v_min3_f16 v14, v17, v15, v14
	v_cvt_f32_f16_e32 v14, v14
	v_max_f32_e32 v15, v16, v16
	v_lshl_add_u64 v[12:13], v[46:47], 1, v[12:13]
	v_min_f32_e32 v14, v15, v14
	v_cvt_f16_f32_e32 v14, v14
	global_store_short v[12:13], v14, off
.LBB267_322:
	s_or_b64 exec, exec, s[10:11]
	v_add_u32_e32 v16, 0x70, v85
	v_mad_i64_i32 v[12:13], s[14:15], v16, s19, 0
	v_cmp_gt_i32_e64 s[10:11], s17, v16
	v_lshl_add_u64 v[14:15], v[12:13], 1, s[20:21]
	v_mad_i64_i32 v[12:13], s[14:15], v16, s18, 0
	v_lshl_add_u64 v[12:13], v[12:13], 1, s[12:13]
	s_and_b64 s[22:23], s[2:3], s[10:11]
	s_and_saveexec_b64 s[14:15], s[22:23]
	s_cbranch_execnz .LBB267_326
; %bb.323:
	s_or_b64 exec, exec, s[14:15]
	s_and_b64 s[22:23], s[4:5], s[10:11]
	s_and_saveexec_b64 s[14:15], s[22:23]
	s_cbranch_execnz .LBB267_330
.LBB267_324:
	s_or_b64 exec, exec, s[14:15]
	s_and_b64 s[22:23], s[6:7], s[10:11]
	s_and_saveexec_b64 s[14:15], s[22:23]
	s_cbranch_execnz .LBB267_334
.LBB267_325:
	s_or_b64 exec, exec, s[14:15]
	s_and_b64 s[14:15], s[8:9], s[10:11]
	s_and_saveexec_b64 s[10:11], s[14:15]
	s_cbranch_execnz .LBB267_338
	s_branch .LBB267_342
.LBB267_326:
	s_and_b64 vcc, exec, s[0:1]
	s_cbranch_vccnz .LBB267_328
; %bb.327:
	v_lshl_add_u64 v[16:17], v[40:41], 1, v[14:15]
	global_load_ushort v16, v[16:17], off
	s_waitcnt vmcnt(0)
	v_mul_f16_e32 v16, v52, v16
	v_cvt_f32_f16_e32 v16, v16
	s_branch .LBB267_329
.LBB267_328:
	v_mov_b32_e32 v16, 0
.LBB267_329:
	v_pk_add_f16 v17, v8, v4
	v_max_f16_e32 v18, v60, v60
	v_pk_add_f16 v20, v9, v5
	v_min_f16_e32 v18, v18, v17
	v_lshrrev_b32_e32 v19, 16, v60
	v_lshrrev_b32_e32 v17, 16, v17
	;; [unrolled: 1-line block ×3, first 2 shown]
	v_min3_f16 v17, v19, v17, v21
	v_min3_f16 v17, v18, v20, v17
	v_cvt_f32_f16_e32 v17, v17
	v_max_f32_e32 v16, v16, v16
	v_min_f32_e32 v16, v16, v17
	v_cvt_f16_f32_e32 v18, v16
	v_lshl_add_u64 v[16:17], v[40:41], 1, v[12:13]
	global_store_short v[16:17], v18, off
	s_or_b64 exec, exec, s[14:15]
	s_and_b64 s[22:23], s[4:5], s[10:11]
	s_and_saveexec_b64 s[14:15], s[22:23]
	s_cbranch_execz .LBB267_324
.LBB267_330:
	s_and_b64 vcc, exec, s[0:1]
	s_cbranch_vccnz .LBB267_332
; %bb.331:
	v_lshl_add_u64 v[16:17], v[42:43], 1, v[14:15]
	global_load_ushort v16, v[16:17], off
	s_waitcnt vmcnt(0)
	v_mul_f16_e32 v16, v52, v16
	v_cvt_f32_f16_e32 v16, v16
	s_branch .LBB267_333
.LBB267_332:
	v_mov_b32_e32 v16, 0
.LBB267_333:
	v_pk_add_f16 v17, v10, v4
	v_max_f16_e32 v18, v59, v59
	v_pk_add_f16 v20, v11, v5
	v_min_f16_e32 v18, v18, v17
	v_lshrrev_b32_e32 v19, 16, v59
	v_lshrrev_b32_e32 v17, 16, v17
	v_lshrrev_b32_e32 v21, 16, v20
	v_min3_f16 v17, v19, v17, v21
	v_min3_f16 v17, v18, v20, v17
	v_cvt_f32_f16_e32 v17, v17
	v_max_f32_e32 v16, v16, v16
	v_min_f32_e32 v16, v16, v17
	v_cvt_f16_f32_e32 v18, v16
	v_lshl_add_u64 v[16:17], v[42:43], 1, v[12:13]
	global_store_short v[16:17], v18, off
	s_or_b64 exec, exec, s[14:15]
	s_and_b64 s[22:23], s[6:7], s[10:11]
	s_and_saveexec_b64 s[14:15], s[22:23]
	s_cbranch_execz .LBB267_325
.LBB267_334:
	s_and_b64 vcc, exec, s[0:1]
	s_cbranch_vccnz .LBB267_336
; %bb.335:
	v_lshl_add_u64 v[16:17], v[44:45], 1, v[14:15]
	global_load_ushort v16, v[16:17], off
	s_waitcnt vmcnt(0)
	v_mul_f16_e32 v16, v52, v16
	v_cvt_f32_f16_e32 v16, v16
	s_branch .LBB267_337
.LBB267_336:
	v_mov_b32_e32 v16, 0
.LBB267_337:
	v_pk_add_f16 v17, v0, v4
	v_max_f16_e32 v18, v58, v58
	v_pk_add_f16 v20, v1, v5
	v_min_f16_e32 v18, v18, v17
	v_lshrrev_b32_e32 v19, 16, v58
	v_lshrrev_b32_e32 v17, 16, v17
	;; [unrolled: 1-line block ×3, first 2 shown]
	v_min3_f16 v17, v19, v17, v21
	v_min3_f16 v17, v18, v20, v17
	v_cvt_f32_f16_e32 v17, v17
	v_max_f32_e32 v16, v16, v16
	v_min_f32_e32 v16, v16, v17
	v_cvt_f16_f32_e32 v18, v16
	v_lshl_add_u64 v[16:17], v[44:45], 1, v[12:13]
	global_store_short v[16:17], v18, off
	s_or_b64 exec, exec, s[14:15]
	s_and_b64 s[14:15], s[8:9], s[10:11]
	s_and_saveexec_b64 s[10:11], s[14:15]
	s_cbranch_execz .LBB267_342
.LBB267_338:
	s_and_b64 vcc, exec, s[0:1]
	s_cbranch_vccnz .LBB267_340
; %bb.339:
	v_lshl_add_u64 v[14:15], v[46:47], 1, v[14:15]
	global_load_ushort v14, v[14:15], off
	s_waitcnt vmcnt(0)
	v_mul_f16_e32 v14, v52, v14
	v_cvt_f32_f16_e32 v14, v14
	s_branch .LBB267_341
.LBB267_340:
	v_mov_b32_e32 v14, 0
.LBB267_341:
	v_pk_add_f16 v4, v2, v4
	v_max_f16_e32 v15, v57, v57
	v_pk_add_f16 v5, v3, v5
	v_min_f16_e32 v15, v15, v4
	v_lshrrev_b32_e32 v16, 16, v57
	v_lshrrev_b32_e32 v4, 16, v4
	;; [unrolled: 1-line block ×3, first 2 shown]
	v_min3_f16 v4, v16, v4, v17
	v_min3_f16 v4, v15, v5, v4
	v_cvt_f32_f16_e32 v4, v4
	v_max_f32_e32 v5, v14, v14
	v_min_f32_e32 v4, v5, v4
	v_cvt_f16_f32_e32 v14, v4
	v_lshl_add_u64 v[4:5], v[46:47], 1, v[12:13]
	global_store_short v[4:5], v14, off
.LBB267_342:
	s_or_b64 exec, exec, s[10:11]
	v_add_u32_e32 v14, 0x78, v85
	v_mad_i64_i32 v[4:5], s[14:15], v14, s19, 0
	v_cmp_gt_i32_e64 s[10:11], s17, v14
	v_lshl_add_u64 v[12:13], v[4:5], 1, s[20:21]
	v_mad_i64_i32 v[4:5], s[14:15], v14, s18, 0
	v_lshl_add_u64 v[4:5], v[4:5], 1, s[12:13]
	s_and_b64 s[12:13], s[2:3], s[10:11]
	s_and_saveexec_b64 s[2:3], s[12:13]
	s_cbranch_execnz .LBB267_347
; %bb.343:
	s_or_b64 exec, exec, s[2:3]
	s_and_b64 s[4:5], s[4:5], s[10:11]
	s_and_saveexec_b64 s[2:3], s[4:5]
	s_cbranch_execnz .LBB267_351
.LBB267_344:
	s_or_b64 exec, exec, s[2:3]
	s_and_b64 s[4:5], s[6:7], s[10:11]
	s_and_saveexec_b64 s[2:3], s[4:5]
	s_cbranch_execnz .LBB267_355
.LBB267_345:
	s_or_b64 exec, exec, s[2:3]
	s_and_b64 s[2:3], s[8:9], s[10:11]
	s_and_saveexec_b64 s[4:5], s[2:3]
	s_cbranch_execnz .LBB267_359
.LBB267_346:
	s_endpgm
.LBB267_347:
	s_and_b64 vcc, exec, s[0:1]
	s_cbranch_vccnz .LBB267_349
; %bb.348:
	v_lshl_add_u64 v[14:15], v[40:41], 1, v[12:13]
	global_load_ushort v14, v[14:15], off
	s_waitcnt vmcnt(0)
	v_mul_f16_e32 v14, v52, v14
	v_cvt_f32_f16_e32 v14, v14
	s_branch .LBB267_350
.LBB267_349:
	v_mov_b32_e32 v14, 0
.LBB267_350:
	v_pk_add_f16 v8, v8, v6
	v_max_f16_e32 v15, v55, v55
	v_pk_add_f16 v9, v9, v7
	v_min_f16_e32 v15, v15, v8
	v_lshrrev_b32_e32 v16, 16, v55
	v_lshrrev_b32_e32 v8, 16, v8
	;; [unrolled: 1-line block ×3, first 2 shown]
	v_min3_f16 v8, v16, v8, v17
	v_min3_f16 v8, v15, v9, v8
	v_cvt_f32_f16_e32 v8, v8
	v_max_f32_e32 v9, v14, v14
	v_min_f32_e32 v8, v9, v8
	v_cvt_f16_f32_e32 v14, v8
	v_lshl_add_u64 v[8:9], v[40:41], 1, v[4:5]
	global_store_short v[8:9], v14, off
	s_or_b64 exec, exec, s[2:3]
	s_and_b64 s[4:5], s[4:5], s[10:11]
	s_and_saveexec_b64 s[2:3], s[4:5]
	s_cbranch_execz .LBB267_344
.LBB267_351:
	s_and_b64 vcc, exec, s[0:1]
	s_cbranch_vccnz .LBB267_353
; %bb.352:
	v_lshl_add_u64 v[8:9], v[42:43], 1, v[12:13]
	global_load_ushort v8, v[8:9], off
	s_waitcnt vmcnt(0)
	v_mul_f16_e32 v8, v52, v8
	v_cvt_f32_f16_e32 v8, v8
	s_branch .LBB267_354
.LBB267_353:
	v_mov_b32_e32 v8, 0
.LBB267_354:
	v_pk_add_f16 v9, v10, v6
	v_max_f16_e32 v10, v54, v54
	v_pk_add_f16 v11, v11, v7
	v_min_f16_e32 v10, v10, v9
	v_lshrrev_b32_e32 v14, 16, v54
	v_lshrrev_b32_e32 v9, 16, v9
	;; [unrolled: 1-line block ×3, first 2 shown]
	v_min3_f16 v9, v14, v9, v15
	v_min3_f16 v9, v10, v11, v9
	v_cvt_f32_f16_e32 v9, v9
	v_max_f32_e32 v8, v8, v8
	v_min_f32_e32 v8, v8, v9
	v_cvt_f16_f32_e32 v10, v8
	v_lshl_add_u64 v[8:9], v[42:43], 1, v[4:5]
	global_store_short v[8:9], v10, off
	s_or_b64 exec, exec, s[2:3]
	s_and_b64 s[4:5], s[6:7], s[10:11]
	s_and_saveexec_b64 s[2:3], s[4:5]
	s_cbranch_execz .LBB267_345
.LBB267_355:
	s_and_b64 vcc, exec, s[0:1]
	s_cbranch_vccnz .LBB267_357
; %bb.356:
	v_lshl_add_u64 v[8:9], v[44:45], 1, v[12:13]
	global_load_ushort v8, v[8:9], off
	s_waitcnt vmcnt(0)
	v_mul_f16_e32 v8, v52, v8
	v_cvt_f32_f16_e32 v8, v8
	s_branch .LBB267_358
.LBB267_357:
	v_mov_b32_e32 v8, 0
.LBB267_358:
	v_pk_add_f16 v0, v0, v6
	v_max_f16_e32 v9, v53, v53
	v_pk_add_f16 v1, v1, v7
	v_min_f16_e32 v9, v9, v0
	v_lshrrev_b32_e32 v10, 16, v53
	v_lshrrev_b32_e32 v0, 16, v0
	;; [unrolled: 1-line block ×3, first 2 shown]
	v_min3_f16 v0, v10, v0, v11
	v_min3_f16 v0, v9, v1, v0
	v_cvt_f32_f16_e32 v0, v0
	v_max_f32_e32 v1, v8, v8
	v_min_f32_e32 v0, v1, v0
	v_cvt_f16_f32_e32 v8, v0
	v_lshl_add_u64 v[0:1], v[44:45], 1, v[4:5]
	global_store_short v[0:1], v8, off
	s_or_b64 exec, exec, s[2:3]
	s_and_b64 s[2:3], s[8:9], s[10:11]
	s_and_saveexec_b64 s[4:5], s[2:3]
	s_cbranch_execz .LBB267_346
.LBB267_359:
	s_and_b64 vcc, exec, s[0:1]
	s_cbranch_vccnz .LBB267_361
; %bb.360:
	v_lshl_add_u64 v[0:1], v[46:47], 1, v[12:13]
	global_load_ushort v0, v[0:1], off
	s_waitcnt vmcnt(0)
	v_mul_f16_e32 v0, v52, v0
	v_cvt_f32_f16_e32 v0, v0
	s_branch .LBB267_362
.LBB267_361:
	v_mov_b32_e32 v0, 0
.LBB267_362:
	v_pk_add_f16 v1, v2, v6
	v_max_f16_e32 v2, v56, v56
	v_pk_add_f16 v3, v3, v7
	v_min_f16_e32 v2, v2, v1
	v_lshrrev_b32_e32 v6, 16, v56
	v_lshrrev_b32_e32 v1, 16, v1
	;; [unrolled: 1-line block ×3, first 2 shown]
	v_min3_f16 v1, v6, v1, v7
	v_min3_f16 v1, v2, v3, v1
	v_cvt_f32_f16_e32 v1, v1
	v_max_f32_e32 v0, v0, v0
	v_min_f32_e32 v0, v0, v1
	v_cvt_f16_f32_e32 v2, v0
	v_lshl_add_u64 v[0:1], v[46:47], 1, v[4:5]
	global_store_short v[0:1], v2, off
	s_endpgm
	.section	.rodata,"a",@progbits
	.p2align	6, 0x0
	.amdhsa_kernel _ZN12_GLOBAL__N_120geam_min_plus_kernelIDF16_Dv2_DF16_S1_Li32ELi8ELi128ELi128ELi4ELi4ELi64ELi4ELi64ELc84ELc78ELb0ELb1ELb1EPKDF16_S2_DF16_EEviiiT16_PT17_ilS6_ilS4_S6_ilPT18_ili26rocblas_geam_ex_operation_
		.amdhsa_group_segment_fixed_size 4096
		.amdhsa_private_segment_fixed_size 0
		.amdhsa_kernarg_size 136
		.amdhsa_user_sgpr_count 2
		.amdhsa_user_sgpr_dispatch_ptr 0
		.amdhsa_user_sgpr_queue_ptr 0
		.amdhsa_user_sgpr_kernarg_segment_ptr 1
		.amdhsa_user_sgpr_dispatch_id 0
		.amdhsa_user_sgpr_kernarg_preload_length 0
		.amdhsa_user_sgpr_kernarg_preload_offset 0
		.amdhsa_user_sgpr_private_segment_size 0
		.amdhsa_uses_dynamic_stack 0
		.amdhsa_enable_private_segment 0
		.amdhsa_system_sgpr_workgroup_id_x 1
		.amdhsa_system_sgpr_workgroup_id_y 0
		.amdhsa_system_sgpr_workgroup_id_z 1
		.amdhsa_system_sgpr_workgroup_info 0
		.amdhsa_system_vgpr_workitem_id 1
		.amdhsa_next_free_vgpr 175
		.amdhsa_next_free_sgpr 38
		.amdhsa_accum_offset 176
		.amdhsa_reserve_vcc 1
		.amdhsa_float_round_mode_32 0
		.amdhsa_float_round_mode_16_64 0
		.amdhsa_float_denorm_mode_32 3
		.amdhsa_float_denorm_mode_16_64 3
		.amdhsa_dx10_clamp 1
		.amdhsa_ieee_mode 1
		.amdhsa_fp16_overflow 0
		.amdhsa_tg_split 0
		.amdhsa_exception_fp_ieee_invalid_op 0
		.amdhsa_exception_fp_denorm_src 0
		.amdhsa_exception_fp_ieee_div_zero 0
		.amdhsa_exception_fp_ieee_overflow 0
		.amdhsa_exception_fp_ieee_underflow 0
		.amdhsa_exception_fp_ieee_inexact 0
		.amdhsa_exception_int_div_zero 0
	.end_amdhsa_kernel
	.section	.text._ZN12_GLOBAL__N_120geam_min_plus_kernelIDF16_Dv2_DF16_S1_Li32ELi8ELi128ELi128ELi4ELi4ELi64ELi4ELi64ELc84ELc78ELb0ELb1ELb1EPKDF16_S2_DF16_EEviiiT16_PT17_ilS6_ilS4_S6_ilPT18_ili26rocblas_geam_ex_operation_,"axG",@progbits,_ZN12_GLOBAL__N_120geam_min_plus_kernelIDF16_Dv2_DF16_S1_Li32ELi8ELi128ELi128ELi4ELi4ELi64ELi4ELi64ELc84ELc78ELb0ELb1ELb1EPKDF16_S2_DF16_EEviiiT16_PT17_ilS6_ilS4_S6_ilPT18_ili26rocblas_geam_ex_operation_,comdat
.Lfunc_end267:
	.size	_ZN12_GLOBAL__N_120geam_min_plus_kernelIDF16_Dv2_DF16_S1_Li32ELi8ELi128ELi128ELi4ELi4ELi64ELi4ELi64ELc84ELc78ELb0ELb1ELb1EPKDF16_S2_DF16_EEviiiT16_PT17_ilS6_ilS4_S6_ilPT18_ili26rocblas_geam_ex_operation_, .Lfunc_end267-_ZN12_GLOBAL__N_120geam_min_plus_kernelIDF16_Dv2_DF16_S1_Li32ELi8ELi128ELi128ELi4ELi4ELi64ELi4ELi64ELc84ELc78ELb0ELb1ELb1EPKDF16_S2_DF16_EEviiiT16_PT17_ilS6_ilS4_S6_ilPT18_ili26rocblas_geam_ex_operation_
                                        ; -- End function
	.set _ZN12_GLOBAL__N_120geam_min_plus_kernelIDF16_Dv2_DF16_S1_Li32ELi8ELi128ELi128ELi4ELi4ELi64ELi4ELi64ELc84ELc78ELb0ELb1ELb1EPKDF16_S2_DF16_EEviiiT16_PT17_ilS6_ilS4_S6_ilPT18_ili26rocblas_geam_ex_operation_.num_vgpr, 175
	.set _ZN12_GLOBAL__N_120geam_min_plus_kernelIDF16_Dv2_DF16_S1_Li32ELi8ELi128ELi128ELi4ELi4ELi64ELi4ELi64ELc84ELc78ELb0ELb1ELb1EPKDF16_S2_DF16_EEviiiT16_PT17_ilS6_ilS4_S6_ilPT18_ili26rocblas_geam_ex_operation_.num_agpr, 0
	.set _ZN12_GLOBAL__N_120geam_min_plus_kernelIDF16_Dv2_DF16_S1_Li32ELi8ELi128ELi128ELi4ELi4ELi64ELi4ELi64ELc84ELc78ELb0ELb1ELb1EPKDF16_S2_DF16_EEviiiT16_PT17_ilS6_ilS4_S6_ilPT18_ili26rocblas_geam_ex_operation_.numbered_sgpr, 38
	.set _ZN12_GLOBAL__N_120geam_min_plus_kernelIDF16_Dv2_DF16_S1_Li32ELi8ELi128ELi128ELi4ELi4ELi64ELi4ELi64ELc84ELc78ELb0ELb1ELb1EPKDF16_S2_DF16_EEviiiT16_PT17_ilS6_ilS4_S6_ilPT18_ili26rocblas_geam_ex_operation_.num_named_barrier, 0
	.set _ZN12_GLOBAL__N_120geam_min_plus_kernelIDF16_Dv2_DF16_S1_Li32ELi8ELi128ELi128ELi4ELi4ELi64ELi4ELi64ELc84ELc78ELb0ELb1ELb1EPKDF16_S2_DF16_EEviiiT16_PT17_ilS6_ilS4_S6_ilPT18_ili26rocblas_geam_ex_operation_.private_seg_size, 0
	.set _ZN12_GLOBAL__N_120geam_min_plus_kernelIDF16_Dv2_DF16_S1_Li32ELi8ELi128ELi128ELi4ELi4ELi64ELi4ELi64ELc84ELc78ELb0ELb1ELb1EPKDF16_S2_DF16_EEviiiT16_PT17_ilS6_ilS4_S6_ilPT18_ili26rocblas_geam_ex_operation_.uses_vcc, 1
	.set _ZN12_GLOBAL__N_120geam_min_plus_kernelIDF16_Dv2_DF16_S1_Li32ELi8ELi128ELi128ELi4ELi4ELi64ELi4ELi64ELc84ELc78ELb0ELb1ELb1EPKDF16_S2_DF16_EEviiiT16_PT17_ilS6_ilS4_S6_ilPT18_ili26rocblas_geam_ex_operation_.uses_flat_scratch, 0
	.set _ZN12_GLOBAL__N_120geam_min_plus_kernelIDF16_Dv2_DF16_S1_Li32ELi8ELi128ELi128ELi4ELi4ELi64ELi4ELi64ELc84ELc78ELb0ELb1ELb1EPKDF16_S2_DF16_EEviiiT16_PT17_ilS6_ilS4_S6_ilPT18_ili26rocblas_geam_ex_operation_.has_dyn_sized_stack, 0
	.set _ZN12_GLOBAL__N_120geam_min_plus_kernelIDF16_Dv2_DF16_S1_Li32ELi8ELi128ELi128ELi4ELi4ELi64ELi4ELi64ELc84ELc78ELb0ELb1ELb1EPKDF16_S2_DF16_EEviiiT16_PT17_ilS6_ilS4_S6_ilPT18_ili26rocblas_geam_ex_operation_.has_recursion, 0
	.set _ZN12_GLOBAL__N_120geam_min_plus_kernelIDF16_Dv2_DF16_S1_Li32ELi8ELi128ELi128ELi4ELi4ELi64ELi4ELi64ELc84ELc78ELb0ELb1ELb1EPKDF16_S2_DF16_EEviiiT16_PT17_ilS6_ilS4_S6_ilPT18_ili26rocblas_geam_ex_operation_.has_indirect_call, 0
	.section	.AMDGPU.csdata,"",@progbits
; Kernel info:
; codeLenInByte = 20888
; TotalNumSgprs: 44
; NumVgprs: 175
; NumAgprs: 0
; TotalNumVgprs: 175
; ScratchSize: 0
; MemoryBound: 0
; FloatMode: 240
; IeeeMode: 1
; LDSByteSize: 4096 bytes/workgroup (compile time only)
; SGPRBlocks: 5
; VGPRBlocks: 21
; NumSGPRsForWavesPerEU: 44
; NumVGPRsForWavesPerEU: 175
; AccumOffset: 176
; Occupancy: 2
; WaveLimiterHint : 0
; COMPUTE_PGM_RSRC2:SCRATCH_EN: 0
; COMPUTE_PGM_RSRC2:USER_SGPR: 2
; COMPUTE_PGM_RSRC2:TRAP_HANDLER: 0
; COMPUTE_PGM_RSRC2:TGID_X_EN: 1
; COMPUTE_PGM_RSRC2:TGID_Y_EN: 0
; COMPUTE_PGM_RSRC2:TGID_Z_EN: 1
; COMPUTE_PGM_RSRC2:TIDIG_COMP_CNT: 1
; COMPUTE_PGM_RSRC3_GFX90A:ACCUM_OFFSET: 43
; COMPUTE_PGM_RSRC3_GFX90A:TG_SPLIT: 0
	.section	.text._ZN12_GLOBAL__N_120geam_min_plus_kernelIDF16_Dv2_DF16_S1_Li32ELi8ELi128ELi128ELi4ELi4ELi64ELi4ELi64ELc84ELc78ELb1ELb1ELb1EDF16_KDF16_DF16_EEviiiT16_PT17_ilS5_ilS3_S5_ilPT18_ili26rocblas_geam_ex_operation_,"axG",@progbits,_ZN12_GLOBAL__N_120geam_min_plus_kernelIDF16_Dv2_DF16_S1_Li32ELi8ELi128ELi128ELi4ELi4ELi64ELi4ELi64ELc84ELc78ELb1ELb1ELb1EDF16_KDF16_DF16_EEviiiT16_PT17_ilS5_ilS3_S5_ilPT18_ili26rocblas_geam_ex_operation_,comdat
	.globl	_ZN12_GLOBAL__N_120geam_min_plus_kernelIDF16_Dv2_DF16_S1_Li32ELi8ELi128ELi128ELi4ELi4ELi64ELi4ELi64ELc84ELc78ELb1ELb1ELb1EDF16_KDF16_DF16_EEviiiT16_PT17_ilS5_ilS3_S5_ilPT18_ili26rocblas_geam_ex_operation_ ; -- Begin function _ZN12_GLOBAL__N_120geam_min_plus_kernelIDF16_Dv2_DF16_S1_Li32ELi8ELi128ELi128ELi4ELi4ELi64ELi4ELi64ELc84ELc78ELb1ELb1ELb1EDF16_KDF16_DF16_EEviiiT16_PT17_ilS5_ilS3_S5_ilPT18_ili26rocblas_geam_ex_operation_
	.p2align	8
	.type	_ZN12_GLOBAL__N_120geam_min_plus_kernelIDF16_Dv2_DF16_S1_Li32ELi8ELi128ELi128ELi4ELi4ELi64ELi4ELi64ELc84ELc78ELb1ELb1ELb1EDF16_KDF16_DF16_EEviiiT16_PT17_ilS5_ilS3_S5_ilPT18_ili26rocblas_geam_ex_operation_,@function
_ZN12_GLOBAL__N_120geam_min_plus_kernelIDF16_Dv2_DF16_S1_Li32ELi8ELi128ELi128ELi4ELi4ELi64ELi4ELi64ELc84ELc78ELb1ELb1ELb1EDF16_KDF16_DF16_EEviiiT16_PT17_ilS5_ilS3_S5_ilPT18_ili26rocblas_geam_ex_operation_: ; @_ZN12_GLOBAL__N_120geam_min_plus_kernelIDF16_Dv2_DF16_S1_Li32ELi8ELi128ELi128ELi4ELi4ELi64ELi4ELi64ELc84ELc78ELb1ELb1ELb1EDF16_KDF16_DF16_EEviiiT16_PT17_ilS5_ilS3_S5_ilPT18_ili26rocblas_geam_ex_operation_
; %bb.0:
	s_load_dwordx4 s[12:15], s[0:1], 0x0
	s_load_dwordx4 s[4:7], s[0:1], 0x20
	s_waitcnt lgkmcnt(0)
	v_cmp_eq_f16_e64 s[8:9], s15, 0
	s_and_b64 vcc, exec, s[8:9]
	s_cbranch_vccnz .LBB268_45
; %bb.1:
	s_load_dwordx2 s[10:11], s[0:1], 0x10
	s_mul_i32 s5, s5, s3
	s_mul_hi_u32 s15, s4, s3
	s_add_i32 s5, s15, s5
	s_mul_i32 s4, s4, s3
	s_lshl_b64 s[4:5], s[4:5], 1
	s_waitcnt lgkmcnt(0)
	s_add_u32 s24, s10, s4
	s_addc_u32 s25, s11, s5
	s_andn2_b64 vcc, exec, s[8:9]
	s_mov_b64 s[4:5], -1
	s_cbranch_vccnz .LBB268_3
.LBB268_2:
	s_mov_b64 s[4:5], 0
.LBB268_3:
	s_mov_b64 s[20:21], 0
	s_andn2_b64 vcc, exec, s[4:5]
	s_mov_b64 s[26:27], 0
	s_cbranch_vccnz .LBB268_5
; %bb.4:
	s_load_dwordx2 s[4:5], s[0:1], 0x38
	s_waitcnt lgkmcnt(0)
	s_mul_i32 s5, s5, s3
	s_mul_hi_u32 s8, s4, s3
	s_add_i32 s5, s8, s5
	s_mul_i32 s4, s4, s3
	s_lshl_b64 s[4:5], s[4:5], 1
	s_add_u32 s26, s6, s4
	s_addc_u32 s27, s7, s5
.LBB268_5:
	s_load_dword s28, s[0:1], 0x40
	s_load_dwordx4 s[16:19], s[0:1], 0x58
	s_waitcnt lgkmcnt(0)
	v_cmp_eq_f16_e64 s[4:5], s28, 0
	v_cmp_neq_f16_e64 s[22:23], s28, 0
	s_and_b64 vcc, exec, s[4:5]
	s_cbranch_vccnz .LBB268_7
; %bb.6:
	s_load_dwordx2 s[4:5], s[0:1], 0x48
	s_mul_i32 s6, s17, s3
	s_mul_hi_u32 s7, s16, s3
	s_add_i32 s7, s7, s6
	s_mul_i32 s6, s16, s3
	s_lshl_b64 s[6:7], s[6:7], 1
	s_waitcnt lgkmcnt(0)
	s_add_u32 s20, s4, s6
	s_addc_u32 s21, s5, s7
.LBB268_7:
	s_add_i32 s4, s12, -1
	s_ashr_i32 s5, s4, 31
	s_lshr_b32 s5, s5, 25
	s_add_i32 s4, s4, s5
	s_ashr_i32 s4, s4, 7
	s_add_i32 s5, s4, 1
	v_cvt_f32_u32_e32 v1, s5
	v_and_b32_e32 v100, 0x3ff, v0
	v_bfe_u32 v101, v0, 10, 10
	v_and_b32_e32 v111, 3, v0
	v_rcp_iflag_f32_e32 v1, v1
	s_not_b32 s4, s4
	s_load_dword s30, s[0:1], 0x18
	v_mov_b32_e32 v3, 0
	v_mul_f32_e32 v0, 0x4f7ffffe, v1
	v_cvt_u32_f32_e32 v0, v0
	v_lshl_add_u32 v1, v101, 5, v100
	v_lshrrev_b32_e32 v4, 2, v1
	v_lshlrev_b32_e32 v2, 1, v111
	v_readfirstlane_b32 s6, v0
	s_mul_i32 s4, s4, s6
	s_mul_hi_u32 s4, s6, s4
	s_add_i32 s6, s6, s4
	s_mul_hi_u32 s4, s2, s6
	s_mul_i32 s6, s4, s5
	s_sub_i32 s6, s2, s6
	s_add_i32 s7, s4, 1
	s_sub_i32 s8, s6, s5
	s_cmp_ge_u32 s6, s5
	s_cselect_b32 s4, s7, s4
	s_cselect_b32 s6, s8, s6
	s_add_i32 s7, s4, 1
	s_cmp_ge_u32 s6, s5
	s_cselect_b32 s6, s7, s4
	s_mul_i32 s4, s6, s5
	s_sub_i32 s2, s2, s4
	s_lshl_b32 s2, s2, 7
	v_add_u32_e32 v32, s2, v4
	v_cmp_le_i32_e64 s[8:9], s14, v111
	v_cmp_le_i32_e32 vcc, s12, v32
	v_lshl_add_u64 v[0:1], s[24:25], 0, v[2:3]
	s_nor_b64 s[10:11], s[8:9], vcc
	v_mov_b32_e32 v5, 0x7c00
	v_mov_b32_e32 v6, 0x7c00
	s_and_saveexec_b64 s[4:5], s[10:11]
	s_cbranch_execz .LBB268_9
; %bb.8:
	s_waitcnt lgkmcnt(0)
	v_mad_i64_i32 v[6:7], s[10:11], v32, s30, 0
	v_lshl_add_u64 v[6:7], v[6:7], 1, v[0:1]
	global_load_ushort v6, v[6:7], off
.LBB268_9:
	s_or_b64 exec, exec, s[4:5]
	v_add_u32_e32 v33, 64, v32
	v_cmp_le_i32_e64 s[10:11], s12, v33
	s_nor_b64 s[16:17], s[8:9], s[10:11]
	s_and_saveexec_b64 s[4:5], s[16:17]
	s_cbranch_execz .LBB268_11
; %bb.10:
	s_waitcnt lgkmcnt(0)
	v_mad_i64_i32 v[8:9], s[16:17], v33, s30, 0
	v_lshl_add_u64 v[8:9], v[8:9], 1, v[0:1]
	global_load_ushort v5, v[8:9], off
.LBB268_11:
	s_or_b64 exec, exec, s[4:5]
	s_load_dword s31, s[0:1], 0x30
	s_lshl_b32 s29, s6, 7
	v_add_u32_e32 v34, s29, v4
	v_mov_b32_e32 v3, 0
	v_cmp_le_i32_e64 s[4:5], s13, v34
	v_lshl_add_u64 v[2:3], s[26:27], 0, v[2:3]
	s_nor_b64 s[16:17], s[8:9], s[4:5]
	v_mov_b32_e32 v7, 0x7c00
	v_mov_b32_e32 v8, 0x7c00
	s_and_saveexec_b64 s[6:7], s[16:17]
	s_cbranch_execz .LBB268_13
; %bb.12:
	s_waitcnt lgkmcnt(0)
	v_mad_i64_i32 v[8:9], s[16:17], v34, s31, 0
	v_lshl_add_u64 v[8:9], v[8:9], 1, v[2:3]
	global_load_ushort v8, v[8:9], off
.LBB268_13:
	s_or_b64 exec, exec, s[6:7]
	v_add_u32_e32 v35, 64, v34
	v_cmp_le_i32_e64 s[6:7], s13, v35
	s_nor_b64 s[16:17], s[8:9], s[6:7]
	s_and_saveexec_b64 s[8:9], s[16:17]
	s_cbranch_execz .LBB268_15
; %bb.14:
	s_waitcnt lgkmcnt(0)
	v_mad_i64_i32 v[10:11], s[16:17], v35, s31, 0
	v_lshl_add_u64 v[10:11], v[10:11], 1, v[2:3]
	global_load_ushort v7, v[10:11], off
.LBB268_15:
	s_or_b64 exec, exec, s[8:9]
	v_or_b32_e32 v9, 4, v111
	v_cmp_le_i32_e64 s[8:9], s14, v9
	s_nor_b64 s[34:35], s[8:9], vcc
	v_mov_b32_e32 v36, 0x7c00
	v_mov_b32_e32 v37, 0x7c00
	s_and_saveexec_b64 s[16:17], s[34:35]
	s_cbranch_execz .LBB268_17
; %bb.16:
	s_waitcnt lgkmcnt(0)
	v_mad_i64_i32 v[10:11], s[34:35], v32, s30, 0
	v_lshl_add_u64 v[10:11], v[10:11], 1, v[0:1]
	global_load_ushort v37, v[10:11], off offset:8
.LBB268_17:
	s_or_b64 exec, exec, s[16:17]
	s_nor_b64 s[34:35], s[8:9], s[10:11]
	s_and_saveexec_b64 s[16:17], s[34:35]
	s_cbranch_execz .LBB268_19
; %bb.18:
	s_waitcnt lgkmcnt(0)
	v_mad_i64_i32 v[10:11], s[34:35], v33, s30, 0
	v_lshl_add_u64 v[0:1], v[10:11], 1, v[0:1]
	global_load_ushort v36, v[0:1], off offset:8
.LBB268_19:
	s_or_b64 exec, exec, s[16:17]
	s_nor_b64 s[34:35], s[8:9], s[4:5]
	v_mov_b32_e32 v38, 0x7c00
	v_mov_b32_e32 v39, 0x7c00
	s_and_saveexec_b64 s[16:17], s[34:35]
	s_cbranch_execz .LBB268_21
; %bb.20:
	s_waitcnt lgkmcnt(0)
	v_mad_i64_i32 v[0:1], s[34:35], v34, s31, 0
	v_lshl_add_u64 v[0:1], v[0:1], 1, v[2:3]
	global_load_ushort v39, v[0:1], off offset:8
.LBB268_21:
	s_or_b64 exec, exec, s[16:17]
	s_nor_b64 s[16:17], s[8:9], s[6:7]
	s_and_saveexec_b64 s[8:9], s[16:17]
	s_cbranch_execz .LBB268_23
; %bb.22:
	s_waitcnt lgkmcnt(0)
	v_mad_i64_i32 v[0:1], s[16:17], v35, s31, 0
	v_lshl_add_u64 v[0:1], v[0:1], 1, v[2:3]
	global_load_ushort v38, v[0:1], off offset:8
.LBB268_23:
	s_or_b64 exec, exec, s[8:9]
	v_lshlrev_b32_e32 v0, 3, v4
	v_lshlrev_b32_e32 v108, 3, v101
	v_lshl_or_b32 v117, v111, 1, v0
	v_lshlrev_b32_e32 v109, 3, v100
	v_add_u32_e32 v118, 0x800, v108
	s_waitcnt vmcnt(0)
	ds_write_b16 v117, v6
	ds_write_b16 v117, v5 offset:512
	ds_write_b16 v117, v8 offset:2048
	;; [unrolled: 1-line block ×3, first 2 shown]
	s_waitcnt lgkmcnt(0)
	s_barrier
	ds_read2_b64 v[4:7], v109 offset1:32
	ds_read2_b64 v[0:3], v109 offset0:64 offset1:96
	ds_read2_b64 v[40:43], v118 offset1:8
	ds_read2_b64 v[44:47], v118 offset0:16 offset1:24
	ds_read2_b64 v[28:31], v118 offset0:32 offset1:40
	;; [unrolled: 1-line block ×7, first 2 shown]
	s_movk_i32 s8, 0x7c00
	s_cmp_lt_i32 s14, 9
	s_waitcnt lgkmcnt(7)
	v_pk_add_f16 v48, v4, v40
	v_pk_add_f16 v49, v6, v40
	v_pk_add_f16 v50, v0, v40
	v_pk_add_f16 v40, v2, v40
	v_pk_add_f16 v51, v4, v42
	v_pk_add_f16 v52, v6, v42
	v_pk_add_f16 v53, v0, v42
	v_pk_add_f16 v42, v2, v42
	s_waitcnt lgkmcnt(6)
	v_pk_add_f16 v54, v4, v44
	v_pk_add_f16 v55, v6, v44
	v_pk_add_f16 v56, v0, v44
	v_pk_add_f16 v44, v2, v44
	v_pk_add_f16 v57, v4, v46
	v_pk_add_f16 v58, v6, v46
	v_pk_add_f16 v59, v0, v46
	v_pk_add_f16 v46, v2, v46
	s_waitcnt lgkmcnt(5)
	v_pk_add_f16 v60, v4, v28
	v_pk_add_f16 v61, v6, v28
	v_pk_add_f16 v62, v0, v28
	v_pk_add_f16 v28, v2, v28
	v_pk_add_f16 v63, v4, v30
	v_pk_add_f16 v64, v6, v30
	v_pk_add_f16 v65, v0, v30
	v_pk_add_f16 v30, v2, v30
	s_waitcnt lgkmcnt(4)
	v_pk_add_f16 v66, v4, v24
	v_pk_add_f16 v67, v6, v24
	v_pk_add_f16 v68, v0, v24
	v_pk_add_f16 v24, v2, v24
	v_pk_add_f16 v69, v4, v26
	v_pk_add_f16 v70, v6, v26
	v_pk_add_f16 v71, v0, v26
	v_pk_add_f16 v26, v2, v26
	s_waitcnt lgkmcnt(3)
	v_pk_add_f16 v72, v4, v20
	v_pk_add_f16 v73, v6, v20
	v_pk_add_f16 v74, v0, v20
	v_pk_add_f16 v20, v2, v20
	v_pk_add_f16 v75, v4, v22
	v_pk_add_f16 v76, v6, v22
	v_pk_add_f16 v77, v0, v22
	v_pk_add_f16 v22, v2, v22
	s_waitcnt lgkmcnt(2)
	v_pk_add_f16 v78, v4, v16
	v_pk_add_f16 v79, v6, v16
	v_pk_add_f16 v129, v0, v16
	v_pk_add_f16 v16, v2, v16
	v_pk_add_f16 v130, v4, v18
	v_pk_add_f16 v131, v6, v18
	v_pk_add_f16 v132, v0, v18
	v_pk_add_f16 v18, v2, v18
	s_waitcnt lgkmcnt(1)
	v_pk_add_f16 v133, v4, v12
	v_pk_add_f16 v134, v6, v12
	v_pk_add_f16 v135, v0, v12
	v_pk_add_f16 v12, v2, v12
	v_pk_add_f16 v136, v4, v14
	v_pk_add_f16 v137, v6, v14
	v_pk_add_f16 v138, v0, v14
	v_pk_add_f16 v14, v2, v14
	s_waitcnt lgkmcnt(0)
	v_pk_add_f16 v139, v4, v8
	v_pk_add_f16 v140, v6, v8
	v_pk_add_f16 v141, v0, v8
	v_pk_add_f16 v8, v2, v8
	v_pk_add_f16 v4, v4, v10
	v_pk_add_f16 v6, v6, v10
	v_pk_add_f16 v142, v0, v10
	v_pk_add_f16 v0, v2, v10
	v_pk_add_f16 v2, v5, v41
	v_pk_min_f16 v10, v48, s8 op_sel_hi:[1,0]
	v_pk_min_f16 v8, v8, s8 op_sel_hi:[1,0]
	v_pk_min_f16 v128, v10, v2
	v_pk_add_f16 v2, v7, v41
	v_pk_min_f16 v10, v49, s8 op_sel_hi:[1,0]
	v_pk_min_f16 v4, v4, s8 op_sel_hi:[1,0]
	v_pk_min_f16 v127, v10, v2
	;; [unrolled: 4-line block ×3, first 2 shown]
	v_pk_add_f16 v2, v3, v41
	v_pk_min_f16 v10, v40, s8 op_sel_hi:[1,0]
	ds_write_b16 v117, v37 offset:1024
	ds_write_b16 v117, v36 offset:1536
	ds_write_b16 v117, v39 offset:3072
	ds_write_b16 v117, v38 offset:3584
	v_pk_min_f16 v125, v10, v2
	v_pk_add_f16 v2, v5, v43
	v_pk_min_f16 v10, v51, s8 op_sel_hi:[1,0]
	s_waitcnt lgkmcnt(0)
	v_pk_min_f16 v124, v10, v2
	v_pk_add_f16 v2, v7, v43
	v_pk_min_f16 v10, v52, s8 op_sel_hi:[1,0]
	s_barrier
	v_pk_min_f16 v123, v10, v2
	v_pk_add_f16 v2, v1, v43
	v_pk_min_f16 v10, v53, s8 op_sel_hi:[1,0]
	s_nop 0
	v_pk_min_f16 v122, v10, v2
	v_pk_add_f16 v2, v3, v43
	v_pk_min_f16 v10, v42, s8 op_sel_hi:[1,0]
	s_nop 0
	;; [unrolled: 4-line block ×52, first 2 shown]
	v_pk_min_f16 v64, v10, v2
	v_pk_add_f16 v2, v1, v9
	v_pk_min_f16 v10, v141, s8 op_sel_hi:[1,0]
	v_pk_add_f16 v1, v1, v11
	v_pk_min_f16 v63, v10, v2
	v_pk_add_f16 v2, v3, v9
	s_nop 0
	v_pk_min_f16 v62, v8, v2
	v_pk_add_f16 v2, v5, v11
	s_nop 0
	v_pk_min_f16 v60, v4, v2
	v_pk_add_f16 v2, v7, v11
	v_pk_min_f16 v4, v6, s8 op_sel_hi:[1,0]
	s_nop 0
	v_pk_min_f16 v59, v4, v2
	v_pk_min_f16 v2, v142, s8 op_sel_hi:[1,0]
	s_nop 0
	v_pk_min_f16 v58, v2, v1
	v_pk_add_f16 v1, v3, v11
	s_nop 0
	v_pk_min_f16 v61, v0, v1
	s_cbranch_scc1 .LBB268_42
; %bb.24:
	v_mov_b32_e32 v0, 0x400
	v_lshl_add_u32 v132, v100, 3, v0
	v_mov_b32_e32 v0, 0xc00
	v_lshl_add_u32 v133, v101, 3, v0
	v_and_b32_e32 v0, 3, v100
	v_lshlrev_b32_e32 v40, 1, v0
	v_mad_i64_i32 v[0:1], s[8:9], s31, v34, 0
	v_lshl_add_u64 v[42:43], v[0:1], 1, s[26:27]
	v_mad_i64_i32 v[0:1], s[8:9], s31, v35, 0
	v_lshl_add_u64 v[44:45], v[0:1], 1, s[26:27]
	;; [unrolled: 2-line block ×3, first 2 shown]
	v_mad_i64_i32 v[0:1], s[8:9], s30, v33, 0
	v_add_u32_e32 v129, 0x800, v117
	v_add_u32_e32 v130, 0x400, v117
	;; [unrolled: 1-line block ×3, first 2 shown]
	s_add_i32 s15, s14, -8
	v_mov_b32_e32 v41, 0
	v_lshl_add_u64 v[48:49], v[0:1], 1, s[24:25]
	s_mov_b32 s24, 0
	s_branch .LBB268_26
.LBB268_25:                             ;   in Loop: Header=BB268_26 Depth=1
	s_or_b64 exec, exec, s[8:9]
	v_pk_add_f16 v52, v4, v36
	v_pk_max_f16 v53, v128, v128
	v_pk_max_f16 v54, v127, v127
	v_pk_min_f16 v52, v53, v52
	v_pk_add_f16 v53, v6, v36
	v_pk_max_f16 v55, v126, v126
	v_pk_min_f16 v53, v54, v53
	v_pk_add_f16 v54, v0, v36
	v_pk_add_f16 v36, v2, v36
	v_pk_min_f16 v54, v55, v54
	v_pk_max_f16 v55, v125, v125
	v_pk_max_f16 v56, v124, v124
	v_pk_min_f16 v36, v55, v36
	v_pk_add_f16 v55, v4, v38
	v_pk_max_f16 v57, v123, v123
	v_pk_min_f16 v55, v56, v55
	v_pk_add_f16 v56, v6, v38
	v_pk_max_f16 v121, v121, v121
	v_pk_min_f16 v56, v57, v56
	v_pk_add_f16 v57, v0, v38
	v_pk_add_f16 v38, v2, v38
	v_pk_max_f16 v120, v120, v120
	v_pk_min_f16 v38, v121, v38
	v_pk_add_f16 v121, v4, v32
	v_pk_max_f16 v119, v119, v119
	v_pk_min_f16 v120, v120, v121
	v_pk_add_f16 v121, v6, v32
	v_pk_max_f16 v115, v115, v115
	v_pk_min_f16 v119, v119, v121
	v_pk_add_f16 v121, v0, v32
	v_pk_add_f16 v32, v2, v32
	;; [unrolled: 10-line block ×13, first 2 shown]
	v_pk_max_f16 v65, v65, v65
	v_pk_min_f16 v14, v66, v14
	v_pk_add_f16 v66, v4, v8
	v_pk_max_f16 v64, v64, v64
	v_pk_min_f16 v65, v65, v66
	v_pk_add_f16 v66, v6, v8
	v_pk_add_f16 v4, v4, v10
	v_pk_min_f16 v64, v64, v66
	v_pk_add_f16 v66, v0, v8
	v_pk_add_f16 v8, v2, v8
	;; [unrolled: 1-line block ×5, first 2 shown]
	v_pk_max_f16 v10, v61, v61
	v_pk_max_f16 v58, v58, v58
	v_pk_min_f16 v2, v10, v2
	v_pk_add_f16 v10, v5, v37
	v_pk_min_f16 v0, v58, v0
	v_pk_min_f16 v52, v52, v10
	v_pk_add_f16 v10, v7, v37
	v_pk_max_f16 v122, v122, v122
	v_pk_min_f16 v53, v53, v10
	v_pk_add_f16 v10, v1, v37
	v_pk_min_f16 v57, v122, v57
	v_pk_min_f16 v54, v54, v10
	v_pk_add_f16 v10, v3, v37
	v_pk_max_f16 v59, v59, v59
	v_pk_min_f16 v58, v36, v10
	v_pk_add_f16 v10, v5, v39
	v_pk_max_f16 v60, v60, v60
	v_pk_min_f16 v55, v55, v10
	v_pk_add_f16 v10, v7, v39
	v_pk_min_f16 v6, v59, v6
	v_pk_min_f16 v56, v56, v10
	v_pk_add_f16 v10, v1, v39
	v_pk_max_f16 v116, v116, v116
	v_pk_min_f16 v57, v57, v10
	v_pk_add_f16 v10, v3, v39
	v_pk_min_f16 v4, v60, v4
	v_pk_min_f16 v59, v38, v10
	v_pk_add_f16 v10, v5, v33
	v_pk_min_f16 v116, v116, v121
	v_pk_min_f16 v60, v120, v10
	v_pk_add_f16 v10, v7, v33
	v_pk_max_f16 v62, v62, v62
	v_pk_min_f16 v61, v119, v10
	v_pk_add_f16 v10, v1, v33
	v_pk_max_f16 v63, v63, v63
	v_pk_min_f16 v8, v62, v8
	v_pk_min_f16 v62, v116, v10
	v_pk_add_f16 v10, v3, v33
	v_pk_max_f16 v67, v67, v67
	v_pk_min_f16 v63, v63, v66
	v_pk_min_f16 v66, v32, v10
	v_pk_add_f16 v10, v5, v35
	v_pk_max_f16 v112, v112, v112
	v_pk_max_f16 v71, v71, v71
	v_pk_min_f16 v67, v67, v70
	v_pk_min_f16 v70, v114, v10
	v_pk_add_f16 v10, v7, v35
	v_pk_min_f16 v112, v112, v115
	v_pk_max_f16 v75, v75, v75
	v_pk_min_f16 v71, v71, v74
	v_pk_min_f16 v74, v113, v10
	v_pk_add_f16 v10, v1, v35
	v_pk_max_f16 v79, v79, v79
	v_pk_min_f16 v75, v75, v78
	v_pk_min_f16 v78, v112, v10
	v_pk_add_f16 v10, v3, v35
	;; [unrolled: 4-line block ×3, first 2 shown]
	v_pk_max_f16 v105, v105, v105
	v_pk_max_f16 v87, v87, v87
	v_pk_min_f16 v83, v83, v86
	v_pk_min_f16 v86, v107, v10
	v_pk_add_f16 v10, v7, v29
	v_pk_min_f16 v105, v105, v110
	v_pk_max_f16 v91, v91, v91
	v_pk_min_f16 v87, v87, v90
	v_pk_min_f16 v90, v106, v10
	v_pk_add_f16 v10, v1, v29
	v_pk_max_f16 v95, v95, v95
	v_pk_min_f16 v91, v91, v94
	v_pk_min_f16 v94, v105, v10
	v_pk_add_f16 v10, v3, v29
	v_pk_min_f16 v95, v95, v98
	v_pk_min_f16 v98, v28, v10
	v_pk_add_f16 v10, v5, v31
	v_pk_max_f16 v99, v99, v99
	v_pk_min_f16 v103, v103, v10
	v_pk_add_f16 v10, v7, v31
	v_pk_min_f16 v99, v99, v104
	v_pk_min_f16 v102, v102, v10
	v_pk_add_f16 v10, v1, v31
	v_pk_max_f16 v58, v58, v58
	v_pk_min_f16 v99, v99, v10
	v_pk_add_f16 v10, v3, v31
	v_pk_max_f16 v59, v59, v59
	;; [unrolled: 3-line block ×8, first 2 shown]
	v_pk_min_f16 v92, v92, v10
	v_pk_add_f16 v10, v1, v27
	s_add_i32 s24, s24, 8
	v_pk_min_f16 v91, v91, v10
	v_pk_add_f16 v10, v3, v27
	v_lshl_add_u64 v[42:43], v[42:43], 0, 16
	v_pk_min_f16 v138, v26, v10
	v_pk_add_f16 v10, v5, v21
	v_lshl_add_u64 v[44:45], v[44:45], 0, 16
	;; [unrolled: 3-line block ×3, first 2 shown]
	v_pk_min_f16 v88, v88, v10
	v_pk_add_f16 v10, v1, v21
	s_cmp_ge_i32 s24, s15
	v_pk_min_f16 v87, v87, v10
	v_pk_add_f16 v10, v3, v21
	v_lshl_add_u64 v[48:49], v[48:49], 0, 16
	v_pk_min_f16 v139, v20, v10
	v_pk_add_f16 v10, v5, v23
	s_nop 0
	v_pk_min_f16 v85, v85, v10
	v_pk_add_f16 v10, v7, v23
	s_nop 0
	;; [unrolled: 3-line block ×20, first 2 shown]
	v_pk_min_f16 v144, v14, v10
	v_pk_add_f16 v10, v5, v9
	v_pk_add_f16 v5, v5, v11
	v_pk_min_f16 v65, v65, v10
	v_pk_add_f16 v10, v7, v9
	v_pk_min_f16 v146, v4, v5
	v_pk_min_f16 v64, v64, v10
	v_pk_add_f16 v10, v1, v9
	v_pk_add_f16 v1, v1, v11
	;; [unrolled: 1-line block ×4, first 2 shown]
	v_pk_min_f16 v148, v0, v1
	v_pk_add_f16 v0, v3, v11
	v_pk_min_f16 v63, v63, v10
	v_pk_min_f16 v145, v8, v9
	v_pk_min_f16 v147, v6, v4
	v_pk_min_f16 v149, v2, v0
	ds_read2_b64 v[4:7], v109 offset1:32
	ds_read2_b64 v[0:3], v109 offset0:64 offset1:96
	ds_read2_b64 v[32:35], v118 offset1:8
	ds_read2_b64 v[36:39], v118 offset0:16 offset1:24
	ds_read2_b64 v[28:31], v118 offset0:32 offset1:40
	;; [unrolled: 1-line block ×7, first 2 shown]
	s_waitcnt lgkmcnt(7)
	v_pk_add_f16 v104, v4, v32
	v_pk_add_f16 v105, v6, v32
	;; [unrolled: 1-line block ×8, first 2 shown]
	v_pk_min_f16 v32, v58, v32
	v_pk_add_f16 v107, v4, v34
	v_pk_add_f16 v110, v6, v34
	;; [unrolled: 1-line block ×4, first 2 shown]
	v_pk_min_f16 v125, v32, v33
	v_pk_max_f16 v33, v55, v55
	s_waitcnt lgkmcnt(6)
	v_pk_add_f16 v113, v4, v36
	v_pk_add_f16 v114, v6, v36
	v_pk_add_f16 v115, v0, v36
	v_pk_add_f16 v36, v2, v36
	v_pk_add_f16 v121, v5, v35
	v_pk_add_f16 v122, v7, v35
	v_pk_add_f16 v161, v1, v35
	v_pk_add_f16 v35, v3, v35
	v_pk_min_f16 v33, v33, v107
	v_pk_min_f16 v34, v59, v34
	v_pk_add_f16 v162, v5, v37
	v_pk_add_f16 v163, v7, v37
	;; [unrolled: 1-line block ×4, first 2 shown]
	v_pk_min_f16 v124, v33, v121
	v_pk_min_f16 v121, v34, v35
	v_pk_max_f16 v35, v60, v60
	v_pk_max_f16 v60, v61, v61
	;; [unrolled: 1-line block ×3, first 2 shown]
	v_pk_min_f16 v36, v66, v36
	v_pk_add_f16 v151, v6, v38
	v_pk_min_f16 v61, v61, v115
	v_pk_min_f16 v115, v36, v37
	v_pk_max_f16 v37, v70, v70
	v_pk_max_f16 v70, v74, v74
	v_pk_add_f16 v150, v4, v38
	v_pk_add_f16 v166, v7, v39
	v_pk_min_f16 v70, v70, v151
	v_pk_add_f16 v152, v0, v38
	v_pk_add_f16 v165, v5, v39
	v_pk_min_f16 v52, v52, v104
	v_pk_min_f16 v53, v53, v105
	;; [unrolled: 1-line block ×9, first 2 shown]
	v_pk_max_f16 v70, v78, v78
	v_pk_add_f16 v38, v2, v38
	s_waitcnt lgkmcnt(5)
	v_pk_add_f16 v153, v4, v28
	v_pk_add_f16 v154, v6, v28
	;; [unrolled: 1-line block ×8, first 2 shown]
	s_waitcnt lgkmcnt(4)
	v_pk_add_f16 v159, v4, v24
	v_pk_add_f16 v160, v6, v24
	;; [unrolled: 1-line block ×6, first 2 shown]
	v_pk_min_f16 v128, v52, v116
	v_pk_add_f16 v52, v0, v26
	v_pk_add_f16 v26, v2, v26
	v_pk_min_f16 v127, v53, v119
	s_waitcnt lgkmcnt(3)
	v_pk_add_f16 v53, v4, v20
	v_pk_add_f16 v171, v6, v20
	v_pk_min_f16 v126, v54, v120
	v_pk_add_f16 v54, v0, v20
	v_pk_add_f16 v20, v2, v20
	;; [unrolled: 1-line block ×6, first 2 shown]
	v_pk_min_f16 v123, v56, v122
	s_waitcnt lgkmcnt(2)
	v_pk_add_f16 v56, v4, v16
	v_pk_add_f16 v58, v6, v16
	v_pk_min_f16 v122, v57, v161
	v_pk_add_f16 v57, v0, v16
	v_pk_add_f16 v16, v2, v16
	;; [unrolled: 1-line block ×4, first 2 shown]
	v_pk_min_f16 v120, v35, v162
	v_pk_add_f16 v35, v0, v18
	v_pk_add_f16 v18, v2, v18
	v_pk_min_f16 v119, v60, v163
	s_waitcnt lgkmcnt(1)
	v_pk_add_f16 v60, v4, v12
	v_pk_add_f16 v62, v6, v12
	v_pk_min_f16 v116, v61, v164
	v_pk_add_f16 v61, v0, v12
	v_pk_add_f16 v12, v2, v12
	v_pk_add_f16 v36, v4, v14
	v_pk_add_f16 v66, v6, v14
	v_pk_min_f16 v114, v37, v165
	v_pk_add_f16 v37, v0, v14
	v_pk_add_f16 v14, v2, v14
	s_waitcnt lgkmcnt(0)
	v_pk_add_f16 v150, v4, v8
	v_pk_min_f16 v70, v70, v152
	v_pk_add_f16 v151, v6, v8
	v_pk_add_f16 v152, v0, v8
	;; [unrolled: 1-line block ×7, first 2 shown]
	v_pk_max_f16 v10, v98, v98
	v_pk_add_f16 v167, v1, v39
	v_pk_min_f16 v10, v10, v28
	v_pk_add_f16 v28, v3, v29
	v_pk_min_f16 v112, v70, v167
	v_pk_min_f16 v104, v10, v28
	v_pk_max_f16 v28, v103, v103
	v_pk_add_f16 v10, v5, v31
	v_pk_min_f16 v28, v28, v156
	v_pk_max_f16 v70, v82, v82
	v_pk_min_f16 v103, v28, v10
	v_pk_max_f16 v28, v102, v102
	v_pk_add_f16 v10, v7, v31
	v_pk_min_f16 v28, v28, v157
	v_pk_add_f16 v39, v3, v39
	v_pk_min_f16 v102, v28, v10
	v_pk_max_f16 v28, v99, v99
	v_pk_add_f16 v10, v1, v31
	v_pk_min_f16 v28, v28, v158
	v_pk_min_f16 v38, v70, v38
	;; [unrolled: 1-line block ×3, first 2 shown]
	v_pk_max_f16 v28, v136, v136
	v_pk_add_f16 v10, v3, v31
	v_pk_min_f16 v28, v28, v30
	v_pk_min_f16 v110, v38, v39
	;; [unrolled: 1-line block ×3, first 2 shown]
	v_pk_max_f16 v28, v97, v97
	v_pk_add_f16 v10, v5, v25
	v_pk_min_f16 v28, v28, v159
	v_pk_max_f16 v38, v86, v86
	v_pk_min_f16 v97, v28, v10
	v_pk_max_f16 v28, v96, v96
	v_pk_add_f16 v10, v7, v25
	v_pk_min_f16 v28, v28, v160
	v_pk_min_f16 v38, v38, v153
	;; [unrolled: 1-line block ×3, first 2 shown]
	v_pk_max_f16 v28, v95, v95
	v_pk_add_f16 v39, v5, v29
	v_pk_add_f16 v10, v1, v25
	v_pk_min_f16 v28, v28, v168
	v_pk_min_f16 v107, v38, v39
	v_pk_max_f16 v38, v90, v90
	v_pk_min_f16 v95, v28, v10
	v_pk_add_f16 v10, v3, v25
	v_pk_max_f16 v25, v137, v137
	v_pk_min_f16 v38, v38, v154
	v_pk_add_f16 v39, v7, v29
	v_pk_min_f16 v24, v25, v24
	v_pk_min_f16 v106, v38, v39
	v_pk_max_f16 v38, v94, v94
	v_pk_min_f16 v94, v24, v10
	v_pk_max_f16 v24, v93, v93
	v_pk_add_f16 v10, v5, v27
	v_pk_min_f16 v24, v24, v169
	v_pk_add_f16 v39, v1, v29
	v_pk_min_f16 v93, v24, v10
	v_pk_max_f16 v24, v92, v92
	v_pk_add_f16 v10, v7, v27
	v_pk_min_f16 v24, v24, v170
	v_pk_min_f16 v38, v38, v155
	;; [unrolled: 1-line block ×3, first 2 shown]
	v_pk_max_f16 v24, v91, v91
	v_pk_add_f16 v10, v1, v27
	v_pk_min_f16 v24, v24, v52
	v_pk_min_f16 v105, v38, v39
	;; [unrolled: 1-line block ×3, first 2 shown]
	v_pk_max_f16 v24, v138, v138
	v_pk_add_f16 v10, v3, v27
	v_pk_min_f16 v24, v24, v26
	s_waitcnt vmcnt(0)
	ds_write_b16 v130, v135
	ds_write_b16 v130, v134 offset:512
	ds_write_b16 v131, v51
	ds_write_b16 v131, v50 offset:512
	v_pk_min_f16 v90, v24, v10
	v_pk_max_f16 v24, v89, v89
	v_pk_add_f16 v10, v5, v21
	v_pk_min_f16 v24, v24, v53
	s_waitcnt lgkmcnt(0)
	v_pk_min_f16 v89, v24, v10
	v_pk_max_f16 v24, v88, v88
	v_pk_add_f16 v10, v7, v21
	v_pk_min_f16 v24, v24, v171
	s_barrier
	v_pk_min_f16 v88, v24, v10
	v_pk_max_f16 v24, v87, v87
	v_pk_add_f16 v10, v1, v21
	v_pk_min_f16 v24, v24, v54
	s_nop 0
	v_pk_min_f16 v87, v24, v10
	v_pk_add_f16 v10, v3, v21
	v_pk_max_f16 v21, v139, v139
	s_nop 0
	v_pk_min_f16 v20, v21, v20
	s_nop 0
	v_pk_min_f16 v86, v20, v10
	v_pk_max_f16 v20, v85, v85
	v_pk_add_f16 v10, v5, v23
	v_pk_min_f16 v20, v20, v32
	s_nop 0
	v_pk_min_f16 v85, v20, v10
	v_pk_max_f16 v20, v84, v84
	v_pk_add_f16 v10, v7, v23
	;; [unrolled: 5-line block ×7, first 2 shown]
	v_pk_min_f16 v20, v20, v57
	s_nop 0
	v_pk_min_f16 v79, v20, v10
	v_pk_add_f16 v10, v3, v17
	v_pk_max_f16 v17, v141, v141
	s_nop 0
	v_pk_min_f16 v16, v17, v16
	s_nop 0
	v_pk_min_f16 v78, v16, v10
	v_pk_max_f16 v16, v77, v77
	v_pk_add_f16 v10, v5, v19
	v_pk_min_f16 v16, v16, v34
	s_nop 0
	v_pk_min_f16 v77, v16, v10
	v_pk_max_f16 v16, v76, v76
	v_pk_add_f16 v10, v7, v19
	;; [unrolled: 5-line block ×7, first 2 shown]
	v_pk_min_f16 v16, v16, v61
	s_nop 0
	v_pk_min_f16 v71, v16, v10
	v_pk_add_f16 v10, v3, v13
	v_pk_max_f16 v13, v143, v143
	s_nop 0
	v_pk_min_f16 v12, v13, v12
	s_nop 0
	v_pk_min_f16 v70, v12, v10
	v_pk_max_f16 v12, v69, v69
	v_pk_add_f16 v10, v5, v15
	v_pk_min_f16 v12, v12, v36
	s_nop 0
	v_pk_min_f16 v69, v12, v10
	v_pk_max_f16 v12, v68, v68
	v_pk_add_f16 v10, v7, v15
	;; [unrolled: 5-line block ×5, first 2 shown]
	v_pk_min_f16 v12, v12, v150
	v_pk_add_f16 v5, v5, v11
	v_pk_min_f16 v65, v12, v10
	v_pk_max_f16 v12, v64, v64
	v_pk_add_f16 v10, v7, v9
	v_pk_min_f16 v12, v12, v151
	s_nop 0
	v_pk_min_f16 v64, v12, v10
	v_pk_max_f16 v12, v63, v63
	v_pk_add_f16 v10, v1, v9
	v_pk_min_f16 v12, v12, v152
	v_pk_add_f16 v9, v3, v9
	v_pk_min_f16 v63, v12, v10
	v_pk_max_f16 v10, v145, v145
	v_pk_add_f16 v1, v1, v11
	v_pk_min_f16 v8, v10, v8
	s_nop 0
	v_pk_min_f16 v62, v8, v9
	v_pk_max_f16 v8, v146, v146
	s_nop 0
	v_pk_min_f16 v4, v8, v4
	s_nop 0
	v_pk_min_f16 v60, v4, v5
	v_pk_max_f16 v5, v147, v147
	v_pk_add_f16 v4, v7, v11
	v_pk_min_f16 v5, v5, v6
	s_nop 0
	v_pk_min_f16 v59, v5, v4
	v_pk_max_f16 v4, v148, v148
	s_nop 0
	v_pk_min_f16 v0, v4, v0
	s_nop 0
	v_pk_min_f16 v58, v0, v1
	v_pk_max_f16 v1, v149, v149
	v_pk_add_f16 v0, v3, v11
	v_pk_min_f16 v1, v1, v2
	s_nop 0
	v_pk_min_f16 v61, v1, v0
	s_cbranch_scc1 .LBB268_42
.LBB268_26:                             ; =>This Inner Loop Header: Depth=1
	v_add_u32_e32 v134, s24, v111
	v_add_u32_e32 v0, 8, v134
	v_cmp_le_i32_e64 s[8:9], s14, v0
	s_nor_b64 s[26:27], vcc, s[8:9]
	v_mov_b32_e32 v135, 0x7c00
	v_lshl_add_u64 v[50:51], v[46:47], 0, v[40:41]
	v_mov_b32_e32 v136, 0x7c00
	s_and_saveexec_b64 s[16:17], s[26:27]
	s_cbranch_execz .LBB268_28
; %bb.27:                               ;   in Loop: Header=BB268_26 Depth=1
	global_load_ushort v136, v[50:51], off offset:16
.LBB268_28:                             ;   in Loop: Header=BB268_26 Depth=1
	s_or_b64 exec, exec, s[16:17]
	s_nor_b64 s[26:27], s[10:11], s[8:9]
	v_lshl_add_u64 v[52:53], v[48:49], 0, v[40:41]
	s_and_saveexec_b64 s[16:17], s[26:27]
	s_cbranch_execz .LBB268_30
; %bb.29:                               ;   in Loop: Header=BB268_26 Depth=1
	global_load_ushort v135, v[52:53], off offset:16
.LBB268_30:                             ;   in Loop: Header=BB268_26 Depth=1
	s_or_b64 exec, exec, s[16:17]
	s_nor_b64 s[26:27], s[4:5], s[8:9]
	v_mov_b32_e32 v137, 0x7c00
	v_lshl_add_u64 v[54:55], v[42:43], 0, v[40:41]
	v_mov_b32_e32 v138, 0x7c00
	s_and_saveexec_b64 s[16:17], s[26:27]
	s_cbranch_execz .LBB268_32
; %bb.31:                               ;   in Loop: Header=BB268_26 Depth=1
	global_load_ushort v138, v[54:55], off offset:16
.LBB268_32:                             ;   in Loop: Header=BB268_26 Depth=1
	s_or_b64 exec, exec, s[16:17]
	s_nor_b64 s[16:17], s[6:7], s[8:9]
	v_lshl_add_u64 v[56:57], v[44:45], 0, v[40:41]
	s_and_saveexec_b64 s[8:9], s[16:17]
	s_cbranch_execz .LBB268_34
; %bb.33:                               ;   in Loop: Header=BB268_26 Depth=1
	global_load_ushort v137, v[56:57], off offset:16
.LBB268_34:                             ;   in Loop: Header=BB268_26 Depth=1
	s_or_b64 exec, exec, s[8:9]
	ds_read2_b64 v[4:7], v132 offset1:32
	ds_read2_b64 v[0:3], v132 offset0:64 offset1:96
	ds_read2_b64 v[36:39], v133 offset1:8
	ds_read2_b64 v[32:35], v133 offset0:16 offset1:24
	ds_read2_b64 v[28:31], v133 offset0:32 offset1:40
	;; [unrolled: 1-line block ×7, first 2 shown]
	v_add_u32_e32 v134, 12, v134
	v_cmp_le_i32_e64 s[8:9], s14, v134
	s_waitcnt vmcnt(0)
	ds_write_b16 v117, v136
	ds_write_b16 v117, v135 offset:512
	ds_write_b16 v129, v138
	ds_write_b16 v129, v137 offset:512
	s_nor_b64 s[26:27], vcc, s[8:9]
	v_mov_b32_e32 v134, 0x7c00
	v_mov_b32_e32 v135, 0x7c00
	s_waitcnt lgkmcnt(0)
	s_barrier
	s_and_saveexec_b64 s[16:17], s[26:27]
	s_cbranch_execz .LBB268_36
; %bb.35:                               ;   in Loop: Header=BB268_26 Depth=1
	global_load_ushort v135, v[50:51], off offset:24
.LBB268_36:                             ;   in Loop: Header=BB268_26 Depth=1
	s_or_b64 exec, exec, s[16:17]
	s_nor_b64 s[26:27], s[10:11], s[8:9]
	s_and_saveexec_b64 s[16:17], s[26:27]
	s_cbranch_execz .LBB268_38
; %bb.37:                               ;   in Loop: Header=BB268_26 Depth=1
	global_load_ushort v134, v[52:53], off offset:24
.LBB268_38:                             ;   in Loop: Header=BB268_26 Depth=1
	s_or_b64 exec, exec, s[16:17]
	s_nor_b64 s[26:27], s[4:5], s[8:9]
	v_mov_b32_e32 v50, 0x7c00
	v_mov_b32_e32 v51, 0x7c00
	s_and_saveexec_b64 s[16:17], s[26:27]
	s_cbranch_execz .LBB268_40
; %bb.39:                               ;   in Loop: Header=BB268_26 Depth=1
	global_load_ushort v51, v[54:55], off offset:24
.LBB268_40:                             ;   in Loop: Header=BB268_26 Depth=1
	s_or_b64 exec, exec, s[16:17]
	s_nor_b64 s[16:17], s[6:7], s[8:9]
	s_and_saveexec_b64 s[8:9], s[16:17]
	s_cbranch_execz .LBB268_25
; %bb.41:                               ;   in Loop: Header=BB268_26 Depth=1
	global_load_ushort v50, v[56:57], off offset:24
	s_branch .LBB268_25
.LBB268_42:
	v_add_u32_e32 v4, 0x800, v108
	s_load_dwordx2 s[4:5], s[0:1], 0x70
	s_load_dword s25, s[0:1], 0x50
	s_load_dword s24, s[0:1], 0x68
	ds_read2_b64 v[8:11], v109 offset0:128 offset1:160
	ds_read2_b64 v[0:3], v109 offset0:192 offset1:224
	;; [unrolled: 1-line block ×10, first 2 shown]
	s_waitcnt lgkmcnt(0)
	s_mul_i32 s1, s5, s3
	s_mul_hi_u32 s5, s4, s3
	s_mul_i32 s0, s4, s3
	s_add_i32 s1, s5, s1
	s_lshl_b64 s[0:1], s[0:1], 1
	s_add_u32 s14, s18, s0
	v_add_u32_e32 v52, s29, v101
	s_addc_u32 s15, s19, s1
	v_mad_i64_i32 v[42:43], s[0:1], v52, s25, 0
	v_add_u32_e32 v40, s2, v100
	v_lshl_add_u64 v[50:51], v[42:43], 1, s[20:21]
	v_mad_i64_i32 v[42:43], s[0:1], v52, s24, 0
	v_cmp_gt_i32_e64 s[2:3], s12, v40
	v_cmp_gt_i32_e64 s[10:11], s13, v52
	v_lshl_add_u64 v[48:49], v[42:43], 1, s[14:15]
	v_cndmask_b32_e64 v42, 0, 1, s[22:23]
	v_ashrrev_i32_e32 v41, 31, v40
	s_and_b64 s[6:7], s[2:3], s[10:11]
	v_cmp_ne_u32_e64 s[0:1], 1, v42
	s_and_saveexec_b64 s[4:5], s[6:7]
	s_cbranch_execz .LBB268_48
; %bb.43:
	s_and_b64 vcc, exec, s[0:1]
	s_cbranch_vccnz .LBB268_46
; %bb.44:
	v_lshl_add_u64 v[42:43], v[40:41], 1, v[50:51]
	global_load_ushort v42, v[42:43], off
	s_waitcnt vmcnt(0)
	v_mul_f16_e32 v42, s28, v42
	v_cvt_f32_f16_e32 v42, v42
	s_branch .LBB268_47
.LBB268_45:
	s_mov_b64 s[24:25], 0
	s_andn2_b64 vcc, exec, s[8:9]
	s_mov_b64 s[4:5], -1
	s_cbranch_vccz .LBB268_2
	s_branch .LBB268_3
.LBB268_46:
	v_mov_b32_e32 v42, 0
.LBB268_47:
	v_pk_add_f16 v43, v8, v36
	v_max_f16_e32 v44, v128, v128
	v_pk_add_f16 v46, v9, v37
	v_min_f16_e32 v44, v44, v43
	v_lshrrev_b32_e32 v45, 16, v128
	v_lshrrev_b32_e32 v43, 16, v43
	;; [unrolled: 1-line block ×3, first 2 shown]
	v_min3_f16 v43, v45, v43, v47
	v_min3_f16 v43, v44, v46, v43
	v_cvt_f32_f16_e32 v43, v43
	v_max_f32_e32 v42, v42, v42
	v_min_f32_e32 v42, v42, v43
	v_cvt_f16_f32_e32 v44, v42
	v_lshl_add_u64 v[42:43], v[40:41], 1, v[48:49]
	global_store_short v[42:43], v44, off
.LBB268_48:
	s_or_b64 exec, exec, s[4:5]
	v_add_u32_e32 v42, 32, v40
	v_cmp_gt_i32_e64 s[4:5], s12, v42
	v_ashrrev_i32_e32 v43, 31, v42
	s_and_b64 s[8:9], s[4:5], s[10:11]
	s_and_saveexec_b64 s[6:7], s[8:9]
	s_cbranch_execz .LBB268_53
; %bb.49:
	s_and_b64 vcc, exec, s[0:1]
	s_cbranch_vccnz .LBB268_51
; %bb.50:
	v_lshl_add_u64 v[44:45], v[42:43], 1, v[50:51]
	global_load_ushort v44, v[44:45], off
	s_waitcnt vmcnt(0)
	v_mul_f16_e32 v44, s28, v44
	v_cvt_f32_f16_e32 v44, v44
	s_branch .LBB268_52
.LBB268_51:
	v_mov_b32_e32 v44, 0
.LBB268_52:
	v_pk_add_f16 v45, v10, v36
	v_max_f16_e32 v46, v127, v127
	v_pk_add_f16 v53, v11, v37
	v_min_f16_e32 v46, v46, v45
	v_lshrrev_b32_e32 v47, 16, v127
	v_lshrrev_b32_e32 v45, 16, v45
	v_lshrrev_b32_e32 v54, 16, v53
	v_min3_f16 v45, v47, v45, v54
	v_min3_f16 v45, v46, v53, v45
	v_cvt_f32_f16_e32 v45, v45
	v_max_f32_e32 v44, v44, v44
	v_min_f32_e32 v44, v44, v45
	v_cvt_f16_f32_e32 v46, v44
	v_lshl_add_u64 v[44:45], v[42:43], 1, v[48:49]
	global_store_short v[44:45], v46, off
.LBB268_53:
	s_or_b64 exec, exec, s[6:7]
	v_add_u32_e32 v44, 64, v40
	v_cmp_gt_i32_e64 s[6:7], s12, v44
	v_ashrrev_i32_e32 v45, 31, v44
	s_and_b64 s[16:17], s[6:7], s[10:11]
	s_and_saveexec_b64 s[8:9], s[16:17]
	s_cbranch_execz .LBB268_58
; %bb.54:
	s_and_b64 vcc, exec, s[0:1]
	s_cbranch_vccnz .LBB268_56
; %bb.55:
	v_lshl_add_u64 v[46:47], v[44:45], 1, v[50:51]
	global_load_ushort v46, v[46:47], off
	s_waitcnt vmcnt(0)
	v_mul_f16_e32 v46, s28, v46
	v_cvt_f32_f16_e32 v46, v46
	s_branch .LBB268_57
.LBB268_56:
	v_mov_b32_e32 v46, 0
.LBB268_57:
	v_pk_add_f16 v47, v0, v36
	v_max_f16_e32 v53, v126, v126
	v_pk_add_f16 v55, v1, v37
	v_min_f16_e32 v53, v53, v47
	v_lshrrev_b32_e32 v54, 16, v126
	v_lshrrev_b32_e32 v47, 16, v47
	v_lshrrev_b32_e32 v56, 16, v55
	v_min3_f16 v47, v54, v47, v56
	v_min3_f16 v47, v53, v55, v47
	v_cvt_f32_f16_e32 v47, v47
	v_max_f32_e32 v46, v46, v46
	v_min_f32_e32 v46, v46, v47
	v_cvt_f16_f32_e32 v53, v46
	v_lshl_add_u64 v[46:47], v[44:45], 1, v[48:49]
	global_store_short v[46:47], v53, off
.LBB268_58:
	;; [unrolled: 36-line block ×3, first 2 shown]
	s_or_b64 exec, exec, s[10:11]
	v_add_u32_e32 v50, 8, v52
	v_mad_i64_i32 v[36:37], s[16:17], v50, s25, 0
	v_cmp_gt_i32_e64 s[10:11], s13, v50
	v_lshl_add_u64 v[48:49], v[36:37], 1, s[20:21]
	v_mad_i64_i32 v[36:37], s[16:17], v50, s24, 0
	v_lshl_add_u64 v[36:37], v[36:37], 1, s[14:15]
	s_and_b64 s[18:19], s[2:3], s[10:11]
	s_and_saveexec_b64 s[16:17], s[18:19]
	s_cbranch_execnz .LBB268_67
; %bb.64:
	s_or_b64 exec, exec, s[16:17]
	s_and_b64 s[18:19], s[4:5], s[10:11]
	s_and_saveexec_b64 s[16:17], s[18:19]
	s_cbranch_execnz .LBB268_71
.LBB268_65:
	s_or_b64 exec, exec, s[16:17]
	s_and_b64 s[18:19], s[6:7], s[10:11]
	s_and_saveexec_b64 s[16:17], s[18:19]
	s_cbranch_execnz .LBB268_75
.LBB268_66:
	s_or_b64 exec, exec, s[16:17]
	s_and_b64 s[16:17], s[8:9], s[10:11]
	s_and_saveexec_b64 s[10:11], s[16:17]
	s_cbranch_execnz .LBB268_79
	s_branch .LBB268_83
.LBB268_67:
	s_and_b64 vcc, exec, s[0:1]
	s_cbranch_vccnz .LBB268_69
; %bb.68:
	v_lshl_add_u64 v[50:51], v[40:41], 1, v[48:49]
	global_load_ushort v50, v[50:51], off
	s_waitcnt vmcnt(0)
	v_mul_f16_e32 v50, s28, v50
	v_cvt_f32_f16_e32 v50, v50
	s_branch .LBB268_70
.LBB268_69:
	v_mov_b32_e32 v50, 0
.LBB268_70:
	v_pk_add_f16 v51, v8, v38
	v_max_f16_e32 v53, v124, v124
	v_pk_add_f16 v55, v9, v39
	v_min_f16_e32 v53, v53, v51
	v_lshrrev_b32_e32 v54, 16, v124
	v_lshrrev_b32_e32 v51, 16, v51
	v_lshrrev_b32_e32 v56, 16, v55
	v_min3_f16 v51, v54, v51, v56
	v_min3_f16 v51, v53, v55, v51
	v_cvt_f32_f16_e32 v51, v51
	v_max_f32_e32 v50, v50, v50
	v_min_f32_e32 v50, v50, v51
	v_cvt_f16_f32_e32 v53, v50
	v_lshl_add_u64 v[50:51], v[40:41], 1, v[36:37]
	global_store_short v[50:51], v53, off
	s_or_b64 exec, exec, s[16:17]
	s_and_b64 s[18:19], s[4:5], s[10:11]
	s_and_saveexec_b64 s[16:17], s[18:19]
	s_cbranch_execz .LBB268_65
.LBB268_71:
	s_and_b64 vcc, exec, s[0:1]
	s_cbranch_vccnz .LBB268_73
; %bb.72:
	v_lshl_add_u64 v[50:51], v[42:43], 1, v[48:49]
	global_load_ushort v50, v[50:51], off
	s_waitcnt vmcnt(0)
	v_mul_f16_e32 v50, s28, v50
	v_cvt_f32_f16_e32 v50, v50
	s_branch .LBB268_74
.LBB268_73:
	v_mov_b32_e32 v50, 0
.LBB268_74:
	v_pk_add_f16 v51, v10, v38
	v_max_f16_e32 v53, v123, v123
	v_pk_add_f16 v55, v11, v39
	v_min_f16_e32 v53, v53, v51
	v_lshrrev_b32_e32 v54, 16, v123
	v_lshrrev_b32_e32 v51, 16, v51
	;; [unrolled: 1-line block ×3, first 2 shown]
	v_min3_f16 v51, v54, v51, v56
	v_min3_f16 v51, v53, v55, v51
	v_cvt_f32_f16_e32 v51, v51
	v_max_f32_e32 v50, v50, v50
	v_min_f32_e32 v50, v50, v51
	v_cvt_f16_f32_e32 v53, v50
	v_lshl_add_u64 v[50:51], v[42:43], 1, v[36:37]
	global_store_short v[50:51], v53, off
	s_or_b64 exec, exec, s[16:17]
	s_and_b64 s[18:19], s[6:7], s[10:11]
	s_and_saveexec_b64 s[16:17], s[18:19]
	s_cbranch_execz .LBB268_66
.LBB268_75:
	s_and_b64 vcc, exec, s[0:1]
	s_cbranch_vccnz .LBB268_77
; %bb.76:
	v_lshl_add_u64 v[50:51], v[44:45], 1, v[48:49]
	global_load_ushort v50, v[50:51], off
	s_waitcnt vmcnt(0)
	v_mul_f16_e32 v50, s28, v50
	v_cvt_f32_f16_e32 v50, v50
	s_branch .LBB268_78
.LBB268_77:
	v_mov_b32_e32 v50, 0
.LBB268_78:
	v_pk_add_f16 v51, v0, v38
	v_max_f16_e32 v53, v122, v122
	v_pk_add_f16 v55, v1, v39
	v_min_f16_e32 v53, v53, v51
	v_lshrrev_b32_e32 v54, 16, v122
	v_lshrrev_b32_e32 v51, 16, v51
	v_lshrrev_b32_e32 v56, 16, v55
	v_min3_f16 v51, v54, v51, v56
	v_min3_f16 v51, v53, v55, v51
	v_cvt_f32_f16_e32 v51, v51
	v_max_f32_e32 v50, v50, v50
	v_min_f32_e32 v50, v50, v51
	v_cvt_f16_f32_e32 v53, v50
	v_lshl_add_u64 v[50:51], v[44:45], 1, v[36:37]
	global_store_short v[50:51], v53, off
	s_or_b64 exec, exec, s[16:17]
	s_and_b64 s[16:17], s[8:9], s[10:11]
	s_and_saveexec_b64 s[10:11], s[16:17]
	s_cbranch_execz .LBB268_83
.LBB268_79:
	s_and_b64 vcc, exec, s[0:1]
	s_cbranch_vccnz .LBB268_81
; %bb.80:
	v_lshl_add_u64 v[48:49], v[46:47], 1, v[48:49]
	global_load_ushort v48, v[48:49], off
	s_waitcnt vmcnt(0)
	v_mul_f16_e32 v48, s28, v48
	v_cvt_f32_f16_e32 v48, v48
	s_branch .LBB268_82
.LBB268_81:
	v_mov_b32_e32 v48, 0
.LBB268_82:
	v_pk_add_f16 v38, v2, v38
	v_max_f16_e32 v49, v121, v121
	v_pk_add_f16 v39, v3, v39
	v_min_f16_e32 v49, v49, v38
	v_lshrrev_b32_e32 v50, 16, v121
	v_lshrrev_b32_e32 v38, 16, v38
	v_lshrrev_b32_e32 v51, 16, v39
	v_min3_f16 v38, v50, v38, v51
	v_min3_f16 v38, v49, v39, v38
	v_cvt_f32_f16_e32 v38, v38
	v_max_f32_e32 v39, v48, v48
	v_lshl_add_u64 v[36:37], v[46:47], 1, v[36:37]
	v_min_f32_e32 v38, v39, v38
	v_cvt_f16_f32_e32 v38, v38
	global_store_short v[36:37], v38, off
.LBB268_83:
	s_or_b64 exec, exec, s[10:11]
	v_add_u32_e32 v48, 16, v52
	v_mad_i64_i32 v[36:37], s[16:17], v48, s25, 0
	v_cmp_gt_i32_e64 s[10:11], s13, v48
	v_lshl_add_u64 v[38:39], v[36:37], 1, s[20:21]
	v_mad_i64_i32 v[36:37], s[16:17], v48, s24, 0
	v_lshl_add_u64 v[36:37], v[36:37], 1, s[14:15]
	s_and_b64 s[18:19], s[2:3], s[10:11]
	s_and_saveexec_b64 s[16:17], s[18:19]
	s_cbranch_execnz .LBB268_87
; %bb.84:
	s_or_b64 exec, exec, s[16:17]
	s_and_b64 s[18:19], s[4:5], s[10:11]
	s_and_saveexec_b64 s[16:17], s[18:19]
	s_cbranch_execnz .LBB268_91
.LBB268_85:
	s_or_b64 exec, exec, s[16:17]
	s_and_b64 s[18:19], s[6:7], s[10:11]
	s_and_saveexec_b64 s[16:17], s[18:19]
	s_cbranch_execnz .LBB268_95
.LBB268_86:
	s_or_b64 exec, exec, s[16:17]
	s_and_b64 s[16:17], s[8:9], s[10:11]
	s_and_saveexec_b64 s[10:11], s[16:17]
	s_cbranch_execnz .LBB268_99
	s_branch .LBB268_103
.LBB268_87:
	s_and_b64 vcc, exec, s[0:1]
	s_cbranch_vccnz .LBB268_89
; %bb.88:
	v_lshl_add_u64 v[48:49], v[40:41], 1, v[38:39]
	global_load_ushort v48, v[48:49], off
	s_waitcnt vmcnt(0)
	v_mul_f16_e32 v48, s28, v48
	v_cvt_f32_f16_e32 v48, v48
	s_branch .LBB268_90
.LBB268_89:
	v_mov_b32_e32 v48, 0
.LBB268_90:
	v_pk_add_f16 v49, v8, v32
	v_max_f16_e32 v50, v120, v120
	v_pk_add_f16 v53, v9, v33
	v_min_f16_e32 v50, v50, v49
	v_lshrrev_b32_e32 v51, 16, v120
	v_lshrrev_b32_e32 v49, 16, v49
	;; [unrolled: 1-line block ×3, first 2 shown]
	v_min3_f16 v49, v51, v49, v54
	v_min3_f16 v49, v50, v53, v49
	v_cvt_f32_f16_e32 v49, v49
	v_max_f32_e32 v48, v48, v48
	v_min_f32_e32 v48, v48, v49
	v_cvt_f16_f32_e32 v50, v48
	v_lshl_add_u64 v[48:49], v[40:41], 1, v[36:37]
	global_store_short v[48:49], v50, off
	s_or_b64 exec, exec, s[16:17]
	s_and_b64 s[18:19], s[4:5], s[10:11]
	s_and_saveexec_b64 s[16:17], s[18:19]
	s_cbranch_execz .LBB268_85
.LBB268_91:
	s_and_b64 vcc, exec, s[0:1]
	s_cbranch_vccnz .LBB268_93
; %bb.92:
	v_lshl_add_u64 v[48:49], v[42:43], 1, v[38:39]
	global_load_ushort v48, v[48:49], off
	s_waitcnt vmcnt(0)
	v_mul_f16_e32 v48, s28, v48
	v_cvt_f32_f16_e32 v48, v48
	s_branch .LBB268_94
.LBB268_93:
	v_mov_b32_e32 v48, 0
.LBB268_94:
	v_pk_add_f16 v49, v10, v32
	v_max_f16_e32 v50, v119, v119
	v_pk_add_f16 v53, v11, v33
	v_min_f16_e32 v50, v50, v49
	v_lshrrev_b32_e32 v51, 16, v119
	v_lshrrev_b32_e32 v49, 16, v49
	;; [unrolled: 1-line block ×3, first 2 shown]
	v_min3_f16 v49, v51, v49, v54
	v_min3_f16 v49, v50, v53, v49
	v_cvt_f32_f16_e32 v49, v49
	v_max_f32_e32 v48, v48, v48
	v_min_f32_e32 v48, v48, v49
	v_cvt_f16_f32_e32 v50, v48
	v_lshl_add_u64 v[48:49], v[42:43], 1, v[36:37]
	global_store_short v[48:49], v50, off
	s_or_b64 exec, exec, s[16:17]
	s_and_b64 s[18:19], s[6:7], s[10:11]
	s_and_saveexec_b64 s[16:17], s[18:19]
	s_cbranch_execz .LBB268_86
.LBB268_95:
	s_and_b64 vcc, exec, s[0:1]
	s_cbranch_vccnz .LBB268_97
; %bb.96:
	v_lshl_add_u64 v[48:49], v[44:45], 1, v[38:39]
	global_load_ushort v48, v[48:49], off
	s_waitcnt vmcnt(0)
	v_mul_f16_e32 v48, s28, v48
	v_cvt_f32_f16_e32 v48, v48
	s_branch .LBB268_98
.LBB268_97:
	v_mov_b32_e32 v48, 0
.LBB268_98:
	v_pk_add_f16 v49, v0, v32
	v_max_f16_e32 v50, v116, v116
	v_pk_add_f16 v53, v1, v33
	v_min_f16_e32 v50, v50, v49
	v_lshrrev_b32_e32 v51, 16, v116
	v_lshrrev_b32_e32 v49, 16, v49
	;; [unrolled: 1-line block ×3, first 2 shown]
	v_min3_f16 v49, v51, v49, v54
	v_min3_f16 v49, v50, v53, v49
	v_cvt_f32_f16_e32 v49, v49
	v_max_f32_e32 v48, v48, v48
	v_min_f32_e32 v48, v48, v49
	v_cvt_f16_f32_e32 v50, v48
	v_lshl_add_u64 v[48:49], v[44:45], 1, v[36:37]
	global_store_short v[48:49], v50, off
	s_or_b64 exec, exec, s[16:17]
	s_and_b64 s[16:17], s[8:9], s[10:11]
	s_and_saveexec_b64 s[10:11], s[16:17]
	s_cbranch_execz .LBB268_103
.LBB268_99:
	s_and_b64 vcc, exec, s[0:1]
	s_cbranch_vccnz .LBB268_101
; %bb.100:
	v_lshl_add_u64 v[38:39], v[46:47], 1, v[38:39]
	global_load_ushort v38, v[38:39], off
	s_waitcnt vmcnt(0)
	v_mul_f16_e32 v38, s28, v38
	v_cvt_f32_f16_e32 v38, v38
	s_branch .LBB268_102
.LBB268_101:
	v_mov_b32_e32 v38, 0
.LBB268_102:
	v_pk_add_f16 v32, v2, v32
	v_max_f16_e32 v39, v115, v115
	v_pk_add_f16 v33, v3, v33
	v_min_f16_e32 v39, v39, v32
	v_lshrrev_b32_e32 v48, 16, v115
	v_lshrrev_b32_e32 v32, 16, v32
	;; [unrolled: 1-line block ×3, first 2 shown]
	v_min3_f16 v32, v48, v32, v49
	v_min3_f16 v32, v39, v33, v32
	v_cvt_f32_f16_e32 v32, v32
	v_max_f32_e32 v33, v38, v38
	v_min_f32_e32 v32, v33, v32
	v_cvt_f16_f32_e32 v38, v32
	v_lshl_add_u64 v[32:33], v[46:47], 1, v[36:37]
	global_store_short v[32:33], v38, off
.LBB268_103:
	s_or_b64 exec, exec, s[10:11]
	v_add_u32_e32 v38, 24, v52
	v_mad_i64_i32 v[32:33], s[16:17], v38, s25, 0
	v_cmp_gt_i32_e64 s[10:11], s13, v38
	v_lshl_add_u64 v[36:37], v[32:33], 1, s[20:21]
	v_mad_i64_i32 v[32:33], s[16:17], v38, s24, 0
	v_lshl_add_u64 v[32:33], v[32:33], 1, s[14:15]
	s_and_b64 s[18:19], s[2:3], s[10:11]
	s_and_saveexec_b64 s[16:17], s[18:19]
	s_cbranch_execnz .LBB268_107
; %bb.104:
	s_or_b64 exec, exec, s[16:17]
	s_and_b64 s[18:19], s[4:5], s[10:11]
	s_and_saveexec_b64 s[16:17], s[18:19]
	s_cbranch_execnz .LBB268_111
.LBB268_105:
	s_or_b64 exec, exec, s[16:17]
	s_and_b64 s[18:19], s[6:7], s[10:11]
	s_and_saveexec_b64 s[16:17], s[18:19]
	s_cbranch_execnz .LBB268_115
.LBB268_106:
	s_or_b64 exec, exec, s[16:17]
	s_and_b64 s[16:17], s[8:9], s[10:11]
	s_and_saveexec_b64 s[10:11], s[16:17]
	s_cbranch_execnz .LBB268_119
	s_branch .LBB268_123
.LBB268_107:
	s_and_b64 vcc, exec, s[0:1]
	s_cbranch_vccnz .LBB268_109
; %bb.108:
	v_lshl_add_u64 v[38:39], v[40:41], 1, v[36:37]
	global_load_ushort v38, v[38:39], off
	s_waitcnt vmcnt(0)
	v_mul_f16_e32 v38, s28, v38
	v_cvt_f32_f16_e32 v38, v38
	s_branch .LBB268_110
.LBB268_109:
	v_mov_b32_e32 v38, 0
.LBB268_110:
	v_pk_add_f16 v39, v8, v34
	v_max_f16_e32 v48, v114, v114
	v_pk_add_f16 v50, v9, v35
	v_min_f16_e32 v48, v48, v39
	v_lshrrev_b32_e32 v49, 16, v114
	v_lshrrev_b32_e32 v39, 16, v39
	;; [unrolled: 1-line block ×3, first 2 shown]
	v_min3_f16 v39, v49, v39, v51
	v_min3_f16 v39, v48, v50, v39
	v_cvt_f32_f16_e32 v39, v39
	v_max_f32_e32 v38, v38, v38
	v_min_f32_e32 v38, v38, v39
	v_cvt_f16_f32_e32 v48, v38
	v_lshl_add_u64 v[38:39], v[40:41], 1, v[32:33]
	global_store_short v[38:39], v48, off
	s_or_b64 exec, exec, s[16:17]
	s_and_b64 s[18:19], s[4:5], s[10:11]
	s_and_saveexec_b64 s[16:17], s[18:19]
	s_cbranch_execz .LBB268_105
.LBB268_111:
	s_and_b64 vcc, exec, s[0:1]
	s_cbranch_vccnz .LBB268_113
; %bb.112:
	v_lshl_add_u64 v[38:39], v[42:43], 1, v[36:37]
	global_load_ushort v38, v[38:39], off
	s_waitcnt vmcnt(0)
	v_mul_f16_e32 v38, s28, v38
	v_cvt_f32_f16_e32 v38, v38
	s_branch .LBB268_114
.LBB268_113:
	v_mov_b32_e32 v38, 0
.LBB268_114:
	v_pk_add_f16 v39, v10, v34
	v_max_f16_e32 v48, v113, v113
	v_pk_add_f16 v50, v11, v35
	v_min_f16_e32 v48, v48, v39
	v_lshrrev_b32_e32 v49, 16, v113
	v_lshrrev_b32_e32 v39, 16, v39
	;; [unrolled: 1-line block ×3, first 2 shown]
	v_min3_f16 v39, v49, v39, v51
	v_min3_f16 v39, v48, v50, v39
	v_cvt_f32_f16_e32 v39, v39
	v_max_f32_e32 v38, v38, v38
	v_min_f32_e32 v38, v38, v39
	v_cvt_f16_f32_e32 v48, v38
	v_lshl_add_u64 v[38:39], v[42:43], 1, v[32:33]
	global_store_short v[38:39], v48, off
	s_or_b64 exec, exec, s[16:17]
	s_and_b64 s[18:19], s[6:7], s[10:11]
	s_and_saveexec_b64 s[16:17], s[18:19]
	s_cbranch_execz .LBB268_106
.LBB268_115:
	s_and_b64 vcc, exec, s[0:1]
	s_cbranch_vccnz .LBB268_117
; %bb.116:
	v_lshl_add_u64 v[38:39], v[44:45], 1, v[36:37]
	global_load_ushort v38, v[38:39], off
	s_waitcnt vmcnt(0)
	v_mul_f16_e32 v38, s28, v38
	v_cvt_f32_f16_e32 v38, v38
	s_branch .LBB268_118
.LBB268_117:
	v_mov_b32_e32 v38, 0
.LBB268_118:
	v_pk_add_f16 v39, v0, v34
	v_max_f16_e32 v48, v112, v112
	v_pk_add_f16 v50, v1, v35
	v_min_f16_e32 v48, v48, v39
	v_lshrrev_b32_e32 v49, 16, v112
	v_lshrrev_b32_e32 v39, 16, v39
	;; [unrolled: 1-line block ×3, first 2 shown]
	v_min3_f16 v39, v49, v39, v51
	v_min3_f16 v39, v48, v50, v39
	v_cvt_f32_f16_e32 v39, v39
	v_max_f32_e32 v38, v38, v38
	v_min_f32_e32 v38, v38, v39
	v_cvt_f16_f32_e32 v48, v38
	v_lshl_add_u64 v[38:39], v[44:45], 1, v[32:33]
	global_store_short v[38:39], v48, off
	s_or_b64 exec, exec, s[16:17]
	s_and_b64 s[16:17], s[8:9], s[10:11]
	s_and_saveexec_b64 s[10:11], s[16:17]
	s_cbranch_execz .LBB268_123
.LBB268_119:
	s_and_b64 vcc, exec, s[0:1]
	s_cbranch_vccnz .LBB268_121
; %bb.120:
	v_lshl_add_u64 v[36:37], v[46:47], 1, v[36:37]
	global_load_ushort v36, v[36:37], off
	s_waitcnt vmcnt(0)
	v_mul_f16_e32 v36, s28, v36
	v_cvt_f32_f16_e32 v36, v36
	s_branch .LBB268_122
.LBB268_121:
	v_mov_b32_e32 v36, 0
.LBB268_122:
	v_pk_add_f16 v34, v2, v34
	v_max_f16_e32 v37, v110, v110
	v_pk_add_f16 v35, v3, v35
	v_min_f16_e32 v37, v37, v34
	v_lshrrev_b32_e32 v38, 16, v110
	v_lshrrev_b32_e32 v34, 16, v34
	v_lshrrev_b32_e32 v39, 16, v35
	v_min3_f16 v34, v38, v34, v39
	v_min3_f16 v34, v37, v35, v34
	v_cvt_f32_f16_e32 v34, v34
	v_max_f32_e32 v35, v36, v36
	v_lshl_add_u64 v[32:33], v[46:47], 1, v[32:33]
	v_min_f32_e32 v34, v35, v34
	v_cvt_f16_f32_e32 v34, v34
	global_store_short v[32:33], v34, off
.LBB268_123:
	s_or_b64 exec, exec, s[10:11]
	v_add_u32_e32 v36, 32, v52
	v_mad_i64_i32 v[32:33], s[16:17], v36, s25, 0
	v_cmp_gt_i32_e64 s[10:11], s13, v36
	v_lshl_add_u64 v[34:35], v[32:33], 1, s[20:21]
	v_mad_i64_i32 v[32:33], s[16:17], v36, s24, 0
	v_lshl_add_u64 v[32:33], v[32:33], 1, s[14:15]
	s_and_b64 s[18:19], s[2:3], s[10:11]
	s_and_saveexec_b64 s[16:17], s[18:19]
	s_cbranch_execnz .LBB268_127
; %bb.124:
	s_or_b64 exec, exec, s[16:17]
	s_and_b64 s[18:19], s[4:5], s[10:11]
	s_and_saveexec_b64 s[16:17], s[18:19]
	s_cbranch_execnz .LBB268_131
.LBB268_125:
	s_or_b64 exec, exec, s[16:17]
	s_and_b64 s[18:19], s[6:7], s[10:11]
	s_and_saveexec_b64 s[16:17], s[18:19]
	s_cbranch_execnz .LBB268_135
.LBB268_126:
	s_or_b64 exec, exec, s[16:17]
	s_and_b64 s[16:17], s[8:9], s[10:11]
	s_and_saveexec_b64 s[10:11], s[16:17]
	s_cbranch_execnz .LBB268_139
	s_branch .LBB268_143
.LBB268_127:
	s_and_b64 vcc, exec, s[0:1]
	s_cbranch_vccnz .LBB268_129
; %bb.128:
	v_lshl_add_u64 v[36:37], v[40:41], 1, v[34:35]
	global_load_ushort v36, v[36:37], off
	s_waitcnt vmcnt(0)
	v_mul_f16_e32 v36, s28, v36
	v_cvt_f32_f16_e32 v36, v36
	s_branch .LBB268_130
.LBB268_129:
	v_mov_b32_e32 v36, 0
.LBB268_130:
	v_pk_add_f16 v37, v8, v28
	v_max_f16_e32 v38, v107, v107
	v_pk_add_f16 v48, v9, v29
	v_min_f16_e32 v38, v38, v37
	v_lshrrev_b32_e32 v39, 16, v107
	v_lshrrev_b32_e32 v37, 16, v37
	v_lshrrev_b32_e32 v49, 16, v48
	v_min3_f16 v37, v39, v37, v49
	v_min3_f16 v37, v38, v48, v37
	v_cvt_f32_f16_e32 v37, v37
	v_max_f32_e32 v36, v36, v36
	v_min_f32_e32 v36, v36, v37
	v_cvt_f16_f32_e32 v38, v36
	v_lshl_add_u64 v[36:37], v[40:41], 1, v[32:33]
	global_store_short v[36:37], v38, off
	s_or_b64 exec, exec, s[16:17]
	s_and_b64 s[18:19], s[4:5], s[10:11]
	s_and_saveexec_b64 s[16:17], s[18:19]
	s_cbranch_execz .LBB268_125
.LBB268_131:
	s_and_b64 vcc, exec, s[0:1]
	s_cbranch_vccnz .LBB268_133
; %bb.132:
	v_lshl_add_u64 v[36:37], v[42:43], 1, v[34:35]
	global_load_ushort v36, v[36:37], off
	s_waitcnt vmcnt(0)
	v_mul_f16_e32 v36, s28, v36
	v_cvt_f32_f16_e32 v36, v36
	s_branch .LBB268_134
.LBB268_133:
	v_mov_b32_e32 v36, 0
.LBB268_134:
	v_pk_add_f16 v37, v10, v28
	v_max_f16_e32 v38, v106, v106
	v_pk_add_f16 v48, v11, v29
	v_min_f16_e32 v38, v38, v37
	v_lshrrev_b32_e32 v39, 16, v106
	v_lshrrev_b32_e32 v37, 16, v37
	;; [unrolled: 1-line block ×3, first 2 shown]
	v_min3_f16 v37, v39, v37, v49
	v_min3_f16 v37, v38, v48, v37
	v_cvt_f32_f16_e32 v37, v37
	v_max_f32_e32 v36, v36, v36
	v_min_f32_e32 v36, v36, v37
	v_cvt_f16_f32_e32 v38, v36
	v_lshl_add_u64 v[36:37], v[42:43], 1, v[32:33]
	global_store_short v[36:37], v38, off
	s_or_b64 exec, exec, s[16:17]
	s_and_b64 s[18:19], s[6:7], s[10:11]
	s_and_saveexec_b64 s[16:17], s[18:19]
	s_cbranch_execz .LBB268_126
.LBB268_135:
	s_and_b64 vcc, exec, s[0:1]
	s_cbranch_vccnz .LBB268_137
; %bb.136:
	v_lshl_add_u64 v[36:37], v[44:45], 1, v[34:35]
	global_load_ushort v36, v[36:37], off
	s_waitcnt vmcnt(0)
	v_mul_f16_e32 v36, s28, v36
	v_cvt_f32_f16_e32 v36, v36
	s_branch .LBB268_138
.LBB268_137:
	v_mov_b32_e32 v36, 0
.LBB268_138:
	v_pk_add_f16 v37, v0, v28
	v_max_f16_e32 v38, v105, v105
	v_pk_add_f16 v48, v1, v29
	v_min_f16_e32 v38, v38, v37
	v_lshrrev_b32_e32 v39, 16, v105
	v_lshrrev_b32_e32 v37, 16, v37
	;; [unrolled: 1-line block ×3, first 2 shown]
	v_min3_f16 v37, v39, v37, v49
	v_min3_f16 v37, v38, v48, v37
	v_cvt_f32_f16_e32 v37, v37
	v_max_f32_e32 v36, v36, v36
	v_min_f32_e32 v36, v36, v37
	v_cvt_f16_f32_e32 v38, v36
	v_lshl_add_u64 v[36:37], v[44:45], 1, v[32:33]
	global_store_short v[36:37], v38, off
	s_or_b64 exec, exec, s[16:17]
	s_and_b64 s[16:17], s[8:9], s[10:11]
	s_and_saveexec_b64 s[10:11], s[16:17]
	s_cbranch_execz .LBB268_143
.LBB268_139:
	s_and_b64 vcc, exec, s[0:1]
	s_cbranch_vccnz .LBB268_141
; %bb.140:
	v_lshl_add_u64 v[34:35], v[46:47], 1, v[34:35]
	global_load_ushort v34, v[34:35], off
	s_waitcnt vmcnt(0)
	v_mul_f16_e32 v34, s28, v34
	v_cvt_f32_f16_e32 v34, v34
	s_branch .LBB268_142
.LBB268_141:
	v_mov_b32_e32 v34, 0
.LBB268_142:
	v_pk_add_f16 v28, v2, v28
	v_max_f16_e32 v35, v104, v104
	v_pk_add_f16 v29, v3, v29
	v_min_f16_e32 v35, v35, v28
	v_lshrrev_b32_e32 v36, 16, v104
	v_lshrrev_b32_e32 v28, 16, v28
	;; [unrolled: 1-line block ×3, first 2 shown]
	v_min3_f16 v28, v36, v28, v37
	v_min3_f16 v28, v35, v29, v28
	v_cvt_f32_f16_e32 v28, v28
	v_max_f32_e32 v29, v34, v34
	v_min_f32_e32 v28, v29, v28
	v_cvt_f16_f32_e32 v34, v28
	v_lshl_add_u64 v[28:29], v[46:47], 1, v[32:33]
	global_store_short v[28:29], v34, off
.LBB268_143:
	s_or_b64 exec, exec, s[10:11]
	v_add_u32_e32 v34, 40, v52
	v_mad_i64_i32 v[28:29], s[16:17], v34, s25, 0
	v_cmp_gt_i32_e64 s[10:11], s13, v34
	v_lshl_add_u64 v[32:33], v[28:29], 1, s[20:21]
	v_mad_i64_i32 v[28:29], s[16:17], v34, s24, 0
	v_lshl_add_u64 v[28:29], v[28:29], 1, s[14:15]
	s_and_b64 s[18:19], s[2:3], s[10:11]
	s_and_saveexec_b64 s[16:17], s[18:19]
	s_cbranch_execnz .LBB268_147
; %bb.144:
	s_or_b64 exec, exec, s[16:17]
	s_and_b64 s[18:19], s[4:5], s[10:11]
	s_and_saveexec_b64 s[16:17], s[18:19]
	s_cbranch_execnz .LBB268_151
.LBB268_145:
	s_or_b64 exec, exec, s[16:17]
	s_and_b64 s[18:19], s[6:7], s[10:11]
	s_and_saveexec_b64 s[16:17], s[18:19]
	s_cbranch_execnz .LBB268_155
.LBB268_146:
	s_or_b64 exec, exec, s[16:17]
	s_and_b64 s[16:17], s[8:9], s[10:11]
	s_and_saveexec_b64 s[10:11], s[16:17]
	s_cbranch_execnz .LBB268_159
	s_branch .LBB268_163
.LBB268_147:
	s_and_b64 vcc, exec, s[0:1]
	s_cbranch_vccnz .LBB268_149
; %bb.148:
	v_lshl_add_u64 v[34:35], v[40:41], 1, v[32:33]
	global_load_ushort v34, v[34:35], off
	s_waitcnt vmcnt(0)
	v_mul_f16_e32 v34, s28, v34
	v_cvt_f32_f16_e32 v34, v34
	s_branch .LBB268_150
.LBB268_149:
	v_mov_b32_e32 v34, 0
.LBB268_150:
	v_pk_add_f16 v35, v8, v30
	v_max_f16_e32 v36, v103, v103
	v_pk_add_f16 v38, v9, v31
	v_min_f16_e32 v36, v36, v35
	v_lshrrev_b32_e32 v37, 16, v103
	v_lshrrev_b32_e32 v35, 16, v35
	;; [unrolled: 1-line block ×3, first 2 shown]
	v_min3_f16 v35, v37, v35, v39
	v_min3_f16 v35, v36, v38, v35
	v_cvt_f32_f16_e32 v35, v35
	v_max_f32_e32 v34, v34, v34
	v_min_f32_e32 v34, v34, v35
	v_cvt_f16_f32_e32 v36, v34
	v_lshl_add_u64 v[34:35], v[40:41], 1, v[28:29]
	global_store_short v[34:35], v36, off
	s_or_b64 exec, exec, s[16:17]
	s_and_b64 s[18:19], s[4:5], s[10:11]
	s_and_saveexec_b64 s[16:17], s[18:19]
	s_cbranch_execz .LBB268_145
.LBB268_151:
	s_and_b64 vcc, exec, s[0:1]
	s_cbranch_vccnz .LBB268_153
; %bb.152:
	v_lshl_add_u64 v[34:35], v[42:43], 1, v[32:33]
	global_load_ushort v34, v[34:35], off
	s_waitcnt vmcnt(0)
	v_mul_f16_e32 v34, s28, v34
	v_cvt_f32_f16_e32 v34, v34
	s_branch .LBB268_154
.LBB268_153:
	v_mov_b32_e32 v34, 0
.LBB268_154:
	v_pk_add_f16 v35, v10, v30
	v_max_f16_e32 v36, v102, v102
	v_pk_add_f16 v38, v11, v31
	v_min_f16_e32 v36, v36, v35
	v_lshrrev_b32_e32 v37, 16, v102
	v_lshrrev_b32_e32 v35, 16, v35
	;; [unrolled: 1-line block ×3, first 2 shown]
	v_min3_f16 v35, v37, v35, v39
	v_min3_f16 v35, v36, v38, v35
	v_cvt_f32_f16_e32 v35, v35
	v_max_f32_e32 v34, v34, v34
	v_min_f32_e32 v34, v34, v35
	v_cvt_f16_f32_e32 v36, v34
	v_lshl_add_u64 v[34:35], v[42:43], 1, v[28:29]
	global_store_short v[34:35], v36, off
	s_or_b64 exec, exec, s[16:17]
	s_and_b64 s[18:19], s[6:7], s[10:11]
	s_and_saveexec_b64 s[16:17], s[18:19]
	s_cbranch_execz .LBB268_146
.LBB268_155:
	s_and_b64 vcc, exec, s[0:1]
	s_cbranch_vccnz .LBB268_157
; %bb.156:
	v_lshl_add_u64 v[34:35], v[44:45], 1, v[32:33]
	global_load_ushort v34, v[34:35], off
	s_waitcnt vmcnt(0)
	v_mul_f16_e32 v34, s28, v34
	v_cvt_f32_f16_e32 v34, v34
	s_branch .LBB268_158
.LBB268_157:
	v_mov_b32_e32 v34, 0
.LBB268_158:
	v_pk_add_f16 v35, v0, v30
	v_max_f16_e32 v36, v99, v99
	v_pk_add_f16 v38, v1, v31
	v_min_f16_e32 v36, v36, v35
	v_lshrrev_b32_e32 v37, 16, v99
	v_lshrrev_b32_e32 v35, 16, v35
	;; [unrolled: 1-line block ×3, first 2 shown]
	v_min3_f16 v35, v37, v35, v39
	v_min3_f16 v35, v36, v38, v35
	v_cvt_f32_f16_e32 v35, v35
	v_max_f32_e32 v34, v34, v34
	v_min_f32_e32 v34, v34, v35
	v_cvt_f16_f32_e32 v36, v34
	v_lshl_add_u64 v[34:35], v[44:45], 1, v[28:29]
	global_store_short v[34:35], v36, off
	s_or_b64 exec, exec, s[16:17]
	s_and_b64 s[16:17], s[8:9], s[10:11]
	s_and_saveexec_b64 s[10:11], s[16:17]
	s_cbranch_execz .LBB268_163
.LBB268_159:
	s_and_b64 vcc, exec, s[0:1]
	s_cbranch_vccnz .LBB268_161
; %bb.160:
	v_lshl_add_u64 v[32:33], v[46:47], 1, v[32:33]
	global_load_ushort v32, v[32:33], off
	s_waitcnt vmcnt(0)
	v_mul_f16_e32 v32, s28, v32
	v_cvt_f32_f16_e32 v32, v32
	s_branch .LBB268_162
.LBB268_161:
	v_mov_b32_e32 v32, 0
.LBB268_162:
	v_pk_add_f16 v30, v2, v30
	v_max_f16_e32 v33, v98, v98
	v_pk_add_f16 v31, v3, v31
	v_min_f16_e32 v33, v33, v30
	v_lshrrev_b32_e32 v34, 16, v98
	v_lshrrev_b32_e32 v30, 16, v30
	;; [unrolled: 1-line block ×3, first 2 shown]
	v_min3_f16 v30, v34, v30, v35
	v_min3_f16 v30, v33, v31, v30
	v_cvt_f32_f16_e32 v30, v30
	v_max_f32_e32 v31, v32, v32
	v_lshl_add_u64 v[28:29], v[46:47], 1, v[28:29]
	v_min_f32_e32 v30, v31, v30
	v_cvt_f16_f32_e32 v30, v30
	global_store_short v[28:29], v30, off
.LBB268_163:
	s_or_b64 exec, exec, s[10:11]
	v_add_u32_e32 v32, 48, v52
	v_mad_i64_i32 v[28:29], s[16:17], v32, s25, 0
	v_cmp_gt_i32_e64 s[10:11], s13, v32
	v_lshl_add_u64 v[30:31], v[28:29], 1, s[20:21]
	v_mad_i64_i32 v[28:29], s[16:17], v32, s24, 0
	v_lshl_add_u64 v[28:29], v[28:29], 1, s[14:15]
	s_and_b64 s[18:19], s[2:3], s[10:11]
	s_and_saveexec_b64 s[16:17], s[18:19]
	s_cbranch_execnz .LBB268_167
; %bb.164:
	s_or_b64 exec, exec, s[16:17]
	s_and_b64 s[18:19], s[4:5], s[10:11]
	s_and_saveexec_b64 s[16:17], s[18:19]
	s_cbranch_execnz .LBB268_171
.LBB268_165:
	s_or_b64 exec, exec, s[16:17]
	s_and_b64 s[18:19], s[6:7], s[10:11]
	s_and_saveexec_b64 s[16:17], s[18:19]
	s_cbranch_execnz .LBB268_175
.LBB268_166:
	s_or_b64 exec, exec, s[16:17]
	s_and_b64 s[16:17], s[8:9], s[10:11]
	s_and_saveexec_b64 s[10:11], s[16:17]
	s_cbranch_execnz .LBB268_179
	s_branch .LBB268_183
.LBB268_167:
	s_and_b64 vcc, exec, s[0:1]
	s_cbranch_vccnz .LBB268_169
; %bb.168:
	v_lshl_add_u64 v[32:33], v[40:41], 1, v[30:31]
	global_load_ushort v32, v[32:33], off
	s_waitcnt vmcnt(0)
	v_mul_f16_e32 v32, s28, v32
	v_cvt_f32_f16_e32 v32, v32
	s_branch .LBB268_170
.LBB268_169:
	v_mov_b32_e32 v32, 0
.LBB268_170:
	v_pk_add_f16 v33, v8, v24
	v_max_f16_e32 v34, v97, v97
	v_pk_add_f16 v36, v9, v25
	v_min_f16_e32 v34, v34, v33
	v_lshrrev_b32_e32 v35, 16, v97
	v_lshrrev_b32_e32 v33, 16, v33
	;; [unrolled: 1-line block ×3, first 2 shown]
	v_min3_f16 v33, v35, v33, v37
	v_min3_f16 v33, v34, v36, v33
	v_cvt_f32_f16_e32 v33, v33
	v_max_f32_e32 v32, v32, v32
	v_min_f32_e32 v32, v32, v33
	v_cvt_f16_f32_e32 v34, v32
	v_lshl_add_u64 v[32:33], v[40:41], 1, v[28:29]
	global_store_short v[32:33], v34, off
	s_or_b64 exec, exec, s[16:17]
	s_and_b64 s[18:19], s[4:5], s[10:11]
	s_and_saveexec_b64 s[16:17], s[18:19]
	s_cbranch_execz .LBB268_165
.LBB268_171:
	s_and_b64 vcc, exec, s[0:1]
	s_cbranch_vccnz .LBB268_173
; %bb.172:
	v_lshl_add_u64 v[32:33], v[42:43], 1, v[30:31]
	global_load_ushort v32, v[32:33], off
	s_waitcnt vmcnt(0)
	v_mul_f16_e32 v32, s28, v32
	v_cvt_f32_f16_e32 v32, v32
	s_branch .LBB268_174
.LBB268_173:
	v_mov_b32_e32 v32, 0
.LBB268_174:
	v_pk_add_f16 v33, v10, v24
	v_max_f16_e32 v34, v96, v96
	v_pk_add_f16 v36, v11, v25
	v_min_f16_e32 v34, v34, v33
	v_lshrrev_b32_e32 v35, 16, v96
	v_lshrrev_b32_e32 v33, 16, v33
	;; [unrolled: 1-line block ×3, first 2 shown]
	v_min3_f16 v33, v35, v33, v37
	v_min3_f16 v33, v34, v36, v33
	v_cvt_f32_f16_e32 v33, v33
	v_max_f32_e32 v32, v32, v32
	v_min_f32_e32 v32, v32, v33
	v_cvt_f16_f32_e32 v34, v32
	v_lshl_add_u64 v[32:33], v[42:43], 1, v[28:29]
	global_store_short v[32:33], v34, off
	s_or_b64 exec, exec, s[16:17]
	s_and_b64 s[18:19], s[6:7], s[10:11]
	s_and_saveexec_b64 s[16:17], s[18:19]
	s_cbranch_execz .LBB268_166
.LBB268_175:
	s_and_b64 vcc, exec, s[0:1]
	s_cbranch_vccnz .LBB268_177
; %bb.176:
	v_lshl_add_u64 v[32:33], v[44:45], 1, v[30:31]
	global_load_ushort v32, v[32:33], off
	s_waitcnt vmcnt(0)
	v_mul_f16_e32 v32, s28, v32
	v_cvt_f32_f16_e32 v32, v32
	s_branch .LBB268_178
.LBB268_177:
	v_mov_b32_e32 v32, 0
.LBB268_178:
	v_pk_add_f16 v33, v0, v24
	v_max_f16_e32 v34, v95, v95
	v_pk_add_f16 v36, v1, v25
	v_min_f16_e32 v34, v34, v33
	v_lshrrev_b32_e32 v35, 16, v95
	v_lshrrev_b32_e32 v33, 16, v33
	;; [unrolled: 1-line block ×3, first 2 shown]
	v_min3_f16 v33, v35, v33, v37
	v_min3_f16 v33, v34, v36, v33
	v_cvt_f32_f16_e32 v33, v33
	v_max_f32_e32 v32, v32, v32
	v_min_f32_e32 v32, v32, v33
	v_cvt_f16_f32_e32 v34, v32
	v_lshl_add_u64 v[32:33], v[44:45], 1, v[28:29]
	global_store_short v[32:33], v34, off
	s_or_b64 exec, exec, s[16:17]
	s_and_b64 s[16:17], s[8:9], s[10:11]
	s_and_saveexec_b64 s[10:11], s[16:17]
	s_cbranch_execz .LBB268_183
.LBB268_179:
	s_and_b64 vcc, exec, s[0:1]
	s_cbranch_vccnz .LBB268_181
; %bb.180:
	v_lshl_add_u64 v[30:31], v[46:47], 1, v[30:31]
	global_load_ushort v30, v[30:31], off
	s_waitcnt vmcnt(0)
	v_mul_f16_e32 v30, s28, v30
	v_cvt_f32_f16_e32 v30, v30
	s_branch .LBB268_182
.LBB268_181:
	v_mov_b32_e32 v30, 0
.LBB268_182:
	v_pk_add_f16 v24, v2, v24
	v_max_f16_e32 v31, v94, v94
	v_pk_add_f16 v25, v3, v25
	v_min_f16_e32 v31, v31, v24
	v_lshrrev_b32_e32 v32, 16, v94
	v_lshrrev_b32_e32 v24, 16, v24
	;; [unrolled: 1-line block ×3, first 2 shown]
	v_min3_f16 v24, v32, v24, v33
	v_min3_f16 v24, v31, v25, v24
	v_cvt_f32_f16_e32 v24, v24
	v_max_f32_e32 v25, v30, v30
	v_min_f32_e32 v24, v25, v24
	v_cvt_f16_f32_e32 v30, v24
	v_lshl_add_u64 v[24:25], v[46:47], 1, v[28:29]
	global_store_short v[24:25], v30, off
.LBB268_183:
	s_or_b64 exec, exec, s[10:11]
	v_add_u32_e32 v30, 56, v52
	v_mad_i64_i32 v[24:25], s[16:17], v30, s25, 0
	v_cmp_gt_i32_e64 s[10:11], s13, v30
	v_lshl_add_u64 v[28:29], v[24:25], 1, s[20:21]
	v_mad_i64_i32 v[24:25], s[16:17], v30, s24, 0
	v_lshl_add_u64 v[24:25], v[24:25], 1, s[14:15]
	s_and_b64 s[18:19], s[2:3], s[10:11]
	s_and_saveexec_b64 s[16:17], s[18:19]
	s_cbranch_execnz .LBB268_187
; %bb.184:
	s_or_b64 exec, exec, s[16:17]
	s_and_b64 s[18:19], s[4:5], s[10:11]
	s_and_saveexec_b64 s[16:17], s[18:19]
	s_cbranch_execnz .LBB268_191
.LBB268_185:
	s_or_b64 exec, exec, s[16:17]
	s_and_b64 s[18:19], s[6:7], s[10:11]
	s_and_saveexec_b64 s[16:17], s[18:19]
	s_cbranch_execnz .LBB268_195
.LBB268_186:
	s_or_b64 exec, exec, s[16:17]
	s_and_b64 s[16:17], s[8:9], s[10:11]
	s_and_saveexec_b64 s[10:11], s[16:17]
	s_cbranch_execnz .LBB268_199
	s_branch .LBB268_203
.LBB268_187:
	s_and_b64 vcc, exec, s[0:1]
	s_cbranch_vccnz .LBB268_189
; %bb.188:
	v_lshl_add_u64 v[30:31], v[40:41], 1, v[28:29]
	global_load_ushort v30, v[30:31], off
	s_waitcnt vmcnt(0)
	v_mul_f16_e32 v30, s28, v30
	v_cvt_f32_f16_e32 v30, v30
	s_branch .LBB268_190
.LBB268_189:
	v_mov_b32_e32 v30, 0
.LBB268_190:
	v_pk_add_f16 v31, v8, v26
	v_max_f16_e32 v32, v93, v93
	v_pk_add_f16 v34, v9, v27
	v_min_f16_e32 v32, v32, v31
	v_lshrrev_b32_e32 v33, 16, v93
	v_lshrrev_b32_e32 v31, 16, v31
	;; [unrolled: 1-line block ×3, first 2 shown]
	v_min3_f16 v31, v33, v31, v35
	v_min3_f16 v31, v32, v34, v31
	v_cvt_f32_f16_e32 v31, v31
	v_max_f32_e32 v30, v30, v30
	v_min_f32_e32 v30, v30, v31
	v_cvt_f16_f32_e32 v32, v30
	v_lshl_add_u64 v[30:31], v[40:41], 1, v[24:25]
	global_store_short v[30:31], v32, off
	s_or_b64 exec, exec, s[16:17]
	s_and_b64 s[18:19], s[4:5], s[10:11]
	s_and_saveexec_b64 s[16:17], s[18:19]
	s_cbranch_execz .LBB268_185
.LBB268_191:
	s_and_b64 vcc, exec, s[0:1]
	s_cbranch_vccnz .LBB268_193
; %bb.192:
	v_lshl_add_u64 v[30:31], v[42:43], 1, v[28:29]
	global_load_ushort v30, v[30:31], off
	s_waitcnt vmcnt(0)
	v_mul_f16_e32 v30, s28, v30
	v_cvt_f32_f16_e32 v30, v30
	s_branch .LBB268_194
.LBB268_193:
	v_mov_b32_e32 v30, 0
.LBB268_194:
	v_pk_add_f16 v31, v10, v26
	v_max_f16_e32 v32, v92, v92
	v_pk_add_f16 v34, v11, v27
	v_min_f16_e32 v32, v32, v31
	v_lshrrev_b32_e32 v33, 16, v92
	v_lshrrev_b32_e32 v31, 16, v31
	;; [unrolled: 1-line block ×3, first 2 shown]
	v_min3_f16 v31, v33, v31, v35
	v_min3_f16 v31, v32, v34, v31
	v_cvt_f32_f16_e32 v31, v31
	v_max_f32_e32 v30, v30, v30
	v_min_f32_e32 v30, v30, v31
	v_cvt_f16_f32_e32 v32, v30
	v_lshl_add_u64 v[30:31], v[42:43], 1, v[24:25]
	global_store_short v[30:31], v32, off
	s_or_b64 exec, exec, s[16:17]
	s_and_b64 s[18:19], s[6:7], s[10:11]
	s_and_saveexec_b64 s[16:17], s[18:19]
	s_cbranch_execz .LBB268_186
.LBB268_195:
	s_and_b64 vcc, exec, s[0:1]
	s_cbranch_vccnz .LBB268_197
; %bb.196:
	v_lshl_add_u64 v[30:31], v[44:45], 1, v[28:29]
	global_load_ushort v30, v[30:31], off
	s_waitcnt vmcnt(0)
	v_mul_f16_e32 v30, s28, v30
	v_cvt_f32_f16_e32 v30, v30
	s_branch .LBB268_198
.LBB268_197:
	v_mov_b32_e32 v30, 0
.LBB268_198:
	v_pk_add_f16 v31, v0, v26
	v_max_f16_e32 v32, v91, v91
	v_pk_add_f16 v34, v1, v27
	v_min_f16_e32 v32, v32, v31
	v_lshrrev_b32_e32 v33, 16, v91
	v_lshrrev_b32_e32 v31, 16, v31
	;; [unrolled: 1-line block ×3, first 2 shown]
	v_min3_f16 v31, v33, v31, v35
	v_min3_f16 v31, v32, v34, v31
	v_cvt_f32_f16_e32 v31, v31
	v_max_f32_e32 v30, v30, v30
	v_min_f32_e32 v30, v30, v31
	v_cvt_f16_f32_e32 v32, v30
	v_lshl_add_u64 v[30:31], v[44:45], 1, v[24:25]
	global_store_short v[30:31], v32, off
	s_or_b64 exec, exec, s[16:17]
	s_and_b64 s[16:17], s[8:9], s[10:11]
	s_and_saveexec_b64 s[10:11], s[16:17]
	s_cbranch_execz .LBB268_203
.LBB268_199:
	s_and_b64 vcc, exec, s[0:1]
	s_cbranch_vccnz .LBB268_201
; %bb.200:
	v_lshl_add_u64 v[28:29], v[46:47], 1, v[28:29]
	global_load_ushort v28, v[28:29], off
	s_waitcnt vmcnt(0)
	v_mul_f16_e32 v28, s28, v28
	v_cvt_f32_f16_e32 v28, v28
	s_branch .LBB268_202
.LBB268_201:
	v_mov_b32_e32 v28, 0
.LBB268_202:
	v_pk_add_f16 v26, v2, v26
	v_max_f16_e32 v29, v90, v90
	v_pk_add_f16 v27, v3, v27
	v_min_f16_e32 v29, v29, v26
	v_lshrrev_b32_e32 v30, 16, v90
	v_lshrrev_b32_e32 v26, 16, v26
	;; [unrolled: 1-line block ×3, first 2 shown]
	v_min3_f16 v26, v30, v26, v31
	v_min3_f16 v26, v29, v27, v26
	v_cvt_f32_f16_e32 v26, v26
	v_max_f32_e32 v27, v28, v28
	v_lshl_add_u64 v[24:25], v[46:47], 1, v[24:25]
	v_min_f32_e32 v26, v27, v26
	v_cvt_f16_f32_e32 v26, v26
	global_store_short v[24:25], v26, off
.LBB268_203:
	s_or_b64 exec, exec, s[10:11]
	v_add_u32_e32 v28, 64, v52
	v_mad_i64_i32 v[24:25], s[16:17], v28, s25, 0
	v_cmp_gt_i32_e64 s[10:11], s13, v28
	v_lshl_add_u64 v[26:27], v[24:25], 1, s[20:21]
	v_mad_i64_i32 v[24:25], s[16:17], v28, s24, 0
	v_lshl_add_u64 v[24:25], v[24:25], 1, s[14:15]
	s_and_b64 s[18:19], s[2:3], s[10:11]
	s_and_saveexec_b64 s[16:17], s[18:19]
	s_cbranch_execnz .LBB268_207
; %bb.204:
	s_or_b64 exec, exec, s[16:17]
	s_and_b64 s[18:19], s[4:5], s[10:11]
	s_and_saveexec_b64 s[16:17], s[18:19]
	s_cbranch_execnz .LBB268_211
.LBB268_205:
	s_or_b64 exec, exec, s[16:17]
	s_and_b64 s[18:19], s[6:7], s[10:11]
	s_and_saveexec_b64 s[16:17], s[18:19]
	s_cbranch_execnz .LBB268_215
.LBB268_206:
	s_or_b64 exec, exec, s[16:17]
	s_and_b64 s[16:17], s[8:9], s[10:11]
	s_and_saveexec_b64 s[10:11], s[16:17]
	s_cbranch_execnz .LBB268_219
	s_branch .LBB268_223
.LBB268_207:
	s_and_b64 vcc, exec, s[0:1]
	s_cbranch_vccnz .LBB268_209
; %bb.208:
	v_lshl_add_u64 v[28:29], v[40:41], 1, v[26:27]
	global_load_ushort v28, v[28:29], off
	s_waitcnt vmcnt(0)
	v_mul_f16_e32 v28, s28, v28
	v_cvt_f32_f16_e32 v28, v28
	s_branch .LBB268_210
.LBB268_209:
	v_mov_b32_e32 v28, 0
.LBB268_210:
	v_pk_add_f16 v29, v8, v20
	v_max_f16_e32 v30, v89, v89
	v_pk_add_f16 v32, v9, v21
	v_min_f16_e32 v30, v30, v29
	v_lshrrev_b32_e32 v31, 16, v89
	v_lshrrev_b32_e32 v29, 16, v29
	;; [unrolled: 1-line block ×3, first 2 shown]
	v_min3_f16 v29, v31, v29, v33
	v_min3_f16 v29, v30, v32, v29
	v_cvt_f32_f16_e32 v29, v29
	v_max_f32_e32 v28, v28, v28
	v_min_f32_e32 v28, v28, v29
	v_cvt_f16_f32_e32 v30, v28
	v_lshl_add_u64 v[28:29], v[40:41], 1, v[24:25]
	global_store_short v[28:29], v30, off
	s_or_b64 exec, exec, s[16:17]
	s_and_b64 s[18:19], s[4:5], s[10:11]
	s_and_saveexec_b64 s[16:17], s[18:19]
	s_cbranch_execz .LBB268_205
.LBB268_211:
	s_and_b64 vcc, exec, s[0:1]
	s_cbranch_vccnz .LBB268_213
; %bb.212:
	v_lshl_add_u64 v[28:29], v[42:43], 1, v[26:27]
	global_load_ushort v28, v[28:29], off
	s_waitcnt vmcnt(0)
	v_mul_f16_e32 v28, s28, v28
	v_cvt_f32_f16_e32 v28, v28
	s_branch .LBB268_214
.LBB268_213:
	v_mov_b32_e32 v28, 0
.LBB268_214:
	v_pk_add_f16 v29, v10, v20
	v_max_f16_e32 v30, v88, v88
	v_pk_add_f16 v32, v11, v21
	v_min_f16_e32 v30, v30, v29
	v_lshrrev_b32_e32 v31, 16, v88
	v_lshrrev_b32_e32 v29, 16, v29
	;; [unrolled: 1-line block ×3, first 2 shown]
	v_min3_f16 v29, v31, v29, v33
	v_min3_f16 v29, v30, v32, v29
	v_cvt_f32_f16_e32 v29, v29
	v_max_f32_e32 v28, v28, v28
	v_min_f32_e32 v28, v28, v29
	v_cvt_f16_f32_e32 v30, v28
	v_lshl_add_u64 v[28:29], v[42:43], 1, v[24:25]
	global_store_short v[28:29], v30, off
	s_or_b64 exec, exec, s[16:17]
	s_and_b64 s[18:19], s[6:7], s[10:11]
	s_and_saveexec_b64 s[16:17], s[18:19]
	s_cbranch_execz .LBB268_206
.LBB268_215:
	s_and_b64 vcc, exec, s[0:1]
	s_cbranch_vccnz .LBB268_217
; %bb.216:
	v_lshl_add_u64 v[28:29], v[44:45], 1, v[26:27]
	global_load_ushort v28, v[28:29], off
	s_waitcnt vmcnt(0)
	v_mul_f16_e32 v28, s28, v28
	v_cvt_f32_f16_e32 v28, v28
	s_branch .LBB268_218
.LBB268_217:
	v_mov_b32_e32 v28, 0
.LBB268_218:
	v_pk_add_f16 v29, v0, v20
	v_max_f16_e32 v30, v87, v87
	v_pk_add_f16 v32, v1, v21
	v_min_f16_e32 v30, v30, v29
	v_lshrrev_b32_e32 v31, 16, v87
	v_lshrrev_b32_e32 v29, 16, v29
	;; [unrolled: 1-line block ×3, first 2 shown]
	v_min3_f16 v29, v31, v29, v33
	v_min3_f16 v29, v30, v32, v29
	v_cvt_f32_f16_e32 v29, v29
	v_max_f32_e32 v28, v28, v28
	v_min_f32_e32 v28, v28, v29
	v_cvt_f16_f32_e32 v30, v28
	v_lshl_add_u64 v[28:29], v[44:45], 1, v[24:25]
	global_store_short v[28:29], v30, off
	s_or_b64 exec, exec, s[16:17]
	s_and_b64 s[16:17], s[8:9], s[10:11]
	s_and_saveexec_b64 s[10:11], s[16:17]
	s_cbranch_execz .LBB268_223
.LBB268_219:
	s_and_b64 vcc, exec, s[0:1]
	s_cbranch_vccnz .LBB268_221
; %bb.220:
	v_lshl_add_u64 v[26:27], v[46:47], 1, v[26:27]
	global_load_ushort v26, v[26:27], off
	s_waitcnt vmcnt(0)
	v_mul_f16_e32 v26, s28, v26
	v_cvt_f32_f16_e32 v26, v26
	s_branch .LBB268_222
.LBB268_221:
	v_mov_b32_e32 v26, 0
.LBB268_222:
	v_pk_add_f16 v20, v2, v20
	v_max_f16_e32 v27, v86, v86
	v_pk_add_f16 v21, v3, v21
	v_min_f16_e32 v27, v27, v20
	v_lshrrev_b32_e32 v28, 16, v86
	v_lshrrev_b32_e32 v20, 16, v20
	;; [unrolled: 1-line block ×3, first 2 shown]
	v_min3_f16 v20, v28, v20, v29
	v_min3_f16 v20, v27, v21, v20
	v_cvt_f32_f16_e32 v20, v20
	v_max_f32_e32 v21, v26, v26
	v_min_f32_e32 v20, v21, v20
	v_cvt_f16_f32_e32 v26, v20
	v_lshl_add_u64 v[20:21], v[46:47], 1, v[24:25]
	global_store_short v[20:21], v26, off
.LBB268_223:
	s_or_b64 exec, exec, s[10:11]
	v_add_u32_e32 v26, 0x48, v52
	v_mad_i64_i32 v[20:21], s[16:17], v26, s25, 0
	v_cmp_gt_i32_e64 s[10:11], s13, v26
	v_lshl_add_u64 v[24:25], v[20:21], 1, s[20:21]
	v_mad_i64_i32 v[20:21], s[16:17], v26, s24, 0
	v_lshl_add_u64 v[20:21], v[20:21], 1, s[14:15]
	s_and_b64 s[18:19], s[2:3], s[10:11]
	s_and_saveexec_b64 s[16:17], s[18:19]
	s_cbranch_execnz .LBB268_227
; %bb.224:
	s_or_b64 exec, exec, s[16:17]
	s_and_b64 s[18:19], s[4:5], s[10:11]
	s_and_saveexec_b64 s[16:17], s[18:19]
	s_cbranch_execnz .LBB268_231
.LBB268_225:
	s_or_b64 exec, exec, s[16:17]
	s_and_b64 s[18:19], s[6:7], s[10:11]
	s_and_saveexec_b64 s[16:17], s[18:19]
	s_cbranch_execnz .LBB268_235
.LBB268_226:
	s_or_b64 exec, exec, s[16:17]
	s_and_b64 s[16:17], s[8:9], s[10:11]
	s_and_saveexec_b64 s[10:11], s[16:17]
	s_cbranch_execnz .LBB268_239
	s_branch .LBB268_243
.LBB268_227:
	s_and_b64 vcc, exec, s[0:1]
	s_cbranch_vccnz .LBB268_229
; %bb.228:
	v_lshl_add_u64 v[26:27], v[40:41], 1, v[24:25]
	global_load_ushort v26, v[26:27], off
	s_waitcnt vmcnt(0)
	v_mul_f16_e32 v26, s28, v26
	v_cvt_f32_f16_e32 v26, v26
	s_branch .LBB268_230
.LBB268_229:
	v_mov_b32_e32 v26, 0
.LBB268_230:
	v_pk_add_f16 v27, v8, v22
	v_max_f16_e32 v28, v85, v85
	v_pk_add_f16 v30, v9, v23
	v_min_f16_e32 v28, v28, v27
	v_lshrrev_b32_e32 v29, 16, v85
	v_lshrrev_b32_e32 v27, 16, v27
	;; [unrolled: 1-line block ×3, first 2 shown]
	v_min3_f16 v27, v29, v27, v31
	v_min3_f16 v27, v28, v30, v27
	v_cvt_f32_f16_e32 v27, v27
	v_max_f32_e32 v26, v26, v26
	v_min_f32_e32 v26, v26, v27
	v_cvt_f16_f32_e32 v28, v26
	v_lshl_add_u64 v[26:27], v[40:41], 1, v[20:21]
	global_store_short v[26:27], v28, off
	s_or_b64 exec, exec, s[16:17]
	s_and_b64 s[18:19], s[4:5], s[10:11]
	s_and_saveexec_b64 s[16:17], s[18:19]
	s_cbranch_execz .LBB268_225
.LBB268_231:
	s_and_b64 vcc, exec, s[0:1]
	s_cbranch_vccnz .LBB268_233
; %bb.232:
	v_lshl_add_u64 v[26:27], v[42:43], 1, v[24:25]
	global_load_ushort v26, v[26:27], off
	s_waitcnt vmcnt(0)
	v_mul_f16_e32 v26, s28, v26
	v_cvt_f32_f16_e32 v26, v26
	s_branch .LBB268_234
.LBB268_233:
	v_mov_b32_e32 v26, 0
.LBB268_234:
	v_pk_add_f16 v27, v10, v22
	v_max_f16_e32 v28, v84, v84
	v_pk_add_f16 v30, v11, v23
	v_min_f16_e32 v28, v28, v27
	v_lshrrev_b32_e32 v29, 16, v84
	v_lshrrev_b32_e32 v27, 16, v27
	;; [unrolled: 1-line block ×3, first 2 shown]
	v_min3_f16 v27, v29, v27, v31
	v_min3_f16 v27, v28, v30, v27
	v_cvt_f32_f16_e32 v27, v27
	v_max_f32_e32 v26, v26, v26
	v_min_f32_e32 v26, v26, v27
	v_cvt_f16_f32_e32 v28, v26
	v_lshl_add_u64 v[26:27], v[42:43], 1, v[20:21]
	global_store_short v[26:27], v28, off
	s_or_b64 exec, exec, s[16:17]
	s_and_b64 s[18:19], s[6:7], s[10:11]
	s_and_saveexec_b64 s[16:17], s[18:19]
	s_cbranch_execz .LBB268_226
.LBB268_235:
	s_and_b64 vcc, exec, s[0:1]
	s_cbranch_vccnz .LBB268_237
; %bb.236:
	v_lshl_add_u64 v[26:27], v[44:45], 1, v[24:25]
	global_load_ushort v26, v[26:27], off
	s_waitcnt vmcnt(0)
	v_mul_f16_e32 v26, s28, v26
	v_cvt_f32_f16_e32 v26, v26
	s_branch .LBB268_238
.LBB268_237:
	v_mov_b32_e32 v26, 0
.LBB268_238:
	v_pk_add_f16 v27, v0, v22
	v_max_f16_e32 v28, v83, v83
	v_pk_add_f16 v30, v1, v23
	v_min_f16_e32 v28, v28, v27
	v_lshrrev_b32_e32 v29, 16, v83
	v_lshrrev_b32_e32 v27, 16, v27
	;; [unrolled: 1-line block ×3, first 2 shown]
	v_min3_f16 v27, v29, v27, v31
	v_min3_f16 v27, v28, v30, v27
	v_cvt_f32_f16_e32 v27, v27
	v_max_f32_e32 v26, v26, v26
	v_min_f32_e32 v26, v26, v27
	v_cvt_f16_f32_e32 v28, v26
	v_lshl_add_u64 v[26:27], v[44:45], 1, v[20:21]
	global_store_short v[26:27], v28, off
	s_or_b64 exec, exec, s[16:17]
	s_and_b64 s[16:17], s[8:9], s[10:11]
	s_and_saveexec_b64 s[10:11], s[16:17]
	s_cbranch_execz .LBB268_243
.LBB268_239:
	s_and_b64 vcc, exec, s[0:1]
	s_cbranch_vccnz .LBB268_241
; %bb.240:
	v_lshl_add_u64 v[24:25], v[46:47], 1, v[24:25]
	global_load_ushort v24, v[24:25], off
	s_waitcnt vmcnt(0)
	v_mul_f16_e32 v24, s28, v24
	v_cvt_f32_f16_e32 v24, v24
	s_branch .LBB268_242
.LBB268_241:
	v_mov_b32_e32 v24, 0
.LBB268_242:
	v_pk_add_f16 v22, v2, v22
	v_max_f16_e32 v25, v82, v82
	v_pk_add_f16 v23, v3, v23
	v_min_f16_e32 v25, v25, v22
	v_lshrrev_b32_e32 v26, 16, v82
	v_lshrrev_b32_e32 v22, 16, v22
	;; [unrolled: 1-line block ×3, first 2 shown]
	v_min3_f16 v22, v26, v22, v27
	v_min3_f16 v22, v25, v23, v22
	v_cvt_f32_f16_e32 v22, v22
	v_max_f32_e32 v23, v24, v24
	v_lshl_add_u64 v[20:21], v[46:47], 1, v[20:21]
	v_min_f32_e32 v22, v23, v22
	v_cvt_f16_f32_e32 v22, v22
	global_store_short v[20:21], v22, off
.LBB268_243:
	s_or_b64 exec, exec, s[10:11]
	v_add_u32_e32 v24, 0x50, v52
	v_mad_i64_i32 v[20:21], s[16:17], v24, s25, 0
	v_cmp_gt_i32_e64 s[10:11], s13, v24
	v_lshl_add_u64 v[22:23], v[20:21], 1, s[20:21]
	v_mad_i64_i32 v[20:21], s[16:17], v24, s24, 0
	v_lshl_add_u64 v[20:21], v[20:21], 1, s[14:15]
	s_and_b64 s[18:19], s[2:3], s[10:11]
	s_and_saveexec_b64 s[16:17], s[18:19]
	s_cbranch_execnz .LBB268_247
; %bb.244:
	s_or_b64 exec, exec, s[16:17]
	s_and_b64 s[18:19], s[4:5], s[10:11]
	s_and_saveexec_b64 s[16:17], s[18:19]
	s_cbranch_execnz .LBB268_251
.LBB268_245:
	s_or_b64 exec, exec, s[16:17]
	s_and_b64 s[18:19], s[6:7], s[10:11]
	s_and_saveexec_b64 s[16:17], s[18:19]
	s_cbranch_execnz .LBB268_255
.LBB268_246:
	s_or_b64 exec, exec, s[16:17]
	s_and_b64 s[16:17], s[8:9], s[10:11]
	s_and_saveexec_b64 s[10:11], s[16:17]
	s_cbranch_execnz .LBB268_259
	s_branch .LBB268_263
.LBB268_247:
	s_and_b64 vcc, exec, s[0:1]
	s_cbranch_vccnz .LBB268_249
; %bb.248:
	v_lshl_add_u64 v[24:25], v[40:41], 1, v[22:23]
	global_load_ushort v24, v[24:25], off
	s_waitcnt vmcnt(0)
	v_mul_f16_e32 v24, s28, v24
	v_cvt_f32_f16_e32 v24, v24
	s_branch .LBB268_250
.LBB268_249:
	v_mov_b32_e32 v24, 0
.LBB268_250:
	v_pk_add_f16 v25, v8, v16
	v_max_f16_e32 v26, v81, v81
	v_pk_add_f16 v28, v9, v17
	v_min_f16_e32 v26, v26, v25
	v_lshrrev_b32_e32 v27, 16, v81
	v_lshrrev_b32_e32 v25, 16, v25
	v_lshrrev_b32_e32 v29, 16, v28
	v_min3_f16 v25, v27, v25, v29
	v_min3_f16 v25, v26, v28, v25
	v_cvt_f32_f16_e32 v25, v25
	v_max_f32_e32 v24, v24, v24
	v_min_f32_e32 v24, v24, v25
	v_cvt_f16_f32_e32 v26, v24
	v_lshl_add_u64 v[24:25], v[40:41], 1, v[20:21]
	global_store_short v[24:25], v26, off
	s_or_b64 exec, exec, s[16:17]
	s_and_b64 s[18:19], s[4:5], s[10:11]
	s_and_saveexec_b64 s[16:17], s[18:19]
	s_cbranch_execz .LBB268_245
.LBB268_251:
	s_and_b64 vcc, exec, s[0:1]
	s_cbranch_vccnz .LBB268_253
; %bb.252:
	v_lshl_add_u64 v[24:25], v[42:43], 1, v[22:23]
	global_load_ushort v24, v[24:25], off
	s_waitcnt vmcnt(0)
	v_mul_f16_e32 v24, s28, v24
	v_cvt_f32_f16_e32 v24, v24
	s_branch .LBB268_254
.LBB268_253:
	v_mov_b32_e32 v24, 0
.LBB268_254:
	v_pk_add_f16 v25, v10, v16
	v_max_f16_e32 v26, v80, v80
	v_pk_add_f16 v28, v11, v17
	v_min_f16_e32 v26, v26, v25
	v_lshrrev_b32_e32 v27, 16, v80
	v_lshrrev_b32_e32 v25, 16, v25
	;; [unrolled: 1-line block ×3, first 2 shown]
	v_min3_f16 v25, v27, v25, v29
	v_min3_f16 v25, v26, v28, v25
	v_cvt_f32_f16_e32 v25, v25
	v_max_f32_e32 v24, v24, v24
	v_min_f32_e32 v24, v24, v25
	v_cvt_f16_f32_e32 v26, v24
	v_lshl_add_u64 v[24:25], v[42:43], 1, v[20:21]
	global_store_short v[24:25], v26, off
	s_or_b64 exec, exec, s[16:17]
	s_and_b64 s[18:19], s[6:7], s[10:11]
	s_and_saveexec_b64 s[16:17], s[18:19]
	s_cbranch_execz .LBB268_246
.LBB268_255:
	s_and_b64 vcc, exec, s[0:1]
	s_cbranch_vccnz .LBB268_257
; %bb.256:
	v_lshl_add_u64 v[24:25], v[44:45], 1, v[22:23]
	global_load_ushort v24, v[24:25], off
	s_waitcnt vmcnt(0)
	v_mul_f16_e32 v24, s28, v24
	v_cvt_f32_f16_e32 v24, v24
	s_branch .LBB268_258
.LBB268_257:
	v_mov_b32_e32 v24, 0
.LBB268_258:
	v_pk_add_f16 v25, v0, v16
	v_max_f16_e32 v26, v79, v79
	v_pk_add_f16 v28, v1, v17
	v_min_f16_e32 v26, v26, v25
	v_lshrrev_b32_e32 v27, 16, v79
	v_lshrrev_b32_e32 v25, 16, v25
	;; [unrolled: 1-line block ×3, first 2 shown]
	v_min3_f16 v25, v27, v25, v29
	v_min3_f16 v25, v26, v28, v25
	v_cvt_f32_f16_e32 v25, v25
	v_max_f32_e32 v24, v24, v24
	v_min_f32_e32 v24, v24, v25
	v_cvt_f16_f32_e32 v26, v24
	v_lshl_add_u64 v[24:25], v[44:45], 1, v[20:21]
	global_store_short v[24:25], v26, off
	s_or_b64 exec, exec, s[16:17]
	s_and_b64 s[16:17], s[8:9], s[10:11]
	s_and_saveexec_b64 s[10:11], s[16:17]
	s_cbranch_execz .LBB268_263
.LBB268_259:
	s_and_b64 vcc, exec, s[0:1]
	s_cbranch_vccnz .LBB268_261
; %bb.260:
	v_lshl_add_u64 v[22:23], v[46:47], 1, v[22:23]
	global_load_ushort v22, v[22:23], off
	s_waitcnt vmcnt(0)
	v_mul_f16_e32 v22, s28, v22
	v_cvt_f32_f16_e32 v22, v22
	s_branch .LBB268_262
.LBB268_261:
	v_mov_b32_e32 v22, 0
.LBB268_262:
	v_pk_add_f16 v16, v2, v16
	v_max_f16_e32 v23, v78, v78
	v_pk_add_f16 v17, v3, v17
	v_min_f16_e32 v23, v23, v16
	v_lshrrev_b32_e32 v24, 16, v78
	v_lshrrev_b32_e32 v16, 16, v16
	;; [unrolled: 1-line block ×3, first 2 shown]
	v_min3_f16 v16, v24, v16, v25
	v_min3_f16 v16, v23, v17, v16
	v_cvt_f32_f16_e32 v16, v16
	v_max_f32_e32 v17, v22, v22
	v_min_f32_e32 v16, v17, v16
	v_cvt_f16_f32_e32 v22, v16
	v_lshl_add_u64 v[16:17], v[46:47], 1, v[20:21]
	global_store_short v[16:17], v22, off
.LBB268_263:
	s_or_b64 exec, exec, s[10:11]
	v_add_u32_e32 v22, 0x58, v52
	v_mad_i64_i32 v[16:17], s[16:17], v22, s25, 0
	v_cmp_gt_i32_e64 s[10:11], s13, v22
	v_lshl_add_u64 v[20:21], v[16:17], 1, s[20:21]
	v_mad_i64_i32 v[16:17], s[16:17], v22, s24, 0
	v_lshl_add_u64 v[16:17], v[16:17], 1, s[14:15]
	s_and_b64 s[18:19], s[2:3], s[10:11]
	s_and_saveexec_b64 s[16:17], s[18:19]
	s_cbranch_execnz .LBB268_267
; %bb.264:
	s_or_b64 exec, exec, s[16:17]
	s_and_b64 s[18:19], s[4:5], s[10:11]
	s_and_saveexec_b64 s[16:17], s[18:19]
	s_cbranch_execnz .LBB268_271
.LBB268_265:
	s_or_b64 exec, exec, s[16:17]
	s_and_b64 s[18:19], s[6:7], s[10:11]
	s_and_saveexec_b64 s[16:17], s[18:19]
	s_cbranch_execnz .LBB268_275
.LBB268_266:
	s_or_b64 exec, exec, s[16:17]
	s_and_b64 s[16:17], s[8:9], s[10:11]
	s_and_saveexec_b64 s[10:11], s[16:17]
	s_cbranch_execnz .LBB268_279
	s_branch .LBB268_283
.LBB268_267:
	s_and_b64 vcc, exec, s[0:1]
	s_cbranch_vccnz .LBB268_269
; %bb.268:
	v_lshl_add_u64 v[22:23], v[40:41], 1, v[20:21]
	global_load_ushort v22, v[22:23], off
	s_waitcnt vmcnt(0)
	v_mul_f16_e32 v22, s28, v22
	v_cvt_f32_f16_e32 v22, v22
	s_branch .LBB268_270
.LBB268_269:
	v_mov_b32_e32 v22, 0
.LBB268_270:
	v_pk_add_f16 v23, v8, v18
	v_max_f16_e32 v24, v77, v77
	v_pk_add_f16 v26, v9, v19
	v_min_f16_e32 v24, v24, v23
	v_lshrrev_b32_e32 v25, 16, v77
	v_lshrrev_b32_e32 v23, 16, v23
	v_lshrrev_b32_e32 v27, 16, v26
	v_min3_f16 v23, v25, v23, v27
	v_min3_f16 v23, v24, v26, v23
	v_cvt_f32_f16_e32 v23, v23
	v_max_f32_e32 v22, v22, v22
	v_min_f32_e32 v22, v22, v23
	v_cvt_f16_f32_e32 v24, v22
	v_lshl_add_u64 v[22:23], v[40:41], 1, v[16:17]
	global_store_short v[22:23], v24, off
	s_or_b64 exec, exec, s[16:17]
	s_and_b64 s[18:19], s[4:5], s[10:11]
	s_and_saveexec_b64 s[16:17], s[18:19]
	s_cbranch_execz .LBB268_265
.LBB268_271:
	s_and_b64 vcc, exec, s[0:1]
	s_cbranch_vccnz .LBB268_273
; %bb.272:
	v_lshl_add_u64 v[22:23], v[42:43], 1, v[20:21]
	global_load_ushort v22, v[22:23], off
	s_waitcnt vmcnt(0)
	v_mul_f16_e32 v22, s28, v22
	v_cvt_f32_f16_e32 v22, v22
	s_branch .LBB268_274
.LBB268_273:
	v_mov_b32_e32 v22, 0
.LBB268_274:
	v_pk_add_f16 v23, v10, v18
	v_max_f16_e32 v24, v76, v76
	v_pk_add_f16 v26, v11, v19
	v_min_f16_e32 v24, v24, v23
	v_lshrrev_b32_e32 v25, 16, v76
	v_lshrrev_b32_e32 v23, 16, v23
	;; [unrolled: 1-line block ×3, first 2 shown]
	v_min3_f16 v23, v25, v23, v27
	v_min3_f16 v23, v24, v26, v23
	v_cvt_f32_f16_e32 v23, v23
	v_max_f32_e32 v22, v22, v22
	v_min_f32_e32 v22, v22, v23
	v_cvt_f16_f32_e32 v24, v22
	v_lshl_add_u64 v[22:23], v[42:43], 1, v[16:17]
	global_store_short v[22:23], v24, off
	s_or_b64 exec, exec, s[16:17]
	s_and_b64 s[18:19], s[6:7], s[10:11]
	s_and_saveexec_b64 s[16:17], s[18:19]
	s_cbranch_execz .LBB268_266
.LBB268_275:
	s_and_b64 vcc, exec, s[0:1]
	s_cbranch_vccnz .LBB268_277
; %bb.276:
	v_lshl_add_u64 v[22:23], v[44:45], 1, v[20:21]
	global_load_ushort v22, v[22:23], off
	s_waitcnt vmcnt(0)
	v_mul_f16_e32 v22, s28, v22
	v_cvt_f32_f16_e32 v22, v22
	s_branch .LBB268_278
.LBB268_277:
	v_mov_b32_e32 v22, 0
.LBB268_278:
	v_pk_add_f16 v23, v0, v18
	v_max_f16_e32 v24, v75, v75
	v_pk_add_f16 v26, v1, v19
	v_min_f16_e32 v24, v24, v23
	v_lshrrev_b32_e32 v25, 16, v75
	v_lshrrev_b32_e32 v23, 16, v23
	;; [unrolled: 1-line block ×3, first 2 shown]
	v_min3_f16 v23, v25, v23, v27
	v_min3_f16 v23, v24, v26, v23
	v_cvt_f32_f16_e32 v23, v23
	v_max_f32_e32 v22, v22, v22
	v_min_f32_e32 v22, v22, v23
	v_cvt_f16_f32_e32 v24, v22
	v_lshl_add_u64 v[22:23], v[44:45], 1, v[16:17]
	global_store_short v[22:23], v24, off
	s_or_b64 exec, exec, s[16:17]
	s_and_b64 s[16:17], s[8:9], s[10:11]
	s_and_saveexec_b64 s[10:11], s[16:17]
	s_cbranch_execz .LBB268_283
.LBB268_279:
	s_and_b64 vcc, exec, s[0:1]
	s_cbranch_vccnz .LBB268_281
; %bb.280:
	v_lshl_add_u64 v[20:21], v[46:47], 1, v[20:21]
	global_load_ushort v20, v[20:21], off
	s_waitcnt vmcnt(0)
	v_mul_f16_e32 v20, s28, v20
	v_cvt_f32_f16_e32 v20, v20
	s_branch .LBB268_282
.LBB268_281:
	v_mov_b32_e32 v20, 0
.LBB268_282:
	v_pk_add_f16 v18, v2, v18
	v_max_f16_e32 v21, v74, v74
	v_pk_add_f16 v19, v3, v19
	v_min_f16_e32 v21, v21, v18
	v_lshrrev_b32_e32 v22, 16, v74
	v_lshrrev_b32_e32 v18, 16, v18
	;; [unrolled: 1-line block ×3, first 2 shown]
	v_min3_f16 v18, v22, v18, v23
	v_min3_f16 v18, v21, v19, v18
	v_cvt_f32_f16_e32 v18, v18
	v_max_f32_e32 v19, v20, v20
	v_lshl_add_u64 v[16:17], v[46:47], 1, v[16:17]
	v_min_f32_e32 v18, v19, v18
	v_cvt_f16_f32_e32 v18, v18
	global_store_short v[16:17], v18, off
.LBB268_283:
	s_or_b64 exec, exec, s[10:11]
	v_add_u32_e32 v20, 0x60, v52
	v_mad_i64_i32 v[16:17], s[16:17], v20, s25, 0
	v_cmp_gt_i32_e64 s[10:11], s13, v20
	v_lshl_add_u64 v[18:19], v[16:17], 1, s[20:21]
	v_mad_i64_i32 v[16:17], s[16:17], v20, s24, 0
	v_lshl_add_u64 v[16:17], v[16:17], 1, s[14:15]
	s_and_b64 s[18:19], s[2:3], s[10:11]
	s_and_saveexec_b64 s[16:17], s[18:19]
	s_cbranch_execnz .LBB268_287
; %bb.284:
	s_or_b64 exec, exec, s[16:17]
	s_and_b64 s[18:19], s[4:5], s[10:11]
	s_and_saveexec_b64 s[16:17], s[18:19]
	s_cbranch_execnz .LBB268_291
.LBB268_285:
	s_or_b64 exec, exec, s[16:17]
	s_and_b64 s[18:19], s[6:7], s[10:11]
	s_and_saveexec_b64 s[16:17], s[18:19]
	s_cbranch_execnz .LBB268_295
.LBB268_286:
	s_or_b64 exec, exec, s[16:17]
	s_and_b64 s[16:17], s[8:9], s[10:11]
	s_and_saveexec_b64 s[10:11], s[16:17]
	s_cbranch_execnz .LBB268_299
	s_branch .LBB268_303
.LBB268_287:
	s_and_b64 vcc, exec, s[0:1]
	s_cbranch_vccnz .LBB268_289
; %bb.288:
	v_lshl_add_u64 v[20:21], v[40:41], 1, v[18:19]
	global_load_ushort v20, v[20:21], off
	s_waitcnt vmcnt(0)
	v_mul_f16_e32 v20, s28, v20
	v_cvt_f32_f16_e32 v20, v20
	s_branch .LBB268_290
.LBB268_289:
	v_mov_b32_e32 v20, 0
.LBB268_290:
	v_pk_add_f16 v21, v8, v12
	v_max_f16_e32 v22, v73, v73
	v_pk_add_f16 v24, v9, v13
	v_min_f16_e32 v22, v22, v21
	v_lshrrev_b32_e32 v23, 16, v73
	v_lshrrev_b32_e32 v21, 16, v21
	;; [unrolled: 1-line block ×3, first 2 shown]
	v_min3_f16 v21, v23, v21, v25
	v_min3_f16 v21, v22, v24, v21
	v_cvt_f32_f16_e32 v21, v21
	v_max_f32_e32 v20, v20, v20
	v_min_f32_e32 v20, v20, v21
	v_cvt_f16_f32_e32 v22, v20
	v_lshl_add_u64 v[20:21], v[40:41], 1, v[16:17]
	global_store_short v[20:21], v22, off
	s_or_b64 exec, exec, s[16:17]
	s_and_b64 s[18:19], s[4:5], s[10:11]
	s_and_saveexec_b64 s[16:17], s[18:19]
	s_cbranch_execz .LBB268_285
.LBB268_291:
	s_and_b64 vcc, exec, s[0:1]
	s_cbranch_vccnz .LBB268_293
; %bb.292:
	v_lshl_add_u64 v[20:21], v[42:43], 1, v[18:19]
	global_load_ushort v20, v[20:21], off
	s_waitcnt vmcnt(0)
	v_mul_f16_e32 v20, s28, v20
	v_cvt_f32_f16_e32 v20, v20
	s_branch .LBB268_294
.LBB268_293:
	v_mov_b32_e32 v20, 0
.LBB268_294:
	v_pk_add_f16 v21, v10, v12
	v_max_f16_e32 v22, v72, v72
	v_pk_add_f16 v24, v11, v13
	v_min_f16_e32 v22, v22, v21
	v_lshrrev_b32_e32 v23, 16, v72
	v_lshrrev_b32_e32 v21, 16, v21
	;; [unrolled: 1-line block ×3, first 2 shown]
	v_min3_f16 v21, v23, v21, v25
	v_min3_f16 v21, v22, v24, v21
	v_cvt_f32_f16_e32 v21, v21
	v_max_f32_e32 v20, v20, v20
	v_min_f32_e32 v20, v20, v21
	v_cvt_f16_f32_e32 v22, v20
	v_lshl_add_u64 v[20:21], v[42:43], 1, v[16:17]
	global_store_short v[20:21], v22, off
	s_or_b64 exec, exec, s[16:17]
	s_and_b64 s[18:19], s[6:7], s[10:11]
	s_and_saveexec_b64 s[16:17], s[18:19]
	s_cbranch_execz .LBB268_286
.LBB268_295:
	s_and_b64 vcc, exec, s[0:1]
	s_cbranch_vccnz .LBB268_297
; %bb.296:
	v_lshl_add_u64 v[20:21], v[44:45], 1, v[18:19]
	global_load_ushort v20, v[20:21], off
	s_waitcnt vmcnt(0)
	v_mul_f16_e32 v20, s28, v20
	v_cvt_f32_f16_e32 v20, v20
	s_branch .LBB268_298
.LBB268_297:
	v_mov_b32_e32 v20, 0
.LBB268_298:
	v_pk_add_f16 v21, v0, v12
	v_max_f16_e32 v22, v71, v71
	v_pk_add_f16 v24, v1, v13
	v_min_f16_e32 v22, v22, v21
	v_lshrrev_b32_e32 v23, 16, v71
	v_lshrrev_b32_e32 v21, 16, v21
	;; [unrolled: 1-line block ×3, first 2 shown]
	v_min3_f16 v21, v23, v21, v25
	v_min3_f16 v21, v22, v24, v21
	v_cvt_f32_f16_e32 v21, v21
	v_max_f32_e32 v20, v20, v20
	v_min_f32_e32 v20, v20, v21
	v_cvt_f16_f32_e32 v22, v20
	v_lshl_add_u64 v[20:21], v[44:45], 1, v[16:17]
	global_store_short v[20:21], v22, off
	s_or_b64 exec, exec, s[16:17]
	s_and_b64 s[16:17], s[8:9], s[10:11]
	s_and_saveexec_b64 s[10:11], s[16:17]
	s_cbranch_execz .LBB268_303
.LBB268_299:
	s_and_b64 vcc, exec, s[0:1]
	s_cbranch_vccnz .LBB268_301
; %bb.300:
	v_lshl_add_u64 v[18:19], v[46:47], 1, v[18:19]
	global_load_ushort v18, v[18:19], off
	s_waitcnt vmcnt(0)
	v_mul_f16_e32 v18, s28, v18
	v_cvt_f32_f16_e32 v18, v18
	s_branch .LBB268_302
.LBB268_301:
	v_mov_b32_e32 v18, 0
.LBB268_302:
	v_pk_add_f16 v12, v2, v12
	v_max_f16_e32 v19, v70, v70
	v_pk_add_f16 v13, v3, v13
	v_min_f16_e32 v19, v19, v12
	v_lshrrev_b32_e32 v20, 16, v70
	v_lshrrev_b32_e32 v12, 16, v12
	;; [unrolled: 1-line block ×3, first 2 shown]
	v_min3_f16 v12, v20, v12, v21
	v_min3_f16 v12, v19, v13, v12
	v_cvt_f32_f16_e32 v12, v12
	v_max_f32_e32 v13, v18, v18
	v_min_f32_e32 v12, v13, v12
	v_cvt_f16_f32_e32 v18, v12
	v_lshl_add_u64 v[12:13], v[46:47], 1, v[16:17]
	global_store_short v[12:13], v18, off
.LBB268_303:
	s_or_b64 exec, exec, s[10:11]
	v_add_u32_e32 v18, 0x68, v52
	v_mad_i64_i32 v[12:13], s[16:17], v18, s25, 0
	v_cmp_gt_i32_e64 s[10:11], s13, v18
	v_lshl_add_u64 v[16:17], v[12:13], 1, s[20:21]
	v_mad_i64_i32 v[12:13], s[16:17], v18, s24, 0
	v_lshl_add_u64 v[12:13], v[12:13], 1, s[14:15]
	s_and_b64 s[18:19], s[2:3], s[10:11]
	s_and_saveexec_b64 s[16:17], s[18:19]
	s_cbranch_execnz .LBB268_307
; %bb.304:
	s_or_b64 exec, exec, s[16:17]
	s_and_b64 s[18:19], s[4:5], s[10:11]
	s_and_saveexec_b64 s[16:17], s[18:19]
	s_cbranch_execnz .LBB268_311
.LBB268_305:
	s_or_b64 exec, exec, s[16:17]
	s_and_b64 s[18:19], s[6:7], s[10:11]
	s_and_saveexec_b64 s[16:17], s[18:19]
	s_cbranch_execnz .LBB268_315
.LBB268_306:
	s_or_b64 exec, exec, s[16:17]
	s_and_b64 s[16:17], s[8:9], s[10:11]
	s_and_saveexec_b64 s[10:11], s[16:17]
	s_cbranch_execnz .LBB268_319
	s_branch .LBB268_323
.LBB268_307:
	s_and_b64 vcc, exec, s[0:1]
	s_cbranch_vccnz .LBB268_309
; %bb.308:
	v_lshl_add_u64 v[18:19], v[40:41], 1, v[16:17]
	global_load_ushort v18, v[18:19], off
	s_waitcnt vmcnt(0)
	v_mul_f16_e32 v18, s28, v18
	v_cvt_f32_f16_e32 v18, v18
	s_branch .LBB268_310
.LBB268_309:
	v_mov_b32_e32 v18, 0
.LBB268_310:
	v_pk_add_f16 v19, v8, v14
	v_max_f16_e32 v20, v69, v69
	v_pk_add_f16 v22, v9, v15
	v_min_f16_e32 v20, v20, v19
	v_lshrrev_b32_e32 v21, 16, v69
	v_lshrrev_b32_e32 v19, 16, v19
	;; [unrolled: 1-line block ×3, first 2 shown]
	v_min3_f16 v19, v21, v19, v23
	v_min3_f16 v19, v20, v22, v19
	v_cvt_f32_f16_e32 v19, v19
	v_max_f32_e32 v18, v18, v18
	v_min_f32_e32 v18, v18, v19
	v_cvt_f16_f32_e32 v20, v18
	v_lshl_add_u64 v[18:19], v[40:41], 1, v[12:13]
	global_store_short v[18:19], v20, off
	s_or_b64 exec, exec, s[16:17]
	s_and_b64 s[18:19], s[4:5], s[10:11]
	s_and_saveexec_b64 s[16:17], s[18:19]
	s_cbranch_execz .LBB268_305
.LBB268_311:
	s_and_b64 vcc, exec, s[0:1]
	s_cbranch_vccnz .LBB268_313
; %bb.312:
	v_lshl_add_u64 v[18:19], v[42:43], 1, v[16:17]
	global_load_ushort v18, v[18:19], off
	s_waitcnt vmcnt(0)
	v_mul_f16_e32 v18, s28, v18
	v_cvt_f32_f16_e32 v18, v18
	s_branch .LBB268_314
.LBB268_313:
	v_mov_b32_e32 v18, 0
.LBB268_314:
	v_pk_add_f16 v19, v10, v14
	v_max_f16_e32 v20, v68, v68
	v_pk_add_f16 v22, v11, v15
	v_min_f16_e32 v20, v20, v19
	v_lshrrev_b32_e32 v21, 16, v68
	v_lshrrev_b32_e32 v19, 16, v19
	;; [unrolled: 1-line block ×3, first 2 shown]
	v_min3_f16 v19, v21, v19, v23
	v_min3_f16 v19, v20, v22, v19
	v_cvt_f32_f16_e32 v19, v19
	v_max_f32_e32 v18, v18, v18
	v_min_f32_e32 v18, v18, v19
	v_cvt_f16_f32_e32 v20, v18
	v_lshl_add_u64 v[18:19], v[42:43], 1, v[12:13]
	global_store_short v[18:19], v20, off
	s_or_b64 exec, exec, s[16:17]
	s_and_b64 s[18:19], s[6:7], s[10:11]
	s_and_saveexec_b64 s[16:17], s[18:19]
	s_cbranch_execz .LBB268_306
.LBB268_315:
	s_and_b64 vcc, exec, s[0:1]
	s_cbranch_vccnz .LBB268_317
; %bb.316:
	v_lshl_add_u64 v[18:19], v[44:45], 1, v[16:17]
	global_load_ushort v18, v[18:19], off
	s_waitcnt vmcnt(0)
	v_mul_f16_e32 v18, s28, v18
	v_cvt_f32_f16_e32 v18, v18
	s_branch .LBB268_318
.LBB268_317:
	v_mov_b32_e32 v18, 0
.LBB268_318:
	v_pk_add_f16 v19, v0, v14
	v_max_f16_e32 v20, v67, v67
	v_pk_add_f16 v22, v1, v15
	v_min_f16_e32 v20, v20, v19
	v_lshrrev_b32_e32 v21, 16, v67
	v_lshrrev_b32_e32 v19, 16, v19
	;; [unrolled: 1-line block ×3, first 2 shown]
	v_min3_f16 v19, v21, v19, v23
	v_min3_f16 v19, v20, v22, v19
	v_cvt_f32_f16_e32 v19, v19
	v_max_f32_e32 v18, v18, v18
	v_min_f32_e32 v18, v18, v19
	v_cvt_f16_f32_e32 v20, v18
	v_lshl_add_u64 v[18:19], v[44:45], 1, v[12:13]
	global_store_short v[18:19], v20, off
	s_or_b64 exec, exec, s[16:17]
	s_and_b64 s[16:17], s[8:9], s[10:11]
	s_and_saveexec_b64 s[10:11], s[16:17]
	s_cbranch_execz .LBB268_323
.LBB268_319:
	s_and_b64 vcc, exec, s[0:1]
	s_cbranch_vccnz .LBB268_321
; %bb.320:
	v_lshl_add_u64 v[16:17], v[46:47], 1, v[16:17]
	global_load_ushort v16, v[16:17], off
	s_waitcnt vmcnt(0)
	v_mul_f16_e32 v16, s28, v16
	v_cvt_f32_f16_e32 v16, v16
	s_branch .LBB268_322
.LBB268_321:
	v_mov_b32_e32 v16, 0
.LBB268_322:
	v_pk_add_f16 v14, v2, v14
	v_max_f16_e32 v17, v66, v66
	v_pk_add_f16 v15, v3, v15
	v_min_f16_e32 v17, v17, v14
	v_lshrrev_b32_e32 v18, 16, v66
	v_lshrrev_b32_e32 v14, 16, v14
	;; [unrolled: 1-line block ×3, first 2 shown]
	v_min3_f16 v14, v18, v14, v19
	v_min3_f16 v14, v17, v15, v14
	v_cvt_f32_f16_e32 v14, v14
	v_max_f32_e32 v15, v16, v16
	v_lshl_add_u64 v[12:13], v[46:47], 1, v[12:13]
	v_min_f32_e32 v14, v15, v14
	v_cvt_f16_f32_e32 v14, v14
	global_store_short v[12:13], v14, off
.LBB268_323:
	s_or_b64 exec, exec, s[10:11]
	v_add_u32_e32 v16, 0x70, v52
	v_mad_i64_i32 v[12:13], s[16:17], v16, s25, 0
	v_cmp_gt_i32_e64 s[10:11], s13, v16
	v_lshl_add_u64 v[14:15], v[12:13], 1, s[20:21]
	v_mad_i64_i32 v[12:13], s[16:17], v16, s24, 0
	v_lshl_add_u64 v[12:13], v[12:13], 1, s[14:15]
	s_and_b64 s[18:19], s[2:3], s[10:11]
	s_and_saveexec_b64 s[16:17], s[18:19]
	s_cbranch_execnz .LBB268_327
; %bb.324:
	s_or_b64 exec, exec, s[16:17]
	s_and_b64 s[18:19], s[4:5], s[10:11]
	s_and_saveexec_b64 s[16:17], s[18:19]
	s_cbranch_execnz .LBB268_331
.LBB268_325:
	s_or_b64 exec, exec, s[16:17]
	s_and_b64 s[18:19], s[6:7], s[10:11]
	s_and_saveexec_b64 s[16:17], s[18:19]
	s_cbranch_execnz .LBB268_335
.LBB268_326:
	s_or_b64 exec, exec, s[16:17]
	s_and_b64 s[16:17], s[8:9], s[10:11]
	s_and_saveexec_b64 s[10:11], s[16:17]
	s_cbranch_execnz .LBB268_339
	s_branch .LBB268_343
.LBB268_327:
	s_and_b64 vcc, exec, s[0:1]
	s_cbranch_vccnz .LBB268_329
; %bb.328:
	v_lshl_add_u64 v[16:17], v[40:41], 1, v[14:15]
	global_load_ushort v16, v[16:17], off
	s_waitcnt vmcnt(0)
	v_mul_f16_e32 v16, s28, v16
	v_cvt_f32_f16_e32 v16, v16
	s_branch .LBB268_330
.LBB268_329:
	v_mov_b32_e32 v16, 0
.LBB268_330:
	v_pk_add_f16 v17, v8, v4
	v_max_f16_e32 v18, v65, v65
	v_pk_add_f16 v20, v9, v5
	v_min_f16_e32 v18, v18, v17
	v_lshrrev_b32_e32 v19, 16, v65
	v_lshrrev_b32_e32 v17, 16, v17
	;; [unrolled: 1-line block ×3, first 2 shown]
	v_min3_f16 v17, v19, v17, v21
	v_min3_f16 v17, v18, v20, v17
	v_cvt_f32_f16_e32 v17, v17
	v_max_f32_e32 v16, v16, v16
	v_min_f32_e32 v16, v16, v17
	v_cvt_f16_f32_e32 v18, v16
	v_lshl_add_u64 v[16:17], v[40:41], 1, v[12:13]
	global_store_short v[16:17], v18, off
	s_or_b64 exec, exec, s[16:17]
	s_and_b64 s[18:19], s[4:5], s[10:11]
	s_and_saveexec_b64 s[16:17], s[18:19]
	s_cbranch_execz .LBB268_325
.LBB268_331:
	s_and_b64 vcc, exec, s[0:1]
	s_cbranch_vccnz .LBB268_333
; %bb.332:
	v_lshl_add_u64 v[16:17], v[42:43], 1, v[14:15]
	global_load_ushort v16, v[16:17], off
	s_waitcnt vmcnt(0)
	v_mul_f16_e32 v16, s28, v16
	v_cvt_f32_f16_e32 v16, v16
	s_branch .LBB268_334
.LBB268_333:
	v_mov_b32_e32 v16, 0
.LBB268_334:
	v_pk_add_f16 v17, v10, v4
	v_max_f16_e32 v18, v64, v64
	v_pk_add_f16 v20, v11, v5
	v_min_f16_e32 v18, v18, v17
	v_lshrrev_b32_e32 v19, 16, v64
	v_lshrrev_b32_e32 v17, 16, v17
	v_lshrrev_b32_e32 v21, 16, v20
	v_min3_f16 v17, v19, v17, v21
	v_min3_f16 v17, v18, v20, v17
	v_cvt_f32_f16_e32 v17, v17
	v_max_f32_e32 v16, v16, v16
	v_min_f32_e32 v16, v16, v17
	v_cvt_f16_f32_e32 v18, v16
	v_lshl_add_u64 v[16:17], v[42:43], 1, v[12:13]
	global_store_short v[16:17], v18, off
	s_or_b64 exec, exec, s[16:17]
	s_and_b64 s[18:19], s[6:7], s[10:11]
	s_and_saveexec_b64 s[16:17], s[18:19]
	s_cbranch_execz .LBB268_326
.LBB268_335:
	s_and_b64 vcc, exec, s[0:1]
	s_cbranch_vccnz .LBB268_337
; %bb.336:
	v_lshl_add_u64 v[16:17], v[44:45], 1, v[14:15]
	global_load_ushort v16, v[16:17], off
	s_waitcnt vmcnt(0)
	v_mul_f16_e32 v16, s28, v16
	v_cvt_f32_f16_e32 v16, v16
	s_branch .LBB268_338
.LBB268_337:
	v_mov_b32_e32 v16, 0
.LBB268_338:
	v_pk_add_f16 v17, v0, v4
	v_max_f16_e32 v18, v63, v63
	v_pk_add_f16 v20, v1, v5
	v_min_f16_e32 v18, v18, v17
	v_lshrrev_b32_e32 v19, 16, v63
	v_lshrrev_b32_e32 v17, 16, v17
	;; [unrolled: 1-line block ×3, first 2 shown]
	v_min3_f16 v17, v19, v17, v21
	v_min3_f16 v17, v18, v20, v17
	v_cvt_f32_f16_e32 v17, v17
	v_max_f32_e32 v16, v16, v16
	v_min_f32_e32 v16, v16, v17
	v_cvt_f16_f32_e32 v18, v16
	v_lshl_add_u64 v[16:17], v[44:45], 1, v[12:13]
	global_store_short v[16:17], v18, off
	s_or_b64 exec, exec, s[16:17]
	s_and_b64 s[16:17], s[8:9], s[10:11]
	s_and_saveexec_b64 s[10:11], s[16:17]
	s_cbranch_execz .LBB268_343
.LBB268_339:
	s_and_b64 vcc, exec, s[0:1]
	s_cbranch_vccnz .LBB268_341
; %bb.340:
	v_lshl_add_u64 v[14:15], v[46:47], 1, v[14:15]
	global_load_ushort v14, v[14:15], off
	s_waitcnt vmcnt(0)
	v_mul_f16_e32 v14, s28, v14
	v_cvt_f32_f16_e32 v14, v14
	s_branch .LBB268_342
.LBB268_341:
	v_mov_b32_e32 v14, 0
.LBB268_342:
	v_pk_add_f16 v4, v2, v4
	v_max_f16_e32 v15, v62, v62
	v_pk_add_f16 v5, v3, v5
	v_min_f16_e32 v15, v15, v4
	v_lshrrev_b32_e32 v16, 16, v62
	v_lshrrev_b32_e32 v4, 16, v4
	;; [unrolled: 1-line block ×3, first 2 shown]
	v_min3_f16 v4, v16, v4, v17
	v_min3_f16 v4, v15, v5, v4
	v_cvt_f32_f16_e32 v4, v4
	v_max_f32_e32 v5, v14, v14
	v_min_f32_e32 v4, v5, v4
	v_cvt_f16_f32_e32 v14, v4
	v_lshl_add_u64 v[4:5], v[46:47], 1, v[12:13]
	global_store_short v[4:5], v14, off
.LBB268_343:
	s_or_b64 exec, exec, s[10:11]
	v_add_u32_e32 v14, 0x78, v52
	v_cmp_gt_i32_e64 s[10:11], s13, v14
	v_mad_i64_i32 v[4:5], s[12:13], v14, s25, 0
	v_lshl_add_u64 v[12:13], v[4:5], 1, s[20:21]
	v_mad_i64_i32 v[4:5], s[12:13], v14, s24, 0
	v_lshl_add_u64 v[4:5], v[4:5], 1, s[14:15]
	s_and_b64 s[12:13], s[2:3], s[10:11]
	s_and_saveexec_b64 s[2:3], s[12:13]
	s_cbranch_execnz .LBB268_348
; %bb.344:
	s_or_b64 exec, exec, s[2:3]
	s_and_b64 s[4:5], s[4:5], s[10:11]
	s_and_saveexec_b64 s[2:3], s[4:5]
	s_cbranch_execnz .LBB268_352
.LBB268_345:
	s_or_b64 exec, exec, s[2:3]
	s_and_b64 s[4:5], s[6:7], s[10:11]
	s_and_saveexec_b64 s[2:3], s[4:5]
	s_cbranch_execnz .LBB268_356
.LBB268_346:
	s_or_b64 exec, exec, s[2:3]
	s_and_b64 s[2:3], s[8:9], s[10:11]
	s_and_saveexec_b64 s[4:5], s[2:3]
	s_cbranch_execnz .LBB268_360
.LBB268_347:
	s_endpgm
.LBB268_348:
	s_and_b64 vcc, exec, s[0:1]
	s_cbranch_vccnz .LBB268_350
; %bb.349:
	v_lshl_add_u64 v[14:15], v[40:41], 1, v[12:13]
	global_load_ushort v14, v[14:15], off
	s_waitcnt vmcnt(0)
	v_mul_f16_e32 v14, s28, v14
	v_cvt_f32_f16_e32 v14, v14
	s_branch .LBB268_351
.LBB268_350:
	v_mov_b32_e32 v14, 0
.LBB268_351:
	v_pk_add_f16 v8, v8, v6
	v_max_f16_e32 v15, v60, v60
	v_pk_add_f16 v9, v9, v7
	v_min_f16_e32 v15, v15, v8
	v_lshrrev_b32_e32 v16, 16, v60
	v_lshrrev_b32_e32 v8, 16, v8
	;; [unrolled: 1-line block ×3, first 2 shown]
	v_min3_f16 v8, v16, v8, v17
	v_min3_f16 v8, v15, v9, v8
	v_cvt_f32_f16_e32 v8, v8
	v_max_f32_e32 v9, v14, v14
	v_min_f32_e32 v8, v9, v8
	v_cvt_f16_f32_e32 v14, v8
	v_lshl_add_u64 v[8:9], v[40:41], 1, v[4:5]
	global_store_short v[8:9], v14, off
	s_or_b64 exec, exec, s[2:3]
	s_and_b64 s[4:5], s[4:5], s[10:11]
	s_and_saveexec_b64 s[2:3], s[4:5]
	s_cbranch_execz .LBB268_345
.LBB268_352:
	s_and_b64 vcc, exec, s[0:1]
	s_cbranch_vccnz .LBB268_354
; %bb.353:
	v_lshl_add_u64 v[8:9], v[42:43], 1, v[12:13]
	global_load_ushort v8, v[8:9], off
	s_waitcnt vmcnt(0)
	v_mul_f16_e32 v8, s28, v8
	v_cvt_f32_f16_e32 v8, v8
	s_branch .LBB268_355
.LBB268_354:
	v_mov_b32_e32 v8, 0
.LBB268_355:
	v_pk_add_f16 v9, v10, v6
	v_max_f16_e32 v10, v59, v59
	v_pk_add_f16 v11, v11, v7
	v_min_f16_e32 v10, v10, v9
	v_lshrrev_b32_e32 v14, 16, v59
	v_lshrrev_b32_e32 v9, 16, v9
	;; [unrolled: 1-line block ×3, first 2 shown]
	v_min3_f16 v9, v14, v9, v15
	v_min3_f16 v9, v10, v11, v9
	v_cvt_f32_f16_e32 v9, v9
	v_max_f32_e32 v8, v8, v8
	v_min_f32_e32 v8, v8, v9
	v_cvt_f16_f32_e32 v10, v8
	v_lshl_add_u64 v[8:9], v[42:43], 1, v[4:5]
	global_store_short v[8:9], v10, off
	s_or_b64 exec, exec, s[2:3]
	s_and_b64 s[4:5], s[6:7], s[10:11]
	s_and_saveexec_b64 s[2:3], s[4:5]
	s_cbranch_execz .LBB268_346
.LBB268_356:
	s_and_b64 vcc, exec, s[0:1]
	s_cbranch_vccnz .LBB268_358
; %bb.357:
	v_lshl_add_u64 v[8:9], v[44:45], 1, v[12:13]
	global_load_ushort v8, v[8:9], off
	s_waitcnt vmcnt(0)
	v_mul_f16_e32 v8, s28, v8
	v_cvt_f32_f16_e32 v8, v8
	s_branch .LBB268_359
.LBB268_358:
	v_mov_b32_e32 v8, 0
.LBB268_359:
	v_pk_add_f16 v0, v0, v6
	v_max_f16_e32 v9, v58, v58
	v_pk_add_f16 v1, v1, v7
	v_min_f16_e32 v9, v9, v0
	v_lshrrev_b32_e32 v10, 16, v58
	v_lshrrev_b32_e32 v0, 16, v0
	;; [unrolled: 1-line block ×3, first 2 shown]
	v_min3_f16 v0, v10, v0, v11
	v_min3_f16 v0, v9, v1, v0
	v_cvt_f32_f16_e32 v0, v0
	v_max_f32_e32 v1, v8, v8
	v_min_f32_e32 v0, v1, v0
	v_cvt_f16_f32_e32 v8, v0
	v_lshl_add_u64 v[0:1], v[44:45], 1, v[4:5]
	global_store_short v[0:1], v8, off
	s_or_b64 exec, exec, s[2:3]
	s_and_b64 s[2:3], s[8:9], s[10:11]
	s_and_saveexec_b64 s[4:5], s[2:3]
	s_cbranch_execz .LBB268_347
.LBB268_360:
	s_and_b64 vcc, exec, s[0:1]
	s_cbranch_vccnz .LBB268_362
; %bb.361:
	v_lshl_add_u64 v[0:1], v[46:47], 1, v[12:13]
	global_load_ushort v0, v[0:1], off
	s_waitcnt vmcnt(0)
	v_mul_f16_e32 v0, s28, v0
	v_cvt_f32_f16_e32 v0, v0
	s_branch .LBB268_363
.LBB268_362:
	v_mov_b32_e32 v0, 0
.LBB268_363:
	v_pk_add_f16 v1, v2, v6
	v_max_f16_e32 v2, v61, v61
	v_pk_add_f16 v3, v3, v7
	v_min_f16_e32 v2, v2, v1
	v_lshrrev_b32_e32 v6, 16, v61
	v_lshrrev_b32_e32 v1, 16, v1
	;; [unrolled: 1-line block ×3, first 2 shown]
	v_min3_f16 v1, v6, v1, v7
	v_min3_f16 v1, v2, v3, v1
	v_cvt_f32_f16_e32 v1, v1
	v_max_f32_e32 v0, v0, v0
	v_min_f32_e32 v0, v0, v1
	v_cvt_f16_f32_e32 v2, v0
	v_lshl_add_u64 v[0:1], v[46:47], 1, v[4:5]
	global_store_short v[0:1], v2, off
	s_endpgm
	.section	.rodata,"a",@progbits
	.p2align	6, 0x0
	.amdhsa_kernel _ZN12_GLOBAL__N_120geam_min_plus_kernelIDF16_Dv2_DF16_S1_Li32ELi8ELi128ELi128ELi4ELi4ELi64ELi4ELi64ELc84ELc78ELb1ELb1ELb1EDF16_KDF16_DF16_EEviiiT16_PT17_ilS5_ilS3_S5_ilPT18_ili26rocblas_geam_ex_operation_
		.amdhsa_group_segment_fixed_size 4096
		.amdhsa_private_segment_fixed_size 0
		.amdhsa_kernarg_size 128
		.amdhsa_user_sgpr_count 2
		.amdhsa_user_sgpr_dispatch_ptr 0
		.amdhsa_user_sgpr_queue_ptr 0
		.amdhsa_user_sgpr_kernarg_segment_ptr 1
		.amdhsa_user_sgpr_dispatch_id 0
		.amdhsa_user_sgpr_kernarg_preload_length 0
		.amdhsa_user_sgpr_kernarg_preload_offset 0
		.amdhsa_user_sgpr_private_segment_size 0
		.amdhsa_uses_dynamic_stack 0
		.amdhsa_enable_private_segment 0
		.amdhsa_system_sgpr_workgroup_id_x 1
		.amdhsa_system_sgpr_workgroup_id_y 0
		.amdhsa_system_sgpr_workgroup_id_z 1
		.amdhsa_system_sgpr_workgroup_info 0
		.amdhsa_system_vgpr_workitem_id 1
		.amdhsa_next_free_vgpr 172
		.amdhsa_next_free_sgpr 36
		.amdhsa_accum_offset 172
		.amdhsa_reserve_vcc 1
		.amdhsa_float_round_mode_32 0
		.amdhsa_float_round_mode_16_64 0
		.amdhsa_float_denorm_mode_32 3
		.amdhsa_float_denorm_mode_16_64 3
		.amdhsa_dx10_clamp 1
		.amdhsa_ieee_mode 1
		.amdhsa_fp16_overflow 0
		.amdhsa_tg_split 0
		.amdhsa_exception_fp_ieee_invalid_op 0
		.amdhsa_exception_fp_denorm_src 0
		.amdhsa_exception_fp_ieee_div_zero 0
		.amdhsa_exception_fp_ieee_overflow 0
		.amdhsa_exception_fp_ieee_underflow 0
		.amdhsa_exception_fp_ieee_inexact 0
		.amdhsa_exception_int_div_zero 0
	.end_amdhsa_kernel
	.section	.text._ZN12_GLOBAL__N_120geam_min_plus_kernelIDF16_Dv2_DF16_S1_Li32ELi8ELi128ELi128ELi4ELi4ELi64ELi4ELi64ELc84ELc78ELb1ELb1ELb1EDF16_KDF16_DF16_EEviiiT16_PT17_ilS5_ilS3_S5_ilPT18_ili26rocblas_geam_ex_operation_,"axG",@progbits,_ZN12_GLOBAL__N_120geam_min_plus_kernelIDF16_Dv2_DF16_S1_Li32ELi8ELi128ELi128ELi4ELi4ELi64ELi4ELi64ELc84ELc78ELb1ELb1ELb1EDF16_KDF16_DF16_EEviiiT16_PT17_ilS5_ilS3_S5_ilPT18_ili26rocblas_geam_ex_operation_,comdat
.Lfunc_end268:
	.size	_ZN12_GLOBAL__N_120geam_min_plus_kernelIDF16_Dv2_DF16_S1_Li32ELi8ELi128ELi128ELi4ELi4ELi64ELi4ELi64ELc84ELc78ELb1ELb1ELb1EDF16_KDF16_DF16_EEviiiT16_PT17_ilS5_ilS3_S5_ilPT18_ili26rocblas_geam_ex_operation_, .Lfunc_end268-_ZN12_GLOBAL__N_120geam_min_plus_kernelIDF16_Dv2_DF16_S1_Li32ELi8ELi128ELi128ELi4ELi4ELi64ELi4ELi64ELc84ELc78ELb1ELb1ELb1EDF16_KDF16_DF16_EEviiiT16_PT17_ilS5_ilS3_S5_ilPT18_ili26rocblas_geam_ex_operation_
                                        ; -- End function
	.set _ZN12_GLOBAL__N_120geam_min_plus_kernelIDF16_Dv2_DF16_S1_Li32ELi8ELi128ELi128ELi4ELi4ELi64ELi4ELi64ELc84ELc78ELb1ELb1ELb1EDF16_KDF16_DF16_EEviiiT16_PT17_ilS5_ilS3_S5_ilPT18_ili26rocblas_geam_ex_operation_.num_vgpr, 172
	.set _ZN12_GLOBAL__N_120geam_min_plus_kernelIDF16_Dv2_DF16_S1_Li32ELi8ELi128ELi128ELi4ELi4ELi64ELi4ELi64ELc84ELc78ELb1ELb1ELb1EDF16_KDF16_DF16_EEviiiT16_PT17_ilS5_ilS3_S5_ilPT18_ili26rocblas_geam_ex_operation_.num_agpr, 0
	.set _ZN12_GLOBAL__N_120geam_min_plus_kernelIDF16_Dv2_DF16_S1_Li32ELi8ELi128ELi128ELi4ELi4ELi64ELi4ELi64ELc84ELc78ELb1ELb1ELb1EDF16_KDF16_DF16_EEviiiT16_PT17_ilS5_ilS3_S5_ilPT18_ili26rocblas_geam_ex_operation_.numbered_sgpr, 36
	.set _ZN12_GLOBAL__N_120geam_min_plus_kernelIDF16_Dv2_DF16_S1_Li32ELi8ELi128ELi128ELi4ELi4ELi64ELi4ELi64ELc84ELc78ELb1ELb1ELb1EDF16_KDF16_DF16_EEviiiT16_PT17_ilS5_ilS3_S5_ilPT18_ili26rocblas_geam_ex_operation_.num_named_barrier, 0
	.set _ZN12_GLOBAL__N_120geam_min_plus_kernelIDF16_Dv2_DF16_S1_Li32ELi8ELi128ELi128ELi4ELi4ELi64ELi4ELi64ELc84ELc78ELb1ELb1ELb1EDF16_KDF16_DF16_EEviiiT16_PT17_ilS5_ilS3_S5_ilPT18_ili26rocblas_geam_ex_operation_.private_seg_size, 0
	.set _ZN12_GLOBAL__N_120geam_min_plus_kernelIDF16_Dv2_DF16_S1_Li32ELi8ELi128ELi128ELi4ELi4ELi64ELi4ELi64ELc84ELc78ELb1ELb1ELb1EDF16_KDF16_DF16_EEviiiT16_PT17_ilS5_ilS3_S5_ilPT18_ili26rocblas_geam_ex_operation_.uses_vcc, 1
	.set _ZN12_GLOBAL__N_120geam_min_plus_kernelIDF16_Dv2_DF16_S1_Li32ELi8ELi128ELi128ELi4ELi4ELi64ELi4ELi64ELc84ELc78ELb1ELb1ELb1EDF16_KDF16_DF16_EEviiiT16_PT17_ilS5_ilS3_S5_ilPT18_ili26rocblas_geam_ex_operation_.uses_flat_scratch, 0
	.set _ZN12_GLOBAL__N_120geam_min_plus_kernelIDF16_Dv2_DF16_S1_Li32ELi8ELi128ELi128ELi4ELi4ELi64ELi4ELi64ELc84ELc78ELb1ELb1ELb1EDF16_KDF16_DF16_EEviiiT16_PT17_ilS5_ilS3_S5_ilPT18_ili26rocblas_geam_ex_operation_.has_dyn_sized_stack, 0
	.set _ZN12_GLOBAL__N_120geam_min_plus_kernelIDF16_Dv2_DF16_S1_Li32ELi8ELi128ELi128ELi4ELi4ELi64ELi4ELi64ELc84ELc78ELb1ELb1ELb1EDF16_KDF16_DF16_EEviiiT16_PT17_ilS5_ilS3_S5_ilPT18_ili26rocblas_geam_ex_operation_.has_recursion, 0
	.set _ZN12_GLOBAL__N_120geam_min_plus_kernelIDF16_Dv2_DF16_S1_Li32ELi8ELi128ELi128ELi4ELi4ELi64ELi4ELi64ELc84ELc78ELb1ELb1ELb1EDF16_KDF16_DF16_EEviiiT16_PT17_ilS5_ilS3_S5_ilPT18_ili26rocblas_geam_ex_operation_.has_indirect_call, 0
	.section	.AMDGPU.csdata,"",@progbits
; Kernel info:
; codeLenInByte = 20520
; TotalNumSgprs: 42
; NumVgprs: 172
; NumAgprs: 0
; TotalNumVgprs: 172
; ScratchSize: 0
; MemoryBound: 0
; FloatMode: 240
; IeeeMode: 1
; LDSByteSize: 4096 bytes/workgroup (compile time only)
; SGPRBlocks: 5
; VGPRBlocks: 21
; NumSGPRsForWavesPerEU: 42
; NumVGPRsForWavesPerEU: 172
; AccumOffset: 172
; Occupancy: 2
; WaveLimiterHint : 0
; COMPUTE_PGM_RSRC2:SCRATCH_EN: 0
; COMPUTE_PGM_RSRC2:USER_SGPR: 2
; COMPUTE_PGM_RSRC2:TRAP_HANDLER: 0
; COMPUTE_PGM_RSRC2:TGID_X_EN: 1
; COMPUTE_PGM_RSRC2:TGID_Y_EN: 0
; COMPUTE_PGM_RSRC2:TGID_Z_EN: 1
; COMPUTE_PGM_RSRC2:TIDIG_COMP_CNT: 1
; COMPUTE_PGM_RSRC3_GFX90A:ACCUM_OFFSET: 42
; COMPUTE_PGM_RSRC3_GFX90A:TG_SPLIT: 0
	.section	.text._ZN12_GLOBAL__N_120geam_min_plus_kernelIDF16_Dv2_DF16_S1_Li32ELi8ELi128ELi128ELi4ELi4ELi64ELi4ELi64ELc84ELc78ELb0ELb1ELb1EDF16_KDF16_DF16_EEviiiT16_PT17_ilS5_ilS3_S5_ilPT18_ili26rocblas_geam_ex_operation_,"axG",@progbits,_ZN12_GLOBAL__N_120geam_min_plus_kernelIDF16_Dv2_DF16_S1_Li32ELi8ELi128ELi128ELi4ELi4ELi64ELi4ELi64ELc84ELc78ELb0ELb1ELb1EDF16_KDF16_DF16_EEviiiT16_PT17_ilS5_ilS3_S5_ilPT18_ili26rocblas_geam_ex_operation_,comdat
	.globl	_ZN12_GLOBAL__N_120geam_min_plus_kernelIDF16_Dv2_DF16_S1_Li32ELi8ELi128ELi128ELi4ELi4ELi64ELi4ELi64ELc84ELc78ELb0ELb1ELb1EDF16_KDF16_DF16_EEviiiT16_PT17_ilS5_ilS3_S5_ilPT18_ili26rocblas_geam_ex_operation_ ; -- Begin function _ZN12_GLOBAL__N_120geam_min_plus_kernelIDF16_Dv2_DF16_S1_Li32ELi8ELi128ELi128ELi4ELi4ELi64ELi4ELi64ELc84ELc78ELb0ELb1ELb1EDF16_KDF16_DF16_EEviiiT16_PT17_ilS5_ilS3_S5_ilPT18_ili26rocblas_geam_ex_operation_
	.p2align	8
	.type	_ZN12_GLOBAL__N_120geam_min_plus_kernelIDF16_Dv2_DF16_S1_Li32ELi8ELi128ELi128ELi4ELi4ELi64ELi4ELi64ELc84ELc78ELb0ELb1ELb1EDF16_KDF16_DF16_EEviiiT16_PT17_ilS5_ilS3_S5_ilPT18_ili26rocblas_geam_ex_operation_,@function
_ZN12_GLOBAL__N_120geam_min_plus_kernelIDF16_Dv2_DF16_S1_Li32ELi8ELi128ELi128ELi4ELi4ELi64ELi4ELi64ELc84ELc78ELb0ELb1ELb1EDF16_KDF16_DF16_EEviiiT16_PT17_ilS5_ilS3_S5_ilPT18_ili26rocblas_geam_ex_operation_: ; @_ZN12_GLOBAL__N_120geam_min_plus_kernelIDF16_Dv2_DF16_S1_Li32ELi8ELi128ELi128ELi4ELi4ELi64ELi4ELi64ELc84ELc78ELb0ELb1ELb1EDF16_KDF16_DF16_EEviiiT16_PT17_ilS5_ilS3_S5_ilPT18_ili26rocblas_geam_ex_operation_
; %bb.0:
	s_load_dwordx4 s[16:19], s[0:1], 0x0
	s_load_dwordx4 s[4:7], s[0:1], 0x20
	s_waitcnt lgkmcnt(0)
	v_cmp_eq_f16_e64 s[8:9], s19, 0
	s_and_b64 vcc, exec, s[8:9]
	s_cbranch_vccnz .LBB269_45
; %bb.1:
	s_load_dwordx2 s[10:11], s[0:1], 0x10
	s_mul_i32 s5, s5, s3
	s_mul_hi_u32 s12, s4, s3
	s_add_i32 s5, s12, s5
	s_mul_i32 s4, s4, s3
	s_lshl_b64 s[4:5], s[4:5], 1
	s_waitcnt lgkmcnt(0)
	s_add_u32 s24, s10, s4
	s_addc_u32 s25, s11, s5
	s_andn2_b64 vcc, exec, s[8:9]
	s_mov_b64 s[4:5], -1
	s_cbranch_vccnz .LBB269_3
.LBB269_2:
	s_mov_b64 s[4:5], 0
.LBB269_3:
	s_mov_b64 s[20:21], 0
	s_andn2_b64 vcc, exec, s[4:5]
	s_mov_b64 s[26:27], 0
	s_cbranch_vccnz .LBB269_5
; %bb.4:
	s_load_dwordx2 s[4:5], s[0:1], 0x38
	s_waitcnt lgkmcnt(0)
	s_mul_i32 s5, s5, s3
	s_mul_hi_u32 s8, s4, s3
	s_add_i32 s5, s8, s5
	s_mul_i32 s4, s4, s3
	s_lshl_b64 s[4:5], s[4:5], 1
	s_add_u32 s26, s6, s4
	s_addc_u32 s27, s7, s5
.LBB269_5:
	s_load_dword s30, s[0:1], 0x40
	s_load_dwordx4 s[12:15], s[0:1], 0x58
	s_waitcnt lgkmcnt(0)
	v_cmp_eq_f16_e64 s[4:5], s30, 0
	v_cmp_neq_f16_e64 s[22:23], s30, 0
	s_and_b64 vcc, exec, s[4:5]
	s_cbranch_vccnz .LBB269_7
; %bb.6:
	s_load_dwordx2 s[4:5], s[0:1], 0x48
	s_mul_i32 s6, s13, s3
	s_mul_hi_u32 s7, s12, s3
	s_add_i32 s7, s7, s6
	s_mul_i32 s6, s12, s3
	s_lshl_b64 s[6:7], s[6:7], 1
	s_waitcnt lgkmcnt(0)
	s_add_u32 s20, s4, s6
	s_addc_u32 s21, s5, s7
.LBB269_7:
	s_add_i32 s4, s16, -1
	s_ashr_i32 s5, s4, 31
	s_lshr_b32 s5, s5, 25
	s_add_i32 s4, s4, s5
	s_ashr_i32 s4, s4, 7
	s_add_i32 s5, s4, 1
	v_cvt_f32_u32_e32 v1, s5
	v_and_b32_e32 v84, 0x3ff, v0
	v_bfe_u32 v95, v0, 10, 10
	v_and_b32_e32 v102, 3, v0
	v_rcp_iflag_f32_e32 v1, v1
	s_not_b32 s4, s4
	s_load_dword s35, s[0:1], 0x18
	v_cmp_eq_f16_e64 s[28:29], s19, 0
	v_mul_f32_e32 v0, 0x4f7ffffe, v1
	v_cvt_u32_f32_e32 v0, v0
	v_lshl_add_u32 v1, v95, 5, v84
	v_lshrrev_b32_e32 v4, 2, v1
	v_mov_b32_e32 v6, 0x7c00
	v_readfirstlane_b32 s6, v0
	s_mul_i32 s4, s4, s6
	s_mul_hi_u32 s4, s6, s4
	s_add_i32 s6, s6, s4
	s_mul_hi_u32 s4, s2, s6
	s_mul_i32 s6, s4, s5
	s_sub_i32 s6, s2, s6
	s_add_i32 s7, s4, 1
	s_sub_i32 s8, s6, s5
	s_cmp_ge_u32 s6, s5
	s_cselect_b32 s4, s7, s4
	s_cselect_b32 s6, s8, s6
	s_add_i32 s7, s4, 1
	s_cmp_ge_u32 s6, s5
	s_cselect_b32 s6, s7, s4
	s_mul_i32 s4, s6, s5
	s_sub_i32 s2, s2, s4
	s_lshl_b32 s2, s2, 7
	v_add_u32_e32 v28, s2, v4
	s_add_i32 s33, s18, -1
	v_cmp_le_i32_e64 s[8:9], s18, v102
	v_min_i32_e32 v0, s33, v102
	v_cmp_le_i32_e32 vcc, s16, v28
	v_ashrrev_i32_e32 v1, 31, v0
	s_or_b64 s[4:5], s[8:9], vcc
	v_lshl_add_u64 v[2:3], v[0:1], 1, s[24:25]
	v_cndmask_b32_e64 v5, 0, v6, s[4:5]
	s_nor_b64 s[10:11], s[28:29], s[4:5]
	s_and_saveexec_b64 s[4:5], s[10:11]
	s_cbranch_execz .LBB269_9
; %bb.8:
	s_waitcnt lgkmcnt(0)
	v_mad_i64_i32 v[8:9], s[10:11], v28, s35, 0
	v_lshl_add_u64 v[8:9], v[8:9], 1, v[2:3]
	global_load_ushort v5, v[8:9], off
	s_waitcnt vmcnt(0)
	v_mul_f16_e32 v5, s19, v5
.LBB269_9:
	s_or_b64 exec, exec, s[4:5]
	v_add_u32_e32 v29, 64, v28
	v_cmp_le_i32_e64 s[10:11], s16, v29
	s_or_b64 s[4:5], s[8:9], s[10:11]
	v_cndmask_b32_e64 v6, 0, v6, s[4:5]
	s_nor_b64 s[12:13], s[28:29], s[4:5]
	s_and_saveexec_b64 s[4:5], s[12:13]
	s_cbranch_execz .LBB269_11
; %bb.10:
	s_waitcnt lgkmcnt(0)
	v_mad_i64_i32 v[6:7], s[12:13], v29, s35, 0
	v_lshl_add_u64 v[2:3], v[6:7], 1, v[2:3]
	global_load_ushort v2, v[2:3], off
	s_waitcnt vmcnt(0)
	v_mul_f16_e32 v6, s19, v2
.LBB269_11:
	s_or_b64 exec, exec, s[4:5]
	s_load_dword s36, s[0:1], 0x30
	s_lshl_b32 s31, s6, 7
	v_add_u32_e32 v30, s31, v4
	v_cmp_le_i32_e64 s[4:5], s17, v30
	v_mov_b32_e32 v2, 0x7c00
	s_or_b64 s[6:7], s[8:9], s[4:5]
	v_lshl_add_u64 v[0:1], v[0:1], 1, s[26:27]
	v_cndmask_b32_e64 v7, 0, v2, s[6:7]
	s_nor_b64 s[12:13], s[28:29], s[6:7]
	s_and_saveexec_b64 s[6:7], s[12:13]
	s_cbranch_execz .LBB269_13
; %bb.12:
	s_waitcnt lgkmcnt(0)
	v_mad_i64_i32 v[8:9], s[12:13], v30, s36, 0
	v_lshl_add_u64 v[8:9], v[8:9], 1, v[0:1]
	global_load_ushort v3, v[8:9], off
	s_waitcnt vmcnt(0)
	v_mul_f16_e32 v7, s19, v3
.LBB269_13:
	s_or_b64 exec, exec, s[6:7]
	v_add_u32_e32 v31, 64, v30
	v_cmp_le_i32_e64 s[6:7], s17, v31
	s_or_b64 s[8:9], s[8:9], s[6:7]
	v_cndmask_b32_e64 v8, 0, v2, s[8:9]
	s_nor_b64 s[12:13], s[28:29], s[8:9]
	s_and_saveexec_b64 s[8:9], s[12:13]
	s_cbranch_execz .LBB269_15
; %bb.14:
	s_waitcnt lgkmcnt(0)
	v_mad_i64_i32 v[2:3], s[12:13], v31, s36, 0
	v_lshl_add_u64 v[0:1], v[2:3], 1, v[0:1]
	global_load_ushort v0, v[0:1], off
	s_waitcnt vmcnt(0)
	v_mul_f16_e32 v8, s19, v0
.LBB269_15:
	s_or_b64 exec, exec, s[8:9]
	v_or_b32_e32 v0, 4, v102
	v_cmp_le_i32_e64 s[8:9], s18, v0
	v_min_i32_e32 v0, s33, v0
	v_ashrrev_i32_e32 v1, 31, v0
	v_mov_b32_e32 v9, 0x7c00
	s_or_b64 s[12:13], s[8:9], vcc
	v_lshl_add_u64 v[2:3], v[0:1], 1, s[24:25]
	v_cndmask_b32_e64 v32, 0, v9, s[12:13]
	s_nor_b64 s[38:39], s[28:29], s[12:13]
	s_and_saveexec_b64 s[12:13], s[38:39]
	s_cbranch_execz .LBB269_17
; %bb.16:
	s_waitcnt lgkmcnt(0)
	v_mad_i64_i32 v[10:11], s[38:39], v28, s35, 0
	v_lshl_add_u64 v[10:11], v[10:11], 1, v[2:3]
	global_load_ushort v10, v[10:11], off
	s_waitcnt vmcnt(0)
	v_mul_f16_e32 v32, s19, v10
.LBB269_17:
	s_or_b64 exec, exec, s[12:13]
	s_or_b64 s[12:13], s[8:9], s[10:11]
	v_cndmask_b32_e64 v33, 0, v9, s[12:13]
	s_nor_b64 s[38:39], s[28:29], s[12:13]
	s_and_saveexec_b64 s[12:13], s[38:39]
	s_cbranch_execz .LBB269_19
; %bb.18:
	s_waitcnt lgkmcnt(0)
	v_mad_i64_i32 v[10:11], s[38:39], v29, s35, 0
	v_lshl_add_u64 v[2:3], v[10:11], 1, v[2:3]
	global_load_ushort v2, v[2:3], off
	s_waitcnt vmcnt(0)
	v_mul_f16_e32 v33, s19, v2
.LBB269_19:
	s_or_b64 exec, exec, s[12:13]
	v_mov_b32_e32 v2, 0x7c00
	s_or_b64 s[12:13], s[8:9], s[4:5]
	v_lshl_add_u64 v[0:1], v[0:1], 1, s[26:27]
	v_cndmask_b32_e64 v34, 0, v2, s[12:13]
	s_nor_b64 s[38:39], s[28:29], s[12:13]
	s_and_saveexec_b64 s[12:13], s[38:39]
	s_cbranch_execz .LBB269_21
; %bb.20:
	s_waitcnt lgkmcnt(0)
	v_mad_i64_i32 v[10:11], s[38:39], v30, s36, 0
	v_lshl_add_u64 v[10:11], v[10:11], 1, v[0:1]
	global_load_ushort v3, v[10:11], off
	s_waitcnt vmcnt(0)
	v_mul_f16_e32 v34, s19, v3
.LBB269_21:
	s_or_b64 exec, exec, s[12:13]
	s_or_b64 s[8:9], s[8:9], s[6:7]
	v_cndmask_b32_e64 v35, 0, v2, s[8:9]
	s_nor_b64 s[38:39], s[28:29], s[8:9]
	s_movk_i32 s12, 0x7c00
	s_and_saveexec_b64 s[8:9], s[38:39]
	s_cbranch_execz .LBB269_23
; %bb.22:
	s_waitcnt lgkmcnt(0)
	v_mad_i64_i32 v[2:3], s[38:39], v31, s36, 0
	v_lshl_add_u64 v[0:1], v[2:3], 1, v[0:1]
	global_load_ushort v0, v[0:1], off
	s_waitcnt vmcnt(0)
	v_mul_f16_e32 v35, s19, v0
.LBB269_23:
	s_or_b64 exec, exec, s[8:9]
	v_lshlrev_b32_e32 v0, 3, v4
	v_lshlrev_b32_e32 v104, 3, v95
	v_lshl_or_b32 v112, v102, 1, v0
	v_lshlrev_b32_e32 v105, 3, v84
	v_add_u32_e32 v113, 0x800, v104
	ds_write_b16 v112, v5
	ds_write_b16 v112, v6 offset:512
	ds_write_b16 v112, v7 offset:2048
	ds_write_b16 v112, v8 offset:2560
	s_waitcnt lgkmcnt(0)
	s_barrier
	ds_read2_b64 v[4:7], v105 offset1:32
	ds_read2_b64 v[0:3], v105 offset0:64 offset1:96
	ds_read2_b64 v[36:39], v113 offset1:8
	ds_read2_b64 v[40:43], v113 offset0:16 offset1:24
	ds_read2_b64 v[44:47], v113 offset0:32 offset1:40
	;; [unrolled: 1-line block ×7, first 2 shown]
	s_cmp_lt_i32 s18, 9
	ds_write_b16 v112, v32 offset:1024
	ds_write_b16 v112, v33 offset:1536
	;; [unrolled: 1-line block ×4, first 2 shown]
	s_waitcnt lgkmcnt(11)
	v_pk_add_f16 v48, v4, v36
	v_pk_add_f16 v49, v6, v36
	v_pk_add_f16 v50, v0, v36
	v_pk_add_f16 v36, v2, v36
	v_pk_add_f16 v51, v4, v38
	v_pk_add_f16 v52, v6, v38
	v_pk_add_f16 v53, v0, v38
	v_pk_add_f16 v38, v2, v38
	s_waitcnt lgkmcnt(10)
	v_pk_add_f16 v54, v4, v40
	v_pk_add_f16 v55, v6, v40
	v_pk_add_f16 v56, v0, v40
	v_pk_add_f16 v40, v2, v40
	v_pk_add_f16 v57, v4, v42
	v_pk_add_f16 v58, v6, v42
	v_pk_add_f16 v59, v0, v42
	v_pk_add_f16 v42, v2, v42
	s_waitcnt lgkmcnt(9)
	v_pk_add_f16 v60, v4, v44
	v_pk_add_f16 v61, v6, v44
	v_pk_add_f16 v62, v0, v44
	v_pk_add_f16 v44, v2, v44
	v_pk_add_f16 v63, v4, v46
	v_pk_add_f16 v64, v6, v46
	v_pk_add_f16 v65, v0, v46
	v_pk_add_f16 v46, v2, v46
	s_waitcnt lgkmcnt(8)
	v_pk_add_f16 v66, v4, v24
	v_pk_add_f16 v67, v6, v24
	v_pk_add_f16 v68, v0, v24
	v_pk_add_f16 v24, v2, v24
	v_pk_add_f16 v69, v4, v26
	v_pk_add_f16 v70, v6, v26
	v_pk_add_f16 v71, v0, v26
	v_pk_add_f16 v26, v2, v26
	s_waitcnt lgkmcnt(7)
	v_pk_add_f16 v72, v4, v20
	v_pk_add_f16 v73, v6, v20
	v_pk_add_f16 v74, v0, v20
	v_pk_add_f16 v20, v2, v20
	v_pk_add_f16 v75, v4, v22
	v_pk_add_f16 v76, v6, v22
	v_pk_add_f16 v77, v0, v22
	v_pk_add_f16 v22, v2, v22
	s_waitcnt lgkmcnt(6)
	v_pk_add_f16 v123, v4, v16
	v_pk_add_f16 v124, v6, v16
	v_pk_add_f16 v125, v0, v16
	v_pk_add_f16 v16, v2, v16
	v_pk_add_f16 v126, v4, v18
	v_pk_add_f16 v127, v6, v18
	v_pk_add_f16 v128, v0, v18
	v_pk_add_f16 v18, v2, v18
	s_waitcnt lgkmcnt(5)
	v_pk_add_f16 v129, v4, v12
	v_pk_add_f16 v130, v6, v12
	v_pk_add_f16 v131, v0, v12
	v_pk_add_f16 v12, v2, v12
	v_pk_add_f16 v132, v4, v14
	v_pk_add_f16 v133, v6, v14
	v_pk_add_f16 v134, v0, v14
	v_pk_add_f16 v14, v2, v14
	s_waitcnt lgkmcnt(4)
	v_pk_add_f16 v135, v4, v8
	v_pk_add_f16 v136, v6, v8
	v_pk_add_f16 v137, v0, v8
	v_pk_add_f16 v8, v2, v8
	v_pk_add_f16 v4, v4, v10
	v_pk_add_f16 v6, v6, v10
	v_pk_add_f16 v138, v0, v10
	v_pk_add_f16 v0, v2, v10
	v_pk_add_f16 v2, v5, v37
	v_pk_min_f16 v10, v48, s12 op_sel_hi:[1,0]
	v_pk_min_f16 v8, v8, s12 op_sel_hi:[1,0]
	v_pk_min_f16 v122, v10, v2
	v_pk_add_f16 v2, v7, v37
	v_pk_min_f16 v10, v49, s12 op_sel_hi:[1,0]
	v_pk_min_f16 v4, v4, s12 op_sel_hi:[1,0]
	v_pk_min_f16 v121, v10, v2
	;; [unrolled: 4-line block ×3, first 2 shown]
	v_pk_add_f16 v2, v3, v37
	v_pk_min_f16 v10, v36, s12 op_sel_hi:[1,0]
	s_waitcnt lgkmcnt(0)
	v_pk_min_f16 v119, v10, v2
	v_pk_add_f16 v2, v5, v39
	v_pk_min_f16 v10, v51, s12 op_sel_hi:[1,0]
	s_barrier
	v_pk_min_f16 v118, v10, v2
	v_pk_add_f16 v2, v7, v39
	v_pk_min_f16 v10, v52, s12 op_sel_hi:[1,0]
	s_nop 0
	v_pk_min_f16 v117, v10, v2
	v_pk_add_f16 v2, v1, v39
	v_pk_min_f16 v10, v53, s12 op_sel_hi:[1,0]
	s_nop 0
	v_pk_min_f16 v116, v10, v2
	v_pk_add_f16 v2, v3, v39
	v_pk_min_f16 v10, v38, s12 op_sel_hi:[1,0]
	s_nop 0
	v_pk_min_f16 v115, v10, v2
	v_pk_add_f16 v2, v5, v41
	v_pk_min_f16 v10, v54, s12 op_sel_hi:[1,0]
	s_nop 0
	v_pk_min_f16 v114, v10, v2
	v_pk_add_f16 v2, v7, v41
	v_pk_min_f16 v10, v55, s12 op_sel_hi:[1,0]
	s_nop 0
	v_pk_min_f16 v111, v10, v2
	v_pk_add_f16 v2, v1, v41
	v_pk_min_f16 v10, v56, s12 op_sel_hi:[1,0]
	s_nop 0
	v_pk_min_f16 v110, v10, v2
	v_pk_add_f16 v2, v3, v41
	v_pk_min_f16 v10, v40, s12 op_sel_hi:[1,0]
	s_nop 0
	v_pk_min_f16 v109, v10, v2
	v_pk_add_f16 v2, v5, v43
	v_pk_min_f16 v10, v57, s12 op_sel_hi:[1,0]
	s_nop 0
	v_pk_min_f16 v108, v10, v2
	v_pk_add_f16 v2, v7, v43
	v_pk_min_f16 v10, v58, s12 op_sel_hi:[1,0]
	s_nop 0
	v_pk_min_f16 v107, v10, v2
	v_pk_add_f16 v2, v1, v43
	v_pk_min_f16 v10, v59, s12 op_sel_hi:[1,0]
	s_nop 0
	v_pk_min_f16 v106, v10, v2
	v_pk_add_f16 v2, v3, v43
	v_pk_min_f16 v10, v42, s12 op_sel_hi:[1,0]
	s_nop 0
	v_pk_min_f16 v103, v10, v2
	v_pk_add_f16 v2, v5, v45
	v_pk_min_f16 v10, v60, s12 op_sel_hi:[1,0]
	s_nop 0
	v_pk_min_f16 v101, v10, v2
	v_pk_add_f16 v2, v7, v45
	v_pk_min_f16 v10, v61, s12 op_sel_hi:[1,0]
	s_nop 0
	v_pk_min_f16 v100, v10, v2
	v_pk_add_f16 v2, v1, v45
	v_pk_min_f16 v10, v62, s12 op_sel_hi:[1,0]
	s_nop 0
	v_pk_min_f16 v99, v10, v2
	v_pk_add_f16 v2, v3, v45
	v_pk_min_f16 v10, v44, s12 op_sel_hi:[1,0]
	s_nop 0
	v_pk_min_f16 v98, v10, v2
	v_pk_add_f16 v2, v5, v47
	v_pk_min_f16 v10, v63, s12 op_sel_hi:[1,0]
	s_nop 0
	v_pk_min_f16 v97, v10, v2
	v_pk_add_f16 v2, v7, v47
	v_pk_min_f16 v10, v64, s12 op_sel_hi:[1,0]
	s_nop 0
	v_pk_min_f16 v96, v10, v2
	v_pk_add_f16 v2, v1, v47
	v_pk_min_f16 v10, v65, s12 op_sel_hi:[1,0]
	s_nop 0
	v_pk_min_f16 v94, v10, v2
	v_pk_add_f16 v2, v3, v47
	v_pk_min_f16 v10, v46, s12 op_sel_hi:[1,0]
	s_nop 0
	v_pk_min_f16 v93, v10, v2
	v_pk_add_f16 v2, v5, v25
	v_pk_min_f16 v10, v66, s12 op_sel_hi:[1,0]
	s_nop 0
	v_pk_min_f16 v92, v10, v2
	v_pk_add_f16 v2, v7, v25
	v_pk_min_f16 v10, v67, s12 op_sel_hi:[1,0]
	s_nop 0
	v_pk_min_f16 v91, v10, v2
	v_pk_add_f16 v2, v1, v25
	v_pk_min_f16 v10, v68, s12 op_sel_hi:[1,0]
	s_nop 0
	v_pk_min_f16 v90, v10, v2
	v_pk_add_f16 v2, v3, v25
	v_pk_min_f16 v10, v24, s12 op_sel_hi:[1,0]
	s_nop 0
	v_pk_min_f16 v89, v10, v2
	v_pk_add_f16 v2, v5, v27
	v_pk_min_f16 v10, v69, s12 op_sel_hi:[1,0]
	s_nop 0
	v_pk_min_f16 v88, v10, v2
	v_pk_add_f16 v2, v7, v27
	v_pk_min_f16 v10, v70, s12 op_sel_hi:[1,0]
	s_nop 0
	v_pk_min_f16 v87, v10, v2
	v_pk_add_f16 v2, v1, v27
	v_pk_min_f16 v10, v71, s12 op_sel_hi:[1,0]
	s_nop 0
	v_pk_min_f16 v86, v10, v2
	v_pk_add_f16 v2, v3, v27
	v_pk_min_f16 v10, v26, s12 op_sel_hi:[1,0]
	s_nop 0
	v_pk_min_f16 v85, v10, v2
	v_pk_add_f16 v2, v5, v21
	v_pk_min_f16 v10, v72, s12 op_sel_hi:[1,0]
	s_nop 0
	v_pk_min_f16 v83, v10, v2
	v_pk_add_f16 v2, v7, v21
	v_pk_min_f16 v10, v73, s12 op_sel_hi:[1,0]
	s_nop 0
	v_pk_min_f16 v82, v10, v2
	v_pk_add_f16 v2, v1, v21
	v_pk_min_f16 v10, v74, s12 op_sel_hi:[1,0]
	s_nop 0
	v_pk_min_f16 v81, v10, v2
	v_pk_add_f16 v2, v3, v21
	v_pk_min_f16 v10, v20, s12 op_sel_hi:[1,0]
	s_nop 0
	v_pk_min_f16 v80, v10, v2
	v_pk_add_f16 v2, v5, v23
	v_pk_min_f16 v10, v75, s12 op_sel_hi:[1,0]
	s_nop 0
	v_pk_min_f16 v79, v10, v2
	v_pk_add_f16 v2, v7, v23
	v_pk_min_f16 v10, v76, s12 op_sel_hi:[1,0]
	s_nop 0
	v_pk_min_f16 v78, v10, v2
	v_pk_add_f16 v2, v1, v23
	v_pk_min_f16 v10, v77, s12 op_sel_hi:[1,0]
	s_nop 0
	v_pk_min_f16 v77, v10, v2
	v_pk_add_f16 v2, v3, v23
	v_pk_min_f16 v10, v22, s12 op_sel_hi:[1,0]
	s_nop 0
	v_pk_min_f16 v76, v10, v2
	v_pk_add_f16 v2, v5, v17
	v_pk_min_f16 v10, v123, s12 op_sel_hi:[1,0]
	s_nop 0
	v_pk_min_f16 v75, v10, v2
	v_pk_add_f16 v2, v7, v17
	v_pk_min_f16 v10, v124, s12 op_sel_hi:[1,0]
	s_nop 0
	v_pk_min_f16 v74, v10, v2
	v_pk_add_f16 v2, v1, v17
	v_pk_min_f16 v10, v125, s12 op_sel_hi:[1,0]
	s_nop 0
	v_pk_min_f16 v73, v10, v2
	v_pk_add_f16 v2, v3, v17
	v_pk_min_f16 v10, v16, s12 op_sel_hi:[1,0]
	s_nop 0
	v_pk_min_f16 v72, v10, v2
	v_pk_add_f16 v2, v5, v19
	v_pk_min_f16 v10, v126, s12 op_sel_hi:[1,0]
	s_nop 0
	v_pk_min_f16 v71, v10, v2
	v_pk_add_f16 v2, v7, v19
	v_pk_min_f16 v10, v127, s12 op_sel_hi:[1,0]
	s_nop 0
	v_pk_min_f16 v70, v10, v2
	v_pk_add_f16 v2, v1, v19
	v_pk_min_f16 v10, v128, s12 op_sel_hi:[1,0]
	s_nop 0
	v_pk_min_f16 v69, v10, v2
	v_pk_add_f16 v2, v3, v19
	v_pk_min_f16 v10, v18, s12 op_sel_hi:[1,0]
	s_nop 0
	v_pk_min_f16 v68, v10, v2
	v_pk_add_f16 v2, v5, v13
	v_pk_min_f16 v10, v129, s12 op_sel_hi:[1,0]
	s_nop 0
	v_pk_min_f16 v67, v10, v2
	v_pk_add_f16 v2, v7, v13
	v_pk_min_f16 v10, v130, s12 op_sel_hi:[1,0]
	s_nop 0
	v_pk_min_f16 v66, v10, v2
	v_pk_add_f16 v2, v1, v13
	v_pk_min_f16 v10, v131, s12 op_sel_hi:[1,0]
	s_nop 0
	v_pk_min_f16 v65, v10, v2
	v_pk_add_f16 v2, v3, v13
	v_pk_min_f16 v10, v12, s12 op_sel_hi:[1,0]
	s_nop 0
	v_pk_min_f16 v64, v10, v2
	v_pk_add_f16 v2, v5, v15
	v_pk_min_f16 v10, v132, s12 op_sel_hi:[1,0]
	s_nop 0
	v_pk_min_f16 v63, v10, v2
	v_pk_add_f16 v2, v7, v15
	v_pk_min_f16 v10, v133, s12 op_sel_hi:[1,0]
	s_nop 0
	v_pk_min_f16 v62, v10, v2
	v_pk_add_f16 v2, v1, v15
	v_pk_min_f16 v10, v134, s12 op_sel_hi:[1,0]
	s_nop 0
	v_pk_min_f16 v61, v10, v2
	v_pk_add_f16 v2, v3, v15
	v_pk_min_f16 v10, v14, s12 op_sel_hi:[1,0]
	s_nop 0
	v_pk_min_f16 v60, v10, v2
	v_pk_add_f16 v2, v5, v9
	v_pk_min_f16 v10, v135, s12 op_sel_hi:[1,0]
	s_nop 0
	v_pk_min_f16 v59, v10, v2
	v_pk_add_f16 v2, v7, v9
	v_pk_min_f16 v10, v136, s12 op_sel_hi:[1,0]
	s_nop 0
	v_pk_min_f16 v58, v10, v2
	v_pk_add_f16 v2, v1, v9
	v_pk_min_f16 v10, v137, s12 op_sel_hi:[1,0]
	v_pk_add_f16 v1, v1, v11
	v_pk_min_f16 v57, v10, v2
	v_pk_add_f16 v2, v3, v9
	s_nop 0
	v_pk_min_f16 v56, v8, v2
	v_pk_add_f16 v2, v5, v11
	s_nop 0
	v_pk_min_f16 v54, v4, v2
	v_pk_add_f16 v2, v7, v11
	v_pk_min_f16 v4, v6, s12 op_sel_hi:[1,0]
	s_nop 0
	v_pk_min_f16 v53, v4, v2
	v_pk_min_f16 v2, v138, s12 op_sel_hi:[1,0]
	s_nop 0
	v_pk_min_f16 v52, v2, v1
	v_pk_add_f16 v1, v3, v11
	s_nop 0
	v_pk_min_f16 v55, v0, v1
	s_cbranch_scc1 .LBB269_42
; %bb.24:
	v_mov_b32_e32 v0, 0x400
	v_lshl_add_u32 v126, v84, 3, v0
	v_mov_b32_e32 v0, 0xc00
	v_add_u32_e32 v123, 0x800, v112
	v_add_u32_e32 v124, 0x400, v112
	;; [unrolled: 1-line block ×3, first 2 shown]
	s_add_i32 s34, s18, -8
	v_mad_i64_i32 v[40:41], s[8:9], v28, s35, 0
	v_mad_i64_i32 v[42:43], s[8:9], v29, s35, 0
	;; [unrolled: 1-line block ×4, first 2 shown]
	v_lshl_add_u32 v127, v95, 3, v0
	s_mov_b32 s35, 0
	v_mov_b32_e32 v128, 0x7c00
	s_branch .LBB269_26
.LBB269_25:                             ;   in Loop: Header=BB269_26 Depth=1
	s_or_b64 exec, exec, s[8:9]
	v_pk_add_f16 v48, v4, v36
	v_pk_max_f16 v49, v122, v122
	v_pk_max_f16 v121, v121, v121
	v_pk_min_f16 v48, v49, v48
	v_pk_add_f16 v49, v6, v36
	v_pk_max_f16 v119, v119, v119
	v_pk_min_f16 v49, v121, v49
	v_pk_add_f16 v121, v0, v36
	v_pk_add_f16 v36, v2, v36
	v_pk_max_f16 v118, v118, v118
	v_pk_min_f16 v36, v119, v36
	v_pk_add_f16 v119, v4, v38
	v_pk_max_f16 v117, v117, v117
	v_pk_min_f16 v118, v118, v119
	v_pk_add_f16 v119, v6, v38
	v_pk_max_f16 v115, v115, v115
	v_pk_min_f16 v117, v117, v119
	v_pk_add_f16 v119, v0, v38
	v_pk_add_f16 v38, v2, v38
	v_pk_max_f16 v114, v114, v114
	v_pk_min_f16 v38, v115, v38
	v_pk_add_f16 v115, v4, v32
	;; [unrolled: 10-line block ×14, first 2 shown]
	v_pk_max_f16 v58, v58, v58
	v_pk_min_f16 v59, v59, v60
	v_pk_add_f16 v60, v6, v8
	v_pk_add_f16 v4, v4, v10
	v_pk_min_f16 v58, v58, v60
	v_pk_add_f16 v60, v0, v8
	v_pk_add_f16 v8, v2, v8
	;; [unrolled: 1-line block ×5, first 2 shown]
	v_pk_max_f16 v10, v55, v55
	v_pk_max_f16 v120, v120, v120
	v_pk_min_f16 v2, v10, v2
	v_pk_add_f16 v10, v5, v37
	v_pk_min_f16 v120, v120, v121
	v_pk_min_f16 v48, v48, v10
	v_pk_add_f16 v10, v7, v37
	v_pk_max_f16 v52, v52, v52
	v_pk_min_f16 v49, v49, v10
	v_pk_add_f16 v10, v1, v37
	v_pk_max_f16 v53, v53, v53
	v_pk_min_f16 v0, v52, v0
	v_pk_min_f16 v52, v120, v10
	v_pk_add_f16 v10, v3, v37
	v_pk_max_f16 v54, v54, v54
	v_pk_min_f16 v6, v53, v6
	;; [unrolled: 4-line block ×3, first 2 shown]
	v_pk_min_f16 v54, v118, v10
	v_pk_add_f16 v10, v7, v39
	v_pk_min_f16 v116, v116, v119
	v_pk_max_f16 v56, v56, v56
	v_pk_min_f16 v55, v117, v10
	v_pk_add_f16 v10, v1, v39
	v_pk_max_f16 v57, v57, v57
	v_pk_min_f16 v8, v56, v8
	v_pk_min_f16 v56, v116, v10
	v_pk_add_f16 v10, v3, v39
	v_pk_max_f16 v61, v61, v61
	v_pk_min_f16 v57, v57, v60
	v_pk_min_f16 v60, v38, v10
	v_pk_add_f16 v10, v5, v33
	v_pk_max_f16 v110, v110, v110
	v_pk_max_f16 v65, v65, v65
	v_pk_min_f16 v61, v61, v64
	v_pk_min_f16 v64, v114, v10
	v_pk_add_f16 v10, v7, v33
	v_pk_min_f16 v110, v110, v115
	v_pk_max_f16 v69, v69, v69
	v_pk_min_f16 v65, v65, v68
	v_pk_min_f16 v68, v111, v10
	v_pk_add_f16 v10, v1, v33
	v_pk_max_f16 v73, v73, v73
	v_pk_min_f16 v69, v69, v72
	v_pk_min_f16 v72, v110, v10
	v_pk_add_f16 v10, v3, v33
	;; [unrolled: 4-line block ×3, first 2 shown]
	v_pk_max_f16 v106, v106, v106
	v_pk_max_f16 v81, v81, v81
	v_pk_min_f16 v77, v77, v80
	v_pk_min_f16 v80, v108, v10
	v_pk_add_f16 v10, v7, v35
	v_pk_min_f16 v106, v106, v109
	v_pk_max_f16 v86, v86, v86
	v_pk_min_f16 v81, v81, v85
	v_pk_min_f16 v85, v107, v10
	v_pk_add_f16 v10, v1, v35
	v_pk_max_f16 v90, v90, v90
	v_pk_min_f16 v86, v86, v89
	v_pk_min_f16 v89, v106, v10
	v_pk_add_f16 v10, v3, v35
	;; [unrolled: 4-line block ×4, first 2 shown]
	v_pk_min_f16 v99, v99, v103
	v_pk_min_f16 v100, v100, v10
	v_pk_add_f16 v10, v1, v29
	v_pk_max_f16 v49, v49, v49
	v_pk_min_f16 v99, v99, v10
	v_pk_add_f16 v10, v3, v29
	v_pk_max_f16 v60, v60, v60
	;; [unrolled: 3-line block ×5, first 2 shown]
	v_pk_min_f16 v94, v94, v10
	v_pk_add_f16 v10, v3, v31
	s_add_i32 s35, s35, 8
	v_pk_min_f16 v132, v30, v10
	v_pk_add_f16 v10, v5, v25
	s_cmp_ge_i32 s35, s34
	v_pk_min_f16 v92, v92, v10
	v_pk_add_f16 v10, v7, v25
	s_nop 0
	v_pk_min_f16 v91, v91, v10
	v_pk_add_f16 v10, v1, v25
	s_nop 0
	;; [unrolled: 3-line block ×31, first 2 shown]
	v_pk_min_f16 v140, v14, v10
	v_pk_add_f16 v10, v5, v9
	v_pk_add_f16 v5, v5, v11
	v_pk_min_f16 v59, v59, v10
	v_pk_add_f16 v10, v7, v9
	v_pk_min_f16 v142, v4, v5
	v_pk_min_f16 v58, v58, v10
	v_pk_add_f16 v10, v1, v9
	v_pk_add_f16 v1, v1, v11
	;; [unrolled: 1-line block ×4, first 2 shown]
	v_pk_min_f16 v144, v0, v1
	v_pk_add_f16 v0, v3, v11
	v_pk_min_f16 v57, v57, v10
	v_pk_min_f16 v141, v8, v9
	;; [unrolled: 1-line block ×4, first 2 shown]
	ds_read2_b64 v[4:7], v105 offset1:32
	ds_read2_b64 v[0:3], v105 offset0:64 offset1:96
	ds_read2_b64 v[28:31], v113 offset1:8
	ds_read2_b64 v[32:35], v113 offset0:16 offset1:24
	ds_read2_b64 v[36:39], v113 offset0:32 offset1:40
	;; [unrolled: 1-line block ×7, first 2 shown]
	s_waitcnt lgkmcnt(7)
	v_pk_add_f16 v103, v6, v28
	v_pk_add_f16 v107, v4, v30
	;; [unrolled: 1-line block ×10, first 2 shown]
	v_pk_min_f16 v49, v49, v103
	v_pk_min_f16 v30, v60, v30
	v_pk_add_f16 v101, v4, v28
	s_waitcnt lgkmcnt(6)
	v_pk_add_f16 v110, v4, v32
	v_pk_min_f16 v121, v49, v115
	v_pk_min_f16 v115, v30, v31
	v_pk_max_f16 v31, v64, v64
	v_pk_add_f16 v114, v5, v29
	v_pk_min_f16 v48, v48, v101
	v_pk_min_f16 v31, v31, v110
	v_pk_add_f16 v60, v5, v33
	v_pk_add_f16 v111, v6, v32
	v_pk_min_f16 v122, v48, v114
	v_pk_min_f16 v114, v31, v60
	v_pk_max_f16 v60, v68, v68
	v_pk_add_f16 v64, v7, v33
	v_pk_min_f16 v60, v60, v111
	v_pk_add_f16 v146, v0, v32
	v_pk_min_f16 v111, v60, v64
	v_pk_max_f16 v60, v72, v72
	v_pk_add_f16 v106, v0, v28
	v_pk_add_f16 v28, v2, v28
	v_pk_min_f16 v60, v60, v146
	v_pk_add_f16 v64, v1, v33
	v_pk_add_f16 v32, v2, v32
	;; [unrolled: 1-line block ×4, first 2 shown]
	v_pk_min_f16 v28, v53, v28
	v_pk_min_f16 v110, v60, v64
	v_pk_max_f16 v60, v76, v76
	v_pk_min_f16 v119, v28, v29
	v_pk_max_f16 v29, v54, v54
	v_pk_max_f16 v54, v55, v55
	;; [unrolled: 1-line block ×3, first 2 shown]
	v_pk_min_f16 v32, v60, v32
	v_pk_add_f16 v33, v3, v33
	v_pk_add_f16 v147, v4, v34
	v_pk_min_f16 v55, v55, v109
	v_pk_min_f16 v109, v32, v33
	v_pk_max_f16 v32, v80, v80
	v_pk_add_f16 v33, v5, v35
	v_pk_min_f16 v32, v32, v147
	v_pk_add_f16 v148, v6, v34
	v_pk_min_f16 v54, v54, v108
	v_pk_min_f16 v108, v32, v33
	v_pk_max_f16 v32, v85, v85
	v_pk_add_f16 v33, v7, v35
	v_pk_min_f16 v32, v32, v148
	;; [unrolled: 6-line block ×3, first 2 shown]
	v_pk_add_f16 v34, v2, v34
	v_pk_min_f16 v52, v52, v106
	v_pk_min_f16 v106, v32, v33
	v_pk_max_f16 v32, v93, v93
	s_waitcnt lgkmcnt(5)
	v_pk_add_f16 v150, v4, v36
	v_pk_add_f16 v151, v6, v36
	v_pk_add_f16 v152, v0, v36
	v_pk_add_f16 v36, v2, v36
	v_pk_add_f16 v153, v4, v38
	v_pk_add_f16 v154, v6, v38
	v_pk_add_f16 v155, v0, v38
	v_pk_add_f16 v38, v2, v38
	s_waitcnt lgkmcnt(4)
	v_pk_add_f16 v156, v4, v24
	v_pk_add_f16 v157, v6, v24
	v_pk_add_f16 v158, v0, v24
	v_pk_add_f16 v24, v2, v24
	v_pk_add_f16 v159, v4, v26
	v_pk_add_f16 v160, v6, v26
	v_pk_add_f16 v161, v0, v26
	v_pk_add_f16 v26, v2, v26
	;; [unrolled: 9-line block ×3, first 2 shown]
	s_waitcnt lgkmcnt(2)
	v_pk_add_f16 v170, v4, v16
	v_pk_add_f16 v171, v6, v16
	;; [unrolled: 1-line block ×6, first 2 shown]
	v_pk_min_f16 v120, v52, v116
	v_pk_add_f16 v52, v0, v18
	v_pk_add_f16 v18, v2, v18
	s_waitcnt lgkmcnt(1)
	v_pk_add_f16 v28, v4, v12
	v_pk_add_f16 v53, v6, v12
	v_pk_min_f16 v118, v29, v117
	v_pk_add_f16 v29, v0, v12
	v_pk_add_f16 v12, v2, v12
	v_pk_min_f16 v117, v54, v167
	;; [unrolled: 3-line block ×3, first 2 shown]
	v_pk_add_f16 v55, v0, v14
	v_pk_add_f16 v14, v2, v14
	s_waitcnt lgkmcnt(0)
	v_pk_add_f16 v30, v4, v8
	v_pk_add_f16 v31, v6, v8
	;; [unrolled: 1-line block ×9, first 2 shown]
	v_pk_min_f16 v32, v32, v34
	ds_write_b16 v124, v129
	ds_write_b16 v124, v130 offset:512
	ds_write_b16 v125, v50
	ds_write_b16 v125, v51 offset:512
	v_pk_min_f16 v103, v32, v10
	v_pk_max_f16 v32, v98, v98
	v_pk_add_f16 v10, v5, v37
	v_pk_min_f16 v32, v32, v150
	s_waitcnt lgkmcnt(0)
	v_pk_min_f16 v101, v32, v10
	v_pk_max_f16 v32, v100, v100
	v_pk_add_f16 v10, v7, v37
	v_pk_min_f16 v32, v32, v151
	s_barrier
	v_pk_min_f16 v100, v32, v10
	v_pk_max_f16 v32, v99, v99
	v_pk_add_f16 v10, v1, v37
	v_pk_min_f16 v32, v32, v152
	s_nop 0
	v_pk_min_f16 v99, v32, v10
	v_pk_max_f16 v32, v131, v131
	v_pk_add_f16 v10, v3, v37
	v_pk_min_f16 v32, v32, v36
	s_nop 0
	;; [unrolled: 5-line block ×9, first 2 shown]
	v_pk_min_f16 v90, v32, v10
	v_pk_add_f16 v10, v3, v25
	v_pk_max_f16 v25, v133, v133
	s_nop 0
	v_pk_min_f16 v24, v25, v24
	s_nop 0
	v_pk_min_f16 v89, v24, v10
	v_pk_max_f16 v24, v88, v88
	v_pk_add_f16 v10, v5, v27
	v_pk_min_f16 v24, v24, v159
	s_nop 0
	v_pk_min_f16 v88, v24, v10
	v_pk_max_f16 v24, v87, v87
	v_pk_add_f16 v10, v7, v27
	v_pk_min_f16 v24, v24, v160
	s_nop 0
	v_pk_min_f16 v87, v24, v10
	v_pk_max_f16 v24, v86, v86
	v_pk_add_f16 v10, v1, v27
	v_pk_min_f16 v24, v24, v161
	s_nop 0
	v_pk_min_f16 v86, v24, v10
	v_pk_max_f16 v24, v134, v134
	v_pk_add_f16 v10, v3, v27
	v_pk_min_f16 v24, v24, v26
	s_nop 0
	v_pk_min_f16 v85, v24, v10
	v_pk_max_f16 v24, v83, v83
	v_pk_add_f16 v10, v5, v21
	v_pk_min_f16 v24, v24, v162
	s_nop 0
	v_pk_min_f16 v83, v24, v10
	v_pk_max_f16 v24, v82, v82
	v_pk_add_f16 v10, v7, v21
	v_pk_min_f16 v24, v24, v163
	s_nop 0
	v_pk_min_f16 v82, v24, v10
	v_pk_max_f16 v24, v81, v81
	v_pk_add_f16 v10, v1, v21
	v_pk_min_f16 v24, v24, v164
	s_nop 0
	v_pk_min_f16 v81, v24, v10
	v_pk_add_f16 v10, v3, v21
	v_pk_max_f16 v21, v135, v135
	s_nop 0
	v_pk_min_f16 v20, v21, v20
	s_nop 0
	v_pk_min_f16 v80, v20, v10
	v_pk_max_f16 v20, v79, v79
	v_pk_add_f16 v10, v5, v23
	v_pk_min_f16 v20, v20, v165
	s_nop 0
	v_pk_min_f16 v79, v20, v10
	v_pk_max_f16 v20, v78, v78
	v_pk_add_f16 v10, v7, v23
	v_pk_min_f16 v20, v20, v166
	s_nop 0
	v_pk_min_f16 v78, v20, v10
	v_pk_max_f16 v20, v77, v77
	v_pk_add_f16 v10, v1, v23
	v_pk_min_f16 v20, v20, v169
	s_nop 0
	v_pk_min_f16 v77, v20, v10
	v_pk_max_f16 v20, v136, v136
	v_pk_add_f16 v10, v3, v23
	v_pk_min_f16 v20, v20, v22
	s_nop 0
	v_pk_min_f16 v76, v20, v10
	v_pk_max_f16 v20, v75, v75
	v_pk_add_f16 v10, v5, v17
	v_pk_min_f16 v20, v20, v170
	s_nop 0
	v_pk_min_f16 v75, v20, v10
	v_pk_max_f16 v20, v74, v74
	v_pk_add_f16 v10, v7, v17
	v_pk_min_f16 v20, v20, v171
	s_nop 0
	v_pk_min_f16 v74, v20, v10
	v_pk_max_f16 v20, v73, v73
	v_pk_add_f16 v10, v1, v17
	v_pk_min_f16 v20, v20, v48
	s_nop 0
	;; [unrolled: 41-line block ×3, first 2 shown]
	v_pk_min_f16 v65, v16, v10
	v_pk_add_f16 v10, v3, v13
	v_pk_max_f16 v13, v139, v139
	s_nop 0
	v_pk_min_f16 v12, v13, v12
	s_nop 0
	v_pk_min_f16 v64, v12, v10
	v_pk_max_f16 v12, v63, v63
	v_pk_add_f16 v10, v5, v15
	v_pk_min_f16 v12, v12, v54
	s_nop 0
	v_pk_min_f16 v63, v12, v10
	v_pk_max_f16 v12, v62, v62
	v_pk_add_f16 v10, v7, v15
	;; [unrolled: 5-line block ×5, first 2 shown]
	v_pk_min_f16 v12, v12, v30
	v_pk_add_f16 v5, v5, v11
	v_pk_min_f16 v59, v12, v10
	v_pk_max_f16 v12, v58, v58
	v_pk_add_f16 v10, v7, v9
	v_pk_min_f16 v12, v12, v31
	s_nop 0
	v_pk_min_f16 v58, v12, v10
	v_pk_max_f16 v12, v57, v57
	v_pk_add_f16 v10, v1, v9
	v_pk_min_f16 v12, v12, v167
	v_pk_add_f16 v9, v3, v9
	v_pk_min_f16 v57, v12, v10
	v_pk_max_f16 v10, v141, v141
	v_pk_add_f16 v1, v1, v11
	v_pk_min_f16 v8, v10, v8
	s_nop 0
	v_pk_min_f16 v56, v8, v9
	v_pk_max_f16 v8, v142, v142
	s_nop 0
	v_pk_min_f16 v4, v8, v4
	s_nop 0
	v_pk_min_f16 v54, v4, v5
	v_pk_max_f16 v5, v143, v143
	v_pk_add_f16 v4, v7, v11
	v_pk_min_f16 v5, v5, v6
	s_nop 0
	v_pk_min_f16 v53, v5, v4
	v_pk_max_f16 v4, v144, v144
	s_nop 0
	v_pk_min_f16 v0, v4, v0
	s_nop 0
	v_pk_min_f16 v52, v0, v1
	v_pk_max_f16 v1, v145, v145
	v_pk_add_f16 v0, v3, v11
	v_pk_min_f16 v1, v1, v2
	s_nop 0
	v_pk_min_f16 v55, v1, v0
	s_cbranch_scc1 .LBB269_42
.LBB269_26:                             ; =>This Inner Loop Header: Depth=1
	v_add_u32_e32 v48, s35, v102
	v_add_u32_e32 v0, 8, v48
	v_cmp_le_i32_e64 s[8:9], s18, v0
	v_min_i32_e32 v0, s33, v0
	v_ashrrev_i32_e32 v1, 31, v0
	s_or_b64 s[12:13], vcc, s[8:9]
	v_lshl_add_u64 v[2:3], v[0:1], 1, s[24:25]
	v_cndmask_b32_e64 v49, 0, v128, s[12:13]
	s_nor_b64 s[36:37], s[28:29], s[12:13]
	s_and_saveexec_b64 s[12:13], s[36:37]
	s_cbranch_execz .LBB269_28
; %bb.27:                               ;   in Loop: Header=BB269_26 Depth=1
	v_lshl_add_u64 v[4:5], v[40:41], 1, v[2:3]
	global_load_ushort v4, v[4:5], off
	s_waitcnt vmcnt(0)
	v_mul_f16_e32 v49, s19, v4
.LBB269_28:                             ;   in Loop: Header=BB269_26 Depth=1
	s_or_b64 exec, exec, s[12:13]
	s_or_b64 s[12:13], s[10:11], s[8:9]
	v_cndmask_b32_e64 v50, 0, v128, s[12:13]
	s_nor_b64 s[36:37], s[28:29], s[12:13]
	s_and_saveexec_b64 s[12:13], s[36:37]
	s_cbranch_execz .LBB269_30
; %bb.29:                               ;   in Loop: Header=BB269_26 Depth=1
	v_lshl_add_u64 v[2:3], v[42:43], 1, v[2:3]
	global_load_ushort v2, v[2:3], off
	s_waitcnt vmcnt(0)
	v_mul_f16_e32 v50, s19, v2
.LBB269_30:                             ;   in Loop: Header=BB269_26 Depth=1
	s_or_b64 exec, exec, s[12:13]
	s_or_b64 s[12:13], s[4:5], s[8:9]
	v_lshl_add_u64 v[0:1], v[0:1], 1, s[26:27]
	v_cndmask_b32_e64 v51, 0, v128, s[12:13]
	s_nor_b64 s[36:37], s[28:29], s[12:13]
	s_and_saveexec_b64 s[12:13], s[36:37]
	s_cbranch_execz .LBB269_32
; %bb.31:                               ;   in Loop: Header=BB269_26 Depth=1
	v_lshl_add_u64 v[2:3], v[44:45], 1, v[0:1]
	global_load_ushort v2, v[2:3], off
	s_waitcnt vmcnt(0)
	v_mul_f16_e32 v51, s19, v2
.LBB269_32:                             ;   in Loop: Header=BB269_26 Depth=1
	s_or_b64 exec, exec, s[12:13]
	s_or_b64 s[8:9], s[6:7], s[8:9]
	v_cndmask_b32_e64 v129, 0, v128, s[8:9]
	s_nor_b64 s[12:13], s[28:29], s[8:9]
	s_and_saveexec_b64 s[8:9], s[12:13]
	s_cbranch_execz .LBB269_34
; %bb.33:                               ;   in Loop: Header=BB269_26 Depth=1
	v_lshl_add_u64 v[0:1], v[46:47], 1, v[0:1]
	global_load_ushort v0, v[0:1], off
	s_waitcnt vmcnt(0)
	v_mul_f16_e32 v129, s19, v0
.LBB269_34:                             ;   in Loop: Header=BB269_26 Depth=1
	s_or_b64 exec, exec, s[8:9]
	ds_read2_b64 v[4:7], v126 offset1:32
	ds_read2_b64 v[0:3], v126 offset0:64 offset1:96
	ds_read2_b64 v[36:39], v127 offset1:8
	ds_read2_b64 v[32:35], v127 offset0:16 offset1:24
	ds_read2_b64 v[28:31], v127 offset0:32 offset1:40
	;; [unrolled: 1-line block ×7, first 2 shown]
	v_add_u32_e32 v48, 12, v48
	v_cmp_le_i32_e64 s[8:9], s18, v48
	v_min_i32_e32 v48, s33, v48
	ds_write_b16 v112, v49
	ds_write_b16 v112, v50 offset:512
	ds_write_b16 v123, v51
	ds_write_b16 v123, v129 offset:512
	v_ashrrev_i32_e32 v49, 31, v48
	s_or_b64 s[12:13], vcc, s[8:9]
	v_lshl_add_u64 v[50:51], v[48:49], 1, s[24:25]
	v_cndmask_b32_e64 v129, 0, v128, s[12:13]
	s_nor_b64 s[36:37], s[28:29], s[12:13]
	s_waitcnt lgkmcnt(0)
	s_barrier
	s_and_saveexec_b64 s[12:13], s[36:37]
	s_cbranch_execz .LBB269_36
; %bb.35:                               ;   in Loop: Header=BB269_26 Depth=1
	v_lshl_add_u64 v[130:131], v[40:41], 1, v[50:51]
	global_load_ushort v129, v[130:131], off
	s_waitcnt vmcnt(0)
	v_mul_f16_e32 v129, s19, v129
.LBB269_36:                             ;   in Loop: Header=BB269_26 Depth=1
	s_or_b64 exec, exec, s[12:13]
	s_or_b64 s[12:13], s[10:11], s[8:9]
	v_cndmask_b32_e64 v130, 0, v128, s[12:13]
	s_nor_b64 s[36:37], s[28:29], s[12:13]
	s_and_saveexec_b64 s[12:13], s[36:37]
	s_cbranch_execz .LBB269_38
; %bb.37:                               ;   in Loop: Header=BB269_26 Depth=1
	v_lshl_add_u64 v[50:51], v[42:43], 1, v[50:51]
	global_load_ushort v50, v[50:51], off
	s_waitcnt vmcnt(0)
	v_mul_f16_e32 v130, s19, v50
.LBB269_38:                             ;   in Loop: Header=BB269_26 Depth=1
	s_or_b64 exec, exec, s[12:13]
	s_or_b64 s[12:13], s[4:5], s[8:9]
	v_lshl_add_u64 v[48:49], v[48:49], 1, s[26:27]
	v_cndmask_b32_e64 v50, 0, v128, s[12:13]
	s_nor_b64 s[36:37], s[28:29], s[12:13]
	s_and_saveexec_b64 s[12:13], s[36:37]
	s_cbranch_execz .LBB269_40
; %bb.39:                               ;   in Loop: Header=BB269_26 Depth=1
	v_lshl_add_u64 v[50:51], v[44:45], 1, v[48:49]
	global_load_ushort v50, v[50:51], off
	s_waitcnt vmcnt(0)
	v_mul_f16_e32 v50, s19, v50
.LBB269_40:                             ;   in Loop: Header=BB269_26 Depth=1
	s_or_b64 exec, exec, s[12:13]
	s_or_b64 s[8:9], s[6:7], s[8:9]
	v_cndmask_b32_e64 v51, 0, v128, s[8:9]
	s_nor_b64 s[12:13], s[28:29], s[8:9]
	s_and_saveexec_b64 s[8:9], s[12:13]
	s_cbranch_execz .LBB269_25
; %bb.41:                               ;   in Loop: Header=BB269_26 Depth=1
	v_lshl_add_u64 v[48:49], v[46:47], 1, v[48:49]
	global_load_ushort v48, v[48:49], off
	s_waitcnt vmcnt(0)
	v_mul_f16_e32 v51, s19, v48
	s_branch .LBB269_25
.LBB269_42:
	v_add_u32_e32 v4, 0x800, v104
	s_load_dwordx2 s[4:5], s[0:1], 0x70
	s_load_dword s19, s[0:1], 0x50
	s_load_dword s18, s[0:1], 0x68
	ds_read2_b64 v[8:11], v105 offset0:128 offset1:160
	ds_read2_b64 v[0:3], v105 offset0:192 offset1:224
	;; [unrolled: 1-line block ×10, first 2 shown]
	s_waitcnt lgkmcnt(0)
	s_mul_i32 s1, s5, s3
	s_mul_hi_u32 s5, s4, s3
	s_mul_i32 s0, s4, s3
	s_add_i32 s1, s5, s1
	s_lshl_b64 s[0:1], s[0:1], 1
	s_add_u32 s12, s14, s0
	v_add_u32_e32 v40, s2, v84
	v_add_u32_e32 v84, s31, v95
	s_addc_u32 s13, s15, s1
	v_mad_i64_i32 v[42:43], s[0:1], v84, s19, 0
	v_lshl_add_u64 v[50:51], v[42:43], 1, s[20:21]
	v_mad_i64_i32 v[42:43], s[0:1], v84, s18, 0
	v_cmp_gt_i32_e64 s[2:3], s16, v40
	v_cmp_gt_i32_e64 s[10:11], s17, v84
	v_lshl_add_u64 v[48:49], v[42:43], 1, s[12:13]
	v_cndmask_b32_e64 v42, 0, 1, s[22:23]
	v_ashrrev_i32_e32 v41, 31, v40
	s_and_b64 s[6:7], s[2:3], s[10:11]
	v_cmp_ne_u32_e64 s[0:1], 1, v42
	s_and_saveexec_b64 s[4:5], s[6:7]
	s_cbranch_execz .LBB269_48
; %bb.43:
	s_and_b64 vcc, exec, s[0:1]
	s_cbranch_vccnz .LBB269_46
; %bb.44:
	v_lshl_add_u64 v[42:43], v[40:41], 1, v[50:51]
	global_load_ushort v42, v[42:43], off
	s_waitcnt vmcnt(0)
	v_mul_f16_e32 v42, s30, v42
	v_cvt_f32_f16_e32 v42, v42
	s_branch .LBB269_47
.LBB269_45:
	s_mov_b64 s[24:25], 0
	s_andn2_b64 vcc, exec, s[8:9]
	s_mov_b64 s[4:5], -1
	s_cbranch_vccz .LBB269_2
	s_branch .LBB269_3
.LBB269_46:
	v_mov_b32_e32 v42, 0
.LBB269_47:
	v_pk_add_f16 v43, v8, v36
	v_max_f16_e32 v44, v122, v122
	v_pk_add_f16 v46, v9, v37
	v_min_f16_e32 v44, v44, v43
	v_lshrrev_b32_e32 v45, 16, v122
	v_lshrrev_b32_e32 v43, 16, v43
	;; [unrolled: 1-line block ×3, first 2 shown]
	v_min3_f16 v43, v45, v43, v47
	v_min3_f16 v43, v44, v46, v43
	v_cvt_f32_f16_e32 v43, v43
	v_max_f32_e32 v42, v42, v42
	v_min_f32_e32 v42, v42, v43
	v_cvt_f16_f32_e32 v44, v42
	v_lshl_add_u64 v[42:43], v[40:41], 1, v[48:49]
	global_store_short v[42:43], v44, off
.LBB269_48:
	s_or_b64 exec, exec, s[4:5]
	v_add_u32_e32 v42, 32, v40
	v_cmp_gt_i32_e64 s[4:5], s16, v42
	v_ashrrev_i32_e32 v43, 31, v42
	s_and_b64 s[8:9], s[4:5], s[10:11]
	s_and_saveexec_b64 s[6:7], s[8:9]
	s_cbranch_execz .LBB269_53
; %bb.49:
	s_and_b64 vcc, exec, s[0:1]
	s_cbranch_vccnz .LBB269_51
; %bb.50:
	v_lshl_add_u64 v[44:45], v[42:43], 1, v[50:51]
	global_load_ushort v44, v[44:45], off
	s_waitcnt vmcnt(0)
	v_mul_f16_e32 v44, s30, v44
	v_cvt_f32_f16_e32 v44, v44
	s_branch .LBB269_52
.LBB269_51:
	v_mov_b32_e32 v44, 0
.LBB269_52:
	v_pk_add_f16 v45, v10, v36
	v_max_f16_e32 v46, v121, v121
	v_pk_add_f16 v95, v11, v37
	v_min_f16_e32 v46, v46, v45
	v_lshrrev_b32_e32 v47, 16, v121
	v_lshrrev_b32_e32 v45, 16, v45
	v_lshrrev_b32_e32 v102, 16, v95
	v_min3_f16 v45, v47, v45, v102
	v_min3_f16 v45, v46, v95, v45
	v_cvt_f32_f16_e32 v45, v45
	v_max_f32_e32 v44, v44, v44
	v_min_f32_e32 v44, v44, v45
	v_cvt_f16_f32_e32 v46, v44
	v_lshl_add_u64 v[44:45], v[42:43], 1, v[48:49]
	global_store_short v[44:45], v46, off
.LBB269_53:
	s_or_b64 exec, exec, s[6:7]
	v_add_u32_e32 v44, 64, v40
	v_cmp_gt_i32_e64 s[6:7], s16, v44
	v_ashrrev_i32_e32 v45, 31, v44
	s_and_b64 s[14:15], s[6:7], s[10:11]
	s_and_saveexec_b64 s[8:9], s[14:15]
	s_cbranch_execz .LBB269_58
; %bb.54:
	s_and_b64 vcc, exec, s[0:1]
	s_cbranch_vccnz .LBB269_56
; %bb.55:
	v_lshl_add_u64 v[46:47], v[44:45], 1, v[50:51]
	global_load_ushort v46, v[46:47], off
	s_waitcnt vmcnt(0)
	v_mul_f16_e32 v46, s30, v46
	v_cvt_f32_f16_e32 v46, v46
	s_branch .LBB269_57
.LBB269_56:
	v_mov_b32_e32 v46, 0
.LBB269_57:
	v_pk_add_f16 v47, v0, v36
	v_max_f16_e32 v95, v120, v120
	v_pk_add_f16 v104, v1, v37
	v_min_f16_e32 v95, v95, v47
	v_lshrrev_b32_e32 v102, 16, v120
	v_lshrrev_b32_e32 v47, 16, v47
	v_lshrrev_b32_e32 v105, 16, v104
	v_min3_f16 v47, v102, v47, v105
	v_min3_f16 v47, v95, v104, v47
	v_cvt_f32_f16_e32 v47, v47
	v_max_f32_e32 v46, v46, v46
	v_min_f32_e32 v46, v46, v47
	v_cvt_f16_f32_e32 v95, v46
	v_lshl_add_u64 v[46:47], v[44:45], 1, v[48:49]
	global_store_short v[46:47], v95, off
.LBB269_58:
	;; [unrolled: 36-line block ×3, first 2 shown]
	s_or_b64 exec, exec, s[10:11]
	v_add_u32_e32 v50, 8, v84
	v_mad_i64_i32 v[36:37], s[14:15], v50, s19, 0
	v_cmp_gt_i32_e64 s[10:11], s17, v50
	v_lshl_add_u64 v[48:49], v[36:37], 1, s[20:21]
	v_mad_i64_i32 v[36:37], s[14:15], v50, s18, 0
	v_lshl_add_u64 v[36:37], v[36:37], 1, s[12:13]
	s_and_b64 s[22:23], s[2:3], s[10:11]
	s_and_saveexec_b64 s[14:15], s[22:23]
	s_cbranch_execnz .LBB269_67
; %bb.64:
	s_or_b64 exec, exec, s[14:15]
	s_and_b64 s[22:23], s[4:5], s[10:11]
	s_and_saveexec_b64 s[14:15], s[22:23]
	s_cbranch_execnz .LBB269_71
.LBB269_65:
	s_or_b64 exec, exec, s[14:15]
	s_and_b64 s[22:23], s[6:7], s[10:11]
	s_and_saveexec_b64 s[14:15], s[22:23]
	s_cbranch_execnz .LBB269_75
.LBB269_66:
	s_or_b64 exec, exec, s[14:15]
	s_and_b64 s[14:15], s[8:9], s[10:11]
	s_and_saveexec_b64 s[10:11], s[14:15]
	s_cbranch_execnz .LBB269_79
	s_branch .LBB269_83
.LBB269_67:
	s_and_b64 vcc, exec, s[0:1]
	s_cbranch_vccnz .LBB269_69
; %bb.68:
	v_lshl_add_u64 v[50:51], v[40:41], 1, v[48:49]
	global_load_ushort v50, v[50:51], off
	s_waitcnt vmcnt(0)
	v_mul_f16_e32 v50, s30, v50
	v_cvt_f32_f16_e32 v50, v50
	s_branch .LBB269_70
.LBB269_69:
	v_mov_b32_e32 v50, 0
.LBB269_70:
	v_pk_add_f16 v51, v8, v38
	v_max_f16_e32 v95, v118, v118
	v_pk_add_f16 v104, v9, v39
	v_min_f16_e32 v95, v95, v51
	v_lshrrev_b32_e32 v102, 16, v118
	v_lshrrev_b32_e32 v51, 16, v51
	;; [unrolled: 1-line block ×3, first 2 shown]
	v_min3_f16 v51, v102, v51, v105
	v_min3_f16 v51, v95, v104, v51
	v_cvt_f32_f16_e32 v51, v51
	v_max_f32_e32 v50, v50, v50
	v_min_f32_e32 v50, v50, v51
	v_cvt_f16_f32_e32 v95, v50
	v_lshl_add_u64 v[50:51], v[40:41], 1, v[36:37]
	global_store_short v[50:51], v95, off
	s_or_b64 exec, exec, s[14:15]
	s_and_b64 s[22:23], s[4:5], s[10:11]
	s_and_saveexec_b64 s[14:15], s[22:23]
	s_cbranch_execz .LBB269_65
.LBB269_71:
	s_and_b64 vcc, exec, s[0:1]
	s_cbranch_vccnz .LBB269_73
; %bb.72:
	v_lshl_add_u64 v[50:51], v[42:43], 1, v[48:49]
	global_load_ushort v50, v[50:51], off
	s_waitcnt vmcnt(0)
	v_mul_f16_e32 v50, s30, v50
	v_cvt_f32_f16_e32 v50, v50
	s_branch .LBB269_74
.LBB269_73:
	v_mov_b32_e32 v50, 0
.LBB269_74:
	v_pk_add_f16 v51, v10, v38
	v_max_f16_e32 v95, v117, v117
	v_pk_add_f16 v104, v11, v39
	v_min_f16_e32 v95, v95, v51
	v_lshrrev_b32_e32 v102, 16, v117
	v_lshrrev_b32_e32 v51, 16, v51
	;; [unrolled: 1-line block ×3, first 2 shown]
	v_min3_f16 v51, v102, v51, v105
	v_min3_f16 v51, v95, v104, v51
	v_cvt_f32_f16_e32 v51, v51
	v_max_f32_e32 v50, v50, v50
	v_min_f32_e32 v50, v50, v51
	v_cvt_f16_f32_e32 v95, v50
	v_lshl_add_u64 v[50:51], v[42:43], 1, v[36:37]
	global_store_short v[50:51], v95, off
	s_or_b64 exec, exec, s[14:15]
	s_and_b64 s[22:23], s[6:7], s[10:11]
	s_and_saveexec_b64 s[14:15], s[22:23]
	s_cbranch_execz .LBB269_66
.LBB269_75:
	s_and_b64 vcc, exec, s[0:1]
	s_cbranch_vccnz .LBB269_77
; %bb.76:
	v_lshl_add_u64 v[50:51], v[44:45], 1, v[48:49]
	global_load_ushort v50, v[50:51], off
	s_waitcnt vmcnt(0)
	v_mul_f16_e32 v50, s30, v50
	v_cvt_f32_f16_e32 v50, v50
	s_branch .LBB269_78
.LBB269_77:
	v_mov_b32_e32 v50, 0
.LBB269_78:
	v_pk_add_f16 v51, v0, v38
	v_max_f16_e32 v95, v116, v116
	v_pk_add_f16 v104, v1, v39
	v_min_f16_e32 v95, v95, v51
	v_lshrrev_b32_e32 v102, 16, v116
	v_lshrrev_b32_e32 v51, 16, v51
	;; [unrolled: 1-line block ×3, first 2 shown]
	v_min3_f16 v51, v102, v51, v105
	v_min3_f16 v51, v95, v104, v51
	v_cvt_f32_f16_e32 v51, v51
	v_max_f32_e32 v50, v50, v50
	v_min_f32_e32 v50, v50, v51
	v_cvt_f16_f32_e32 v95, v50
	v_lshl_add_u64 v[50:51], v[44:45], 1, v[36:37]
	global_store_short v[50:51], v95, off
	s_or_b64 exec, exec, s[14:15]
	s_and_b64 s[14:15], s[8:9], s[10:11]
	s_and_saveexec_b64 s[10:11], s[14:15]
	s_cbranch_execz .LBB269_83
.LBB269_79:
	s_and_b64 vcc, exec, s[0:1]
	s_cbranch_vccnz .LBB269_81
; %bb.80:
	v_lshl_add_u64 v[48:49], v[46:47], 1, v[48:49]
	global_load_ushort v48, v[48:49], off
	s_waitcnt vmcnt(0)
	v_mul_f16_e32 v48, s30, v48
	v_cvt_f32_f16_e32 v48, v48
	s_branch .LBB269_82
.LBB269_81:
	v_mov_b32_e32 v48, 0
.LBB269_82:
	v_pk_add_f16 v38, v2, v38
	v_max_f16_e32 v49, v115, v115
	v_pk_add_f16 v39, v3, v39
	v_min_f16_e32 v49, v49, v38
	v_lshrrev_b32_e32 v50, 16, v115
	v_lshrrev_b32_e32 v38, 16, v38
	;; [unrolled: 1-line block ×3, first 2 shown]
	v_min3_f16 v38, v50, v38, v51
	v_min3_f16 v38, v49, v39, v38
	v_cvt_f32_f16_e32 v38, v38
	v_max_f32_e32 v39, v48, v48
	v_lshl_add_u64 v[36:37], v[46:47], 1, v[36:37]
	v_min_f32_e32 v38, v39, v38
	v_cvt_f16_f32_e32 v38, v38
	global_store_short v[36:37], v38, off
.LBB269_83:
	s_or_b64 exec, exec, s[10:11]
	v_add_u32_e32 v48, 16, v84
	v_mad_i64_i32 v[36:37], s[14:15], v48, s19, 0
	v_cmp_gt_i32_e64 s[10:11], s17, v48
	v_lshl_add_u64 v[38:39], v[36:37], 1, s[20:21]
	v_mad_i64_i32 v[36:37], s[14:15], v48, s18, 0
	v_lshl_add_u64 v[36:37], v[36:37], 1, s[12:13]
	s_and_b64 s[22:23], s[2:3], s[10:11]
	s_and_saveexec_b64 s[14:15], s[22:23]
	s_cbranch_execnz .LBB269_87
; %bb.84:
	s_or_b64 exec, exec, s[14:15]
	s_and_b64 s[22:23], s[4:5], s[10:11]
	s_and_saveexec_b64 s[14:15], s[22:23]
	s_cbranch_execnz .LBB269_91
.LBB269_85:
	s_or_b64 exec, exec, s[14:15]
	s_and_b64 s[22:23], s[6:7], s[10:11]
	s_and_saveexec_b64 s[14:15], s[22:23]
	s_cbranch_execnz .LBB269_95
.LBB269_86:
	s_or_b64 exec, exec, s[14:15]
	s_and_b64 s[14:15], s[8:9], s[10:11]
	s_and_saveexec_b64 s[10:11], s[14:15]
	s_cbranch_execnz .LBB269_99
	s_branch .LBB269_103
.LBB269_87:
	s_and_b64 vcc, exec, s[0:1]
	s_cbranch_vccnz .LBB269_89
; %bb.88:
	v_lshl_add_u64 v[48:49], v[40:41], 1, v[38:39]
	global_load_ushort v48, v[48:49], off
	s_waitcnt vmcnt(0)
	v_mul_f16_e32 v48, s30, v48
	v_cvt_f32_f16_e32 v48, v48
	s_branch .LBB269_90
.LBB269_89:
	v_mov_b32_e32 v48, 0
.LBB269_90:
	v_pk_add_f16 v49, v8, v32
	v_max_f16_e32 v50, v114, v114
	v_pk_add_f16 v95, v9, v33
	v_min_f16_e32 v50, v50, v49
	v_lshrrev_b32_e32 v51, 16, v114
	v_lshrrev_b32_e32 v49, 16, v49
	;; [unrolled: 1-line block ×3, first 2 shown]
	v_min3_f16 v49, v51, v49, v102
	v_min3_f16 v49, v50, v95, v49
	v_cvt_f32_f16_e32 v49, v49
	v_max_f32_e32 v48, v48, v48
	v_min_f32_e32 v48, v48, v49
	v_cvt_f16_f32_e32 v50, v48
	v_lshl_add_u64 v[48:49], v[40:41], 1, v[36:37]
	global_store_short v[48:49], v50, off
	s_or_b64 exec, exec, s[14:15]
	s_and_b64 s[22:23], s[4:5], s[10:11]
	s_and_saveexec_b64 s[14:15], s[22:23]
	s_cbranch_execz .LBB269_85
.LBB269_91:
	s_and_b64 vcc, exec, s[0:1]
	s_cbranch_vccnz .LBB269_93
; %bb.92:
	v_lshl_add_u64 v[48:49], v[42:43], 1, v[38:39]
	global_load_ushort v48, v[48:49], off
	s_waitcnt vmcnt(0)
	v_mul_f16_e32 v48, s30, v48
	v_cvt_f32_f16_e32 v48, v48
	s_branch .LBB269_94
.LBB269_93:
	v_mov_b32_e32 v48, 0
.LBB269_94:
	v_pk_add_f16 v49, v10, v32
	v_max_f16_e32 v50, v111, v111
	v_pk_add_f16 v95, v11, v33
	v_min_f16_e32 v50, v50, v49
	v_lshrrev_b32_e32 v51, 16, v111
	v_lshrrev_b32_e32 v49, 16, v49
	;; [unrolled: 1-line block ×3, first 2 shown]
	v_min3_f16 v49, v51, v49, v102
	v_min3_f16 v49, v50, v95, v49
	v_cvt_f32_f16_e32 v49, v49
	v_max_f32_e32 v48, v48, v48
	v_min_f32_e32 v48, v48, v49
	v_cvt_f16_f32_e32 v50, v48
	v_lshl_add_u64 v[48:49], v[42:43], 1, v[36:37]
	global_store_short v[48:49], v50, off
	s_or_b64 exec, exec, s[14:15]
	s_and_b64 s[22:23], s[6:7], s[10:11]
	s_and_saveexec_b64 s[14:15], s[22:23]
	s_cbranch_execz .LBB269_86
.LBB269_95:
	s_and_b64 vcc, exec, s[0:1]
	s_cbranch_vccnz .LBB269_97
; %bb.96:
	v_lshl_add_u64 v[48:49], v[44:45], 1, v[38:39]
	global_load_ushort v48, v[48:49], off
	s_waitcnt vmcnt(0)
	v_mul_f16_e32 v48, s30, v48
	v_cvt_f32_f16_e32 v48, v48
	s_branch .LBB269_98
.LBB269_97:
	v_mov_b32_e32 v48, 0
.LBB269_98:
	v_pk_add_f16 v49, v0, v32
	v_max_f16_e32 v50, v110, v110
	v_pk_add_f16 v95, v1, v33
	v_min_f16_e32 v50, v50, v49
	v_lshrrev_b32_e32 v51, 16, v110
	v_lshrrev_b32_e32 v49, 16, v49
	;; [unrolled: 1-line block ×3, first 2 shown]
	v_min3_f16 v49, v51, v49, v102
	v_min3_f16 v49, v50, v95, v49
	v_cvt_f32_f16_e32 v49, v49
	v_max_f32_e32 v48, v48, v48
	v_min_f32_e32 v48, v48, v49
	v_cvt_f16_f32_e32 v50, v48
	v_lshl_add_u64 v[48:49], v[44:45], 1, v[36:37]
	global_store_short v[48:49], v50, off
	s_or_b64 exec, exec, s[14:15]
	s_and_b64 s[14:15], s[8:9], s[10:11]
	s_and_saveexec_b64 s[10:11], s[14:15]
	s_cbranch_execz .LBB269_103
.LBB269_99:
	s_and_b64 vcc, exec, s[0:1]
	s_cbranch_vccnz .LBB269_101
; %bb.100:
	v_lshl_add_u64 v[38:39], v[46:47], 1, v[38:39]
	global_load_ushort v38, v[38:39], off
	s_waitcnt vmcnt(0)
	v_mul_f16_e32 v38, s30, v38
	v_cvt_f32_f16_e32 v38, v38
	s_branch .LBB269_102
.LBB269_101:
	v_mov_b32_e32 v38, 0
.LBB269_102:
	v_pk_add_f16 v32, v2, v32
	v_max_f16_e32 v39, v109, v109
	v_pk_add_f16 v33, v3, v33
	v_min_f16_e32 v39, v39, v32
	v_lshrrev_b32_e32 v48, 16, v109
	v_lshrrev_b32_e32 v32, 16, v32
	;; [unrolled: 1-line block ×3, first 2 shown]
	v_min3_f16 v32, v48, v32, v49
	v_min3_f16 v32, v39, v33, v32
	v_cvt_f32_f16_e32 v32, v32
	v_max_f32_e32 v33, v38, v38
	v_min_f32_e32 v32, v33, v32
	v_cvt_f16_f32_e32 v38, v32
	v_lshl_add_u64 v[32:33], v[46:47], 1, v[36:37]
	global_store_short v[32:33], v38, off
.LBB269_103:
	s_or_b64 exec, exec, s[10:11]
	v_add_u32_e32 v38, 24, v84
	v_mad_i64_i32 v[32:33], s[14:15], v38, s19, 0
	v_cmp_gt_i32_e64 s[10:11], s17, v38
	v_lshl_add_u64 v[36:37], v[32:33], 1, s[20:21]
	v_mad_i64_i32 v[32:33], s[14:15], v38, s18, 0
	v_lshl_add_u64 v[32:33], v[32:33], 1, s[12:13]
	s_and_b64 s[22:23], s[2:3], s[10:11]
	s_and_saveexec_b64 s[14:15], s[22:23]
	s_cbranch_execnz .LBB269_107
; %bb.104:
	s_or_b64 exec, exec, s[14:15]
	s_and_b64 s[22:23], s[4:5], s[10:11]
	s_and_saveexec_b64 s[14:15], s[22:23]
	s_cbranch_execnz .LBB269_111
.LBB269_105:
	s_or_b64 exec, exec, s[14:15]
	s_and_b64 s[22:23], s[6:7], s[10:11]
	s_and_saveexec_b64 s[14:15], s[22:23]
	s_cbranch_execnz .LBB269_115
.LBB269_106:
	s_or_b64 exec, exec, s[14:15]
	s_and_b64 s[14:15], s[8:9], s[10:11]
	s_and_saveexec_b64 s[10:11], s[14:15]
	s_cbranch_execnz .LBB269_119
	s_branch .LBB269_123
.LBB269_107:
	s_and_b64 vcc, exec, s[0:1]
	s_cbranch_vccnz .LBB269_109
; %bb.108:
	v_lshl_add_u64 v[38:39], v[40:41], 1, v[36:37]
	global_load_ushort v38, v[38:39], off
	s_waitcnt vmcnt(0)
	v_mul_f16_e32 v38, s30, v38
	v_cvt_f32_f16_e32 v38, v38
	s_branch .LBB269_110
.LBB269_109:
	v_mov_b32_e32 v38, 0
.LBB269_110:
	v_pk_add_f16 v39, v8, v34
	v_max_f16_e32 v48, v108, v108
	v_pk_add_f16 v50, v9, v35
	v_min_f16_e32 v48, v48, v39
	v_lshrrev_b32_e32 v49, 16, v108
	v_lshrrev_b32_e32 v39, 16, v39
	;; [unrolled: 1-line block ×3, first 2 shown]
	v_min3_f16 v39, v49, v39, v51
	v_min3_f16 v39, v48, v50, v39
	v_cvt_f32_f16_e32 v39, v39
	v_max_f32_e32 v38, v38, v38
	v_min_f32_e32 v38, v38, v39
	v_cvt_f16_f32_e32 v48, v38
	v_lshl_add_u64 v[38:39], v[40:41], 1, v[32:33]
	global_store_short v[38:39], v48, off
	s_or_b64 exec, exec, s[14:15]
	s_and_b64 s[22:23], s[4:5], s[10:11]
	s_and_saveexec_b64 s[14:15], s[22:23]
	s_cbranch_execz .LBB269_105
.LBB269_111:
	s_and_b64 vcc, exec, s[0:1]
	s_cbranch_vccnz .LBB269_113
; %bb.112:
	v_lshl_add_u64 v[38:39], v[42:43], 1, v[36:37]
	global_load_ushort v38, v[38:39], off
	s_waitcnt vmcnt(0)
	v_mul_f16_e32 v38, s30, v38
	v_cvt_f32_f16_e32 v38, v38
	s_branch .LBB269_114
.LBB269_113:
	v_mov_b32_e32 v38, 0
.LBB269_114:
	v_pk_add_f16 v39, v10, v34
	v_max_f16_e32 v48, v107, v107
	v_pk_add_f16 v50, v11, v35
	v_min_f16_e32 v48, v48, v39
	v_lshrrev_b32_e32 v49, 16, v107
	v_lshrrev_b32_e32 v39, 16, v39
	;; [unrolled: 1-line block ×3, first 2 shown]
	v_min3_f16 v39, v49, v39, v51
	v_min3_f16 v39, v48, v50, v39
	v_cvt_f32_f16_e32 v39, v39
	v_max_f32_e32 v38, v38, v38
	v_min_f32_e32 v38, v38, v39
	v_cvt_f16_f32_e32 v48, v38
	v_lshl_add_u64 v[38:39], v[42:43], 1, v[32:33]
	global_store_short v[38:39], v48, off
	s_or_b64 exec, exec, s[14:15]
	s_and_b64 s[22:23], s[6:7], s[10:11]
	s_and_saveexec_b64 s[14:15], s[22:23]
	s_cbranch_execz .LBB269_106
.LBB269_115:
	s_and_b64 vcc, exec, s[0:1]
	s_cbranch_vccnz .LBB269_117
; %bb.116:
	v_lshl_add_u64 v[38:39], v[44:45], 1, v[36:37]
	global_load_ushort v38, v[38:39], off
	s_waitcnt vmcnt(0)
	v_mul_f16_e32 v38, s30, v38
	v_cvt_f32_f16_e32 v38, v38
	s_branch .LBB269_118
.LBB269_117:
	v_mov_b32_e32 v38, 0
.LBB269_118:
	v_pk_add_f16 v39, v0, v34
	v_max_f16_e32 v48, v106, v106
	v_pk_add_f16 v50, v1, v35
	v_min_f16_e32 v48, v48, v39
	v_lshrrev_b32_e32 v49, 16, v106
	v_lshrrev_b32_e32 v39, 16, v39
	;; [unrolled: 1-line block ×3, first 2 shown]
	v_min3_f16 v39, v49, v39, v51
	v_min3_f16 v39, v48, v50, v39
	v_cvt_f32_f16_e32 v39, v39
	v_max_f32_e32 v38, v38, v38
	v_min_f32_e32 v38, v38, v39
	v_cvt_f16_f32_e32 v48, v38
	v_lshl_add_u64 v[38:39], v[44:45], 1, v[32:33]
	global_store_short v[38:39], v48, off
	s_or_b64 exec, exec, s[14:15]
	s_and_b64 s[14:15], s[8:9], s[10:11]
	s_and_saveexec_b64 s[10:11], s[14:15]
	s_cbranch_execz .LBB269_123
.LBB269_119:
	s_and_b64 vcc, exec, s[0:1]
	s_cbranch_vccnz .LBB269_121
; %bb.120:
	v_lshl_add_u64 v[36:37], v[46:47], 1, v[36:37]
	global_load_ushort v36, v[36:37], off
	s_waitcnt vmcnt(0)
	v_mul_f16_e32 v36, s30, v36
	v_cvt_f32_f16_e32 v36, v36
	s_branch .LBB269_122
.LBB269_121:
	v_mov_b32_e32 v36, 0
.LBB269_122:
	v_pk_add_f16 v34, v2, v34
	v_max_f16_e32 v37, v103, v103
	v_pk_add_f16 v35, v3, v35
	v_min_f16_e32 v37, v37, v34
	v_lshrrev_b32_e32 v38, 16, v103
	v_lshrrev_b32_e32 v34, 16, v34
	;; [unrolled: 1-line block ×3, first 2 shown]
	v_min3_f16 v34, v38, v34, v39
	v_min3_f16 v34, v37, v35, v34
	v_cvt_f32_f16_e32 v34, v34
	v_max_f32_e32 v35, v36, v36
	v_lshl_add_u64 v[32:33], v[46:47], 1, v[32:33]
	v_min_f32_e32 v34, v35, v34
	v_cvt_f16_f32_e32 v34, v34
	global_store_short v[32:33], v34, off
.LBB269_123:
	s_or_b64 exec, exec, s[10:11]
	v_add_u32_e32 v36, 32, v84
	v_mad_i64_i32 v[32:33], s[14:15], v36, s19, 0
	v_cmp_gt_i32_e64 s[10:11], s17, v36
	v_lshl_add_u64 v[34:35], v[32:33], 1, s[20:21]
	v_mad_i64_i32 v[32:33], s[14:15], v36, s18, 0
	v_lshl_add_u64 v[32:33], v[32:33], 1, s[12:13]
	s_and_b64 s[22:23], s[2:3], s[10:11]
	s_and_saveexec_b64 s[14:15], s[22:23]
	s_cbranch_execnz .LBB269_127
; %bb.124:
	s_or_b64 exec, exec, s[14:15]
	s_and_b64 s[22:23], s[4:5], s[10:11]
	s_and_saveexec_b64 s[14:15], s[22:23]
	s_cbranch_execnz .LBB269_131
.LBB269_125:
	s_or_b64 exec, exec, s[14:15]
	s_and_b64 s[22:23], s[6:7], s[10:11]
	s_and_saveexec_b64 s[14:15], s[22:23]
	s_cbranch_execnz .LBB269_135
.LBB269_126:
	s_or_b64 exec, exec, s[14:15]
	s_and_b64 s[14:15], s[8:9], s[10:11]
	s_and_saveexec_b64 s[10:11], s[14:15]
	s_cbranch_execnz .LBB269_139
	s_branch .LBB269_143
.LBB269_127:
	s_and_b64 vcc, exec, s[0:1]
	s_cbranch_vccnz .LBB269_129
; %bb.128:
	v_lshl_add_u64 v[36:37], v[40:41], 1, v[34:35]
	global_load_ushort v36, v[36:37], off
	s_waitcnt vmcnt(0)
	v_mul_f16_e32 v36, s30, v36
	v_cvt_f32_f16_e32 v36, v36
	s_branch .LBB269_130
.LBB269_129:
	v_mov_b32_e32 v36, 0
.LBB269_130:
	v_pk_add_f16 v37, v8, v28
	v_max_f16_e32 v38, v101, v101
	v_pk_add_f16 v48, v9, v29
	v_min_f16_e32 v38, v38, v37
	v_lshrrev_b32_e32 v39, 16, v101
	v_lshrrev_b32_e32 v37, 16, v37
	;; [unrolled: 1-line block ×3, first 2 shown]
	v_min3_f16 v37, v39, v37, v49
	v_min3_f16 v37, v38, v48, v37
	v_cvt_f32_f16_e32 v37, v37
	v_max_f32_e32 v36, v36, v36
	v_min_f32_e32 v36, v36, v37
	v_cvt_f16_f32_e32 v38, v36
	v_lshl_add_u64 v[36:37], v[40:41], 1, v[32:33]
	global_store_short v[36:37], v38, off
	s_or_b64 exec, exec, s[14:15]
	s_and_b64 s[22:23], s[4:5], s[10:11]
	s_and_saveexec_b64 s[14:15], s[22:23]
	s_cbranch_execz .LBB269_125
.LBB269_131:
	s_and_b64 vcc, exec, s[0:1]
	s_cbranch_vccnz .LBB269_133
; %bb.132:
	v_lshl_add_u64 v[36:37], v[42:43], 1, v[34:35]
	global_load_ushort v36, v[36:37], off
	s_waitcnt vmcnt(0)
	v_mul_f16_e32 v36, s30, v36
	v_cvt_f32_f16_e32 v36, v36
	s_branch .LBB269_134
.LBB269_133:
	v_mov_b32_e32 v36, 0
.LBB269_134:
	v_pk_add_f16 v37, v10, v28
	v_max_f16_e32 v38, v100, v100
	v_pk_add_f16 v48, v11, v29
	v_min_f16_e32 v38, v38, v37
	v_lshrrev_b32_e32 v39, 16, v100
	v_lshrrev_b32_e32 v37, 16, v37
	v_lshrrev_b32_e32 v49, 16, v48
	v_min3_f16 v37, v39, v37, v49
	v_min3_f16 v37, v38, v48, v37
	v_cvt_f32_f16_e32 v37, v37
	v_max_f32_e32 v36, v36, v36
	v_min_f32_e32 v36, v36, v37
	v_cvt_f16_f32_e32 v38, v36
	v_lshl_add_u64 v[36:37], v[42:43], 1, v[32:33]
	global_store_short v[36:37], v38, off
	s_or_b64 exec, exec, s[14:15]
	s_and_b64 s[22:23], s[6:7], s[10:11]
	s_and_saveexec_b64 s[14:15], s[22:23]
	s_cbranch_execz .LBB269_126
.LBB269_135:
	s_and_b64 vcc, exec, s[0:1]
	s_cbranch_vccnz .LBB269_137
; %bb.136:
	v_lshl_add_u64 v[36:37], v[44:45], 1, v[34:35]
	global_load_ushort v36, v[36:37], off
	s_waitcnt vmcnt(0)
	v_mul_f16_e32 v36, s30, v36
	v_cvt_f32_f16_e32 v36, v36
	s_branch .LBB269_138
.LBB269_137:
	v_mov_b32_e32 v36, 0
.LBB269_138:
	v_pk_add_f16 v37, v0, v28
	v_max_f16_e32 v38, v99, v99
	v_pk_add_f16 v48, v1, v29
	v_min_f16_e32 v38, v38, v37
	v_lshrrev_b32_e32 v39, 16, v99
	v_lshrrev_b32_e32 v37, 16, v37
	;; [unrolled: 1-line block ×3, first 2 shown]
	v_min3_f16 v37, v39, v37, v49
	v_min3_f16 v37, v38, v48, v37
	v_cvt_f32_f16_e32 v37, v37
	v_max_f32_e32 v36, v36, v36
	v_min_f32_e32 v36, v36, v37
	v_cvt_f16_f32_e32 v38, v36
	v_lshl_add_u64 v[36:37], v[44:45], 1, v[32:33]
	global_store_short v[36:37], v38, off
	s_or_b64 exec, exec, s[14:15]
	s_and_b64 s[14:15], s[8:9], s[10:11]
	s_and_saveexec_b64 s[10:11], s[14:15]
	s_cbranch_execz .LBB269_143
.LBB269_139:
	s_and_b64 vcc, exec, s[0:1]
	s_cbranch_vccnz .LBB269_141
; %bb.140:
	v_lshl_add_u64 v[34:35], v[46:47], 1, v[34:35]
	global_load_ushort v34, v[34:35], off
	s_waitcnt vmcnt(0)
	v_mul_f16_e32 v34, s30, v34
	v_cvt_f32_f16_e32 v34, v34
	s_branch .LBB269_142
.LBB269_141:
	v_mov_b32_e32 v34, 0
.LBB269_142:
	v_pk_add_f16 v28, v2, v28
	v_max_f16_e32 v35, v98, v98
	v_pk_add_f16 v29, v3, v29
	v_min_f16_e32 v35, v35, v28
	v_lshrrev_b32_e32 v36, 16, v98
	v_lshrrev_b32_e32 v28, 16, v28
	v_lshrrev_b32_e32 v37, 16, v29
	v_min3_f16 v28, v36, v28, v37
	v_min3_f16 v28, v35, v29, v28
	v_cvt_f32_f16_e32 v28, v28
	v_max_f32_e32 v29, v34, v34
	v_min_f32_e32 v28, v29, v28
	v_cvt_f16_f32_e32 v34, v28
	v_lshl_add_u64 v[28:29], v[46:47], 1, v[32:33]
	global_store_short v[28:29], v34, off
.LBB269_143:
	s_or_b64 exec, exec, s[10:11]
	v_add_u32_e32 v34, 40, v84
	v_mad_i64_i32 v[28:29], s[14:15], v34, s19, 0
	v_cmp_gt_i32_e64 s[10:11], s17, v34
	v_lshl_add_u64 v[32:33], v[28:29], 1, s[20:21]
	v_mad_i64_i32 v[28:29], s[14:15], v34, s18, 0
	v_lshl_add_u64 v[28:29], v[28:29], 1, s[12:13]
	s_and_b64 s[22:23], s[2:3], s[10:11]
	s_and_saveexec_b64 s[14:15], s[22:23]
	s_cbranch_execnz .LBB269_147
; %bb.144:
	s_or_b64 exec, exec, s[14:15]
	s_and_b64 s[22:23], s[4:5], s[10:11]
	s_and_saveexec_b64 s[14:15], s[22:23]
	s_cbranch_execnz .LBB269_151
.LBB269_145:
	s_or_b64 exec, exec, s[14:15]
	s_and_b64 s[22:23], s[6:7], s[10:11]
	s_and_saveexec_b64 s[14:15], s[22:23]
	s_cbranch_execnz .LBB269_155
.LBB269_146:
	s_or_b64 exec, exec, s[14:15]
	s_and_b64 s[14:15], s[8:9], s[10:11]
	s_and_saveexec_b64 s[10:11], s[14:15]
	s_cbranch_execnz .LBB269_159
	s_branch .LBB269_163
.LBB269_147:
	s_and_b64 vcc, exec, s[0:1]
	s_cbranch_vccnz .LBB269_149
; %bb.148:
	v_lshl_add_u64 v[34:35], v[40:41], 1, v[32:33]
	global_load_ushort v34, v[34:35], off
	s_waitcnt vmcnt(0)
	v_mul_f16_e32 v34, s30, v34
	v_cvt_f32_f16_e32 v34, v34
	s_branch .LBB269_150
.LBB269_149:
	v_mov_b32_e32 v34, 0
.LBB269_150:
	v_pk_add_f16 v35, v8, v30
	v_max_f16_e32 v36, v97, v97
	v_pk_add_f16 v38, v9, v31
	v_min_f16_e32 v36, v36, v35
	v_lshrrev_b32_e32 v37, 16, v97
	v_lshrrev_b32_e32 v35, 16, v35
	;; [unrolled: 1-line block ×3, first 2 shown]
	v_min3_f16 v35, v37, v35, v39
	v_min3_f16 v35, v36, v38, v35
	v_cvt_f32_f16_e32 v35, v35
	v_max_f32_e32 v34, v34, v34
	v_min_f32_e32 v34, v34, v35
	v_cvt_f16_f32_e32 v36, v34
	v_lshl_add_u64 v[34:35], v[40:41], 1, v[28:29]
	global_store_short v[34:35], v36, off
	s_or_b64 exec, exec, s[14:15]
	s_and_b64 s[22:23], s[4:5], s[10:11]
	s_and_saveexec_b64 s[14:15], s[22:23]
	s_cbranch_execz .LBB269_145
.LBB269_151:
	s_and_b64 vcc, exec, s[0:1]
	s_cbranch_vccnz .LBB269_153
; %bb.152:
	v_lshl_add_u64 v[34:35], v[42:43], 1, v[32:33]
	global_load_ushort v34, v[34:35], off
	s_waitcnt vmcnt(0)
	v_mul_f16_e32 v34, s30, v34
	v_cvt_f32_f16_e32 v34, v34
	s_branch .LBB269_154
.LBB269_153:
	v_mov_b32_e32 v34, 0
.LBB269_154:
	v_pk_add_f16 v35, v10, v30
	v_max_f16_e32 v36, v96, v96
	v_pk_add_f16 v38, v11, v31
	v_min_f16_e32 v36, v36, v35
	v_lshrrev_b32_e32 v37, 16, v96
	v_lshrrev_b32_e32 v35, 16, v35
	;; [unrolled: 1-line block ×3, first 2 shown]
	v_min3_f16 v35, v37, v35, v39
	v_min3_f16 v35, v36, v38, v35
	v_cvt_f32_f16_e32 v35, v35
	v_max_f32_e32 v34, v34, v34
	v_min_f32_e32 v34, v34, v35
	v_cvt_f16_f32_e32 v36, v34
	v_lshl_add_u64 v[34:35], v[42:43], 1, v[28:29]
	global_store_short v[34:35], v36, off
	s_or_b64 exec, exec, s[14:15]
	s_and_b64 s[22:23], s[6:7], s[10:11]
	s_and_saveexec_b64 s[14:15], s[22:23]
	s_cbranch_execz .LBB269_146
.LBB269_155:
	s_and_b64 vcc, exec, s[0:1]
	s_cbranch_vccnz .LBB269_157
; %bb.156:
	v_lshl_add_u64 v[34:35], v[44:45], 1, v[32:33]
	global_load_ushort v34, v[34:35], off
	s_waitcnt vmcnt(0)
	v_mul_f16_e32 v34, s30, v34
	v_cvt_f32_f16_e32 v34, v34
	s_branch .LBB269_158
.LBB269_157:
	v_mov_b32_e32 v34, 0
.LBB269_158:
	v_pk_add_f16 v35, v0, v30
	v_max_f16_e32 v36, v94, v94
	v_pk_add_f16 v38, v1, v31
	v_min_f16_e32 v36, v36, v35
	v_lshrrev_b32_e32 v37, 16, v94
	v_lshrrev_b32_e32 v35, 16, v35
	;; [unrolled: 1-line block ×3, first 2 shown]
	v_min3_f16 v35, v37, v35, v39
	v_min3_f16 v35, v36, v38, v35
	v_cvt_f32_f16_e32 v35, v35
	v_max_f32_e32 v34, v34, v34
	v_min_f32_e32 v34, v34, v35
	v_cvt_f16_f32_e32 v36, v34
	v_lshl_add_u64 v[34:35], v[44:45], 1, v[28:29]
	global_store_short v[34:35], v36, off
	s_or_b64 exec, exec, s[14:15]
	s_and_b64 s[14:15], s[8:9], s[10:11]
	s_and_saveexec_b64 s[10:11], s[14:15]
	s_cbranch_execz .LBB269_163
.LBB269_159:
	s_and_b64 vcc, exec, s[0:1]
	s_cbranch_vccnz .LBB269_161
; %bb.160:
	v_lshl_add_u64 v[32:33], v[46:47], 1, v[32:33]
	global_load_ushort v32, v[32:33], off
	s_waitcnt vmcnt(0)
	v_mul_f16_e32 v32, s30, v32
	v_cvt_f32_f16_e32 v32, v32
	s_branch .LBB269_162
.LBB269_161:
	v_mov_b32_e32 v32, 0
.LBB269_162:
	v_pk_add_f16 v30, v2, v30
	v_max_f16_e32 v33, v93, v93
	v_pk_add_f16 v31, v3, v31
	v_min_f16_e32 v33, v33, v30
	v_lshrrev_b32_e32 v34, 16, v93
	v_lshrrev_b32_e32 v30, 16, v30
	;; [unrolled: 1-line block ×3, first 2 shown]
	v_min3_f16 v30, v34, v30, v35
	v_min3_f16 v30, v33, v31, v30
	v_cvt_f32_f16_e32 v30, v30
	v_max_f32_e32 v31, v32, v32
	v_lshl_add_u64 v[28:29], v[46:47], 1, v[28:29]
	v_min_f32_e32 v30, v31, v30
	v_cvt_f16_f32_e32 v30, v30
	global_store_short v[28:29], v30, off
.LBB269_163:
	s_or_b64 exec, exec, s[10:11]
	v_add_u32_e32 v32, 48, v84
	v_mad_i64_i32 v[28:29], s[14:15], v32, s19, 0
	v_cmp_gt_i32_e64 s[10:11], s17, v32
	v_lshl_add_u64 v[30:31], v[28:29], 1, s[20:21]
	v_mad_i64_i32 v[28:29], s[14:15], v32, s18, 0
	v_lshl_add_u64 v[28:29], v[28:29], 1, s[12:13]
	s_and_b64 s[22:23], s[2:3], s[10:11]
	s_and_saveexec_b64 s[14:15], s[22:23]
	s_cbranch_execnz .LBB269_167
; %bb.164:
	s_or_b64 exec, exec, s[14:15]
	s_and_b64 s[22:23], s[4:5], s[10:11]
	s_and_saveexec_b64 s[14:15], s[22:23]
	s_cbranch_execnz .LBB269_171
.LBB269_165:
	s_or_b64 exec, exec, s[14:15]
	s_and_b64 s[22:23], s[6:7], s[10:11]
	s_and_saveexec_b64 s[14:15], s[22:23]
	s_cbranch_execnz .LBB269_175
.LBB269_166:
	s_or_b64 exec, exec, s[14:15]
	s_and_b64 s[14:15], s[8:9], s[10:11]
	s_and_saveexec_b64 s[10:11], s[14:15]
	s_cbranch_execnz .LBB269_179
	s_branch .LBB269_183
.LBB269_167:
	s_and_b64 vcc, exec, s[0:1]
	s_cbranch_vccnz .LBB269_169
; %bb.168:
	v_lshl_add_u64 v[32:33], v[40:41], 1, v[30:31]
	global_load_ushort v32, v[32:33], off
	s_waitcnt vmcnt(0)
	v_mul_f16_e32 v32, s30, v32
	v_cvt_f32_f16_e32 v32, v32
	s_branch .LBB269_170
.LBB269_169:
	v_mov_b32_e32 v32, 0
.LBB269_170:
	v_pk_add_f16 v33, v8, v24
	v_max_f16_e32 v34, v92, v92
	v_pk_add_f16 v36, v9, v25
	v_min_f16_e32 v34, v34, v33
	v_lshrrev_b32_e32 v35, 16, v92
	v_lshrrev_b32_e32 v33, 16, v33
	;; [unrolled: 1-line block ×3, first 2 shown]
	v_min3_f16 v33, v35, v33, v37
	v_min3_f16 v33, v34, v36, v33
	v_cvt_f32_f16_e32 v33, v33
	v_max_f32_e32 v32, v32, v32
	v_min_f32_e32 v32, v32, v33
	v_cvt_f16_f32_e32 v34, v32
	v_lshl_add_u64 v[32:33], v[40:41], 1, v[28:29]
	global_store_short v[32:33], v34, off
	s_or_b64 exec, exec, s[14:15]
	s_and_b64 s[22:23], s[4:5], s[10:11]
	s_and_saveexec_b64 s[14:15], s[22:23]
	s_cbranch_execz .LBB269_165
.LBB269_171:
	s_and_b64 vcc, exec, s[0:1]
	s_cbranch_vccnz .LBB269_173
; %bb.172:
	v_lshl_add_u64 v[32:33], v[42:43], 1, v[30:31]
	global_load_ushort v32, v[32:33], off
	s_waitcnt vmcnt(0)
	v_mul_f16_e32 v32, s30, v32
	v_cvt_f32_f16_e32 v32, v32
	s_branch .LBB269_174
.LBB269_173:
	v_mov_b32_e32 v32, 0
.LBB269_174:
	v_pk_add_f16 v33, v10, v24
	v_max_f16_e32 v34, v91, v91
	v_pk_add_f16 v36, v11, v25
	v_min_f16_e32 v34, v34, v33
	v_lshrrev_b32_e32 v35, 16, v91
	v_lshrrev_b32_e32 v33, 16, v33
	;; [unrolled: 1-line block ×3, first 2 shown]
	v_min3_f16 v33, v35, v33, v37
	v_min3_f16 v33, v34, v36, v33
	v_cvt_f32_f16_e32 v33, v33
	v_max_f32_e32 v32, v32, v32
	v_min_f32_e32 v32, v32, v33
	v_cvt_f16_f32_e32 v34, v32
	v_lshl_add_u64 v[32:33], v[42:43], 1, v[28:29]
	global_store_short v[32:33], v34, off
	s_or_b64 exec, exec, s[14:15]
	s_and_b64 s[22:23], s[6:7], s[10:11]
	s_and_saveexec_b64 s[14:15], s[22:23]
	s_cbranch_execz .LBB269_166
.LBB269_175:
	s_and_b64 vcc, exec, s[0:1]
	s_cbranch_vccnz .LBB269_177
; %bb.176:
	v_lshl_add_u64 v[32:33], v[44:45], 1, v[30:31]
	global_load_ushort v32, v[32:33], off
	s_waitcnt vmcnt(0)
	v_mul_f16_e32 v32, s30, v32
	v_cvt_f32_f16_e32 v32, v32
	s_branch .LBB269_178
.LBB269_177:
	v_mov_b32_e32 v32, 0
.LBB269_178:
	v_pk_add_f16 v33, v0, v24
	v_max_f16_e32 v34, v90, v90
	v_pk_add_f16 v36, v1, v25
	v_min_f16_e32 v34, v34, v33
	v_lshrrev_b32_e32 v35, 16, v90
	v_lshrrev_b32_e32 v33, 16, v33
	;; [unrolled: 1-line block ×3, first 2 shown]
	v_min3_f16 v33, v35, v33, v37
	v_min3_f16 v33, v34, v36, v33
	v_cvt_f32_f16_e32 v33, v33
	v_max_f32_e32 v32, v32, v32
	v_min_f32_e32 v32, v32, v33
	v_cvt_f16_f32_e32 v34, v32
	v_lshl_add_u64 v[32:33], v[44:45], 1, v[28:29]
	global_store_short v[32:33], v34, off
	s_or_b64 exec, exec, s[14:15]
	s_and_b64 s[14:15], s[8:9], s[10:11]
	s_and_saveexec_b64 s[10:11], s[14:15]
	s_cbranch_execz .LBB269_183
.LBB269_179:
	s_and_b64 vcc, exec, s[0:1]
	s_cbranch_vccnz .LBB269_181
; %bb.180:
	v_lshl_add_u64 v[30:31], v[46:47], 1, v[30:31]
	global_load_ushort v30, v[30:31], off
	s_waitcnt vmcnt(0)
	v_mul_f16_e32 v30, s30, v30
	v_cvt_f32_f16_e32 v30, v30
	s_branch .LBB269_182
.LBB269_181:
	v_mov_b32_e32 v30, 0
.LBB269_182:
	v_pk_add_f16 v24, v2, v24
	v_max_f16_e32 v31, v89, v89
	v_pk_add_f16 v25, v3, v25
	v_min_f16_e32 v31, v31, v24
	v_lshrrev_b32_e32 v32, 16, v89
	v_lshrrev_b32_e32 v24, 16, v24
	;; [unrolled: 1-line block ×3, first 2 shown]
	v_min3_f16 v24, v32, v24, v33
	v_min3_f16 v24, v31, v25, v24
	v_cvt_f32_f16_e32 v24, v24
	v_max_f32_e32 v25, v30, v30
	v_min_f32_e32 v24, v25, v24
	v_cvt_f16_f32_e32 v30, v24
	v_lshl_add_u64 v[24:25], v[46:47], 1, v[28:29]
	global_store_short v[24:25], v30, off
.LBB269_183:
	s_or_b64 exec, exec, s[10:11]
	v_add_u32_e32 v30, 56, v84
	v_mad_i64_i32 v[24:25], s[14:15], v30, s19, 0
	v_cmp_gt_i32_e64 s[10:11], s17, v30
	v_lshl_add_u64 v[28:29], v[24:25], 1, s[20:21]
	v_mad_i64_i32 v[24:25], s[14:15], v30, s18, 0
	v_lshl_add_u64 v[24:25], v[24:25], 1, s[12:13]
	s_and_b64 s[22:23], s[2:3], s[10:11]
	s_and_saveexec_b64 s[14:15], s[22:23]
	s_cbranch_execnz .LBB269_187
; %bb.184:
	s_or_b64 exec, exec, s[14:15]
	s_and_b64 s[22:23], s[4:5], s[10:11]
	s_and_saveexec_b64 s[14:15], s[22:23]
	s_cbranch_execnz .LBB269_191
.LBB269_185:
	s_or_b64 exec, exec, s[14:15]
	s_and_b64 s[22:23], s[6:7], s[10:11]
	s_and_saveexec_b64 s[14:15], s[22:23]
	s_cbranch_execnz .LBB269_195
.LBB269_186:
	s_or_b64 exec, exec, s[14:15]
	s_and_b64 s[14:15], s[8:9], s[10:11]
	s_and_saveexec_b64 s[10:11], s[14:15]
	s_cbranch_execnz .LBB269_199
	s_branch .LBB269_203
.LBB269_187:
	s_and_b64 vcc, exec, s[0:1]
	s_cbranch_vccnz .LBB269_189
; %bb.188:
	v_lshl_add_u64 v[30:31], v[40:41], 1, v[28:29]
	global_load_ushort v30, v[30:31], off
	s_waitcnt vmcnt(0)
	v_mul_f16_e32 v30, s30, v30
	v_cvt_f32_f16_e32 v30, v30
	s_branch .LBB269_190
.LBB269_189:
	v_mov_b32_e32 v30, 0
.LBB269_190:
	v_pk_add_f16 v31, v8, v26
	v_max_f16_e32 v32, v88, v88
	v_pk_add_f16 v34, v9, v27
	v_min_f16_e32 v32, v32, v31
	v_lshrrev_b32_e32 v33, 16, v88
	v_lshrrev_b32_e32 v31, 16, v31
	;; [unrolled: 1-line block ×3, first 2 shown]
	v_min3_f16 v31, v33, v31, v35
	v_min3_f16 v31, v32, v34, v31
	v_cvt_f32_f16_e32 v31, v31
	v_max_f32_e32 v30, v30, v30
	v_min_f32_e32 v30, v30, v31
	v_cvt_f16_f32_e32 v32, v30
	v_lshl_add_u64 v[30:31], v[40:41], 1, v[24:25]
	global_store_short v[30:31], v32, off
	s_or_b64 exec, exec, s[14:15]
	s_and_b64 s[22:23], s[4:5], s[10:11]
	s_and_saveexec_b64 s[14:15], s[22:23]
	s_cbranch_execz .LBB269_185
.LBB269_191:
	s_and_b64 vcc, exec, s[0:1]
	s_cbranch_vccnz .LBB269_193
; %bb.192:
	v_lshl_add_u64 v[30:31], v[42:43], 1, v[28:29]
	global_load_ushort v30, v[30:31], off
	s_waitcnt vmcnt(0)
	v_mul_f16_e32 v30, s30, v30
	v_cvt_f32_f16_e32 v30, v30
	s_branch .LBB269_194
.LBB269_193:
	v_mov_b32_e32 v30, 0
.LBB269_194:
	v_pk_add_f16 v31, v10, v26
	v_max_f16_e32 v32, v87, v87
	v_pk_add_f16 v34, v11, v27
	v_min_f16_e32 v32, v32, v31
	v_lshrrev_b32_e32 v33, 16, v87
	v_lshrrev_b32_e32 v31, 16, v31
	;; [unrolled: 1-line block ×3, first 2 shown]
	v_min3_f16 v31, v33, v31, v35
	v_min3_f16 v31, v32, v34, v31
	v_cvt_f32_f16_e32 v31, v31
	v_max_f32_e32 v30, v30, v30
	v_min_f32_e32 v30, v30, v31
	v_cvt_f16_f32_e32 v32, v30
	v_lshl_add_u64 v[30:31], v[42:43], 1, v[24:25]
	global_store_short v[30:31], v32, off
	s_or_b64 exec, exec, s[14:15]
	s_and_b64 s[22:23], s[6:7], s[10:11]
	s_and_saveexec_b64 s[14:15], s[22:23]
	s_cbranch_execz .LBB269_186
.LBB269_195:
	s_and_b64 vcc, exec, s[0:1]
	s_cbranch_vccnz .LBB269_197
; %bb.196:
	v_lshl_add_u64 v[30:31], v[44:45], 1, v[28:29]
	global_load_ushort v30, v[30:31], off
	s_waitcnt vmcnt(0)
	v_mul_f16_e32 v30, s30, v30
	v_cvt_f32_f16_e32 v30, v30
	s_branch .LBB269_198
.LBB269_197:
	v_mov_b32_e32 v30, 0
.LBB269_198:
	v_pk_add_f16 v31, v0, v26
	v_max_f16_e32 v32, v86, v86
	v_pk_add_f16 v34, v1, v27
	v_min_f16_e32 v32, v32, v31
	v_lshrrev_b32_e32 v33, 16, v86
	v_lshrrev_b32_e32 v31, 16, v31
	;; [unrolled: 1-line block ×3, first 2 shown]
	v_min3_f16 v31, v33, v31, v35
	v_min3_f16 v31, v32, v34, v31
	v_cvt_f32_f16_e32 v31, v31
	v_max_f32_e32 v30, v30, v30
	v_min_f32_e32 v30, v30, v31
	v_cvt_f16_f32_e32 v32, v30
	v_lshl_add_u64 v[30:31], v[44:45], 1, v[24:25]
	global_store_short v[30:31], v32, off
	s_or_b64 exec, exec, s[14:15]
	s_and_b64 s[14:15], s[8:9], s[10:11]
	s_and_saveexec_b64 s[10:11], s[14:15]
	s_cbranch_execz .LBB269_203
.LBB269_199:
	s_and_b64 vcc, exec, s[0:1]
	s_cbranch_vccnz .LBB269_201
; %bb.200:
	v_lshl_add_u64 v[28:29], v[46:47], 1, v[28:29]
	global_load_ushort v28, v[28:29], off
	s_waitcnt vmcnt(0)
	v_mul_f16_e32 v28, s30, v28
	v_cvt_f32_f16_e32 v28, v28
	s_branch .LBB269_202
.LBB269_201:
	v_mov_b32_e32 v28, 0
.LBB269_202:
	v_pk_add_f16 v26, v2, v26
	v_max_f16_e32 v29, v85, v85
	v_pk_add_f16 v27, v3, v27
	v_min_f16_e32 v29, v29, v26
	v_lshrrev_b32_e32 v30, 16, v85
	v_lshrrev_b32_e32 v26, 16, v26
	;; [unrolled: 1-line block ×3, first 2 shown]
	v_min3_f16 v26, v30, v26, v31
	v_min3_f16 v26, v29, v27, v26
	v_cvt_f32_f16_e32 v26, v26
	v_max_f32_e32 v27, v28, v28
	v_lshl_add_u64 v[24:25], v[46:47], 1, v[24:25]
	v_min_f32_e32 v26, v27, v26
	v_cvt_f16_f32_e32 v26, v26
	global_store_short v[24:25], v26, off
.LBB269_203:
	s_or_b64 exec, exec, s[10:11]
	v_add_u32_e32 v28, 64, v84
	v_mad_i64_i32 v[24:25], s[14:15], v28, s19, 0
	v_cmp_gt_i32_e64 s[10:11], s17, v28
	v_lshl_add_u64 v[26:27], v[24:25], 1, s[20:21]
	v_mad_i64_i32 v[24:25], s[14:15], v28, s18, 0
	v_lshl_add_u64 v[24:25], v[24:25], 1, s[12:13]
	s_and_b64 s[22:23], s[2:3], s[10:11]
	s_and_saveexec_b64 s[14:15], s[22:23]
	s_cbranch_execnz .LBB269_207
; %bb.204:
	s_or_b64 exec, exec, s[14:15]
	s_and_b64 s[22:23], s[4:5], s[10:11]
	s_and_saveexec_b64 s[14:15], s[22:23]
	s_cbranch_execnz .LBB269_211
.LBB269_205:
	s_or_b64 exec, exec, s[14:15]
	s_and_b64 s[22:23], s[6:7], s[10:11]
	s_and_saveexec_b64 s[14:15], s[22:23]
	s_cbranch_execnz .LBB269_215
.LBB269_206:
	s_or_b64 exec, exec, s[14:15]
	s_and_b64 s[14:15], s[8:9], s[10:11]
	s_and_saveexec_b64 s[10:11], s[14:15]
	s_cbranch_execnz .LBB269_219
	s_branch .LBB269_223
.LBB269_207:
	s_and_b64 vcc, exec, s[0:1]
	s_cbranch_vccnz .LBB269_209
; %bb.208:
	v_lshl_add_u64 v[28:29], v[40:41], 1, v[26:27]
	global_load_ushort v28, v[28:29], off
	s_waitcnt vmcnt(0)
	v_mul_f16_e32 v28, s30, v28
	v_cvt_f32_f16_e32 v28, v28
	s_branch .LBB269_210
.LBB269_209:
	v_mov_b32_e32 v28, 0
.LBB269_210:
	v_pk_add_f16 v29, v8, v20
	v_max_f16_e32 v30, v83, v83
	v_pk_add_f16 v32, v9, v21
	v_min_f16_e32 v30, v30, v29
	v_lshrrev_b32_e32 v31, 16, v83
	v_lshrrev_b32_e32 v29, 16, v29
	;; [unrolled: 1-line block ×3, first 2 shown]
	v_min3_f16 v29, v31, v29, v33
	v_min3_f16 v29, v30, v32, v29
	v_cvt_f32_f16_e32 v29, v29
	v_max_f32_e32 v28, v28, v28
	v_min_f32_e32 v28, v28, v29
	v_cvt_f16_f32_e32 v30, v28
	v_lshl_add_u64 v[28:29], v[40:41], 1, v[24:25]
	global_store_short v[28:29], v30, off
	s_or_b64 exec, exec, s[14:15]
	s_and_b64 s[22:23], s[4:5], s[10:11]
	s_and_saveexec_b64 s[14:15], s[22:23]
	s_cbranch_execz .LBB269_205
.LBB269_211:
	s_and_b64 vcc, exec, s[0:1]
	s_cbranch_vccnz .LBB269_213
; %bb.212:
	v_lshl_add_u64 v[28:29], v[42:43], 1, v[26:27]
	global_load_ushort v28, v[28:29], off
	s_waitcnt vmcnt(0)
	v_mul_f16_e32 v28, s30, v28
	v_cvt_f32_f16_e32 v28, v28
	s_branch .LBB269_214
.LBB269_213:
	v_mov_b32_e32 v28, 0
.LBB269_214:
	v_pk_add_f16 v29, v10, v20
	v_max_f16_e32 v30, v82, v82
	v_pk_add_f16 v32, v11, v21
	v_min_f16_e32 v30, v30, v29
	v_lshrrev_b32_e32 v31, 16, v82
	v_lshrrev_b32_e32 v29, 16, v29
	;; [unrolled: 1-line block ×3, first 2 shown]
	v_min3_f16 v29, v31, v29, v33
	v_min3_f16 v29, v30, v32, v29
	v_cvt_f32_f16_e32 v29, v29
	v_max_f32_e32 v28, v28, v28
	v_min_f32_e32 v28, v28, v29
	v_cvt_f16_f32_e32 v30, v28
	v_lshl_add_u64 v[28:29], v[42:43], 1, v[24:25]
	global_store_short v[28:29], v30, off
	s_or_b64 exec, exec, s[14:15]
	s_and_b64 s[22:23], s[6:7], s[10:11]
	s_and_saveexec_b64 s[14:15], s[22:23]
	s_cbranch_execz .LBB269_206
.LBB269_215:
	s_and_b64 vcc, exec, s[0:1]
	s_cbranch_vccnz .LBB269_217
; %bb.216:
	v_lshl_add_u64 v[28:29], v[44:45], 1, v[26:27]
	global_load_ushort v28, v[28:29], off
	s_waitcnt vmcnt(0)
	v_mul_f16_e32 v28, s30, v28
	v_cvt_f32_f16_e32 v28, v28
	s_branch .LBB269_218
.LBB269_217:
	v_mov_b32_e32 v28, 0
.LBB269_218:
	v_pk_add_f16 v29, v0, v20
	v_max_f16_e32 v30, v81, v81
	v_pk_add_f16 v32, v1, v21
	v_min_f16_e32 v30, v30, v29
	v_lshrrev_b32_e32 v31, 16, v81
	v_lshrrev_b32_e32 v29, 16, v29
	;; [unrolled: 1-line block ×3, first 2 shown]
	v_min3_f16 v29, v31, v29, v33
	v_min3_f16 v29, v30, v32, v29
	v_cvt_f32_f16_e32 v29, v29
	v_max_f32_e32 v28, v28, v28
	v_min_f32_e32 v28, v28, v29
	v_cvt_f16_f32_e32 v30, v28
	v_lshl_add_u64 v[28:29], v[44:45], 1, v[24:25]
	global_store_short v[28:29], v30, off
	s_or_b64 exec, exec, s[14:15]
	s_and_b64 s[14:15], s[8:9], s[10:11]
	s_and_saveexec_b64 s[10:11], s[14:15]
	s_cbranch_execz .LBB269_223
.LBB269_219:
	s_and_b64 vcc, exec, s[0:1]
	s_cbranch_vccnz .LBB269_221
; %bb.220:
	v_lshl_add_u64 v[26:27], v[46:47], 1, v[26:27]
	global_load_ushort v26, v[26:27], off
	s_waitcnt vmcnt(0)
	v_mul_f16_e32 v26, s30, v26
	v_cvt_f32_f16_e32 v26, v26
	s_branch .LBB269_222
.LBB269_221:
	v_mov_b32_e32 v26, 0
.LBB269_222:
	v_pk_add_f16 v20, v2, v20
	v_max_f16_e32 v27, v80, v80
	v_pk_add_f16 v21, v3, v21
	v_min_f16_e32 v27, v27, v20
	v_lshrrev_b32_e32 v28, 16, v80
	v_lshrrev_b32_e32 v20, 16, v20
	;; [unrolled: 1-line block ×3, first 2 shown]
	v_min3_f16 v20, v28, v20, v29
	v_min3_f16 v20, v27, v21, v20
	v_cvt_f32_f16_e32 v20, v20
	v_max_f32_e32 v21, v26, v26
	v_min_f32_e32 v20, v21, v20
	v_cvt_f16_f32_e32 v26, v20
	v_lshl_add_u64 v[20:21], v[46:47], 1, v[24:25]
	global_store_short v[20:21], v26, off
.LBB269_223:
	s_or_b64 exec, exec, s[10:11]
	v_add_u32_e32 v26, 0x48, v84
	v_mad_i64_i32 v[20:21], s[14:15], v26, s19, 0
	v_cmp_gt_i32_e64 s[10:11], s17, v26
	v_lshl_add_u64 v[24:25], v[20:21], 1, s[20:21]
	v_mad_i64_i32 v[20:21], s[14:15], v26, s18, 0
	v_lshl_add_u64 v[20:21], v[20:21], 1, s[12:13]
	s_and_b64 s[22:23], s[2:3], s[10:11]
	s_and_saveexec_b64 s[14:15], s[22:23]
	s_cbranch_execnz .LBB269_227
; %bb.224:
	s_or_b64 exec, exec, s[14:15]
	s_and_b64 s[22:23], s[4:5], s[10:11]
	s_and_saveexec_b64 s[14:15], s[22:23]
	s_cbranch_execnz .LBB269_231
.LBB269_225:
	s_or_b64 exec, exec, s[14:15]
	s_and_b64 s[22:23], s[6:7], s[10:11]
	s_and_saveexec_b64 s[14:15], s[22:23]
	s_cbranch_execnz .LBB269_235
.LBB269_226:
	s_or_b64 exec, exec, s[14:15]
	s_and_b64 s[14:15], s[8:9], s[10:11]
	s_and_saveexec_b64 s[10:11], s[14:15]
	s_cbranch_execnz .LBB269_239
	s_branch .LBB269_243
.LBB269_227:
	s_and_b64 vcc, exec, s[0:1]
	s_cbranch_vccnz .LBB269_229
; %bb.228:
	v_lshl_add_u64 v[26:27], v[40:41], 1, v[24:25]
	global_load_ushort v26, v[26:27], off
	s_waitcnt vmcnt(0)
	v_mul_f16_e32 v26, s30, v26
	v_cvt_f32_f16_e32 v26, v26
	s_branch .LBB269_230
.LBB269_229:
	v_mov_b32_e32 v26, 0
.LBB269_230:
	v_pk_add_f16 v27, v8, v22
	v_max_f16_e32 v28, v79, v79
	v_pk_add_f16 v30, v9, v23
	v_min_f16_e32 v28, v28, v27
	v_lshrrev_b32_e32 v29, 16, v79
	v_lshrrev_b32_e32 v27, 16, v27
	;; [unrolled: 1-line block ×3, first 2 shown]
	v_min3_f16 v27, v29, v27, v31
	v_min3_f16 v27, v28, v30, v27
	v_cvt_f32_f16_e32 v27, v27
	v_max_f32_e32 v26, v26, v26
	v_min_f32_e32 v26, v26, v27
	v_cvt_f16_f32_e32 v28, v26
	v_lshl_add_u64 v[26:27], v[40:41], 1, v[20:21]
	global_store_short v[26:27], v28, off
	s_or_b64 exec, exec, s[14:15]
	s_and_b64 s[22:23], s[4:5], s[10:11]
	s_and_saveexec_b64 s[14:15], s[22:23]
	s_cbranch_execz .LBB269_225
.LBB269_231:
	s_and_b64 vcc, exec, s[0:1]
	s_cbranch_vccnz .LBB269_233
; %bb.232:
	v_lshl_add_u64 v[26:27], v[42:43], 1, v[24:25]
	global_load_ushort v26, v[26:27], off
	s_waitcnt vmcnt(0)
	v_mul_f16_e32 v26, s30, v26
	v_cvt_f32_f16_e32 v26, v26
	s_branch .LBB269_234
.LBB269_233:
	v_mov_b32_e32 v26, 0
.LBB269_234:
	v_pk_add_f16 v27, v10, v22
	v_max_f16_e32 v28, v78, v78
	v_pk_add_f16 v30, v11, v23
	v_min_f16_e32 v28, v28, v27
	v_lshrrev_b32_e32 v29, 16, v78
	v_lshrrev_b32_e32 v27, 16, v27
	;; [unrolled: 1-line block ×3, first 2 shown]
	v_min3_f16 v27, v29, v27, v31
	v_min3_f16 v27, v28, v30, v27
	v_cvt_f32_f16_e32 v27, v27
	v_max_f32_e32 v26, v26, v26
	v_min_f32_e32 v26, v26, v27
	v_cvt_f16_f32_e32 v28, v26
	v_lshl_add_u64 v[26:27], v[42:43], 1, v[20:21]
	global_store_short v[26:27], v28, off
	s_or_b64 exec, exec, s[14:15]
	s_and_b64 s[22:23], s[6:7], s[10:11]
	s_and_saveexec_b64 s[14:15], s[22:23]
	s_cbranch_execz .LBB269_226
.LBB269_235:
	s_and_b64 vcc, exec, s[0:1]
	s_cbranch_vccnz .LBB269_237
; %bb.236:
	v_lshl_add_u64 v[26:27], v[44:45], 1, v[24:25]
	global_load_ushort v26, v[26:27], off
	s_waitcnt vmcnt(0)
	v_mul_f16_e32 v26, s30, v26
	v_cvt_f32_f16_e32 v26, v26
	s_branch .LBB269_238
.LBB269_237:
	v_mov_b32_e32 v26, 0
.LBB269_238:
	v_pk_add_f16 v27, v0, v22
	v_max_f16_e32 v28, v77, v77
	v_pk_add_f16 v30, v1, v23
	v_min_f16_e32 v28, v28, v27
	v_lshrrev_b32_e32 v29, 16, v77
	v_lshrrev_b32_e32 v27, 16, v27
	;; [unrolled: 1-line block ×3, first 2 shown]
	v_min3_f16 v27, v29, v27, v31
	v_min3_f16 v27, v28, v30, v27
	v_cvt_f32_f16_e32 v27, v27
	v_max_f32_e32 v26, v26, v26
	v_min_f32_e32 v26, v26, v27
	v_cvt_f16_f32_e32 v28, v26
	v_lshl_add_u64 v[26:27], v[44:45], 1, v[20:21]
	global_store_short v[26:27], v28, off
	s_or_b64 exec, exec, s[14:15]
	s_and_b64 s[14:15], s[8:9], s[10:11]
	s_and_saveexec_b64 s[10:11], s[14:15]
	s_cbranch_execz .LBB269_243
.LBB269_239:
	s_and_b64 vcc, exec, s[0:1]
	s_cbranch_vccnz .LBB269_241
; %bb.240:
	v_lshl_add_u64 v[24:25], v[46:47], 1, v[24:25]
	global_load_ushort v24, v[24:25], off
	s_waitcnt vmcnt(0)
	v_mul_f16_e32 v24, s30, v24
	v_cvt_f32_f16_e32 v24, v24
	s_branch .LBB269_242
.LBB269_241:
	v_mov_b32_e32 v24, 0
.LBB269_242:
	v_pk_add_f16 v22, v2, v22
	v_max_f16_e32 v25, v76, v76
	v_pk_add_f16 v23, v3, v23
	v_min_f16_e32 v25, v25, v22
	v_lshrrev_b32_e32 v26, 16, v76
	v_lshrrev_b32_e32 v22, 16, v22
	v_lshrrev_b32_e32 v27, 16, v23
	v_min3_f16 v22, v26, v22, v27
	v_min3_f16 v22, v25, v23, v22
	v_cvt_f32_f16_e32 v22, v22
	v_max_f32_e32 v23, v24, v24
	v_lshl_add_u64 v[20:21], v[46:47], 1, v[20:21]
	v_min_f32_e32 v22, v23, v22
	v_cvt_f16_f32_e32 v22, v22
	global_store_short v[20:21], v22, off
.LBB269_243:
	s_or_b64 exec, exec, s[10:11]
	v_add_u32_e32 v24, 0x50, v84
	v_mad_i64_i32 v[20:21], s[14:15], v24, s19, 0
	v_cmp_gt_i32_e64 s[10:11], s17, v24
	v_lshl_add_u64 v[22:23], v[20:21], 1, s[20:21]
	v_mad_i64_i32 v[20:21], s[14:15], v24, s18, 0
	v_lshl_add_u64 v[20:21], v[20:21], 1, s[12:13]
	s_and_b64 s[22:23], s[2:3], s[10:11]
	s_and_saveexec_b64 s[14:15], s[22:23]
	s_cbranch_execnz .LBB269_247
; %bb.244:
	s_or_b64 exec, exec, s[14:15]
	s_and_b64 s[22:23], s[4:5], s[10:11]
	s_and_saveexec_b64 s[14:15], s[22:23]
	s_cbranch_execnz .LBB269_251
.LBB269_245:
	s_or_b64 exec, exec, s[14:15]
	s_and_b64 s[22:23], s[6:7], s[10:11]
	s_and_saveexec_b64 s[14:15], s[22:23]
	s_cbranch_execnz .LBB269_255
.LBB269_246:
	s_or_b64 exec, exec, s[14:15]
	s_and_b64 s[14:15], s[8:9], s[10:11]
	s_and_saveexec_b64 s[10:11], s[14:15]
	s_cbranch_execnz .LBB269_259
	s_branch .LBB269_263
.LBB269_247:
	s_and_b64 vcc, exec, s[0:1]
	s_cbranch_vccnz .LBB269_249
; %bb.248:
	v_lshl_add_u64 v[24:25], v[40:41], 1, v[22:23]
	global_load_ushort v24, v[24:25], off
	s_waitcnt vmcnt(0)
	v_mul_f16_e32 v24, s30, v24
	v_cvt_f32_f16_e32 v24, v24
	s_branch .LBB269_250
.LBB269_249:
	v_mov_b32_e32 v24, 0
.LBB269_250:
	v_pk_add_f16 v25, v8, v16
	v_max_f16_e32 v26, v75, v75
	v_pk_add_f16 v28, v9, v17
	v_min_f16_e32 v26, v26, v25
	v_lshrrev_b32_e32 v27, 16, v75
	v_lshrrev_b32_e32 v25, 16, v25
	;; [unrolled: 1-line block ×3, first 2 shown]
	v_min3_f16 v25, v27, v25, v29
	v_min3_f16 v25, v26, v28, v25
	v_cvt_f32_f16_e32 v25, v25
	v_max_f32_e32 v24, v24, v24
	v_min_f32_e32 v24, v24, v25
	v_cvt_f16_f32_e32 v26, v24
	v_lshl_add_u64 v[24:25], v[40:41], 1, v[20:21]
	global_store_short v[24:25], v26, off
	s_or_b64 exec, exec, s[14:15]
	s_and_b64 s[22:23], s[4:5], s[10:11]
	s_and_saveexec_b64 s[14:15], s[22:23]
	s_cbranch_execz .LBB269_245
.LBB269_251:
	s_and_b64 vcc, exec, s[0:1]
	s_cbranch_vccnz .LBB269_253
; %bb.252:
	v_lshl_add_u64 v[24:25], v[42:43], 1, v[22:23]
	global_load_ushort v24, v[24:25], off
	s_waitcnt vmcnt(0)
	v_mul_f16_e32 v24, s30, v24
	v_cvt_f32_f16_e32 v24, v24
	s_branch .LBB269_254
.LBB269_253:
	v_mov_b32_e32 v24, 0
.LBB269_254:
	v_pk_add_f16 v25, v10, v16
	v_max_f16_e32 v26, v74, v74
	v_pk_add_f16 v28, v11, v17
	v_min_f16_e32 v26, v26, v25
	v_lshrrev_b32_e32 v27, 16, v74
	v_lshrrev_b32_e32 v25, 16, v25
	;; [unrolled: 1-line block ×3, first 2 shown]
	v_min3_f16 v25, v27, v25, v29
	v_min3_f16 v25, v26, v28, v25
	v_cvt_f32_f16_e32 v25, v25
	v_max_f32_e32 v24, v24, v24
	v_min_f32_e32 v24, v24, v25
	v_cvt_f16_f32_e32 v26, v24
	v_lshl_add_u64 v[24:25], v[42:43], 1, v[20:21]
	global_store_short v[24:25], v26, off
	s_or_b64 exec, exec, s[14:15]
	s_and_b64 s[22:23], s[6:7], s[10:11]
	s_and_saveexec_b64 s[14:15], s[22:23]
	s_cbranch_execz .LBB269_246
.LBB269_255:
	s_and_b64 vcc, exec, s[0:1]
	s_cbranch_vccnz .LBB269_257
; %bb.256:
	v_lshl_add_u64 v[24:25], v[44:45], 1, v[22:23]
	global_load_ushort v24, v[24:25], off
	s_waitcnt vmcnt(0)
	v_mul_f16_e32 v24, s30, v24
	v_cvt_f32_f16_e32 v24, v24
	s_branch .LBB269_258
.LBB269_257:
	v_mov_b32_e32 v24, 0
.LBB269_258:
	v_pk_add_f16 v25, v0, v16
	v_max_f16_e32 v26, v73, v73
	v_pk_add_f16 v28, v1, v17
	v_min_f16_e32 v26, v26, v25
	v_lshrrev_b32_e32 v27, 16, v73
	v_lshrrev_b32_e32 v25, 16, v25
	;; [unrolled: 1-line block ×3, first 2 shown]
	v_min3_f16 v25, v27, v25, v29
	v_min3_f16 v25, v26, v28, v25
	v_cvt_f32_f16_e32 v25, v25
	v_max_f32_e32 v24, v24, v24
	v_min_f32_e32 v24, v24, v25
	v_cvt_f16_f32_e32 v26, v24
	v_lshl_add_u64 v[24:25], v[44:45], 1, v[20:21]
	global_store_short v[24:25], v26, off
	s_or_b64 exec, exec, s[14:15]
	s_and_b64 s[14:15], s[8:9], s[10:11]
	s_and_saveexec_b64 s[10:11], s[14:15]
	s_cbranch_execz .LBB269_263
.LBB269_259:
	s_and_b64 vcc, exec, s[0:1]
	s_cbranch_vccnz .LBB269_261
; %bb.260:
	v_lshl_add_u64 v[22:23], v[46:47], 1, v[22:23]
	global_load_ushort v22, v[22:23], off
	s_waitcnt vmcnt(0)
	v_mul_f16_e32 v22, s30, v22
	v_cvt_f32_f16_e32 v22, v22
	s_branch .LBB269_262
.LBB269_261:
	v_mov_b32_e32 v22, 0
.LBB269_262:
	v_pk_add_f16 v16, v2, v16
	v_max_f16_e32 v23, v72, v72
	v_pk_add_f16 v17, v3, v17
	v_min_f16_e32 v23, v23, v16
	v_lshrrev_b32_e32 v24, 16, v72
	v_lshrrev_b32_e32 v16, 16, v16
	;; [unrolled: 1-line block ×3, first 2 shown]
	v_min3_f16 v16, v24, v16, v25
	v_min3_f16 v16, v23, v17, v16
	v_cvt_f32_f16_e32 v16, v16
	v_max_f32_e32 v17, v22, v22
	v_min_f32_e32 v16, v17, v16
	v_cvt_f16_f32_e32 v22, v16
	v_lshl_add_u64 v[16:17], v[46:47], 1, v[20:21]
	global_store_short v[16:17], v22, off
.LBB269_263:
	s_or_b64 exec, exec, s[10:11]
	v_add_u32_e32 v22, 0x58, v84
	v_mad_i64_i32 v[16:17], s[14:15], v22, s19, 0
	v_cmp_gt_i32_e64 s[10:11], s17, v22
	v_lshl_add_u64 v[20:21], v[16:17], 1, s[20:21]
	v_mad_i64_i32 v[16:17], s[14:15], v22, s18, 0
	v_lshl_add_u64 v[16:17], v[16:17], 1, s[12:13]
	s_and_b64 s[22:23], s[2:3], s[10:11]
	s_and_saveexec_b64 s[14:15], s[22:23]
	s_cbranch_execnz .LBB269_267
; %bb.264:
	s_or_b64 exec, exec, s[14:15]
	s_and_b64 s[22:23], s[4:5], s[10:11]
	s_and_saveexec_b64 s[14:15], s[22:23]
	s_cbranch_execnz .LBB269_271
.LBB269_265:
	s_or_b64 exec, exec, s[14:15]
	s_and_b64 s[22:23], s[6:7], s[10:11]
	s_and_saveexec_b64 s[14:15], s[22:23]
	s_cbranch_execnz .LBB269_275
.LBB269_266:
	s_or_b64 exec, exec, s[14:15]
	s_and_b64 s[14:15], s[8:9], s[10:11]
	s_and_saveexec_b64 s[10:11], s[14:15]
	s_cbranch_execnz .LBB269_279
	s_branch .LBB269_283
.LBB269_267:
	s_and_b64 vcc, exec, s[0:1]
	s_cbranch_vccnz .LBB269_269
; %bb.268:
	v_lshl_add_u64 v[22:23], v[40:41], 1, v[20:21]
	global_load_ushort v22, v[22:23], off
	s_waitcnt vmcnt(0)
	v_mul_f16_e32 v22, s30, v22
	v_cvt_f32_f16_e32 v22, v22
	s_branch .LBB269_270
.LBB269_269:
	v_mov_b32_e32 v22, 0
.LBB269_270:
	v_pk_add_f16 v23, v8, v18
	v_max_f16_e32 v24, v71, v71
	v_pk_add_f16 v26, v9, v19
	v_min_f16_e32 v24, v24, v23
	v_lshrrev_b32_e32 v25, 16, v71
	v_lshrrev_b32_e32 v23, 16, v23
	v_lshrrev_b32_e32 v27, 16, v26
	v_min3_f16 v23, v25, v23, v27
	v_min3_f16 v23, v24, v26, v23
	v_cvt_f32_f16_e32 v23, v23
	v_max_f32_e32 v22, v22, v22
	v_min_f32_e32 v22, v22, v23
	v_cvt_f16_f32_e32 v24, v22
	v_lshl_add_u64 v[22:23], v[40:41], 1, v[16:17]
	global_store_short v[22:23], v24, off
	s_or_b64 exec, exec, s[14:15]
	s_and_b64 s[22:23], s[4:5], s[10:11]
	s_and_saveexec_b64 s[14:15], s[22:23]
	s_cbranch_execz .LBB269_265
.LBB269_271:
	s_and_b64 vcc, exec, s[0:1]
	s_cbranch_vccnz .LBB269_273
; %bb.272:
	v_lshl_add_u64 v[22:23], v[42:43], 1, v[20:21]
	global_load_ushort v22, v[22:23], off
	s_waitcnt vmcnt(0)
	v_mul_f16_e32 v22, s30, v22
	v_cvt_f32_f16_e32 v22, v22
	s_branch .LBB269_274
.LBB269_273:
	v_mov_b32_e32 v22, 0
.LBB269_274:
	v_pk_add_f16 v23, v10, v18
	v_max_f16_e32 v24, v70, v70
	v_pk_add_f16 v26, v11, v19
	v_min_f16_e32 v24, v24, v23
	v_lshrrev_b32_e32 v25, 16, v70
	v_lshrrev_b32_e32 v23, 16, v23
	;; [unrolled: 1-line block ×3, first 2 shown]
	v_min3_f16 v23, v25, v23, v27
	v_min3_f16 v23, v24, v26, v23
	v_cvt_f32_f16_e32 v23, v23
	v_max_f32_e32 v22, v22, v22
	v_min_f32_e32 v22, v22, v23
	v_cvt_f16_f32_e32 v24, v22
	v_lshl_add_u64 v[22:23], v[42:43], 1, v[16:17]
	global_store_short v[22:23], v24, off
	s_or_b64 exec, exec, s[14:15]
	s_and_b64 s[22:23], s[6:7], s[10:11]
	s_and_saveexec_b64 s[14:15], s[22:23]
	s_cbranch_execz .LBB269_266
.LBB269_275:
	s_and_b64 vcc, exec, s[0:1]
	s_cbranch_vccnz .LBB269_277
; %bb.276:
	v_lshl_add_u64 v[22:23], v[44:45], 1, v[20:21]
	global_load_ushort v22, v[22:23], off
	s_waitcnt vmcnt(0)
	v_mul_f16_e32 v22, s30, v22
	v_cvt_f32_f16_e32 v22, v22
	s_branch .LBB269_278
.LBB269_277:
	v_mov_b32_e32 v22, 0
.LBB269_278:
	v_pk_add_f16 v23, v0, v18
	v_max_f16_e32 v24, v69, v69
	v_pk_add_f16 v26, v1, v19
	v_min_f16_e32 v24, v24, v23
	v_lshrrev_b32_e32 v25, 16, v69
	v_lshrrev_b32_e32 v23, 16, v23
	;; [unrolled: 1-line block ×3, first 2 shown]
	v_min3_f16 v23, v25, v23, v27
	v_min3_f16 v23, v24, v26, v23
	v_cvt_f32_f16_e32 v23, v23
	v_max_f32_e32 v22, v22, v22
	v_min_f32_e32 v22, v22, v23
	v_cvt_f16_f32_e32 v24, v22
	v_lshl_add_u64 v[22:23], v[44:45], 1, v[16:17]
	global_store_short v[22:23], v24, off
	s_or_b64 exec, exec, s[14:15]
	s_and_b64 s[14:15], s[8:9], s[10:11]
	s_and_saveexec_b64 s[10:11], s[14:15]
	s_cbranch_execz .LBB269_283
.LBB269_279:
	s_and_b64 vcc, exec, s[0:1]
	s_cbranch_vccnz .LBB269_281
; %bb.280:
	v_lshl_add_u64 v[20:21], v[46:47], 1, v[20:21]
	global_load_ushort v20, v[20:21], off
	s_waitcnt vmcnt(0)
	v_mul_f16_e32 v20, s30, v20
	v_cvt_f32_f16_e32 v20, v20
	s_branch .LBB269_282
.LBB269_281:
	v_mov_b32_e32 v20, 0
.LBB269_282:
	v_pk_add_f16 v18, v2, v18
	v_max_f16_e32 v21, v68, v68
	v_pk_add_f16 v19, v3, v19
	v_min_f16_e32 v21, v21, v18
	v_lshrrev_b32_e32 v22, 16, v68
	v_lshrrev_b32_e32 v18, 16, v18
	;; [unrolled: 1-line block ×3, first 2 shown]
	v_min3_f16 v18, v22, v18, v23
	v_min3_f16 v18, v21, v19, v18
	v_cvt_f32_f16_e32 v18, v18
	v_max_f32_e32 v19, v20, v20
	v_lshl_add_u64 v[16:17], v[46:47], 1, v[16:17]
	v_min_f32_e32 v18, v19, v18
	v_cvt_f16_f32_e32 v18, v18
	global_store_short v[16:17], v18, off
.LBB269_283:
	s_or_b64 exec, exec, s[10:11]
	v_add_u32_e32 v20, 0x60, v84
	v_mad_i64_i32 v[16:17], s[14:15], v20, s19, 0
	v_cmp_gt_i32_e64 s[10:11], s17, v20
	v_lshl_add_u64 v[18:19], v[16:17], 1, s[20:21]
	v_mad_i64_i32 v[16:17], s[14:15], v20, s18, 0
	v_lshl_add_u64 v[16:17], v[16:17], 1, s[12:13]
	s_and_b64 s[22:23], s[2:3], s[10:11]
	s_and_saveexec_b64 s[14:15], s[22:23]
	s_cbranch_execnz .LBB269_287
; %bb.284:
	s_or_b64 exec, exec, s[14:15]
	s_and_b64 s[22:23], s[4:5], s[10:11]
	s_and_saveexec_b64 s[14:15], s[22:23]
	s_cbranch_execnz .LBB269_291
.LBB269_285:
	s_or_b64 exec, exec, s[14:15]
	s_and_b64 s[22:23], s[6:7], s[10:11]
	s_and_saveexec_b64 s[14:15], s[22:23]
	s_cbranch_execnz .LBB269_295
.LBB269_286:
	s_or_b64 exec, exec, s[14:15]
	s_and_b64 s[14:15], s[8:9], s[10:11]
	s_and_saveexec_b64 s[10:11], s[14:15]
	s_cbranch_execnz .LBB269_299
	s_branch .LBB269_303
.LBB269_287:
	s_and_b64 vcc, exec, s[0:1]
	s_cbranch_vccnz .LBB269_289
; %bb.288:
	v_lshl_add_u64 v[20:21], v[40:41], 1, v[18:19]
	global_load_ushort v20, v[20:21], off
	s_waitcnt vmcnt(0)
	v_mul_f16_e32 v20, s30, v20
	v_cvt_f32_f16_e32 v20, v20
	s_branch .LBB269_290
.LBB269_289:
	v_mov_b32_e32 v20, 0
.LBB269_290:
	v_pk_add_f16 v21, v8, v12
	v_max_f16_e32 v22, v67, v67
	v_pk_add_f16 v24, v9, v13
	v_min_f16_e32 v22, v22, v21
	v_lshrrev_b32_e32 v23, 16, v67
	v_lshrrev_b32_e32 v21, 16, v21
	;; [unrolled: 1-line block ×3, first 2 shown]
	v_min3_f16 v21, v23, v21, v25
	v_min3_f16 v21, v22, v24, v21
	v_cvt_f32_f16_e32 v21, v21
	v_max_f32_e32 v20, v20, v20
	v_min_f32_e32 v20, v20, v21
	v_cvt_f16_f32_e32 v22, v20
	v_lshl_add_u64 v[20:21], v[40:41], 1, v[16:17]
	global_store_short v[20:21], v22, off
	s_or_b64 exec, exec, s[14:15]
	s_and_b64 s[22:23], s[4:5], s[10:11]
	s_and_saveexec_b64 s[14:15], s[22:23]
	s_cbranch_execz .LBB269_285
.LBB269_291:
	s_and_b64 vcc, exec, s[0:1]
	s_cbranch_vccnz .LBB269_293
; %bb.292:
	v_lshl_add_u64 v[20:21], v[42:43], 1, v[18:19]
	global_load_ushort v20, v[20:21], off
	s_waitcnt vmcnt(0)
	v_mul_f16_e32 v20, s30, v20
	v_cvt_f32_f16_e32 v20, v20
	s_branch .LBB269_294
.LBB269_293:
	v_mov_b32_e32 v20, 0
.LBB269_294:
	v_pk_add_f16 v21, v10, v12
	v_max_f16_e32 v22, v66, v66
	v_pk_add_f16 v24, v11, v13
	v_min_f16_e32 v22, v22, v21
	v_lshrrev_b32_e32 v23, 16, v66
	v_lshrrev_b32_e32 v21, 16, v21
	;; [unrolled: 1-line block ×3, first 2 shown]
	v_min3_f16 v21, v23, v21, v25
	v_min3_f16 v21, v22, v24, v21
	v_cvt_f32_f16_e32 v21, v21
	v_max_f32_e32 v20, v20, v20
	v_min_f32_e32 v20, v20, v21
	v_cvt_f16_f32_e32 v22, v20
	v_lshl_add_u64 v[20:21], v[42:43], 1, v[16:17]
	global_store_short v[20:21], v22, off
	s_or_b64 exec, exec, s[14:15]
	s_and_b64 s[22:23], s[6:7], s[10:11]
	s_and_saveexec_b64 s[14:15], s[22:23]
	s_cbranch_execz .LBB269_286
.LBB269_295:
	s_and_b64 vcc, exec, s[0:1]
	s_cbranch_vccnz .LBB269_297
; %bb.296:
	v_lshl_add_u64 v[20:21], v[44:45], 1, v[18:19]
	global_load_ushort v20, v[20:21], off
	s_waitcnt vmcnt(0)
	v_mul_f16_e32 v20, s30, v20
	v_cvt_f32_f16_e32 v20, v20
	s_branch .LBB269_298
.LBB269_297:
	v_mov_b32_e32 v20, 0
.LBB269_298:
	v_pk_add_f16 v21, v0, v12
	v_max_f16_e32 v22, v65, v65
	v_pk_add_f16 v24, v1, v13
	v_min_f16_e32 v22, v22, v21
	v_lshrrev_b32_e32 v23, 16, v65
	v_lshrrev_b32_e32 v21, 16, v21
	;; [unrolled: 1-line block ×3, first 2 shown]
	v_min3_f16 v21, v23, v21, v25
	v_min3_f16 v21, v22, v24, v21
	v_cvt_f32_f16_e32 v21, v21
	v_max_f32_e32 v20, v20, v20
	v_min_f32_e32 v20, v20, v21
	v_cvt_f16_f32_e32 v22, v20
	v_lshl_add_u64 v[20:21], v[44:45], 1, v[16:17]
	global_store_short v[20:21], v22, off
	s_or_b64 exec, exec, s[14:15]
	s_and_b64 s[14:15], s[8:9], s[10:11]
	s_and_saveexec_b64 s[10:11], s[14:15]
	s_cbranch_execz .LBB269_303
.LBB269_299:
	s_and_b64 vcc, exec, s[0:1]
	s_cbranch_vccnz .LBB269_301
; %bb.300:
	v_lshl_add_u64 v[18:19], v[46:47], 1, v[18:19]
	global_load_ushort v18, v[18:19], off
	s_waitcnt vmcnt(0)
	v_mul_f16_e32 v18, s30, v18
	v_cvt_f32_f16_e32 v18, v18
	s_branch .LBB269_302
.LBB269_301:
	v_mov_b32_e32 v18, 0
.LBB269_302:
	v_pk_add_f16 v12, v2, v12
	v_max_f16_e32 v19, v64, v64
	v_pk_add_f16 v13, v3, v13
	v_min_f16_e32 v19, v19, v12
	v_lshrrev_b32_e32 v20, 16, v64
	v_lshrrev_b32_e32 v12, 16, v12
	;; [unrolled: 1-line block ×3, first 2 shown]
	v_min3_f16 v12, v20, v12, v21
	v_min3_f16 v12, v19, v13, v12
	v_cvt_f32_f16_e32 v12, v12
	v_max_f32_e32 v13, v18, v18
	v_min_f32_e32 v12, v13, v12
	v_cvt_f16_f32_e32 v18, v12
	v_lshl_add_u64 v[12:13], v[46:47], 1, v[16:17]
	global_store_short v[12:13], v18, off
.LBB269_303:
	s_or_b64 exec, exec, s[10:11]
	v_add_u32_e32 v18, 0x68, v84
	v_mad_i64_i32 v[12:13], s[14:15], v18, s19, 0
	v_cmp_gt_i32_e64 s[10:11], s17, v18
	v_lshl_add_u64 v[16:17], v[12:13], 1, s[20:21]
	v_mad_i64_i32 v[12:13], s[14:15], v18, s18, 0
	v_lshl_add_u64 v[12:13], v[12:13], 1, s[12:13]
	s_and_b64 s[22:23], s[2:3], s[10:11]
	s_and_saveexec_b64 s[14:15], s[22:23]
	s_cbranch_execnz .LBB269_307
; %bb.304:
	s_or_b64 exec, exec, s[14:15]
	s_and_b64 s[22:23], s[4:5], s[10:11]
	s_and_saveexec_b64 s[14:15], s[22:23]
	s_cbranch_execnz .LBB269_311
.LBB269_305:
	s_or_b64 exec, exec, s[14:15]
	s_and_b64 s[22:23], s[6:7], s[10:11]
	s_and_saveexec_b64 s[14:15], s[22:23]
	s_cbranch_execnz .LBB269_315
.LBB269_306:
	s_or_b64 exec, exec, s[14:15]
	s_and_b64 s[14:15], s[8:9], s[10:11]
	s_and_saveexec_b64 s[10:11], s[14:15]
	s_cbranch_execnz .LBB269_319
	s_branch .LBB269_323
.LBB269_307:
	s_and_b64 vcc, exec, s[0:1]
	s_cbranch_vccnz .LBB269_309
; %bb.308:
	v_lshl_add_u64 v[18:19], v[40:41], 1, v[16:17]
	global_load_ushort v18, v[18:19], off
	s_waitcnt vmcnt(0)
	v_mul_f16_e32 v18, s30, v18
	v_cvt_f32_f16_e32 v18, v18
	s_branch .LBB269_310
.LBB269_309:
	v_mov_b32_e32 v18, 0
.LBB269_310:
	v_pk_add_f16 v19, v8, v14
	v_max_f16_e32 v20, v63, v63
	v_pk_add_f16 v22, v9, v15
	v_min_f16_e32 v20, v20, v19
	v_lshrrev_b32_e32 v21, 16, v63
	v_lshrrev_b32_e32 v19, 16, v19
	;; [unrolled: 1-line block ×3, first 2 shown]
	v_min3_f16 v19, v21, v19, v23
	v_min3_f16 v19, v20, v22, v19
	v_cvt_f32_f16_e32 v19, v19
	v_max_f32_e32 v18, v18, v18
	v_min_f32_e32 v18, v18, v19
	v_cvt_f16_f32_e32 v20, v18
	v_lshl_add_u64 v[18:19], v[40:41], 1, v[12:13]
	global_store_short v[18:19], v20, off
	s_or_b64 exec, exec, s[14:15]
	s_and_b64 s[22:23], s[4:5], s[10:11]
	s_and_saveexec_b64 s[14:15], s[22:23]
	s_cbranch_execz .LBB269_305
.LBB269_311:
	s_and_b64 vcc, exec, s[0:1]
	s_cbranch_vccnz .LBB269_313
; %bb.312:
	v_lshl_add_u64 v[18:19], v[42:43], 1, v[16:17]
	global_load_ushort v18, v[18:19], off
	s_waitcnt vmcnt(0)
	v_mul_f16_e32 v18, s30, v18
	v_cvt_f32_f16_e32 v18, v18
	s_branch .LBB269_314
.LBB269_313:
	v_mov_b32_e32 v18, 0
.LBB269_314:
	v_pk_add_f16 v19, v10, v14
	v_max_f16_e32 v20, v62, v62
	v_pk_add_f16 v22, v11, v15
	v_min_f16_e32 v20, v20, v19
	v_lshrrev_b32_e32 v21, 16, v62
	v_lshrrev_b32_e32 v19, 16, v19
	;; [unrolled: 1-line block ×3, first 2 shown]
	v_min3_f16 v19, v21, v19, v23
	v_min3_f16 v19, v20, v22, v19
	v_cvt_f32_f16_e32 v19, v19
	v_max_f32_e32 v18, v18, v18
	v_min_f32_e32 v18, v18, v19
	v_cvt_f16_f32_e32 v20, v18
	v_lshl_add_u64 v[18:19], v[42:43], 1, v[12:13]
	global_store_short v[18:19], v20, off
	s_or_b64 exec, exec, s[14:15]
	s_and_b64 s[22:23], s[6:7], s[10:11]
	s_and_saveexec_b64 s[14:15], s[22:23]
	s_cbranch_execz .LBB269_306
.LBB269_315:
	s_and_b64 vcc, exec, s[0:1]
	s_cbranch_vccnz .LBB269_317
; %bb.316:
	v_lshl_add_u64 v[18:19], v[44:45], 1, v[16:17]
	global_load_ushort v18, v[18:19], off
	s_waitcnt vmcnt(0)
	v_mul_f16_e32 v18, s30, v18
	v_cvt_f32_f16_e32 v18, v18
	s_branch .LBB269_318
.LBB269_317:
	v_mov_b32_e32 v18, 0
.LBB269_318:
	v_pk_add_f16 v19, v0, v14
	v_max_f16_e32 v20, v61, v61
	v_pk_add_f16 v22, v1, v15
	v_min_f16_e32 v20, v20, v19
	v_lshrrev_b32_e32 v21, 16, v61
	v_lshrrev_b32_e32 v19, 16, v19
	;; [unrolled: 1-line block ×3, first 2 shown]
	v_min3_f16 v19, v21, v19, v23
	v_min3_f16 v19, v20, v22, v19
	v_cvt_f32_f16_e32 v19, v19
	v_max_f32_e32 v18, v18, v18
	v_min_f32_e32 v18, v18, v19
	v_cvt_f16_f32_e32 v20, v18
	v_lshl_add_u64 v[18:19], v[44:45], 1, v[12:13]
	global_store_short v[18:19], v20, off
	s_or_b64 exec, exec, s[14:15]
	s_and_b64 s[14:15], s[8:9], s[10:11]
	s_and_saveexec_b64 s[10:11], s[14:15]
	s_cbranch_execz .LBB269_323
.LBB269_319:
	s_and_b64 vcc, exec, s[0:1]
	s_cbranch_vccnz .LBB269_321
; %bb.320:
	v_lshl_add_u64 v[16:17], v[46:47], 1, v[16:17]
	global_load_ushort v16, v[16:17], off
	s_waitcnt vmcnt(0)
	v_mul_f16_e32 v16, s30, v16
	v_cvt_f32_f16_e32 v16, v16
	s_branch .LBB269_322
.LBB269_321:
	v_mov_b32_e32 v16, 0
.LBB269_322:
	v_pk_add_f16 v14, v2, v14
	v_max_f16_e32 v17, v60, v60
	v_pk_add_f16 v15, v3, v15
	v_min_f16_e32 v17, v17, v14
	v_lshrrev_b32_e32 v18, 16, v60
	v_lshrrev_b32_e32 v14, 16, v14
	;; [unrolled: 1-line block ×3, first 2 shown]
	v_min3_f16 v14, v18, v14, v19
	v_min3_f16 v14, v17, v15, v14
	v_cvt_f32_f16_e32 v14, v14
	v_max_f32_e32 v15, v16, v16
	v_lshl_add_u64 v[12:13], v[46:47], 1, v[12:13]
	v_min_f32_e32 v14, v15, v14
	v_cvt_f16_f32_e32 v14, v14
	global_store_short v[12:13], v14, off
.LBB269_323:
	s_or_b64 exec, exec, s[10:11]
	v_add_u32_e32 v16, 0x70, v84
	v_mad_i64_i32 v[12:13], s[14:15], v16, s19, 0
	v_cmp_gt_i32_e64 s[10:11], s17, v16
	v_lshl_add_u64 v[14:15], v[12:13], 1, s[20:21]
	v_mad_i64_i32 v[12:13], s[14:15], v16, s18, 0
	v_lshl_add_u64 v[12:13], v[12:13], 1, s[12:13]
	s_and_b64 s[22:23], s[2:3], s[10:11]
	s_and_saveexec_b64 s[14:15], s[22:23]
	s_cbranch_execnz .LBB269_327
; %bb.324:
	s_or_b64 exec, exec, s[14:15]
	s_and_b64 s[22:23], s[4:5], s[10:11]
	s_and_saveexec_b64 s[14:15], s[22:23]
	s_cbranch_execnz .LBB269_331
.LBB269_325:
	s_or_b64 exec, exec, s[14:15]
	s_and_b64 s[22:23], s[6:7], s[10:11]
	s_and_saveexec_b64 s[14:15], s[22:23]
	s_cbranch_execnz .LBB269_335
.LBB269_326:
	s_or_b64 exec, exec, s[14:15]
	s_and_b64 s[14:15], s[8:9], s[10:11]
	s_and_saveexec_b64 s[10:11], s[14:15]
	s_cbranch_execnz .LBB269_339
	s_branch .LBB269_343
.LBB269_327:
	s_and_b64 vcc, exec, s[0:1]
	s_cbranch_vccnz .LBB269_329
; %bb.328:
	v_lshl_add_u64 v[16:17], v[40:41], 1, v[14:15]
	global_load_ushort v16, v[16:17], off
	s_waitcnt vmcnt(0)
	v_mul_f16_e32 v16, s30, v16
	v_cvt_f32_f16_e32 v16, v16
	s_branch .LBB269_330
.LBB269_329:
	v_mov_b32_e32 v16, 0
.LBB269_330:
	v_pk_add_f16 v17, v8, v4
	v_max_f16_e32 v18, v59, v59
	v_pk_add_f16 v20, v9, v5
	v_min_f16_e32 v18, v18, v17
	v_lshrrev_b32_e32 v19, 16, v59
	v_lshrrev_b32_e32 v17, 16, v17
	;; [unrolled: 1-line block ×3, first 2 shown]
	v_min3_f16 v17, v19, v17, v21
	v_min3_f16 v17, v18, v20, v17
	v_cvt_f32_f16_e32 v17, v17
	v_max_f32_e32 v16, v16, v16
	v_min_f32_e32 v16, v16, v17
	v_cvt_f16_f32_e32 v18, v16
	v_lshl_add_u64 v[16:17], v[40:41], 1, v[12:13]
	global_store_short v[16:17], v18, off
	s_or_b64 exec, exec, s[14:15]
	s_and_b64 s[22:23], s[4:5], s[10:11]
	s_and_saveexec_b64 s[14:15], s[22:23]
	s_cbranch_execz .LBB269_325
.LBB269_331:
	s_and_b64 vcc, exec, s[0:1]
	s_cbranch_vccnz .LBB269_333
; %bb.332:
	v_lshl_add_u64 v[16:17], v[42:43], 1, v[14:15]
	global_load_ushort v16, v[16:17], off
	s_waitcnt vmcnt(0)
	v_mul_f16_e32 v16, s30, v16
	v_cvt_f32_f16_e32 v16, v16
	s_branch .LBB269_334
.LBB269_333:
	v_mov_b32_e32 v16, 0
.LBB269_334:
	v_pk_add_f16 v17, v10, v4
	v_max_f16_e32 v18, v58, v58
	v_pk_add_f16 v20, v11, v5
	v_min_f16_e32 v18, v18, v17
	v_lshrrev_b32_e32 v19, 16, v58
	v_lshrrev_b32_e32 v17, 16, v17
	;; [unrolled: 1-line block ×3, first 2 shown]
	v_min3_f16 v17, v19, v17, v21
	v_min3_f16 v17, v18, v20, v17
	v_cvt_f32_f16_e32 v17, v17
	v_max_f32_e32 v16, v16, v16
	v_min_f32_e32 v16, v16, v17
	v_cvt_f16_f32_e32 v18, v16
	v_lshl_add_u64 v[16:17], v[42:43], 1, v[12:13]
	global_store_short v[16:17], v18, off
	s_or_b64 exec, exec, s[14:15]
	s_and_b64 s[22:23], s[6:7], s[10:11]
	s_and_saveexec_b64 s[14:15], s[22:23]
	s_cbranch_execz .LBB269_326
.LBB269_335:
	s_and_b64 vcc, exec, s[0:1]
	s_cbranch_vccnz .LBB269_337
; %bb.336:
	v_lshl_add_u64 v[16:17], v[44:45], 1, v[14:15]
	global_load_ushort v16, v[16:17], off
	s_waitcnt vmcnt(0)
	v_mul_f16_e32 v16, s30, v16
	v_cvt_f32_f16_e32 v16, v16
	s_branch .LBB269_338
.LBB269_337:
	v_mov_b32_e32 v16, 0
.LBB269_338:
	v_pk_add_f16 v17, v0, v4
	v_max_f16_e32 v18, v57, v57
	v_pk_add_f16 v20, v1, v5
	v_min_f16_e32 v18, v18, v17
	v_lshrrev_b32_e32 v19, 16, v57
	v_lshrrev_b32_e32 v17, 16, v17
	;; [unrolled: 1-line block ×3, first 2 shown]
	v_min3_f16 v17, v19, v17, v21
	v_min3_f16 v17, v18, v20, v17
	v_cvt_f32_f16_e32 v17, v17
	v_max_f32_e32 v16, v16, v16
	v_min_f32_e32 v16, v16, v17
	v_cvt_f16_f32_e32 v18, v16
	v_lshl_add_u64 v[16:17], v[44:45], 1, v[12:13]
	global_store_short v[16:17], v18, off
	s_or_b64 exec, exec, s[14:15]
	s_and_b64 s[14:15], s[8:9], s[10:11]
	s_and_saveexec_b64 s[10:11], s[14:15]
	s_cbranch_execz .LBB269_343
.LBB269_339:
	s_and_b64 vcc, exec, s[0:1]
	s_cbranch_vccnz .LBB269_341
; %bb.340:
	v_lshl_add_u64 v[14:15], v[46:47], 1, v[14:15]
	global_load_ushort v14, v[14:15], off
	s_waitcnt vmcnt(0)
	v_mul_f16_e32 v14, s30, v14
	v_cvt_f32_f16_e32 v14, v14
	s_branch .LBB269_342
.LBB269_341:
	v_mov_b32_e32 v14, 0
.LBB269_342:
	v_pk_add_f16 v4, v2, v4
	v_max_f16_e32 v15, v56, v56
	v_pk_add_f16 v5, v3, v5
	v_min_f16_e32 v15, v15, v4
	v_lshrrev_b32_e32 v16, 16, v56
	v_lshrrev_b32_e32 v4, 16, v4
	;; [unrolled: 1-line block ×3, first 2 shown]
	v_min3_f16 v4, v16, v4, v17
	v_min3_f16 v4, v15, v5, v4
	v_cvt_f32_f16_e32 v4, v4
	v_max_f32_e32 v5, v14, v14
	v_min_f32_e32 v4, v5, v4
	v_cvt_f16_f32_e32 v14, v4
	v_lshl_add_u64 v[4:5], v[46:47], 1, v[12:13]
	global_store_short v[4:5], v14, off
.LBB269_343:
	s_or_b64 exec, exec, s[10:11]
	v_add_u32_e32 v14, 0x78, v84
	v_mad_i64_i32 v[4:5], s[14:15], v14, s19, 0
	v_cmp_gt_i32_e64 s[10:11], s17, v14
	v_lshl_add_u64 v[12:13], v[4:5], 1, s[20:21]
	v_mad_i64_i32 v[4:5], s[14:15], v14, s18, 0
	v_lshl_add_u64 v[4:5], v[4:5], 1, s[12:13]
	s_and_b64 s[12:13], s[2:3], s[10:11]
	s_and_saveexec_b64 s[2:3], s[12:13]
	s_cbranch_execnz .LBB269_348
; %bb.344:
	s_or_b64 exec, exec, s[2:3]
	s_and_b64 s[4:5], s[4:5], s[10:11]
	s_and_saveexec_b64 s[2:3], s[4:5]
	s_cbranch_execnz .LBB269_352
.LBB269_345:
	s_or_b64 exec, exec, s[2:3]
	s_and_b64 s[4:5], s[6:7], s[10:11]
	s_and_saveexec_b64 s[2:3], s[4:5]
	s_cbranch_execnz .LBB269_356
.LBB269_346:
	s_or_b64 exec, exec, s[2:3]
	s_and_b64 s[2:3], s[8:9], s[10:11]
	s_and_saveexec_b64 s[4:5], s[2:3]
	s_cbranch_execnz .LBB269_360
.LBB269_347:
	s_endpgm
.LBB269_348:
	s_and_b64 vcc, exec, s[0:1]
	s_cbranch_vccnz .LBB269_350
; %bb.349:
	v_lshl_add_u64 v[14:15], v[40:41], 1, v[12:13]
	global_load_ushort v14, v[14:15], off
	s_waitcnt vmcnt(0)
	v_mul_f16_e32 v14, s30, v14
	v_cvt_f32_f16_e32 v14, v14
	s_branch .LBB269_351
.LBB269_350:
	v_mov_b32_e32 v14, 0
.LBB269_351:
	v_pk_add_f16 v8, v8, v6
	v_max_f16_e32 v15, v54, v54
	v_pk_add_f16 v9, v9, v7
	v_min_f16_e32 v15, v15, v8
	v_lshrrev_b32_e32 v16, 16, v54
	v_lshrrev_b32_e32 v8, 16, v8
	;; [unrolled: 1-line block ×3, first 2 shown]
	v_min3_f16 v8, v16, v8, v17
	v_min3_f16 v8, v15, v9, v8
	v_cvt_f32_f16_e32 v8, v8
	v_max_f32_e32 v9, v14, v14
	v_min_f32_e32 v8, v9, v8
	v_cvt_f16_f32_e32 v14, v8
	v_lshl_add_u64 v[8:9], v[40:41], 1, v[4:5]
	global_store_short v[8:9], v14, off
	s_or_b64 exec, exec, s[2:3]
	s_and_b64 s[4:5], s[4:5], s[10:11]
	s_and_saveexec_b64 s[2:3], s[4:5]
	s_cbranch_execz .LBB269_345
.LBB269_352:
	s_and_b64 vcc, exec, s[0:1]
	s_cbranch_vccnz .LBB269_354
; %bb.353:
	v_lshl_add_u64 v[8:9], v[42:43], 1, v[12:13]
	global_load_ushort v8, v[8:9], off
	s_waitcnt vmcnt(0)
	v_mul_f16_e32 v8, s30, v8
	v_cvt_f32_f16_e32 v8, v8
	s_branch .LBB269_355
.LBB269_354:
	v_mov_b32_e32 v8, 0
.LBB269_355:
	v_pk_add_f16 v9, v10, v6
	v_max_f16_e32 v10, v53, v53
	v_pk_add_f16 v11, v11, v7
	v_min_f16_e32 v10, v10, v9
	v_lshrrev_b32_e32 v14, 16, v53
	v_lshrrev_b32_e32 v9, 16, v9
	;; [unrolled: 1-line block ×3, first 2 shown]
	v_min3_f16 v9, v14, v9, v15
	v_min3_f16 v9, v10, v11, v9
	v_cvt_f32_f16_e32 v9, v9
	v_max_f32_e32 v8, v8, v8
	v_min_f32_e32 v8, v8, v9
	v_cvt_f16_f32_e32 v10, v8
	v_lshl_add_u64 v[8:9], v[42:43], 1, v[4:5]
	global_store_short v[8:9], v10, off
	s_or_b64 exec, exec, s[2:3]
	s_and_b64 s[4:5], s[6:7], s[10:11]
	s_and_saveexec_b64 s[2:3], s[4:5]
	s_cbranch_execz .LBB269_346
.LBB269_356:
	s_and_b64 vcc, exec, s[0:1]
	s_cbranch_vccnz .LBB269_358
; %bb.357:
	v_lshl_add_u64 v[8:9], v[44:45], 1, v[12:13]
	global_load_ushort v8, v[8:9], off
	s_waitcnt vmcnt(0)
	v_mul_f16_e32 v8, s30, v8
	v_cvt_f32_f16_e32 v8, v8
	s_branch .LBB269_359
.LBB269_358:
	v_mov_b32_e32 v8, 0
.LBB269_359:
	v_pk_add_f16 v0, v0, v6
	v_max_f16_e32 v9, v52, v52
	v_pk_add_f16 v1, v1, v7
	v_min_f16_e32 v9, v9, v0
	v_lshrrev_b32_e32 v10, 16, v52
	v_lshrrev_b32_e32 v0, 16, v0
	;; [unrolled: 1-line block ×3, first 2 shown]
	v_min3_f16 v0, v10, v0, v11
	v_min3_f16 v0, v9, v1, v0
	v_cvt_f32_f16_e32 v0, v0
	v_max_f32_e32 v1, v8, v8
	v_min_f32_e32 v0, v1, v0
	v_cvt_f16_f32_e32 v8, v0
	v_lshl_add_u64 v[0:1], v[44:45], 1, v[4:5]
	global_store_short v[0:1], v8, off
	s_or_b64 exec, exec, s[2:3]
	s_and_b64 s[2:3], s[8:9], s[10:11]
	s_and_saveexec_b64 s[4:5], s[2:3]
	s_cbranch_execz .LBB269_347
.LBB269_360:
	s_and_b64 vcc, exec, s[0:1]
	s_cbranch_vccnz .LBB269_362
; %bb.361:
	v_lshl_add_u64 v[0:1], v[46:47], 1, v[12:13]
	global_load_ushort v0, v[0:1], off
	s_waitcnt vmcnt(0)
	v_mul_f16_e32 v0, s30, v0
	v_cvt_f32_f16_e32 v0, v0
	s_branch .LBB269_363
.LBB269_362:
	v_mov_b32_e32 v0, 0
.LBB269_363:
	v_pk_add_f16 v1, v2, v6
	v_max_f16_e32 v2, v55, v55
	v_pk_add_f16 v3, v3, v7
	v_min_f16_e32 v2, v2, v1
	v_lshrrev_b32_e32 v6, 16, v55
	v_lshrrev_b32_e32 v1, 16, v1
	;; [unrolled: 1-line block ×3, first 2 shown]
	v_min3_f16 v1, v6, v1, v7
	v_min3_f16 v1, v2, v3, v1
	v_cvt_f32_f16_e32 v1, v1
	v_max_f32_e32 v0, v0, v0
	v_min_f32_e32 v0, v0, v1
	v_cvt_f16_f32_e32 v2, v0
	v_lshl_add_u64 v[0:1], v[46:47], 1, v[4:5]
	global_store_short v[0:1], v2, off
	s_endpgm
	.section	.rodata,"a",@progbits
	.p2align	6, 0x0
	.amdhsa_kernel _ZN12_GLOBAL__N_120geam_min_plus_kernelIDF16_Dv2_DF16_S1_Li32ELi8ELi128ELi128ELi4ELi4ELi64ELi4ELi64ELc84ELc78ELb0ELb1ELb1EDF16_KDF16_DF16_EEviiiT16_PT17_ilS5_ilS3_S5_ilPT18_ili26rocblas_geam_ex_operation_
		.amdhsa_group_segment_fixed_size 4096
		.amdhsa_private_segment_fixed_size 0
		.amdhsa_kernarg_size 128
		.amdhsa_user_sgpr_count 2
		.amdhsa_user_sgpr_dispatch_ptr 0
		.amdhsa_user_sgpr_queue_ptr 0
		.amdhsa_user_sgpr_kernarg_segment_ptr 1
		.amdhsa_user_sgpr_dispatch_id 0
		.amdhsa_user_sgpr_kernarg_preload_length 0
		.amdhsa_user_sgpr_kernarg_preload_offset 0
		.amdhsa_user_sgpr_private_segment_size 0
		.amdhsa_uses_dynamic_stack 0
		.amdhsa_enable_private_segment 0
		.amdhsa_system_sgpr_workgroup_id_x 1
		.amdhsa_system_sgpr_workgroup_id_y 0
		.amdhsa_system_sgpr_workgroup_id_z 1
		.amdhsa_system_sgpr_workgroup_info 0
		.amdhsa_system_vgpr_workitem_id 1
		.amdhsa_next_free_vgpr 173
		.amdhsa_next_free_sgpr 40
		.amdhsa_accum_offset 176
		.amdhsa_reserve_vcc 1
		.amdhsa_float_round_mode_32 0
		.amdhsa_float_round_mode_16_64 0
		.amdhsa_float_denorm_mode_32 3
		.amdhsa_float_denorm_mode_16_64 3
		.amdhsa_dx10_clamp 1
		.amdhsa_ieee_mode 1
		.amdhsa_fp16_overflow 0
		.amdhsa_tg_split 0
		.amdhsa_exception_fp_ieee_invalid_op 0
		.amdhsa_exception_fp_denorm_src 0
		.amdhsa_exception_fp_ieee_div_zero 0
		.amdhsa_exception_fp_ieee_overflow 0
		.amdhsa_exception_fp_ieee_underflow 0
		.amdhsa_exception_fp_ieee_inexact 0
		.amdhsa_exception_int_div_zero 0
	.end_amdhsa_kernel
	.section	.text._ZN12_GLOBAL__N_120geam_min_plus_kernelIDF16_Dv2_DF16_S1_Li32ELi8ELi128ELi128ELi4ELi4ELi64ELi4ELi64ELc84ELc78ELb0ELb1ELb1EDF16_KDF16_DF16_EEviiiT16_PT17_ilS5_ilS3_S5_ilPT18_ili26rocblas_geam_ex_operation_,"axG",@progbits,_ZN12_GLOBAL__N_120geam_min_plus_kernelIDF16_Dv2_DF16_S1_Li32ELi8ELi128ELi128ELi4ELi4ELi64ELi4ELi64ELc84ELc78ELb0ELb1ELb1EDF16_KDF16_DF16_EEviiiT16_PT17_ilS5_ilS3_S5_ilPT18_ili26rocblas_geam_ex_operation_,comdat
.Lfunc_end269:
	.size	_ZN12_GLOBAL__N_120geam_min_plus_kernelIDF16_Dv2_DF16_S1_Li32ELi8ELi128ELi128ELi4ELi4ELi64ELi4ELi64ELc84ELc78ELb0ELb1ELb1EDF16_KDF16_DF16_EEviiiT16_PT17_ilS5_ilS3_S5_ilPT18_ili26rocblas_geam_ex_operation_, .Lfunc_end269-_ZN12_GLOBAL__N_120geam_min_plus_kernelIDF16_Dv2_DF16_S1_Li32ELi8ELi128ELi128ELi4ELi4ELi64ELi4ELi64ELc84ELc78ELb0ELb1ELb1EDF16_KDF16_DF16_EEviiiT16_PT17_ilS5_ilS3_S5_ilPT18_ili26rocblas_geam_ex_operation_
                                        ; -- End function
	.set _ZN12_GLOBAL__N_120geam_min_plus_kernelIDF16_Dv2_DF16_S1_Li32ELi8ELi128ELi128ELi4ELi4ELi64ELi4ELi64ELc84ELc78ELb0ELb1ELb1EDF16_KDF16_DF16_EEviiiT16_PT17_ilS5_ilS3_S5_ilPT18_ili26rocblas_geam_ex_operation_.num_vgpr, 173
	.set _ZN12_GLOBAL__N_120geam_min_plus_kernelIDF16_Dv2_DF16_S1_Li32ELi8ELi128ELi128ELi4ELi4ELi64ELi4ELi64ELc84ELc78ELb0ELb1ELb1EDF16_KDF16_DF16_EEviiiT16_PT17_ilS5_ilS3_S5_ilPT18_ili26rocblas_geam_ex_operation_.num_agpr, 0
	.set _ZN12_GLOBAL__N_120geam_min_plus_kernelIDF16_Dv2_DF16_S1_Li32ELi8ELi128ELi128ELi4ELi4ELi64ELi4ELi64ELc84ELc78ELb0ELb1ELb1EDF16_KDF16_DF16_EEviiiT16_PT17_ilS5_ilS3_S5_ilPT18_ili26rocblas_geam_ex_operation_.numbered_sgpr, 40
	.set _ZN12_GLOBAL__N_120geam_min_plus_kernelIDF16_Dv2_DF16_S1_Li32ELi8ELi128ELi128ELi4ELi4ELi64ELi4ELi64ELc84ELc78ELb0ELb1ELb1EDF16_KDF16_DF16_EEviiiT16_PT17_ilS5_ilS3_S5_ilPT18_ili26rocblas_geam_ex_operation_.num_named_barrier, 0
	.set _ZN12_GLOBAL__N_120geam_min_plus_kernelIDF16_Dv2_DF16_S1_Li32ELi8ELi128ELi128ELi4ELi4ELi64ELi4ELi64ELc84ELc78ELb0ELb1ELb1EDF16_KDF16_DF16_EEviiiT16_PT17_ilS5_ilS3_S5_ilPT18_ili26rocblas_geam_ex_operation_.private_seg_size, 0
	.set _ZN12_GLOBAL__N_120geam_min_plus_kernelIDF16_Dv2_DF16_S1_Li32ELi8ELi128ELi128ELi4ELi4ELi64ELi4ELi64ELc84ELc78ELb0ELb1ELb1EDF16_KDF16_DF16_EEviiiT16_PT17_ilS5_ilS3_S5_ilPT18_ili26rocblas_geam_ex_operation_.uses_vcc, 1
	.set _ZN12_GLOBAL__N_120geam_min_plus_kernelIDF16_Dv2_DF16_S1_Li32ELi8ELi128ELi128ELi4ELi4ELi64ELi4ELi64ELc84ELc78ELb0ELb1ELb1EDF16_KDF16_DF16_EEviiiT16_PT17_ilS5_ilS3_S5_ilPT18_ili26rocblas_geam_ex_operation_.uses_flat_scratch, 0
	.set _ZN12_GLOBAL__N_120geam_min_plus_kernelIDF16_Dv2_DF16_S1_Li32ELi8ELi128ELi128ELi4ELi4ELi64ELi4ELi64ELc84ELc78ELb0ELb1ELb1EDF16_KDF16_DF16_EEviiiT16_PT17_ilS5_ilS3_S5_ilPT18_ili26rocblas_geam_ex_operation_.has_dyn_sized_stack, 0
	.set _ZN12_GLOBAL__N_120geam_min_plus_kernelIDF16_Dv2_DF16_S1_Li32ELi8ELi128ELi128ELi4ELi4ELi64ELi4ELi64ELc84ELc78ELb0ELb1ELb1EDF16_KDF16_DF16_EEviiiT16_PT17_ilS5_ilS3_S5_ilPT18_ili26rocblas_geam_ex_operation_.has_recursion, 0
	.set _ZN12_GLOBAL__N_120geam_min_plus_kernelIDF16_Dv2_DF16_S1_Li32ELi8ELi128ELi128ELi4ELi4ELi64ELi4ELi64ELc84ELc78ELb0ELb1ELb1EDF16_KDF16_DF16_EEviiiT16_PT17_ilS5_ilS3_S5_ilPT18_ili26rocblas_geam_ex_operation_.has_indirect_call, 0
	.section	.AMDGPU.csdata,"",@progbits
; Kernel info:
; codeLenInByte = 20892
; TotalNumSgprs: 46
; NumVgprs: 173
; NumAgprs: 0
; TotalNumVgprs: 173
; ScratchSize: 0
; MemoryBound: 0
; FloatMode: 240
; IeeeMode: 1
; LDSByteSize: 4096 bytes/workgroup (compile time only)
; SGPRBlocks: 5
; VGPRBlocks: 21
; NumSGPRsForWavesPerEU: 46
; NumVGPRsForWavesPerEU: 173
; AccumOffset: 176
; Occupancy: 2
; WaveLimiterHint : 0
; COMPUTE_PGM_RSRC2:SCRATCH_EN: 0
; COMPUTE_PGM_RSRC2:USER_SGPR: 2
; COMPUTE_PGM_RSRC2:TRAP_HANDLER: 0
; COMPUTE_PGM_RSRC2:TGID_X_EN: 1
; COMPUTE_PGM_RSRC2:TGID_Y_EN: 0
; COMPUTE_PGM_RSRC2:TGID_Z_EN: 1
; COMPUTE_PGM_RSRC2:TIDIG_COMP_CNT: 1
; COMPUTE_PGM_RSRC3_GFX90A:ACCUM_OFFSET: 43
; COMPUTE_PGM_RSRC3_GFX90A:TG_SPLIT: 0
	.section	.text._ZN12_GLOBAL__N_120geam_min_plus_kernelIDF16_Dv2_DF16_S1_Li8ELi32ELi64ELi256ELi4ELi64ELi4ELi64ELi4ELc78ELc84ELb0ELb0ELb1EPKDF16_S2_DF16_EEviiiT16_PT17_ilS6_ilS4_S6_ilPT18_ili26rocblas_geam_ex_operation_,"axG",@progbits,_ZN12_GLOBAL__N_120geam_min_plus_kernelIDF16_Dv2_DF16_S1_Li8ELi32ELi64ELi256ELi4ELi64ELi4ELi64ELi4ELc78ELc84ELb0ELb0ELb1EPKDF16_S2_DF16_EEviiiT16_PT17_ilS6_ilS4_S6_ilPT18_ili26rocblas_geam_ex_operation_,comdat
	.globl	_ZN12_GLOBAL__N_120geam_min_plus_kernelIDF16_Dv2_DF16_S1_Li8ELi32ELi64ELi256ELi4ELi64ELi4ELi64ELi4ELc78ELc84ELb0ELb0ELb1EPKDF16_S2_DF16_EEviiiT16_PT17_ilS6_ilS4_S6_ilPT18_ili26rocblas_geam_ex_operation_ ; -- Begin function _ZN12_GLOBAL__N_120geam_min_plus_kernelIDF16_Dv2_DF16_S1_Li8ELi32ELi64ELi256ELi4ELi64ELi4ELi64ELi4ELc78ELc84ELb0ELb0ELb1EPKDF16_S2_DF16_EEviiiT16_PT17_ilS6_ilS4_S6_ilPT18_ili26rocblas_geam_ex_operation_
	.p2align	8
	.type	_ZN12_GLOBAL__N_120geam_min_plus_kernelIDF16_Dv2_DF16_S1_Li8ELi32ELi64ELi256ELi4ELi64ELi4ELi64ELi4ELc78ELc84ELb0ELb0ELb1EPKDF16_S2_DF16_EEviiiT16_PT17_ilS6_ilS4_S6_ilPT18_ili26rocblas_geam_ex_operation_,@function
_ZN12_GLOBAL__N_120geam_min_plus_kernelIDF16_Dv2_DF16_S1_Li8ELi32ELi64ELi256ELi4ELi64ELi4ELi64ELi4ELc78ELc84ELb0ELb0ELb1EPKDF16_S2_DF16_EEviiiT16_PT17_ilS6_ilS4_S6_ilPT18_ili26rocblas_geam_ex_operation_: ; @_ZN12_GLOBAL__N_120geam_min_plus_kernelIDF16_Dv2_DF16_S1_Li8ELi32ELi64ELi256ELi4ELi64ELi4ELi64ELi4ELc78ELc84ELb0ELb0ELb1EPKDF16_S2_DF16_EEviiiT16_PT17_ilS6_ilS4_S6_ilPT18_ili26rocblas_geam_ex_operation_
; %bb.0:
	s_load_dwordx4 s[4:7], s[0:1], 0x10
	s_load_dwordx4 s[12:15], s[0:1], 0x28
	s_mov_b32 s20, s3
	s_mov_b32 s21, 0
	s_lshl_b64 s[8:9], s[20:21], 1
	s_waitcnt lgkmcnt(0)
	s_add_u32 s4, s4, s8
	s_addc_u32 s5, s5, s9
	v_mov_b32_e32 v1, 0
	global_load_ushort v88, v1, s[4:5]
	s_load_dwordx4 s[16:19], s[0:1], 0x40
	s_load_dwordx2 s[10:11], s[0:1], 0x50
	s_mov_b64 s[22:23], 0
	s_waitcnt lgkmcnt(0)
	s_add_u32 s24, s18, s8
	s_addc_u32 s25, s19, s9
	s_mov_b64 s[18:19], 0
	s_waitcnt vmcnt(0)
	v_cmp_eq_f16_e32 vcc, 0, v88
	s_and_b64 s[4:5], exec, vcc
	v_cmp_neq_f16_e64 s[8:9], 0, v88
	s_mov_b64 vcc, s[4:5]
	s_cbranch_vccnz .LBB270_2
; %bb.1:
	s_mul_i32 s3, s13, s20
	s_mul_hi_u32 s13, s12, s20
	s_add_i32 s13, s13, s3
	s_mul_i32 s12, s12, s20
	s_lshl_b64 s[12:13], s[12:13], 1
	s_add_u32 s18, s6, s12
	s_addc_u32 s19, s7, s13
.LBB270_2:
	global_load_ushort v54, v1, s[24:25]
	v_cndmask_b32_e64 v1, 0, 1, s[8:9]
	v_cmp_ne_u32_e64 s[6:7], 1, v1
	s_andn2_b64 vcc, exec, s[8:9]
	s_cbranch_vccnz .LBB270_4
; %bb.3:
	s_mul_i32 s3, s17, s20
	s_mul_hi_u32 s8, s16, s20
	s_add_i32 s9, s8, s3
	s_mul_i32 s8, s16, s20
	s_lshl_b64 s[8:9], s[8:9], 1
	s_add_u32 s22, s14, s8
	s_addc_u32 s23, s15, s9
.LBB270_4:
	s_load_dwordx4 s[12:15], s[0:1], 0x60
	s_waitcnt vmcnt(0)
	v_cmp_eq_f16_e32 vcc, 0, v54
	s_and_b64 s[8:9], exec, vcc
	s_mov_b64 vcc, s[8:9]
	s_cbranch_vccnz .LBB270_6
; %bb.5:
	s_waitcnt lgkmcnt(0)
	s_mul_i32 s3, s13, s20
	s_mul_hi_u32 s13, s12, s20
	s_add_i32 s13, s13, s3
	s_mul_i32 s12, s12, s20
	s_lshl_b64 s[12:13], s[12:13], 1
	s_add_u32 s10, s10, s12
	s_addc_u32 s11, s11, s13
	s_branch .LBB270_7
.LBB270_6:
	s_mov_b64 s[10:11], 0
.LBB270_7:
	s_load_dword s3, s[0:1], 0x0
	s_load_dword s16, s[0:1], 0x20
	v_and_b32_e32 v82, 0x3ff, v0
	v_bfe_u32 v83, v0, 10, 10
	v_mov_b32_e32 v7, 0
	s_waitcnt lgkmcnt(0)
	s_add_i32 s3, s3, -1
	s_ashr_i32 s12, s3, 31
	s_lshr_b32 s12, s12, 26
	s_add_i32 s3, s3, s12
	s_ashr_i32 s3, s3, 6
	s_add_i32 s13, s3, 1
	v_cvt_f32_u32_e32 v1, s13
	s_not_b32 s3, s3
	s_ashr_i32 s17, s16, 31
	v_mov_b32_e32 v6, 0
	v_rcp_iflag_f32_e32 v0, v1
	v_lshl_add_u32 v1, v83, 3, v82
	v_and_b32_e32 v29, 63, v1
	v_lshrrev_b32_e32 v28, 6, v1
	v_mul_f32_e32 v0, 0x4f7ffffe, v0
	v_cvt_u32_f32_e32 v0, v0
	s_nop 0
	v_readfirstlane_b32 s12, v0
	s_mul_i32 s3, s3, s12
	s_mul_hi_u32 s3, s12, s3
	s_add_i32 s12, s12, s3
	s_mul_hi_u32 s3, s2, s12
	s_mul_i32 s12, s3, s13
	s_sub_i32 s12, s2, s12
	s_add_i32 s21, s3, 1
	s_sub_i32 s24, s12, s13
	s_cmp_ge_u32 s12, s13
	s_cselect_b32 s3, s21, s3
	s_cselect_b32 s12, s24, s12
	s_add_i32 s21, s3, 1
	s_cmp_ge_u32 s12, s13
	s_cselect_b32 s12, s21, s3
	s_mul_i32 s3, s12, s13
	s_sub_i32 s13, s2, s3
	s_lshl_b32 s21, s13, 6
	v_or_b32_e32 v2, s21, v29
	s_and_b64 vcc, exec, s[6:7]
	v_ashrrev_i32_e32 v3, 31, v2
	s_cbranch_vccnz .LBB270_9
; %bb.8:
	v_mad_i64_i32 v[0:1], s[24:25], s16, v28, 0
	v_lshl_add_u64 v[0:1], v[0:1], 1, s[18:19]
	v_lshl_add_u64 v[0:1], v[2:3], 1, v[0:1]
	global_load_ushort v0, v[0:1], off
	s_waitcnt vmcnt(0)
	v_mul_f16_e32 v6, v88, v0
.LBB270_9:
	s_load_dword s24, s[0:1], 0x38
	s_lshl_b32 s26, s12, 8
	v_or_b32_e32 v0, s26, v29
	s_and_b64 vcc, exec, s[6:7]
	v_ashrrev_i32_e32 v1, 31, v0
	s_waitcnt lgkmcnt(0)
	v_mad_i64_i32 v[4:5], s[12:13], v28, s24, 0
	v_lshl_add_u64 v[4:5], v[4:5], 1, s[22:23]
	s_cbranch_vccnz .LBB270_11
; %bb.10:
	v_lshl_add_u64 v[8:9], v[0:1], 1, v[4:5]
	global_load_ushort v7, v[8:9], off
	global_load_ushort v10, v[8:9], off offset:128
	s_waitcnt vmcnt(1)
	v_mul_f16_e32 v8, v88, v7
	s_waitcnt vmcnt(0)
	v_mul_f16_e32 v7, v88, v10
	v_pack_b32_f16 v9, v8, 0
	s_branch .LBB270_12
.LBB270_11:
	v_mov_b32_e32 v9, 0
.LBB270_12:
	s_mov_b32 s12, 0x5040100
	v_mov_b32_e32 v8, 0
	s_ashr_i32 s25, s24, 31
	v_perm_b32 v32, v7, v9, s12
	s_mov_b64 vcc, s[4:5]
	s_cbranch_vccz .LBB270_14
; %bb.13:
	v_and_b32_e32 v33, 0xffff0000, v8
	v_mov_b32_e32 v31, 0
	v_mov_b32_e32 v30, 0
	s_cbranch_execz .LBB270_15
	s_branch .LBB270_16
.LBB270_14:
	v_mov_b32_e32 v31, 0
	v_mov_b32_e32 v30, 0
.LBB270_15:
	v_lshl_add_u64 v[4:5], v[0:1], 1, v[4:5]
	global_load_ushort v7, v[4:5], off offset:256
	global_load_ushort v9, v[4:5], off offset:384
	s_mov_b32 s12, 0xffff
	s_waitcnt vmcnt(1)
	v_mul_f16_e32 v4, v88, v7
	v_bfi_b32 v33, s12, v4, v8
	s_waitcnt vmcnt(0)
	v_mul_f16_e32 v30, v88, v9
.LBB270_16:
	s_and_b64 vcc, exec, s[6:7]
	v_add_u32_e32 v4, 4, v28
	s_cbranch_vccnz .LBB270_18
; %bb.17:
	v_mad_i64_i32 v[8:9], s[12:13], s16, v4, 0
	v_lshl_add_u64 v[8:9], v[8:9], 1, s[18:19]
	v_lshl_add_u64 v[2:3], v[2:3], 1, v[8:9]
	global_load_ushort v2, v[2:3], off
	s_waitcnt vmcnt(0)
	v_mul_f16_e32 v31, v88, v2
.LBB270_18:
	v_mad_i64_i32 v[2:3], s[12:13], v4, s24, 0
	s_and_b64 vcc, exec, s[6:7]
	v_lshl_add_u64 v[2:3], v[2:3], 1, s[22:23]
	s_cbranch_vccnz .LBB270_20
; %bb.19:
	v_lshl_add_u64 v[4:5], v[0:1], 1, v[2:3]
	global_load_ushort v7, v[4:5], off
	global_load_ushort v8, v[4:5], off offset:128
	s_waitcnt vmcnt(1)
	v_mul_f16_e32 v4, v88, v7
	s_waitcnt vmcnt(0)
	v_mul_f16_e32 v5, v88, v8
	v_pack_b32_f16 v7, v4, 0
	s_branch .LBB270_21
.LBB270_20:
	v_mov_b32_e32 v7, 0
	v_mov_b32_e32 v5, 0
.LBB270_21:
	s_mov_b32 s12, 0x5040100
	v_mov_b32_e32 v4, 0
	v_perm_b32 v46, v5, v7, s12
	s_mov_b64 vcc, s[4:5]
	s_cbranch_vccz .LBB270_23
; %bb.22:
	v_and_b32_e32 v47, 0xffff0000, v4
	v_mov_b32_e32 v34, 0
	s_cbranch_execz .LBB270_24
	s_branch .LBB270_25
.LBB270_23:
	v_mov_b32_e32 v34, 0
.LBB270_24:
	v_lshl_add_u64 v[0:1], v[0:1], 1, v[2:3]
	global_load_ushort v2, v[0:1], off offset:256
	global_load_ushort v3, v[0:1], off offset:384
	s_mov_b32 s12, 0xffff
	s_waitcnt vmcnt(1)
	v_mul_f16_e32 v0, v88, v2
	v_bfi_b32 v47, s12, v0, v4
	s_waitcnt vmcnt(0)
	v_mul_f16_e32 v34, v88, v3
.LBB270_25:
	v_lshlrev_b32_e32 v0, 3, v29
	v_lshlrev_b32_e32 v96, 3, v82
	v_lshl_add_u32 v107, v28, 1, v0
	v_add_u32_e32 v108, 0x1000, v96
	ds_write_b16 v107, v6 offset:4096
	ds_write_b16 v107, v32
	ds_write_b16_d16_hi v107, v32 offset:512
	ds_write_b16 v107, v33 offset:1024
	ds_write_b16 v107, v30 offset:1536
	s_waitcnt lgkmcnt(0)
	s_barrier
	v_lshlrev_b32_e32 v94, 3, v83
	ds_read2_b64 v[16:19], v108 offset1:8
	ds_read2_b64 v[12:15], v108 offset0:16 offset1:24
	ds_read2_b64 v[4:7], v108 offset0:32 offset1:40
	ds_read2_b64 v[36:39], v94 offset1:32
	ds_read2_b64 v[0:3], v108 offset0:48 offset1:56
	ds_read2_b64 v[24:27], v94 offset0:64 offset1:96
	;; [unrolled: 1-line block ×4, first 2 shown]
	s_waitcnt lgkmcnt(4)
	v_pk_add_f16 v35, v16, v36
	s_movk_i32 s12, 0x7c00
	v_pk_add_f16 v40, v18, v36
	v_pk_add_f16 v41, v12, v36
	v_pk_add_f16 v42, v14, v36
	v_pk_add_f16 v43, v4, v36
	v_pk_add_f16 v44, v6, v36
	s_waitcnt lgkmcnt(3)
	v_pk_add_f16 v45, v0, v36
	v_pk_add_f16 v36, v2, v36
	v_pk_add_f16 v48, v16, v38
	v_pk_add_f16 v49, v18, v38
	v_pk_add_f16 v50, v12, v38
	v_pk_add_f16 v51, v14, v38
	v_pk_add_f16 v52, v4, v38
	v_pk_add_f16 v53, v6, v38
	v_pk_add_f16 v55, v0, v38
	v_pk_add_f16 v38, v2, v38
	s_waitcnt lgkmcnt(2)
	v_pk_add_f16 v56, v16, v24
	v_pk_add_f16 v57, v18, v24
	v_pk_add_f16 v58, v12, v24
	v_pk_add_f16 v59, v14, v24
	v_pk_add_f16 v60, v4, v24
	v_pk_add_f16 v61, v6, v24
	v_pk_add_f16 v62, v0, v24
	v_pk_add_f16 v24, v2, v24
	v_pk_add_f16 v63, v16, v26
	v_pk_add_f16 v64, v18, v26
	v_pk_add_f16 v65, v12, v26
	v_pk_add_f16 v66, v14, v26
	v_pk_add_f16 v67, v4, v26
	v_pk_add_f16 v68, v6, v26
	v_pk_add_f16 v69, v0, v26
	v_pk_add_f16 v26, v2, v26
	s_waitcnt lgkmcnt(1)
	v_pk_add_f16 v70, v16, v20
	v_pk_add_f16 v71, v18, v20
	v_pk_add_f16 v72, v12, v20
	v_pk_add_f16 v73, v14, v20
	v_pk_add_f16 v74, v4, v20
	v_pk_add_f16 v75, v6, v20
	;; [unrolled: 17-line block ×3, first 2 shown]
	v_pk_add_f16 v138, v0, v8
	v_pk_add_f16 v8, v2, v8
	;; [unrolled: 1-line block ×11, first 2 shown]
	v_pk_min_f16 v10, v35, s12 op_sel_hi:[1,0]
	v_pk_min_f16 v8, v8, s12 op_sel_hi:[1,0]
	v_pk_min_f16 v125, v10, v2
	v_pk_add_f16 v2, v19, v37
	v_pk_min_f16 v10, v40, s12 op_sel_hi:[1,0]
	s_load_dword s27, s[0:1], 0x8
	v_pk_min_f16 v124, v10, v2
	v_pk_add_f16 v2, v13, v37
	v_pk_min_f16 v10, v41, s12 op_sel_hi:[1,0]
	v_pk_min_f16 v4, v4, s12 op_sel_hi:[1,0]
	v_pk_min_f16 v123, v10, v2
	v_pk_add_f16 v2, v15, v37
	v_pk_min_f16 v10, v42, s12 op_sel_hi:[1,0]
	v_pk_min_f16 v0, v0, s12 op_sel_hi:[1,0]
	v_pk_min_f16 v122, v10, v2
	v_pk_add_f16 v2, v5, v37
	v_pk_min_f16 v10, v43, s12 op_sel_hi:[1,0]
	s_waitcnt lgkmcnt(0)
	s_cmp_lt_i32 s27, 9
	v_pk_min_f16 v121, v10, v2
	v_pk_add_f16 v2, v7, v37
	v_pk_min_f16 v10, v44, s12 op_sel_hi:[1,0]
	ds_write_b16 v107, v31 offset:4608
	ds_write_b16 v107, v46 offset:2048
	ds_write_b16_d16_hi v107, v46 offset:2560
	ds_write_b16 v107, v47 offset:3072
	ds_write_b16 v107, v34 offset:3584
	v_pk_min_f16 v120, v10, v2
	v_pk_add_f16 v2, v1, v37
	v_pk_min_f16 v10, v45, s12 op_sel_hi:[1,0]
	s_waitcnt lgkmcnt(0)
	v_pk_min_f16 v119, v10, v2
	v_pk_add_f16 v2, v3, v37
	v_pk_min_f16 v10, v36, s12 op_sel_hi:[1,0]
	s_barrier
	v_pk_min_f16 v118, v10, v2
	v_pk_add_f16 v2, v17, v39
	v_pk_min_f16 v10, v48, s12 op_sel_hi:[1,0]
	s_nop 0
	v_pk_min_f16 v117, v10, v2
	v_pk_add_f16 v2, v19, v39
	v_pk_min_f16 v10, v49, s12 op_sel_hi:[1,0]
	s_nop 0
	;; [unrolled: 4-line block ×46, first 2 shown]
	v_pk_min_f16 v65, v10, v2
	v_pk_add_f16 v2, v1, v9
	v_pk_min_f16 v10, v138, s12 op_sel_hi:[1,0]
	v_pk_add_f16 v1, v1, v11
	v_pk_min_f16 v64, v10, v2
	v_pk_add_f16 v2, v3, v9
	s_nop 0
	v_pk_min_f16 v63, v8, v2
	v_pk_add_f16 v2, v17, v11
	v_pk_min_f16 v8, v16, s12 op_sel_hi:[1,0]
	s_nop 0
	v_pk_min_f16 v62, v8, v2
	v_pk_add_f16 v2, v19, v11
	v_pk_min_f16 v8, v18, s12 op_sel_hi:[1,0]
	s_nop 0
	v_pk_min_f16 v61, v8, v2
	v_pk_add_f16 v2, v13, v11
	v_pk_min_f16 v8, v12, s12 op_sel_hi:[1,0]
	s_nop 0
	v_pk_min_f16 v59, v8, v2
	v_pk_add_f16 v2, v15, v11
	v_pk_min_f16 v8, v14, s12 op_sel_hi:[1,0]
	s_nop 0
	v_pk_min_f16 v58, v8, v2
	v_pk_add_f16 v2, v5, v11
	s_nop 0
	v_pk_min_f16 v57, v4, v2
	v_pk_add_f16 v2, v7, v11
	v_pk_min_f16 v4, v6, s12 op_sel_hi:[1,0]
	s_nop 0
	v_pk_min_f16 v55, v4, v2
	v_pk_min_f16 v2, v139, s12 op_sel_hi:[1,0]
	s_nop 0
	v_pk_min_f16 v56, v2, v1
	v_pk_add_f16 v1, v3, v11
	s_nop 0
	v_pk_min_f16 v60, v0, v1
	s_cbranch_scc1 .LBB270_48
; %bb.26:
	v_mov_b32_e32 v0, 0x1200
	v_lshl_add_u32 v127, v82, 3, v0
	v_mov_b32_e32 v0, 0x800
	v_add_u32_e32 v2, 12, v28
	s_mov_b32 s28, 0x5040100
	v_lshl_add_u32 v128, v83, 3, v0
	v_mad_i64_i32 v[0:1], s[12:13], v2, s16, 0
	v_perm_b32 v47, v34, v47, s28
	v_lshlrev_b64 v[34:35], 1, v[0:1]
	v_lshl_or_b32 v0, s2, 6, v29
	s_lshl_b32 s2, s3, 6
	v_subrev_u32_e32 v0, s2, v0
	v_ashrrev_i32_e32 v1, 31, v0
	v_lshl_add_u64 v[36:37], v[0:1], 1, s[18:19]
	v_add_u32_e32 v0, s26, v29
	v_ashrrev_i32_e32 v1, 31, v0
	v_lshlrev_b64 v[38:39], 1, v[0:1]
	v_mad_i64_i32 v[0:1], s[12:13], v2, s24, 0
	v_add_u32_e32 v2, 8, v28
	v_lshl_add_u64 v[40:41], v[0:1], 1, s[22:23]
	v_mad_i64_i32 v[0:1], s[18:19], v2, s24, 0
	s_lshl_b64 s[2:3], s[16:17], 4
	v_lshl_add_u64 v[42:43], v[0:1], 1, s[22:23]
	v_mad_i64_i32 v[0:1], s[16:17], v2, s16, 0
	v_or_b32_e32 v126, 0x800, v107
	s_add_i32 s27, s27, -8
	v_perm_b32 v33, v30, v33, s28
	s_lshl_b64 s[12:13], s[24:25], 4
	v_lshlrev_b64 v[44:45], 1, v[0:1]
	s_mov_b32 s18, 0
	s_mov_b32 s19, 0xffff
	s_and_b64 vcc, exec, s[6:7]
	s_cbranch_vccz .LBB270_29
	s_branch .LBB270_28
.LBB270_27:
	v_mov_b32_e32 v46, v48
	s_and_b64 vcc, exec, s[6:7]
	s_cbranch_vccz .LBB270_29
.LBB270_28:
	v_mov_b32_e32 v48, 0
	s_mov_b64 s[16:17], -1
	s_mov_b64 vcc, s[4:5]
                                        ; implicit-def: $vgpr0_vgpr1
	s_cbranch_vccnz .LBB270_30
	s_branch .LBB270_31
.LBB270_29:
	v_lshl_add_u64 v[0:1], v[36:37], 0, v[44:45]
	global_load_ushort v0, v[0:1], off
	s_waitcnt vmcnt(0)
	v_mul_f16_e32 v48, v88, v0
	s_mov_b64 s[16:17], -1
	s_mov_b64 vcc, s[4:5]
                                        ; implicit-def: $vgpr0_vgpr1
	s_cbranch_vccz .LBB270_31
.LBB270_30:
	v_and_b32_e32 v0, 0xffff0000, v32
	v_mov_b32_e32 v1, v33
	s_mov_b64 s[16:17], 0
.LBB270_31:
	v_mov_b32_e32 v4, 0
	s_andn2_b64 vcc, exec, s[16:17]
	v_lshl_add_u64 v[2:3], v[42:43], 0, v[38:39]
	s_cbranch_vccnz .LBB270_39
; %bb.32:
	global_load_ushort v0, v[2:3], off
	global_load_ushort v1, v[2:3], off offset:128
	s_waitcnt vmcnt(1)
	v_mul_f16_e32 v0, v88, v0
	v_bfi_b32 v32, s19, v0, v32
	s_waitcnt vmcnt(0)
	v_mul_f16_e32 v4, v88, v1
	v_mov_b64_e32 v[0:1], v[32:33]
	v_perm_b32 v32, v4, v0, s28
	s_mov_b64 s[16:17], -1
	s_mov_b64 vcc, s[4:5]
	s_cbranch_vccnz .LBB270_40
.LBB270_33:
	v_mov_b32_e32 v129, 0
	s_andn2_b64 vcc, exec, s[16:17]
	v_mov_b32_e32 v130, 0
	s_cbranch_vccnz .LBB270_35
.LBB270_34:
	global_load_ushort v0, v[2:3], off offset:256
	global_load_ushort v4, v[2:3], off offset:384
	s_waitcnt vmcnt(1)
	v_mul_f16_e32 v0, v88, v0
	v_bfi_b32 v33, s19, v0, v1
	s_waitcnt vmcnt(0)
	v_mul_f16_e32 v130, v88, v4
.LBB270_35:
	ds_read2_b64 v[12:15], v127 offset1:8
	ds_read2_b64 v[8:11], v127 offset0:16 offset1:24
	ds_read2_b64 v[4:7], v127 offset0:32 offset1:40
	;; [unrolled: 1-line block ×3, first 2 shown]
	ds_read2_b64 v[28:31], v128 offset1:32
	ds_read2_b64 v[24:27], v128 offset0:64 offset1:96
	ds_read2_b64 v[20:23], v128 offset0:128 offset1:160
	;; [unrolled: 1-line block ×3, first 2 shown]
	v_or_b32_e32 v49, 0x1000, v107
	s_and_b64 vcc, exec, s[6:7]
	ds_write_b16 v49, v48
	ds_write_b16 v107, v32
	ds_write_b16_d16_hi v107, v32 offset:512
	ds_write_b16 v107, v33 offset:1024
	ds_write_b16 v107, v130 offset:1536
	s_waitcnt lgkmcnt(0)
	s_barrier
	s_cbranch_vccnz .LBB270_37
; %bb.36:
	v_lshl_add_u64 v[48:49], v[36:37], 0, v[34:35]
	global_load_ushort v48, v[48:49], off
	s_waitcnt vmcnt(0)
	v_mul_f16_e32 v129, v88, v48
.LBB270_37:
	s_mov_b64 s[16:17], -1
	s_mov_b64 vcc, s[4:5]
                                        ; implicit-def: $vgpr50_vgpr51
	s_cbranch_vccz .LBB270_41
; %bb.38:
	v_and_b32_e32 v50, 0xffff0000, v46
	v_mov_b32_e32 v51, v47
	v_mov_b32_e32 v48, 0
	v_lshl_add_u64 v[52:53], v[40:41], 0, v[38:39]
	s_cbranch_execnz .LBB270_43
	s_branch .LBB270_42
.LBB270_39:
	v_perm_b32 v32, v4, v0, s28
	s_mov_b64 s[16:17], -1
	s_mov_b64 vcc, s[4:5]
	s_cbranch_vccz .LBB270_33
.LBB270_40:
	v_and_b32_e32 v33, 0xffff0000, v1
	v_mov_b32_e32 v129, 0
	v_mov_b32_e32 v130, 0
	s_cbranch_execz .LBB270_34
	s_branch .LBB270_35
.LBB270_41:
	v_mov_b32_e32 v48, 0
	s_andn2_b64 vcc, exec, s[16:17]
	v_lshl_add_u64 v[52:53], v[40:41], 0, v[38:39]
	s_cbranch_vccnz .LBB270_43
.LBB270_42:
	global_load_ushort v48, v[52:53], off
	global_load_ushort v49, v[52:53], off offset:128
	s_waitcnt vmcnt(1)
	v_mul_f16_e32 v48, v88, v48
	v_bfi_b32 v46, s19, v48, v46
	s_waitcnt vmcnt(0)
	v_mul_f16_e32 v48, v88, v49
	v_mov_b64_e32 v[50:51], v[46:47]
.LBB270_43:
	v_perm_b32 v48, v48, v50, s28
	s_mov_b64 s[16:17], -1
	s_mov_b64 vcc, s[4:5]
                                        ; implicit-def: $vgpr49
	s_cbranch_vccz .LBB270_45
; %bb.44:
	v_and_b32_e32 v49, 0xffff0000, v51
	v_mov_b32_e32 v50, 0
	s_cbranch_execz .LBB270_46
	s_branch .LBB270_47
.LBB270_45:
	s_andn2_b64 vcc, exec, s[16:17]
	v_mov_b32_e32 v50, 0
	s_cbranch_vccnz .LBB270_47
.LBB270_46:
	global_load_ushort v46, v[52:53], off offset:256
	global_load_ushort v47, v[52:53], off offset:384
	s_waitcnt vmcnt(1)
	v_mul_f16_e32 v46, v88, v46
	v_bfi_b32 v49, s19, v46, v51
	s_waitcnt vmcnt(0)
	v_mul_f16_e32 v50, v88, v47
.LBB270_47:
	v_pk_add_f16 v46, v12, v28
	v_pk_max_f16 v47, v125, v125
	v_pk_max_f16 v51, v124, v124
	v_pk_min_f16 v46, v47, v46
	v_pk_add_f16 v47, v14, v28
	v_pk_max_f16 v52, v123, v123
	v_pk_min_f16 v47, v51, v47
	v_pk_add_f16 v51, v8, v28
	v_pk_max_f16 v53, v122, v122
	v_pk_min_f16 v51, v52, v51
	v_pk_add_f16 v52, v10, v28
	v_pk_max_f16 v121, v121, v121
	v_pk_min_f16 v52, v53, v52
	v_pk_add_f16 v53, v4, v28
	v_pk_max_f16 v120, v120, v120
	v_pk_min_f16 v53, v121, v53
	v_pk_add_f16 v121, v6, v28
	v_pk_max_f16 v118, v118, v118
	v_pk_min_f16 v120, v120, v121
	v_pk_add_f16 v121, v0, v28
	v_pk_add_f16 v28, v2, v28
	v_pk_max_f16 v117, v117, v117
	v_pk_min_f16 v28, v118, v28
	v_pk_add_f16 v118, v12, v30
	v_pk_max_f16 v116, v116, v116
	v_pk_min_f16 v117, v117, v118
	v_pk_add_f16 v118, v14, v30
	v_pk_max_f16 v115, v115, v115
	v_pk_min_f16 v116, v116, v118
	v_pk_add_f16 v118, v8, v30
	v_pk_max_f16 v114, v114, v114
	v_pk_min_f16 v115, v115, v118
	v_pk_add_f16 v118, v10, v30
	v_pk_max_f16 v113, v113, v113
	v_pk_min_f16 v114, v114, v118
	v_pk_add_f16 v118, v4, v30
	v_pk_max_f16 v112, v112, v112
	v_pk_min_f16 v113, v113, v118
	v_pk_add_f16 v118, v6, v30
	v_pk_max_f16 v110, v110, v110
	v_pk_min_f16 v112, v112, v118
	v_pk_add_f16 v118, v0, v30
	v_pk_add_f16 v30, v2, v30
	v_pk_max_f16 v109, v109, v109
	v_pk_min_f16 v30, v110, v30
	v_pk_add_f16 v110, v12, v24
	;; [unrolled: 22-line block ×6, first 2 shown]
	v_pk_max_f16 v69, v69, v69
	v_pk_min_f16 v70, v70, v71
	v_pk_add_f16 v71, v14, v16
	v_pk_max_f16 v68, v68, v68
	v_pk_min_f16 v69, v69, v71
	v_pk_add_f16 v71, v8, v16
	;; [unrolled: 3-line block ×5, first 2 shown]
	v_pk_add_f16 v12, v12, v18
	v_pk_min_f16 v65, v65, v71
	v_pk_add_f16 v71, v0, v16
	v_pk_add_f16 v16, v2, v16
	;; [unrolled: 1-line block ×9, first 2 shown]
	v_pk_max_f16 v18, v60, v60
	v_pk_max_f16 v55, v55, v55
	v_pk_min_f16 v2, v18, v2
	v_pk_add_f16 v18, v13, v29
	v_pk_max_f16 v119, v119, v119
	v_pk_min_f16 v46, v46, v18
	v_pk_add_f16 v18, v15, v29
	v_pk_min_f16 v6, v55, v6
	v_pk_min_f16 v47, v47, v18
	v_pk_add_f16 v18, v9, v29
	v_pk_max_f16 v55, v56, v56
	v_pk_min_f16 v51, v51, v18
	v_pk_add_f16 v18, v11, v29
	v_pk_min_f16 v119, v119, v121
	v_pk_min_f16 v52, v52, v18
	v_pk_add_f16 v18, v5, v29
	v_pk_min_f16 v0, v55, v0
	v_pk_min_f16 v53, v53, v18
	v_pk_add_f16 v18, v7, v29
	v_pk_max_f16 v57, v57, v57
	v_pk_min_f16 v55, v120, v18
	v_pk_add_f16 v18, v1, v29
	v_pk_max_f16 v58, v58, v58
	v_pk_min_f16 v56, v119, v18
	v_pk_add_f16 v18, v3, v29
	v_pk_min_f16 v4, v57, v4
	v_pk_min_f16 v57, v28, v18
	v_pk_add_f16 v18, v13, v31
	v_pk_max_f16 v59, v59, v59
	v_pk_min_f16 v10, v58, v10
	v_pk_min_f16 v58, v117, v18
	v_pk_add_f16 v18, v15, v31
	v_pk_min_f16 v8, v59, v8
	v_pk_min_f16 v59, v116, v18
	v_pk_add_f16 v18, v9, v31
	v_pk_max_f16 v61, v61, v61
	v_pk_min_f16 v60, v115, v18
	v_pk_add_f16 v18, v11, v31
	v_pk_max_f16 v62, v62, v62
	v_pk_min_f16 v14, v61, v14
	v_pk_min_f16 v61, v114, v18
	v_pk_add_f16 v18, v5, v31
	v_pk_max_f16 v111, v111, v111
	v_pk_max_f16 v63, v63, v63
	v_pk_min_f16 v12, v62, v12
	v_pk_min_f16 v62, v113, v18
	v_pk_add_f16 v18, v7, v31
	v_pk_min_f16 v111, v111, v118
	v_pk_max_f16 v64, v64, v64
	v_pk_min_f16 v16, v63, v16
	v_pk_min_f16 v63, v112, v18
	v_pk_add_f16 v18, v1, v31
	v_pk_max_f16 v72, v72, v72
	v_pk_min_f16 v64, v64, v71
	v_pk_min_f16 v71, v111, v18
	v_pk_add_f16 v18, v3, v31
	;; [unrolled: 4-line block ×4, first 2 shown]
	v_pk_min_f16 v91, v91, v100
	v_pk_min_f16 v100, v106, v18
	v_pk_add_f16 v18, v9, v25
	v_pk_max_f16 v101, v101, v101
	v_pk_min_f16 v105, v105, v18
	v_pk_add_f16 v18, v11, v25
	v_pk_min_f16 v101, v101, v110
	v_pk_min_f16 v104, v104, v18
	v_pk_add_f16 v18, v5, v25
	v_pk_max_f16 v62, v62, v62
	v_pk_min_f16 v103, v103, v18
	v_pk_add_f16 v18, v7, v25
	v_pk_max_f16 v55, v55, v55
	;; [unrolled: 3-line block ×6, first 2 shown]
	v_pk_min_f16 v98, v98, v18
	v_pk_add_f16 v18, v9, v27
	v_perm_b32 v33, v130, v33, s28
	v_pk_min_f16 v97, v97, v18
	v_pk_add_f16 v18, v11, v27
	v_pk_max_f16 v46, v46, v46
	v_pk_min_f16 v95, v95, v18
	v_pk_add_f16 v18, v5, v27
	v_pk_max_f16 v51, v51, v51
	;; [unrolled: 3-line block ×5, first 2 shown]
	v_pk_min_f16 v132, v26, v18
	v_pk_add_f16 v18, v13, v21
	s_add_i32 s18, s18, 8
	v_pk_min_f16 v89, v89, v18
	v_pk_add_f16 v18, v15, v21
	v_lshl_add_u64 v[36:37], v[36:37], 0, s[2:3]
	v_pk_min_f16 v87, v87, v18
	v_pk_add_f16 v18, v9, v21
	v_lshl_add_u64 v[40:41], v[40:41], 0, s[12:13]
	v_pk_min_f16 v86, v86, v18
	v_pk_add_f16 v18, v11, v21
	s_cmp_ge_i32 s18, s27
	v_pk_min_f16 v85, v85, v18
	v_pk_add_f16 v18, v5, v21
	v_lshl_add_u64 v[42:43], v[42:43], 0, s[12:13]
	v_pk_min_f16 v84, v84, v18
	v_pk_add_f16 v18, v7, v21
	s_nop 0
	v_pk_min_f16 v81, v81, v18
	v_pk_add_f16 v18, v1, v21
	s_nop 0
	;; [unrolled: 3-line block ×11, first 2 shown]
	v_pk_min_f16 v134, v22, v18
	v_pk_add_f16 v18, v13, v17
	v_pk_add_f16 v13, v13, v19
	v_pk_min_f16 v70, v70, v18
	v_pk_add_f16 v18, v15, v17
	v_pk_min_f16 v136, v12, v13
	v_pk_min_f16 v69, v69, v18
	v_pk_add_f16 v18, v9, v17
	v_pk_add_f16 v9, v9, v19
	v_pk_min_f16 v68, v68, v18
	v_pk_add_f16 v18, v11, v17
	v_pk_add_f16 v12, v15, v19
	;; [unrolled: 3-line block ×3, first 2 shown]
	v_pk_min_f16 v66, v66, v18
	v_pk_add_f16 v18, v7, v17
	v_pk_min_f16 v138, v8, v9
	v_pk_min_f16 v65, v65, v18
	v_pk_add_f16 v18, v1, v17
	v_pk_add_f16 v1, v1, v19
	;; [unrolled: 1-line block ×4, first 2 shown]
	v_pk_min_f16 v140, v4, v5
	v_pk_add_f16 v4, v7, v19
	v_pk_min_f16 v142, v0, v1
	v_pk_add_f16 v0, v3, v19
	v_pk_min_f16 v64, v64, v18
	v_pk_min_f16 v135, v16, v17
	;; [unrolled: 1-line block ×6, first 2 shown]
	ds_read2_b64 v[16:19], v108 offset1:8
	ds_read2_b64 v[8:11], v108 offset0:16 offset1:24
	ds_read2_b64 v[4:7], v108 offset0:32 offset1:40
	ds_read2_b64 v[28:31], v94 offset1:32
	ds_read2_b64 v[0:3], v108 offset0:48 offset1:56
	ds_read2_b64 v[24:27], v94 offset0:64 offset1:96
	;; [unrolled: 1-line block ×4, first 2 shown]
	s_waitcnt lgkmcnt(4)
	v_pk_add_f16 v145, v4, v30
	v_pk_add_f16 v113, v6, v28
	;; [unrolled: 1-line block ×3, first 2 shown]
	v_pk_min_f16 v62, v62, v145
	v_pk_add_f16 v146, v6, v30
	v_pk_min_f16 v55, v55, v113
	v_pk_min_f16 v113, v62, v165
	v_pk_max_f16 v62, v63, v63
	v_pk_add_f16 v112, v4, v28
	v_pk_add_f16 v166, v7, v31
	v_pk_min_f16 v62, v62, v146
	s_waitcnt lgkmcnt(3)
	v_pk_add_f16 v147, v0, v30
	v_pk_min_f16 v53, v53, v112
	v_pk_min_f16 v112, v62, v166
	v_pk_max_f16 v62, v71, v71
	v_pk_add_f16 v106, v16, v28
	v_pk_add_f16 v109, v18, v28
	;; [unrolled: 1-line block ×7, first 2 shown]
	v_pk_min_f16 v62, v62, v147
	v_pk_add_f16 v115, v16, v30
	v_pk_add_f16 v116, v18, v30
	;; [unrolled: 1-line block ×13, first 2 shown]
	v_pk_min_f16 v47, v47, v109
	v_pk_min_f16 v52, v52, v111
	;; [unrolled: 1-line block ×4, first 2 shown]
	v_pk_max_f16 v62, v79, v79
	v_pk_add_f16 v161, v17, v31
	v_pk_add_f16 v162, v19, v31
	v_pk_add_f16 v163, v9, v31
	v_pk_add_f16 v164, v11, v31
	v_pk_add_f16 v31, v3, v31
	v_pk_min_f16 v124, v47, v118
	v_pk_min_f16 v118, v28, v29
	v_pk_max_f16 v29, v58, v58
	v_pk_max_f16 v58, v59, v59
	v_pk_min_f16 v30, v62, v30
	s_waitcnt lgkmcnt(2)
	v_pk_add_f16 v148, v16, v24
	v_pk_min_f16 v46, v46, v106
	v_pk_min_f16 v51, v51, v110
	;; [unrolled: 1-line block ×8, first 2 shown]
	v_pk_max_f16 v30, v90, v90
	v_pk_add_f16 v149, v18, v24
	v_pk_add_f16 v150, v8, v24
	;; [unrolled: 1-line block ×15, first 2 shown]
	v_pk_min_f16 v125, v46, v117
	s_waitcnt lgkmcnt(1)
	v_pk_add_f16 v46, v16, v20
	v_pk_add_f16 v171, v18, v20
	;; [unrolled: 1-line block ×4, first 2 shown]
	v_pk_min_f16 v123, v51, v119
	v_pk_add_f16 v51, v4, v20
	v_pk_add_f16 v173, v6, v20
	v_pk_min_f16 v122, v52, v120
	v_pk_add_f16 v52, v0, v20
	v_pk_add_f16 v20, v2, v20
	;; [unrolled: 3-line block ×5, first 2 shown]
	v_pk_add_f16 v28, v0, v22
	v_pk_add_f16 v22, v2, v22
	v_pk_min_f16 v117, v29, v161
	s_waitcnt lgkmcnt(0)
	v_pk_add_f16 v29, v16, v12
	v_pk_add_f16 v59, v18, v12
	v_pk_min_f16 v116, v58, v162
	v_pk_add_f16 v58, v8, v12
	v_pk_add_f16 v130, v10, v12
	v_pk_min_f16 v115, v60, v163
	;; [unrolled: 3-line block ×3, first 2 shown]
	v_pk_add_f16 v61, v0, v12
	v_pk_add_f16 v12, v2, v12
	;; [unrolled: 1-line block ×9, first 2 shown]
	v_pk_min_f16 v30, v30, v148
	v_pk_add_f16 v31, v17, v25
	v_pk_add_f16 v2, v2, v14
	v_pk_max_f16 v14, v100, v100
	v_pk_min_f16 v109, v30, v31
	v_pk_min_f16 v14, v14, v149
	v_pk_add_f16 v30, v19, v25
	s_nop 0
	v_pk_min_f16 v106, v14, v30
	v_pk_max_f16 v30, v105, v105
	v_pk_add_f16 v14, v9, v25
	v_pk_min_f16 v30, v30, v150
	s_nop 0
	v_pk_min_f16 v105, v30, v14
	v_pk_max_f16 v30, v104, v104
	v_pk_add_f16 v14, v11, v25
	v_pk_min_f16 v30, v30, v151
	;; [unrolled: 5-line block ×5, first 2 shown]
	s_nop 0
	v_pk_min_f16 v101, v30, v14
	v_pk_add_f16 v14, v3, v25
	v_pk_max_f16 v25, v131, v131
	s_nop 0
	v_pk_min_f16 v24, v25, v24
	s_nop 0
	v_pk_min_f16 v100, v24, v14
	v_pk_max_f16 v24, v99, v99
	v_pk_add_f16 v14, v17, v27
	v_pk_min_f16 v24, v24, v155
	s_nop 0
	v_pk_min_f16 v99, v24, v14
	v_pk_max_f16 v24, v98, v98
	v_pk_add_f16 v14, v19, v27
	;; [unrolled: 5-line block ×11, first 2 shown]
	v_pk_min_f16 v24, v24, v47
	v_perm_b32 v47, v50, v49, s28
	v_pk_min_f16 v86, v24, v14
	v_pk_max_f16 v24, v85, v85
	v_pk_add_f16 v14, v11, v21
	v_pk_min_f16 v24, v24, v172
	s_nop 0
	v_pk_min_f16 v85, v24, v14
	v_pk_max_f16 v24, v84, v84
	v_pk_add_f16 v14, v5, v21
	v_pk_min_f16 v24, v24, v51
	s_nop 0
	;; [unrolled: 5-line block ×4, first 2 shown]
	v_pk_min_f16 v80, v24, v14
	v_pk_add_f16 v14, v3, v21
	v_pk_max_f16 v21, v133, v133
	s_nop 0
	v_pk_min_f16 v20, v21, v20
	s_nop 0
	v_pk_min_f16 v79, v20, v14
	v_pk_max_f16 v20, v78, v78
	v_pk_add_f16 v14, v17, v23
	v_pk_min_f16 v20, v20, v53
	s_nop 0
	v_pk_min_f16 v78, v20, v14
	v_pk_max_f16 v20, v77, v77
	v_pk_add_f16 v14, v19, v23
	;; [unrolled: 5-line block ×11, first 2 shown]
	v_pk_min_f16 v20, v20, v58
	v_pk_add_f16 v9, v9, v15
	v_pk_min_f16 v68, v20, v14
	v_pk_max_f16 v20, v67, v67
	v_pk_add_f16 v14, v11, v13
	v_pk_min_f16 v20, v20, v130
	s_nop 0
	v_pk_min_f16 v67, v20, v14
	v_pk_max_f16 v20, v66, v66
	v_pk_add_f16 v14, v5, v13
	v_pk_min_f16 v20, v20, v60
	v_pk_add_f16 v5, v5, v15
	v_pk_min_f16 v66, v20, v14
	v_pk_max_f16 v20, v65, v65
	v_pk_add_f16 v14, v7, v13
	v_pk_min_f16 v20, v20, v144
	s_nop 0
	v_pk_min_f16 v65, v20, v14
	v_pk_max_f16 v20, v64, v64
	v_pk_add_f16 v14, v1, v13
	;; [unrolled: 10-line block ×3, first 2 shown]
	v_pk_min_f16 v13, v13, v16
	s_nop 0
	v_pk_min_f16 v62, v13, v12
	v_pk_max_f16 v13, v137, v137
	v_pk_add_f16 v12, v19, v15
	v_pk_min_f16 v13, v13, v18
	s_nop 0
	v_pk_min_f16 v61, v13, v12
	v_pk_max_f16 v12, v138, v138
	s_nop 0
	v_pk_min_f16 v8, v12, v8
	s_nop 0
	v_pk_min_f16 v59, v8, v9
	v_pk_max_f16 v9, v139, v139
	v_pk_add_f16 v8, v11, v15
	v_pk_min_f16 v9, v9, v10
	s_nop 0
	v_pk_min_f16 v58, v9, v8
	v_pk_max_f16 v8, v140, v140
	s_nop 0
	;; [unrolled: 10-line block ×3, first 2 shown]
	v_pk_min_f16 v0, v4, v0
	s_nop 0
	v_pk_min_f16 v56, v0, v1
	v_pk_max_f16 v1, v143, v143
	v_pk_add_f16 v0, v3, v15
	v_pk_min_f16 v1, v1, v2
	s_nop 0
	v_pk_min_f16 v60, v1, v0
	v_add_u32_e32 v0, 0x1200, v107
	ds_write_b16 v0, v129
	ds_write_b16 v126, v48
	ds_write_b16_d16_hi v126, v48 offset:512
	ds_write_b16 v126, v49 offset:1024
	ds_write_b16 v126, v50 offset:1536
	s_waitcnt lgkmcnt(0)
	s_barrier
	s_cbranch_scc0 .LBB270_27
.LBB270_48:
	s_load_dword s6, s[0:1], 0x58
	ds_read_b64 v[30:31], v96 offset:4608
	ds_read_b64 v[46:47], v94 offset:2048
	v_add_u32_e32 v52, s26, v83
	v_cmp_neq_f16_e64 s[4:5], 0, v54
	v_add_u32_e32 v28, s21, v82
	s_waitcnt lgkmcnt(0)
	v_mad_i64_i32 v[0:1], s[2:3], v52, s6, 0
	v_ashrrev_i32_e32 v29, 31, v28
	v_lshl_add_u64 v[48:49], v[0:1], 1, s[10:11]
	v_mov_b32_e32 v34, 0
	s_and_b64 vcc, exec, s[4:5]
	v_mov_b32_e32 v35, 0
	s_cbranch_vccz .LBB270_50
; %bb.49:
	v_lshl_add_u64 v[0:1], v[28:29], 1, v[48:49]
	global_load_ushort v0, v[0:1], off
	s_waitcnt vmcnt(0)
	v_mul_f16_e32 v0, v54, v0
	v_cvt_f32_f16_e32 v35, v0
.LBB270_50:
	v_add_u32_e32 v0, 0x1000, v96
	v_pk_add_f16 v32, v30, v46
	v_max_f16_e32 v33, v125, v125
	v_pk_add_f16 v37, v31, v47
	ds_read2_b64 v[8:11], v0 offset0:72 offset1:80
	ds_read2_b64 v[4:7], v0 offset0:88 offset1:96
	ds_read2_b64 v[0:3], v0 offset0:104 offset1:112
	ds_read_b64 v[24:25], v96 offset:5056
	s_load_dword s7, s[0:1], 0x70
	s_load_dwordx2 s[2:3], s[0:1], 0x78
	v_min_f16_e32 v36, v33, v32
	v_lshrrev_b32_e32 v33, 16, v125
	v_lshrrev_b32_e32 v32, 16, v32
	;; [unrolled: 1-line block ×3, first 2 shown]
	v_min3_f16 v38, v33, v32, v38
	v_min3_f16 v36, v36, v37, v38
	v_cvt_f32_f16_e32 v38, v36
	v_add_u32_e32 v12, 0x800, v94
	ds_read2_b64 v[20:23], v12 offset0:32 offset1:64
	ds_read2_b64 v[16:19], v12 offset0:96 offset1:128
	;; [unrolled: 1-line block ×3, first 2 shown]
	ds_read_b64 v[26:27], v94 offset:3840
	s_waitcnt lgkmcnt(0)
	s_mul_i32 s0, s3, s20
	s_mul_hi_u32 s1, s2, s20
	s_add_i32 s1, s1, s0
	s_mul_i32 s0, s2, s20
	v_max_f32_e32 v35, v35, v35
	s_lshl_b64 s[0:1], s[0:1], 1
	v_min_f32_e32 v35, v35, v38
	s_add_u32 s2, s14, s0
	v_cvt_f16_f32_e32 v35, v35
	s_addc_u32 s3, s15, s1
	v_mad_i64_i32 v[36:37], s[0:1], v52, s7, 0
	v_add_u32_e32 v32, 8, v28
	v_lshl_add_u64 v[50:51], v[36:37], 1, s[2:3]
	v_cndmask_b32_e64 v38, 0, 1, s[4:5]
	v_ashrrev_i32_e32 v33, 31, v32
	v_lshl_add_u64 v[36:37], v[28:29], 1, v[50:51]
	v_cmp_ne_u32_e64 s[0:1], 1, v38
	s_andn2_b64 vcc, exec, s[4:5]
	global_store_short v[36:37], v35, off
	s_cbranch_vccnz .LBB270_52
; %bb.51:
	v_lshl_add_u64 v[34:35], v[32:33], 1, v[48:49]
	global_load_ushort v34, v[34:35], off
	s_waitcnt vmcnt(0)
	v_mul_f16_e32 v34, v54, v34
	v_cvt_f32_f16_e32 v34, v34
.LBB270_52:
	v_pk_add_f16 v35, v8, v46
	v_max_f16_e32 v36, v124, v124
	v_pk_add_f16 v38, v9, v47
	v_min_f16_e32 v36, v36, v35
	v_lshrrev_b32_e32 v37, 16, v124
	v_lshrrev_b32_e32 v35, 16, v35
	v_lshrrev_b32_e32 v39, 16, v38
	v_min3_f16 v35, v37, v35, v39
	v_min3_f16 v35, v36, v38, v35
	v_cvt_f32_f16_e32 v35, v35
	v_max_f32_e32 v34, v34, v34
	v_lshl_add_u64 v[36:37], v[32:33], 1, v[50:51]
	s_and_b64 vcc, exec, s[0:1]
	v_min_f32_e32 v34, v34, v35
	v_cvt_f16_f32_e32 v38, v34
	v_add_u32_e32 v34, 16, v28
	v_ashrrev_i32_e32 v35, 31, v34
	global_store_short v[36:37], v38, off
	v_mov_b32_e32 v38, 0
	v_mov_b32_e32 v37, 0
	s_cbranch_vccnz .LBB270_54
; %bb.53:
	v_lshl_add_u64 v[36:37], v[34:35], 1, v[48:49]
	global_load_ushort v36, v[36:37], off
	s_waitcnt vmcnt(0)
	v_mul_f16_e32 v36, v54, v36
	v_cvt_f32_f16_e32 v37, v36
.LBB270_54:
	v_pk_add_f16 v36, v10, v46
	v_max_f16_e32 v39, v123, v123
	v_pk_add_f16 v41, v11, v47
	v_min_f16_e32 v39, v39, v36
	v_lshrrev_b32_e32 v40, 16, v123
	v_lshrrev_b32_e32 v36, 16, v36
	;; [unrolled: 1-line block ×3, first 2 shown]
	v_min3_f16 v36, v40, v36, v42
	v_min3_f16 v36, v39, v41, v36
	v_cvt_f32_f16_e32 v39, v36
	v_max_f32_e32 v37, v37, v37
	v_add_u32_e32 v36, 24, v28
	v_lshl_add_u64 v[40:41], v[34:35], 1, v[50:51]
	v_min_f32_e32 v37, v37, v39
	v_cvt_f16_f32_e32 v39, v37
	v_ashrrev_i32_e32 v37, 31, v36
	s_and_b64 vcc, exec, s[0:1]
	global_store_short v[40:41], v39, off
	s_cbranch_vccnz .LBB270_56
; %bb.55:
	v_lshl_add_u64 v[38:39], v[36:37], 1, v[48:49]
	global_load_ushort v38, v[38:39], off
	s_waitcnt vmcnt(0)
	v_mul_f16_e32 v38, v54, v38
	v_cvt_f32_f16_e32 v38, v38
.LBB270_56:
	v_pk_add_f16 v39, v4, v46
	v_max_f16_e32 v40, v122, v122
	v_pk_add_f16 v42, v5, v47
	v_min_f16_e32 v40, v40, v39
	v_lshrrev_b32_e32 v41, 16, v122
	v_lshrrev_b32_e32 v39, 16, v39
	;; [unrolled: 1-line block ×3, first 2 shown]
	v_min3_f16 v39, v41, v39, v43
	v_min3_f16 v39, v40, v42, v39
	v_cvt_f32_f16_e32 v39, v39
	v_max_f32_e32 v38, v38, v38
	v_add_u32_e32 v40, 32, v28
	v_ashrrev_i32_e32 v41, 31, v40
	v_min_f32_e32 v38, v38, v39
	v_cvt_f16_f32_e32 v42, v38
	v_lshl_add_u64 v[38:39], v[36:37], 1, v[50:51]
	s_and_b64 vcc, exec, s[0:1]
	global_store_short v[38:39], v42, off
	v_mov_b32_e32 v42, 0
	v_mov_b32_e32 v39, 0
	s_cbranch_vccnz .LBB270_58
; %bb.57:
	v_lshl_add_u64 v[38:39], v[40:41], 1, v[48:49]
	global_load_ushort v38, v[38:39], off
	s_waitcnt vmcnt(0)
	v_mul_f16_e32 v38, v54, v38
	v_cvt_f32_f16_e32 v39, v38
.LBB270_58:
	v_pk_add_f16 v38, v6, v46
	v_max_f16_e32 v43, v121, v121
	v_pk_add_f16 v45, v7, v47
	v_min_f16_e32 v43, v43, v38
	v_lshrrev_b32_e32 v44, 16, v121
	v_lshrrev_b32_e32 v38, 16, v38
	;; [unrolled: 1-line block ×3, first 2 shown]
	v_min3_f16 v38, v44, v38, v53
	v_min3_f16 v38, v43, v45, v38
	v_cvt_f32_f16_e32 v43, v38
	v_max_f32_e32 v39, v39, v39
	v_add_u32_e32 v38, 40, v28
	v_lshl_add_u64 v[44:45], v[40:41], 1, v[50:51]
	v_min_f32_e32 v39, v39, v43
	v_cvt_f16_f32_e32 v43, v39
	v_ashrrev_i32_e32 v39, 31, v38
	s_and_b64 vcc, exec, s[0:1]
	global_store_short v[44:45], v43, off
	s_cbranch_vccnz .LBB270_60
; %bb.59:
	v_lshl_add_u64 v[42:43], v[38:39], 1, v[48:49]
	global_load_ushort v42, v[42:43], off
	s_waitcnt vmcnt(0)
	v_mul_f16_e32 v42, v54, v42
	v_cvt_f32_f16_e32 v42, v42
.LBB270_60:
	v_pk_add_f16 v43, v0, v46
	v_max_f16_e32 v44, v120, v120
	v_pk_add_f16 v53, v1, v47
	v_min_f16_e32 v44, v44, v43
	v_lshrrev_b32_e32 v45, 16, v120
	v_lshrrev_b32_e32 v43, 16, v43
	;; [unrolled: 1-line block ×3, first 2 shown]
	v_min3_f16 v43, v45, v43, v82
	v_min3_f16 v43, v44, v53, v43
	v_cvt_f32_f16_e32 v43, v43
	v_max_f32_e32 v42, v42, v42
	v_lshl_add_u64 v[44:45], v[38:39], 1, v[50:51]
	s_and_b64 vcc, exec, s[0:1]
	v_min_f32_e32 v42, v42, v43
	v_cvt_f16_f32_e32 v53, v42
	v_add_u32_e32 v42, 48, v28
	v_ashrrev_i32_e32 v43, 31, v42
	global_store_short v[44:45], v53, off
	v_mov_b32_e32 v53, 0
	v_mov_b32_e32 v45, 0
	s_cbranch_vccnz .LBB270_62
; %bb.61:
	v_lshl_add_u64 v[44:45], v[42:43], 1, v[48:49]
	global_load_ushort v44, v[44:45], off
	s_waitcnt vmcnt(0)
	v_mul_f16_e32 v44, v54, v44
	v_cvt_f32_f16_e32 v45, v44
.LBB270_62:
	v_pk_add_f16 v44, v2, v46
	v_max_f16_e32 v82, v119, v119
	v_pk_add_f16 v88, v3, v47
	v_min_f16_e32 v82, v82, v44
	v_lshrrev_b32_e32 v83, 16, v119
	v_lshrrev_b32_e32 v44, 16, v44
	;; [unrolled: 1-line block ×3, first 2 shown]
	v_min3_f16 v44, v83, v44, v94
	v_min3_f16 v44, v82, v88, v44
	v_cvt_f32_f16_e32 v82, v44
	v_max_f32_e32 v45, v45, v45
	v_add_u32_e32 v44, 56, v28
	s_and_b64 vcc, exec, s[0:1]
	v_min_f32_e32 v45, v45, v82
	v_cvt_f16_f32_e32 v88, v45
	v_ashrrev_i32_e32 v45, 31, v44
	v_lshl_add_u64 v[82:83], v[42:43], 1, v[50:51]
	global_store_short v[82:83], v88, off
	s_cbranch_vccnz .LBB270_64
; %bb.63:
	v_lshl_add_u64 v[48:49], v[44:45], 1, v[48:49]
	global_load_ushort v48, v[48:49], off
	s_waitcnt vmcnt(0)
	v_mul_f16_e32 v48, v54, v48
	v_cvt_f32_f16_e32 v53, v48
.LBB270_64:
	v_pk_add_f16 v46, v24, v46
	v_max_f16_e32 v48, v118, v118
	v_pk_add_f16 v47, v25, v47
	v_min_f16_e32 v48, v48, v46
	v_lshrrev_b32_e32 v49, 16, v118
	v_lshrrev_b32_e32 v46, 16, v46
	;; [unrolled: 1-line block ×3, first 2 shown]
	v_min3_f16 v46, v49, v46, v82
	v_min3_f16 v46, v48, v47, v46
	v_cvt_f32_f16_e32 v46, v46
	v_max_f32_e32 v47, v53, v53
	s_and_b64 vcc, exec, s[0:1]
	v_mov_b32_e32 v49, 0
	v_min_f32_e32 v46, v47, v46
	v_cvt_f16_f32_e32 v48, v46
	v_lshl_add_u64 v[46:47], v[44:45], 1, v[50:51]
	v_mov_b32_e32 v50, 0
	global_store_short v[46:47], v48, off
	v_add_u32_e32 v48, 32, v52
	v_mad_i64_i32 v[46:47], s[4:5], v48, s6, 0
	v_lshl_add_u64 v[46:47], v[46:47], 1, s[10:11]
	s_cbranch_vccnz .LBB270_66
; %bb.65:
	v_lshl_add_u64 v[82:83], v[28:29], 1, v[46:47]
	global_load_ushort v49, v[82:83], off
	s_waitcnt vmcnt(0)
	v_mul_f16_e32 v49, v54, v49
	v_cvt_f32_f16_e32 v49, v49
.LBB270_66:
	v_pk_add_f16 v51, v30, v20
	v_max_f16_e32 v53, v117, v117
	v_pk_add_f16 v83, v31, v21
	v_min_f16_e32 v53, v53, v51
	v_lshrrev_b32_e32 v82, 16, v117
	v_lshrrev_b32_e32 v51, 16, v51
	;; [unrolled: 1-line block ×3, first 2 shown]
	v_min3_f16 v51, v82, v51, v88
	v_min3_f16 v51, v53, v83, v51
	v_cvt_f32_f16_e32 v51, v51
	v_mad_i64_i32 v[82:83], s[4:5], v48, s7, 0
	v_max_f32_e32 v48, v49, v49
	v_min_f32_e32 v48, v48, v51
	v_cvt_f16_f32_e32 v51, v48
	v_lshl_add_u64 v[48:49], v[82:83], 1, s[2:3]
	v_lshl_add_u64 v[82:83], v[28:29], 1, v[48:49]
	s_and_b64 vcc, exec, s[0:1]
	global_store_short v[82:83], v51, off
	s_cbranch_vccnz .LBB270_68
; %bb.67:
	v_lshl_add_u64 v[50:51], v[32:33], 1, v[46:47]
	global_load_ushort v50, v[50:51], off
	s_waitcnt vmcnt(0)
	v_mul_f16_e32 v50, v54, v50
	v_cvt_f32_f16_e32 v50, v50
.LBB270_68:
	v_pk_add_f16 v51, v8, v20
	v_max_f16_e32 v53, v116, v116
	v_pk_add_f16 v83, v9, v21
	v_min_f16_e32 v53, v53, v51
	v_lshrrev_b32_e32 v82, 16, v116
	v_lshrrev_b32_e32 v51, 16, v51
	v_lshrrev_b32_e32 v88, 16, v83
	v_min3_f16 v51, v82, v51, v88
	v_min3_f16 v51, v53, v83, v51
	v_cvt_f32_f16_e32 v51, v51
	v_max_f32_e32 v50, v50, v50
	s_and_b64 vcc, exec, s[0:1]
	v_min_f32_e32 v50, v50, v51
	v_cvt_f16_f32_e32 v53, v50
	v_lshl_add_u64 v[50:51], v[32:33], 1, v[48:49]
	global_store_short v[50:51], v53, off
	v_mov_b32_e32 v50, 0
	v_mov_b32_e32 v51, 0
	s_cbranch_vccnz .LBB270_70
; %bb.69:
	v_lshl_add_u64 v[82:83], v[34:35], 1, v[46:47]
	global_load_ushort v51, v[82:83], off
	s_waitcnt vmcnt(0)
	v_mul_f16_e32 v51, v54, v51
	v_cvt_f32_f16_e32 v51, v51
.LBB270_70:
	v_pk_add_f16 v53, v10, v20
	v_max_f16_e32 v82, v115, v115
	v_pk_add_f16 v88, v11, v21
	v_min_f16_e32 v82, v82, v53
	v_lshrrev_b32_e32 v83, 16, v115
	v_lshrrev_b32_e32 v53, 16, v53
	v_lshrrev_b32_e32 v94, 16, v88
	v_min3_f16 v53, v83, v53, v94
	v_min3_f16 v53, v82, v88, v53
	v_cvt_f32_f16_e32 v53, v53
	v_max_f32_e32 v51, v51, v51
	v_lshl_add_u64 v[82:83], v[34:35], 1, v[48:49]
	s_and_b64 vcc, exec, s[0:1]
	v_min_f32_e32 v51, v51, v53
	v_cvt_f16_f32_e32 v51, v51
	global_store_short v[82:83], v51, off
	s_cbranch_vccnz .LBB270_72
; %bb.71:
	v_lshl_add_u64 v[50:51], v[36:37], 1, v[46:47]
	global_load_ushort v50, v[50:51], off
	s_waitcnt vmcnt(0)
	v_mul_f16_e32 v50, v54, v50
	v_cvt_f32_f16_e32 v50, v50
.LBB270_72:
	v_pk_add_f16 v51, v4, v20
	v_max_f16_e32 v53, v114, v114
	v_pk_add_f16 v83, v5, v21
	v_min_f16_e32 v53, v53, v51
	v_lshrrev_b32_e32 v82, 16, v114
	v_lshrrev_b32_e32 v51, 16, v51
	v_lshrrev_b32_e32 v88, 16, v83
	v_min3_f16 v51, v82, v51, v88
	v_min3_f16 v51, v53, v83, v51
	v_cvt_f32_f16_e32 v51, v51
	v_max_f32_e32 v50, v50, v50
	s_and_b64 vcc, exec, s[0:1]
	v_min_f32_e32 v50, v50, v51
	v_cvt_f16_f32_e32 v53, v50
	v_lshl_add_u64 v[50:51], v[36:37], 1, v[48:49]
	global_store_short v[50:51], v53, off
	v_mov_b32_e32 v50, 0
	v_mov_b32_e32 v51, 0
	s_cbranch_vccnz .LBB270_74
; %bb.73:
	v_lshl_add_u64 v[82:83], v[40:41], 1, v[46:47]
	global_load_ushort v51, v[82:83], off
	s_waitcnt vmcnt(0)
	v_mul_f16_e32 v51, v54, v51
	v_cvt_f32_f16_e32 v51, v51
.LBB270_74:
	v_pk_add_f16 v53, v6, v20
	v_max_f16_e32 v82, v113, v113
	v_pk_add_f16 v88, v7, v21
	v_min_f16_e32 v82, v82, v53
	v_lshrrev_b32_e32 v83, 16, v113
	v_lshrrev_b32_e32 v53, 16, v53
	v_lshrrev_b32_e32 v94, 16, v88
	v_min3_f16 v53, v83, v53, v94
	v_min3_f16 v53, v82, v88, v53
	v_cvt_f32_f16_e32 v53, v53
	v_max_f32_e32 v51, v51, v51
	v_lshl_add_u64 v[82:83], v[40:41], 1, v[48:49]
	s_and_b64 vcc, exec, s[0:1]
	v_min_f32_e32 v51, v51, v53
	v_cvt_f16_f32_e32 v51, v51
	;; [unrolled: 50-line block ×3, first 2 shown]
	global_store_short v[82:83], v51, off
	s_cbranch_vccnz .LBB270_80
; %bb.79:
	v_lshl_add_u64 v[46:47], v[44:45], 1, v[46:47]
	global_load_ushort v46, v[46:47], off
	s_waitcnt vmcnt(0)
	v_mul_f16_e32 v46, v54, v46
	v_cvt_f32_f16_e32 v50, v46
.LBB270_80:
	v_pk_add_f16 v20, v24, v20
	v_max_f16_e32 v46, v110, v110
	v_pk_add_f16 v21, v25, v21
	v_min_f16_e32 v46, v46, v20
	v_lshrrev_b32_e32 v47, 16, v110
	v_lshrrev_b32_e32 v20, 16, v20
	v_lshrrev_b32_e32 v51, 16, v21
	v_min3_f16 v20, v47, v20, v51
	v_min3_f16 v20, v46, v21, v20
	v_cvt_f32_f16_e32 v20, v20
	v_max_f32_e32 v21, v50, v50
	s_and_b64 vcc, exec, s[0:1]
	v_mov_b32_e32 v47, 0
	v_min_f32_e32 v20, v21, v20
	v_cvt_f16_f32_e32 v46, v20
	v_lshl_add_u64 v[20:21], v[44:45], 1, v[48:49]
	v_mov_b32_e32 v48, 0
	global_store_short v[20:21], v46, off
	v_add_u32_e32 v46, 64, v52
	v_mad_i64_i32 v[20:21], s[4:5], v46, s6, 0
	v_lshl_add_u64 v[20:21], v[20:21], 1, s[10:11]
	s_cbranch_vccnz .LBB270_82
; %bb.81:
	v_lshl_add_u64 v[50:51], v[28:29], 1, v[20:21]
	global_load_ushort v47, v[50:51], off
	s_waitcnt vmcnt(0)
	v_mul_f16_e32 v47, v54, v47
	v_cvt_f32_f16_e32 v47, v47
.LBB270_82:
	v_pk_add_f16 v49, v30, v22
	v_max_f16_e32 v50, v109, v109
	v_pk_add_f16 v53, v31, v23
	v_min_f16_e32 v50, v50, v49
	v_lshrrev_b32_e32 v51, 16, v109
	v_lshrrev_b32_e32 v49, 16, v49
	;; [unrolled: 1-line block ×3, first 2 shown]
	v_min3_f16 v49, v51, v49, v82
	v_min3_f16 v49, v50, v53, v49
	v_cvt_f32_f16_e32 v49, v49
	v_mad_i64_i32 v[50:51], s[4:5], v46, s7, 0
	v_max_f32_e32 v46, v47, v47
	v_min_f32_e32 v46, v46, v49
	v_cvt_f16_f32_e32 v49, v46
	v_lshl_add_u64 v[46:47], v[50:51], 1, s[2:3]
	v_lshl_add_u64 v[50:51], v[28:29], 1, v[46:47]
	s_and_b64 vcc, exec, s[0:1]
	global_store_short v[50:51], v49, off
	s_cbranch_vccnz .LBB270_84
; %bb.83:
	v_lshl_add_u64 v[48:49], v[32:33], 1, v[20:21]
	global_load_ushort v48, v[48:49], off
	s_waitcnt vmcnt(0)
	v_mul_f16_e32 v48, v54, v48
	v_cvt_f32_f16_e32 v48, v48
.LBB270_84:
	v_pk_add_f16 v49, v8, v22
	v_max_f16_e32 v50, v106, v106
	v_pk_add_f16 v53, v9, v23
	v_min_f16_e32 v50, v50, v49
	v_lshrrev_b32_e32 v51, 16, v106
	v_lshrrev_b32_e32 v49, 16, v49
	v_lshrrev_b32_e32 v82, 16, v53
	v_min3_f16 v49, v51, v49, v82
	v_min3_f16 v49, v50, v53, v49
	v_cvt_f32_f16_e32 v49, v49
	v_max_f32_e32 v48, v48, v48
	s_and_b64 vcc, exec, s[0:1]
	v_min_f32_e32 v48, v48, v49
	v_cvt_f16_f32_e32 v50, v48
	v_lshl_add_u64 v[48:49], v[32:33], 1, v[46:47]
	global_store_short v[48:49], v50, off
	v_mov_b32_e32 v48, 0
	v_mov_b32_e32 v49, 0
	s_cbranch_vccnz .LBB270_86
; %bb.85:
	v_lshl_add_u64 v[50:51], v[34:35], 1, v[20:21]
	global_load_ushort v49, v[50:51], off
	s_waitcnt vmcnt(0)
	v_mul_f16_e32 v49, v54, v49
	v_cvt_f32_f16_e32 v49, v49
.LBB270_86:
	v_pk_add_f16 v50, v10, v22
	v_max_f16_e32 v51, v105, v105
	v_pk_add_f16 v82, v11, v23
	v_min_f16_e32 v51, v51, v50
	v_lshrrev_b32_e32 v53, 16, v105
	v_lshrrev_b32_e32 v50, 16, v50
	v_lshrrev_b32_e32 v83, 16, v82
	v_min3_f16 v50, v53, v50, v83
	v_min3_f16 v50, v51, v82, v50
	v_cvt_f32_f16_e32 v50, v50
	v_max_f32_e32 v49, v49, v49
	s_and_b64 vcc, exec, s[0:1]
	v_min_f32_e32 v49, v49, v50
	v_cvt_f16_f32_e32 v49, v49
	v_lshl_add_u64 v[50:51], v[34:35], 1, v[46:47]
	global_store_short v[50:51], v49, off
	s_cbranch_vccnz .LBB270_88
; %bb.87:
	v_lshl_add_u64 v[48:49], v[36:37], 1, v[20:21]
	global_load_ushort v48, v[48:49], off
	s_waitcnt vmcnt(0)
	v_mul_f16_e32 v48, v54, v48
	v_cvt_f32_f16_e32 v48, v48
.LBB270_88:
	v_pk_add_f16 v49, v4, v22
	v_max_f16_e32 v50, v104, v104
	v_pk_add_f16 v53, v5, v23
	v_min_f16_e32 v50, v50, v49
	v_lshrrev_b32_e32 v51, 16, v104
	v_lshrrev_b32_e32 v49, 16, v49
	v_lshrrev_b32_e32 v82, 16, v53
	v_min3_f16 v49, v51, v49, v82
	v_min3_f16 v49, v50, v53, v49
	v_cvt_f32_f16_e32 v49, v49
	v_max_f32_e32 v48, v48, v48
	s_and_b64 vcc, exec, s[0:1]
	v_min_f32_e32 v48, v48, v49
	v_cvt_f16_f32_e32 v50, v48
	v_lshl_add_u64 v[48:49], v[36:37], 1, v[46:47]
	global_store_short v[48:49], v50, off
	v_mov_b32_e32 v48, 0
	v_mov_b32_e32 v49, 0
	s_cbranch_vccnz .LBB270_90
; %bb.89:
	v_lshl_add_u64 v[50:51], v[40:41], 1, v[20:21]
	global_load_ushort v49, v[50:51], off
	s_waitcnt vmcnt(0)
	v_mul_f16_e32 v49, v54, v49
	v_cvt_f32_f16_e32 v49, v49
.LBB270_90:
	v_pk_add_f16 v50, v6, v22
	v_max_f16_e32 v51, v103, v103
	v_pk_add_f16 v82, v7, v23
	v_min_f16_e32 v51, v51, v50
	v_lshrrev_b32_e32 v53, 16, v103
	v_lshrrev_b32_e32 v50, 16, v50
	v_lshrrev_b32_e32 v83, 16, v82
	v_min3_f16 v50, v53, v50, v83
	v_min3_f16 v50, v51, v82, v50
	v_cvt_f32_f16_e32 v50, v50
	v_max_f32_e32 v49, v49, v49
	s_and_b64 vcc, exec, s[0:1]
	v_min_f32_e32 v49, v49, v50
	v_cvt_f16_f32_e32 v49, v49
	v_lshl_add_u64 v[50:51], v[40:41], 1, v[46:47]
	;; [unrolled: 50-line block ×3, first 2 shown]
	global_store_short v[50:51], v49, off
	s_cbranch_vccnz .LBB270_96
; %bb.95:
	v_lshl_add_u64 v[20:21], v[44:45], 1, v[20:21]
	global_load_ushort v20, v[20:21], off
	s_waitcnt vmcnt(0)
	v_mul_f16_e32 v20, v54, v20
	v_cvt_f32_f16_e32 v48, v20
.LBB270_96:
	v_pk_add_f16 v20, v24, v22
	v_max_f16_e32 v21, v100, v100
	v_pk_add_f16 v23, v25, v23
	v_min_f16_e32 v21, v21, v20
	v_lshrrev_b32_e32 v22, 16, v100
	v_lshrrev_b32_e32 v20, 16, v20
	v_lshrrev_b32_e32 v49, 16, v23
	v_min3_f16 v20, v22, v20, v49
	v_min3_f16 v20, v21, v23, v20
	v_cvt_f32_f16_e32 v20, v20
	v_max_f32_e32 v21, v48, v48
	s_and_b64 vcc, exec, s[0:1]
	v_mov_b32_e32 v23, 0
	v_min_f32_e32 v20, v21, v20
	v_cvt_f16_f32_e32 v22, v20
	v_lshl_add_u64 v[20:21], v[44:45], 1, v[46:47]
	v_mov_b32_e32 v46, 0
	global_store_short v[20:21], v22, off
	v_add_u32_e32 v22, 0x60, v52
	v_mad_i64_i32 v[20:21], s[4:5], v22, s6, 0
	v_lshl_add_u64 v[20:21], v[20:21], 1, s[10:11]
	s_cbranch_vccnz .LBB270_98
; %bb.97:
	v_lshl_add_u64 v[48:49], v[28:29], 1, v[20:21]
	global_load_ushort v23, v[48:49], off
	s_waitcnt vmcnt(0)
	v_mul_f16_e32 v23, v54, v23
	v_cvt_f32_f16_e32 v23, v23
.LBB270_98:
	v_pk_add_f16 v47, v30, v16
	v_max_f16_e32 v48, v99, v99
	v_pk_add_f16 v50, v31, v17
	v_min_f16_e32 v48, v48, v47
	v_lshrrev_b32_e32 v49, 16, v99
	v_lshrrev_b32_e32 v47, 16, v47
	v_lshrrev_b32_e32 v51, 16, v50
	v_min3_f16 v47, v49, v47, v51
	v_min3_f16 v47, v48, v50, v47
	v_cvt_f32_f16_e32 v47, v47
	v_mad_i64_i32 v[48:49], s[4:5], v22, s7, 0
	v_max_f32_e32 v22, v23, v23
	v_min_f32_e32 v22, v22, v47
	v_cvt_f16_f32_e32 v47, v22
	v_lshl_add_u64 v[22:23], v[48:49], 1, s[2:3]
	v_lshl_add_u64 v[48:49], v[28:29], 1, v[22:23]
	s_and_b64 vcc, exec, s[0:1]
	global_store_short v[48:49], v47, off
	s_cbranch_vccnz .LBB270_100
; %bb.99:
	v_lshl_add_u64 v[46:47], v[32:33], 1, v[20:21]
	global_load_ushort v46, v[46:47], off
	s_waitcnt vmcnt(0)
	v_mul_f16_e32 v46, v54, v46
	v_cvt_f32_f16_e32 v46, v46
.LBB270_100:
	v_pk_add_f16 v47, v8, v16
	v_max_f16_e32 v48, v98, v98
	v_pk_add_f16 v50, v9, v17
	v_min_f16_e32 v48, v48, v47
	v_lshrrev_b32_e32 v49, 16, v98
	v_lshrrev_b32_e32 v47, 16, v47
	v_lshrrev_b32_e32 v51, 16, v50
	v_min3_f16 v47, v49, v47, v51
	v_min3_f16 v47, v48, v50, v47
	v_cvt_f32_f16_e32 v47, v47
	v_max_f32_e32 v46, v46, v46
	s_and_b64 vcc, exec, s[0:1]
	v_min_f32_e32 v46, v46, v47
	v_cvt_f16_f32_e32 v48, v46
	v_lshl_add_u64 v[46:47], v[32:33], 1, v[22:23]
	global_store_short v[46:47], v48, off
	v_mov_b32_e32 v46, 0
	v_mov_b32_e32 v47, 0
	s_cbranch_vccnz .LBB270_102
; %bb.101:
	v_lshl_add_u64 v[48:49], v[34:35], 1, v[20:21]
	global_load_ushort v47, v[48:49], off
	s_waitcnt vmcnt(0)
	v_mul_f16_e32 v47, v54, v47
	v_cvt_f32_f16_e32 v47, v47
.LBB270_102:
	v_pk_add_f16 v48, v10, v16
	v_max_f16_e32 v49, v97, v97
	v_pk_add_f16 v51, v11, v17
	v_min_f16_e32 v49, v49, v48
	v_lshrrev_b32_e32 v50, 16, v97
	v_lshrrev_b32_e32 v48, 16, v48
	v_lshrrev_b32_e32 v53, 16, v51
	v_min3_f16 v48, v50, v48, v53
	v_min3_f16 v48, v49, v51, v48
	v_cvt_f32_f16_e32 v48, v48
	v_max_f32_e32 v47, v47, v47
	s_and_b64 vcc, exec, s[0:1]
	v_min_f32_e32 v47, v47, v48
	v_cvt_f16_f32_e32 v47, v47
	v_lshl_add_u64 v[48:49], v[34:35], 1, v[22:23]
	global_store_short v[48:49], v47, off
	s_cbranch_vccnz .LBB270_104
; %bb.103:
	v_lshl_add_u64 v[46:47], v[36:37], 1, v[20:21]
	global_load_ushort v46, v[46:47], off
	s_waitcnt vmcnt(0)
	v_mul_f16_e32 v46, v54, v46
	v_cvt_f32_f16_e32 v46, v46
.LBB270_104:
	v_pk_add_f16 v47, v4, v16
	v_max_f16_e32 v48, v95, v95
	v_pk_add_f16 v50, v5, v17
	v_min_f16_e32 v48, v48, v47
	v_lshrrev_b32_e32 v49, 16, v95
	v_lshrrev_b32_e32 v47, 16, v47
	v_lshrrev_b32_e32 v51, 16, v50
	v_min3_f16 v47, v49, v47, v51
	v_min3_f16 v47, v48, v50, v47
	v_cvt_f32_f16_e32 v47, v47
	v_max_f32_e32 v46, v46, v46
	s_and_b64 vcc, exec, s[0:1]
	v_min_f32_e32 v46, v46, v47
	v_cvt_f16_f32_e32 v48, v46
	v_lshl_add_u64 v[46:47], v[36:37], 1, v[22:23]
	global_store_short v[46:47], v48, off
	v_mov_b32_e32 v46, 0
	v_mov_b32_e32 v47, 0
	s_cbranch_vccnz .LBB270_106
; %bb.105:
	v_lshl_add_u64 v[48:49], v[40:41], 1, v[20:21]
	global_load_ushort v47, v[48:49], off
	s_waitcnt vmcnt(0)
	v_mul_f16_e32 v47, v54, v47
	v_cvt_f32_f16_e32 v47, v47
.LBB270_106:
	v_pk_add_f16 v48, v6, v16
	v_max_f16_e32 v49, v93, v93
	v_pk_add_f16 v51, v7, v17
	v_min_f16_e32 v49, v49, v48
	v_lshrrev_b32_e32 v50, 16, v93
	v_lshrrev_b32_e32 v48, 16, v48
	v_lshrrev_b32_e32 v53, 16, v51
	v_min3_f16 v48, v50, v48, v53
	v_min3_f16 v48, v49, v51, v48
	v_cvt_f32_f16_e32 v48, v48
	v_max_f32_e32 v47, v47, v47
	s_and_b64 vcc, exec, s[0:1]
	v_min_f32_e32 v47, v47, v48
	v_cvt_f16_f32_e32 v47, v47
	v_lshl_add_u64 v[48:49], v[40:41], 1, v[22:23]
	;; [unrolled: 50-line block ×3, first 2 shown]
	global_store_short v[48:49], v47, off
	s_cbranch_vccnz .LBB270_112
; %bb.111:
	v_lshl_add_u64 v[20:21], v[44:45], 1, v[20:21]
	global_load_ushort v20, v[20:21], off
	s_waitcnt vmcnt(0)
	v_mul_f16_e32 v20, v54, v20
	v_cvt_f32_f16_e32 v46, v20
.LBB270_112:
	v_pk_add_f16 v16, v24, v16
	v_max_f16_e32 v20, v90, v90
	v_pk_add_f16 v17, v25, v17
	v_min_f16_e32 v20, v20, v16
	v_lshrrev_b32_e32 v21, 16, v90
	v_lshrrev_b32_e32 v16, 16, v16
	;; [unrolled: 1-line block ×3, first 2 shown]
	v_min3_f16 v16, v21, v16, v47
	v_min3_f16 v16, v20, v17, v16
	v_cvt_f32_f16_e32 v16, v16
	v_max_f32_e32 v17, v46, v46
	s_and_b64 vcc, exec, s[0:1]
	v_mov_b32_e32 v21, 0
	v_min_f32_e32 v16, v17, v16
	v_cvt_f16_f32_e32 v20, v16
	v_lshl_add_u64 v[16:17], v[44:45], 1, v[22:23]
	v_mov_b32_e32 v22, 0
	global_store_short v[16:17], v20, off
	v_add_u32_e32 v20, 0x80, v52
	v_mad_i64_i32 v[16:17], s[4:5], v20, s6, 0
	v_lshl_add_u64 v[16:17], v[16:17], 1, s[10:11]
	s_cbranch_vccnz .LBB270_114
; %bb.113:
	v_lshl_add_u64 v[46:47], v[28:29], 1, v[16:17]
	global_load_ushort v21, v[46:47], off
	s_waitcnt vmcnt(0)
	v_mul_f16_e32 v21, v54, v21
	v_cvt_f32_f16_e32 v21, v21
.LBB270_114:
	v_pk_add_f16 v23, v30, v18
	v_max_f16_e32 v46, v89, v89
	v_pk_add_f16 v48, v31, v19
	v_min_f16_e32 v46, v46, v23
	v_lshrrev_b32_e32 v47, 16, v89
	v_lshrrev_b32_e32 v23, 16, v23
	;; [unrolled: 1-line block ×3, first 2 shown]
	v_min3_f16 v23, v47, v23, v49
	v_min3_f16 v23, v46, v48, v23
	v_cvt_f32_f16_e32 v23, v23
	v_mad_i64_i32 v[46:47], s[4:5], v20, s7, 0
	v_max_f32_e32 v20, v21, v21
	v_min_f32_e32 v20, v20, v23
	v_cvt_f16_f32_e32 v23, v20
	v_lshl_add_u64 v[20:21], v[46:47], 1, s[2:3]
	v_lshl_add_u64 v[46:47], v[28:29], 1, v[20:21]
	s_and_b64 vcc, exec, s[0:1]
	global_store_short v[46:47], v23, off
	s_cbranch_vccnz .LBB270_116
; %bb.115:
	v_lshl_add_u64 v[22:23], v[32:33], 1, v[16:17]
	global_load_ushort v22, v[22:23], off
	s_waitcnt vmcnt(0)
	v_mul_f16_e32 v22, v54, v22
	v_cvt_f32_f16_e32 v22, v22
.LBB270_116:
	v_pk_add_f16 v23, v8, v18
	v_max_f16_e32 v46, v87, v87
	v_pk_add_f16 v48, v9, v19
	v_min_f16_e32 v46, v46, v23
	v_lshrrev_b32_e32 v47, 16, v87
	v_lshrrev_b32_e32 v23, 16, v23
	v_lshrrev_b32_e32 v49, 16, v48
	v_min3_f16 v23, v47, v23, v49
	v_min3_f16 v23, v46, v48, v23
	v_cvt_f32_f16_e32 v23, v23
	v_max_f32_e32 v22, v22, v22
	s_and_b64 vcc, exec, s[0:1]
	v_min_f32_e32 v22, v22, v23
	v_cvt_f16_f32_e32 v46, v22
	v_lshl_add_u64 v[22:23], v[32:33], 1, v[20:21]
	global_store_short v[22:23], v46, off
	v_mov_b32_e32 v22, 0
	v_mov_b32_e32 v23, 0
	s_cbranch_vccnz .LBB270_118
; %bb.117:
	v_lshl_add_u64 v[46:47], v[34:35], 1, v[16:17]
	global_load_ushort v23, v[46:47], off
	s_waitcnt vmcnt(0)
	v_mul_f16_e32 v23, v54, v23
	v_cvt_f32_f16_e32 v23, v23
.LBB270_118:
	v_pk_add_f16 v46, v10, v18
	v_max_f16_e32 v47, v86, v86
	v_pk_add_f16 v49, v11, v19
	v_min_f16_e32 v47, v47, v46
	v_lshrrev_b32_e32 v48, 16, v86
	v_lshrrev_b32_e32 v46, 16, v46
	v_lshrrev_b32_e32 v50, 16, v49
	v_min3_f16 v46, v48, v46, v50
	v_min3_f16 v46, v47, v49, v46
	v_cvt_f32_f16_e32 v46, v46
	v_max_f32_e32 v23, v23, v23
	s_and_b64 vcc, exec, s[0:1]
	v_min_f32_e32 v23, v23, v46
	v_cvt_f16_f32_e32 v23, v23
	v_lshl_add_u64 v[46:47], v[34:35], 1, v[20:21]
	global_store_short v[46:47], v23, off
	s_cbranch_vccnz .LBB270_120
; %bb.119:
	v_lshl_add_u64 v[22:23], v[36:37], 1, v[16:17]
	global_load_ushort v22, v[22:23], off
	s_waitcnt vmcnt(0)
	v_mul_f16_e32 v22, v54, v22
	v_cvt_f32_f16_e32 v22, v22
.LBB270_120:
	v_pk_add_f16 v23, v4, v18
	v_max_f16_e32 v46, v85, v85
	v_pk_add_f16 v48, v5, v19
	v_min_f16_e32 v46, v46, v23
	v_lshrrev_b32_e32 v47, 16, v85
	v_lshrrev_b32_e32 v23, 16, v23
	v_lshrrev_b32_e32 v49, 16, v48
	v_min3_f16 v23, v47, v23, v49
	v_min3_f16 v23, v46, v48, v23
	v_cvt_f32_f16_e32 v23, v23
	v_max_f32_e32 v22, v22, v22
	s_and_b64 vcc, exec, s[0:1]
	v_min_f32_e32 v22, v22, v23
	v_cvt_f16_f32_e32 v46, v22
	v_lshl_add_u64 v[22:23], v[36:37], 1, v[20:21]
	global_store_short v[22:23], v46, off
	v_mov_b32_e32 v22, 0
	v_mov_b32_e32 v23, 0
	s_cbranch_vccnz .LBB270_122
; %bb.121:
	v_lshl_add_u64 v[46:47], v[40:41], 1, v[16:17]
	global_load_ushort v23, v[46:47], off
	s_waitcnt vmcnt(0)
	v_mul_f16_e32 v23, v54, v23
	v_cvt_f32_f16_e32 v23, v23
.LBB270_122:
	v_pk_add_f16 v46, v6, v18
	v_max_f16_e32 v47, v84, v84
	v_pk_add_f16 v49, v7, v19
	v_min_f16_e32 v47, v47, v46
	v_lshrrev_b32_e32 v48, 16, v84
	v_lshrrev_b32_e32 v46, 16, v46
	v_lshrrev_b32_e32 v50, 16, v49
	v_min3_f16 v46, v48, v46, v50
	v_min3_f16 v46, v47, v49, v46
	v_cvt_f32_f16_e32 v46, v46
	v_max_f32_e32 v23, v23, v23
	s_and_b64 vcc, exec, s[0:1]
	v_min_f32_e32 v23, v23, v46
	v_cvt_f16_f32_e32 v23, v23
	v_lshl_add_u64 v[46:47], v[40:41], 1, v[20:21]
	;; [unrolled: 50-line block ×3, first 2 shown]
	global_store_short v[46:47], v23, off
	s_cbranch_vccnz .LBB270_128
; %bb.127:
	v_lshl_add_u64 v[16:17], v[44:45], 1, v[16:17]
	global_load_ushort v16, v[16:17], off
	s_waitcnt vmcnt(0)
	v_mul_f16_e32 v16, v54, v16
	v_cvt_f32_f16_e32 v22, v16
.LBB270_128:
	v_pk_add_f16 v16, v24, v18
	v_max_f16_e32 v17, v79, v79
	v_pk_add_f16 v19, v25, v19
	v_min_f16_e32 v17, v17, v16
	v_lshrrev_b32_e32 v18, 16, v79
	v_lshrrev_b32_e32 v16, 16, v16
	;; [unrolled: 1-line block ×3, first 2 shown]
	v_min3_f16 v16, v18, v16, v23
	v_min3_f16 v16, v17, v19, v16
	v_cvt_f32_f16_e32 v16, v16
	v_max_f32_e32 v17, v22, v22
	s_and_b64 vcc, exec, s[0:1]
	v_mov_b32_e32 v19, 0
	v_min_f32_e32 v16, v17, v16
	v_cvt_f16_f32_e32 v18, v16
	v_lshl_add_u64 v[16:17], v[44:45], 1, v[20:21]
	v_mov_b32_e32 v20, 0
	global_store_short v[16:17], v18, off
	v_add_u32_e32 v18, 0xa0, v52
	v_mad_i64_i32 v[16:17], s[4:5], v18, s6, 0
	v_lshl_add_u64 v[16:17], v[16:17], 1, s[10:11]
	s_cbranch_vccnz .LBB270_130
; %bb.129:
	v_lshl_add_u64 v[22:23], v[28:29], 1, v[16:17]
	global_load_ushort v19, v[22:23], off
	s_waitcnt vmcnt(0)
	v_mul_f16_e32 v19, v54, v19
	v_cvt_f32_f16_e32 v19, v19
.LBB270_130:
	v_pk_add_f16 v21, v30, v12
	v_max_f16_e32 v22, v78, v78
	v_pk_add_f16 v46, v31, v13
	v_min_f16_e32 v22, v22, v21
	v_lshrrev_b32_e32 v23, 16, v78
	v_lshrrev_b32_e32 v21, 16, v21
	v_lshrrev_b32_e32 v47, 16, v46
	v_min3_f16 v21, v23, v21, v47
	v_min3_f16 v21, v22, v46, v21
	v_cvt_f32_f16_e32 v21, v21
	v_mad_i64_i32 v[22:23], s[4:5], v18, s7, 0
	v_max_f32_e32 v18, v19, v19
	v_min_f32_e32 v18, v18, v21
	v_cvt_f16_f32_e32 v21, v18
	v_lshl_add_u64 v[18:19], v[22:23], 1, s[2:3]
	v_lshl_add_u64 v[22:23], v[28:29], 1, v[18:19]
	s_and_b64 vcc, exec, s[0:1]
	global_store_short v[22:23], v21, off
	s_cbranch_vccnz .LBB270_132
; %bb.131:
	v_lshl_add_u64 v[20:21], v[32:33], 1, v[16:17]
	global_load_ushort v20, v[20:21], off
	s_waitcnt vmcnt(0)
	v_mul_f16_e32 v20, v54, v20
	v_cvt_f32_f16_e32 v20, v20
.LBB270_132:
	v_pk_add_f16 v21, v8, v12
	v_max_f16_e32 v22, v77, v77
	v_pk_add_f16 v46, v9, v13
	v_min_f16_e32 v22, v22, v21
	v_lshrrev_b32_e32 v23, 16, v77
	v_lshrrev_b32_e32 v21, 16, v21
	v_lshrrev_b32_e32 v47, 16, v46
	v_min3_f16 v21, v23, v21, v47
	v_min3_f16 v21, v22, v46, v21
	v_cvt_f32_f16_e32 v21, v21
	v_max_f32_e32 v20, v20, v20
	s_and_b64 vcc, exec, s[0:1]
	v_min_f32_e32 v20, v20, v21
	v_cvt_f16_f32_e32 v22, v20
	v_lshl_add_u64 v[20:21], v[32:33], 1, v[18:19]
	global_store_short v[20:21], v22, off
	v_mov_b32_e32 v20, 0
	v_mov_b32_e32 v21, 0
	s_cbranch_vccnz .LBB270_134
; %bb.133:
	v_lshl_add_u64 v[22:23], v[34:35], 1, v[16:17]
	global_load_ushort v21, v[22:23], off
	s_waitcnt vmcnt(0)
	v_mul_f16_e32 v21, v54, v21
	v_cvt_f32_f16_e32 v21, v21
.LBB270_134:
	v_pk_add_f16 v22, v10, v12
	v_max_f16_e32 v23, v76, v76
	v_pk_add_f16 v47, v11, v13
	v_min_f16_e32 v23, v23, v22
	v_lshrrev_b32_e32 v46, 16, v76
	v_lshrrev_b32_e32 v22, 16, v22
	v_lshrrev_b32_e32 v48, 16, v47
	v_min3_f16 v22, v46, v22, v48
	v_min3_f16 v22, v23, v47, v22
	v_cvt_f32_f16_e32 v22, v22
	v_max_f32_e32 v21, v21, v21
	s_and_b64 vcc, exec, s[0:1]
	v_min_f32_e32 v21, v21, v22
	v_cvt_f16_f32_e32 v21, v21
	v_lshl_add_u64 v[22:23], v[34:35], 1, v[18:19]
	global_store_short v[22:23], v21, off
	s_cbranch_vccnz .LBB270_136
; %bb.135:
	v_lshl_add_u64 v[20:21], v[36:37], 1, v[16:17]
	global_load_ushort v20, v[20:21], off
	s_waitcnt vmcnt(0)
	v_mul_f16_e32 v20, v54, v20
	v_cvt_f32_f16_e32 v20, v20
.LBB270_136:
	v_pk_add_f16 v21, v4, v12
	v_max_f16_e32 v22, v75, v75
	v_pk_add_f16 v46, v5, v13
	v_min_f16_e32 v22, v22, v21
	v_lshrrev_b32_e32 v23, 16, v75
	v_lshrrev_b32_e32 v21, 16, v21
	v_lshrrev_b32_e32 v47, 16, v46
	v_min3_f16 v21, v23, v21, v47
	v_min3_f16 v21, v22, v46, v21
	v_cvt_f32_f16_e32 v21, v21
	v_max_f32_e32 v20, v20, v20
	s_and_b64 vcc, exec, s[0:1]
	v_min_f32_e32 v20, v20, v21
	v_cvt_f16_f32_e32 v22, v20
	v_lshl_add_u64 v[20:21], v[36:37], 1, v[18:19]
	global_store_short v[20:21], v22, off
	v_mov_b32_e32 v20, 0
	v_mov_b32_e32 v21, 0
	s_cbranch_vccnz .LBB270_138
; %bb.137:
	v_lshl_add_u64 v[22:23], v[40:41], 1, v[16:17]
	global_load_ushort v21, v[22:23], off
	s_waitcnt vmcnt(0)
	v_mul_f16_e32 v21, v54, v21
	v_cvt_f32_f16_e32 v21, v21
.LBB270_138:
	v_pk_add_f16 v22, v6, v12
	v_max_f16_e32 v23, v74, v74
	v_pk_add_f16 v47, v7, v13
	v_min_f16_e32 v23, v23, v22
	v_lshrrev_b32_e32 v46, 16, v74
	v_lshrrev_b32_e32 v22, 16, v22
	v_lshrrev_b32_e32 v48, 16, v47
	v_min3_f16 v22, v46, v22, v48
	v_min3_f16 v22, v23, v47, v22
	v_cvt_f32_f16_e32 v22, v22
	v_max_f32_e32 v21, v21, v21
	s_and_b64 vcc, exec, s[0:1]
	v_min_f32_e32 v21, v21, v22
	v_cvt_f16_f32_e32 v21, v21
	v_lshl_add_u64 v[22:23], v[40:41], 1, v[18:19]
	;; [unrolled: 50-line block ×3, first 2 shown]
	global_store_short v[22:23], v21, off
	s_cbranch_vccnz .LBB270_144
; %bb.143:
	v_lshl_add_u64 v[16:17], v[44:45], 1, v[16:17]
	global_load_ushort v16, v[16:17], off
	s_waitcnt vmcnt(0)
	v_mul_f16_e32 v16, v54, v16
	v_cvt_f32_f16_e32 v20, v16
.LBB270_144:
	v_pk_add_f16 v12, v24, v12
	v_max_f16_e32 v16, v71, v71
	v_pk_add_f16 v13, v25, v13
	v_min_f16_e32 v16, v16, v12
	v_lshrrev_b32_e32 v17, 16, v71
	v_lshrrev_b32_e32 v12, 16, v12
	;; [unrolled: 1-line block ×3, first 2 shown]
	v_min3_f16 v12, v17, v12, v21
	v_min3_f16 v12, v16, v13, v12
	v_cvt_f32_f16_e32 v12, v12
	v_max_f32_e32 v13, v20, v20
	s_and_b64 vcc, exec, s[0:1]
	v_mov_b32_e32 v17, 0
	v_min_f32_e32 v12, v13, v12
	v_cvt_f16_f32_e32 v16, v12
	v_lshl_add_u64 v[12:13], v[44:45], 1, v[18:19]
	v_mov_b32_e32 v18, 0
	global_store_short v[12:13], v16, off
	v_add_u32_e32 v16, 0xc0, v52
	v_mad_i64_i32 v[12:13], s[4:5], v16, s6, 0
	v_lshl_add_u64 v[12:13], v[12:13], 1, s[10:11]
	s_cbranch_vccnz .LBB270_146
; %bb.145:
	v_lshl_add_u64 v[20:21], v[28:29], 1, v[12:13]
	global_load_ushort v17, v[20:21], off
	s_waitcnt vmcnt(0)
	v_mul_f16_e32 v17, v54, v17
	v_cvt_f32_f16_e32 v17, v17
.LBB270_146:
	v_pk_add_f16 v19, v30, v14
	v_max_f16_e32 v20, v70, v70
	v_pk_add_f16 v22, v31, v15
	v_min_f16_e32 v20, v20, v19
	v_lshrrev_b32_e32 v21, 16, v70
	v_lshrrev_b32_e32 v19, 16, v19
	;; [unrolled: 1-line block ×3, first 2 shown]
	v_min3_f16 v19, v21, v19, v23
	v_min3_f16 v19, v20, v22, v19
	v_cvt_f32_f16_e32 v19, v19
	v_mad_i64_i32 v[20:21], s[4:5], v16, s7, 0
	v_max_f32_e32 v16, v17, v17
	v_min_f32_e32 v16, v16, v19
	v_cvt_f16_f32_e32 v19, v16
	v_lshl_add_u64 v[16:17], v[20:21], 1, s[2:3]
	v_lshl_add_u64 v[20:21], v[28:29], 1, v[16:17]
	s_and_b64 vcc, exec, s[0:1]
	global_store_short v[20:21], v19, off
	s_cbranch_vccnz .LBB270_148
; %bb.147:
	v_lshl_add_u64 v[18:19], v[32:33], 1, v[12:13]
	global_load_ushort v18, v[18:19], off
	s_waitcnt vmcnt(0)
	v_mul_f16_e32 v18, v54, v18
	v_cvt_f32_f16_e32 v18, v18
.LBB270_148:
	v_pk_add_f16 v19, v8, v14
	v_max_f16_e32 v20, v69, v69
	v_pk_add_f16 v22, v9, v15
	v_min_f16_e32 v20, v20, v19
	v_lshrrev_b32_e32 v21, 16, v69
	v_lshrrev_b32_e32 v19, 16, v19
	v_lshrrev_b32_e32 v23, 16, v22
	v_min3_f16 v19, v21, v19, v23
	v_min3_f16 v19, v20, v22, v19
	v_cvt_f32_f16_e32 v19, v19
	v_max_f32_e32 v18, v18, v18
	s_and_b64 vcc, exec, s[0:1]
	v_min_f32_e32 v18, v18, v19
	v_cvt_f16_f32_e32 v20, v18
	v_lshl_add_u64 v[18:19], v[32:33], 1, v[16:17]
	global_store_short v[18:19], v20, off
	v_mov_b32_e32 v18, 0
	v_mov_b32_e32 v19, 0
	s_cbranch_vccnz .LBB270_150
; %bb.149:
	v_lshl_add_u64 v[20:21], v[34:35], 1, v[12:13]
	global_load_ushort v19, v[20:21], off
	s_waitcnt vmcnt(0)
	v_mul_f16_e32 v19, v54, v19
	v_cvt_f32_f16_e32 v19, v19
.LBB270_150:
	v_pk_add_f16 v20, v10, v14
	v_max_f16_e32 v21, v68, v68
	v_pk_add_f16 v23, v11, v15
	v_min_f16_e32 v21, v21, v20
	v_lshrrev_b32_e32 v22, 16, v68
	v_lshrrev_b32_e32 v20, 16, v20
	v_lshrrev_b32_e32 v46, 16, v23
	v_min3_f16 v20, v22, v20, v46
	v_min3_f16 v20, v21, v23, v20
	v_cvt_f32_f16_e32 v20, v20
	v_max_f32_e32 v19, v19, v19
	s_and_b64 vcc, exec, s[0:1]
	v_min_f32_e32 v19, v19, v20
	v_cvt_f16_f32_e32 v19, v19
	v_lshl_add_u64 v[20:21], v[34:35], 1, v[16:17]
	global_store_short v[20:21], v19, off
	s_cbranch_vccnz .LBB270_152
; %bb.151:
	v_lshl_add_u64 v[18:19], v[36:37], 1, v[12:13]
	global_load_ushort v18, v[18:19], off
	s_waitcnt vmcnt(0)
	v_mul_f16_e32 v18, v54, v18
	v_cvt_f32_f16_e32 v18, v18
.LBB270_152:
	v_pk_add_f16 v19, v4, v14
	v_max_f16_e32 v20, v67, v67
	v_pk_add_f16 v22, v5, v15
	v_min_f16_e32 v20, v20, v19
	v_lshrrev_b32_e32 v21, 16, v67
	v_lshrrev_b32_e32 v19, 16, v19
	v_lshrrev_b32_e32 v23, 16, v22
	v_min3_f16 v19, v21, v19, v23
	v_min3_f16 v19, v20, v22, v19
	v_cvt_f32_f16_e32 v19, v19
	v_max_f32_e32 v18, v18, v18
	s_and_b64 vcc, exec, s[0:1]
	v_min_f32_e32 v18, v18, v19
	v_cvt_f16_f32_e32 v20, v18
	v_lshl_add_u64 v[18:19], v[36:37], 1, v[16:17]
	global_store_short v[18:19], v20, off
	v_mov_b32_e32 v18, 0
	v_mov_b32_e32 v19, 0
	s_cbranch_vccnz .LBB270_154
; %bb.153:
	v_lshl_add_u64 v[20:21], v[40:41], 1, v[12:13]
	global_load_ushort v19, v[20:21], off
	s_waitcnt vmcnt(0)
	v_mul_f16_e32 v19, v54, v19
	v_cvt_f32_f16_e32 v19, v19
.LBB270_154:
	v_pk_add_f16 v20, v6, v14
	v_max_f16_e32 v21, v66, v66
	v_pk_add_f16 v23, v7, v15
	v_min_f16_e32 v21, v21, v20
	v_lshrrev_b32_e32 v22, 16, v66
	v_lshrrev_b32_e32 v20, 16, v20
	v_lshrrev_b32_e32 v46, 16, v23
	v_min3_f16 v20, v22, v20, v46
	v_min3_f16 v20, v21, v23, v20
	v_cvt_f32_f16_e32 v20, v20
	v_max_f32_e32 v19, v19, v19
	s_and_b64 vcc, exec, s[0:1]
	v_min_f32_e32 v19, v19, v20
	v_cvt_f16_f32_e32 v19, v19
	v_lshl_add_u64 v[20:21], v[40:41], 1, v[16:17]
	;; [unrolled: 50-line block ×3, first 2 shown]
	global_store_short v[20:21], v19, off
	s_cbranch_vccnz .LBB270_160
; %bb.159:
	v_lshl_add_u64 v[12:13], v[44:45], 1, v[12:13]
	global_load_ushort v12, v[12:13], off
	s_waitcnt vmcnt(0)
	v_mul_f16_e32 v12, v54, v12
	v_cvt_f32_f16_e32 v18, v12
.LBB270_160:
	v_pk_add_f16 v12, v24, v14
	v_max_f16_e32 v13, v63, v63
	v_pk_add_f16 v15, v25, v15
	v_min_f16_e32 v13, v13, v12
	v_lshrrev_b32_e32 v14, 16, v63
	v_lshrrev_b32_e32 v12, 16, v12
	;; [unrolled: 1-line block ×3, first 2 shown]
	v_min3_f16 v12, v14, v12, v19
	v_min3_f16 v12, v13, v15, v12
	v_cvt_f32_f16_e32 v12, v12
	v_max_f32_e32 v13, v18, v18
	s_and_b64 vcc, exec, s[0:1]
	v_mov_b32_e32 v15, 0
	v_min_f32_e32 v12, v13, v12
	v_cvt_f16_f32_e32 v14, v12
	v_lshl_add_u64 v[12:13], v[44:45], 1, v[16:17]
	v_mov_b32_e32 v16, 0
	global_store_short v[12:13], v14, off
	v_add_u32_e32 v14, 0xe0, v52
	v_mad_i64_i32 v[12:13], s[4:5], v14, s6, 0
	v_lshl_add_u64 v[12:13], v[12:13], 1, s[10:11]
	s_cbranch_vccnz .LBB270_162
; %bb.161:
	v_lshl_add_u64 v[18:19], v[28:29], 1, v[12:13]
	global_load_ushort v15, v[18:19], off
	s_waitcnt vmcnt(0)
	v_mul_f16_e32 v15, v54, v15
	v_cvt_f32_f16_e32 v15, v15
.LBB270_162:
	v_pk_add_f16 v17, v30, v26
	v_max_f16_e32 v18, v62, v62
	v_pk_add_f16 v20, v31, v27
	v_min_f16_e32 v18, v18, v17
	v_lshrrev_b32_e32 v19, 16, v62
	v_lshrrev_b32_e32 v17, 16, v17
	;; [unrolled: 1-line block ×3, first 2 shown]
	v_min3_f16 v17, v19, v17, v21
	v_min3_f16 v17, v18, v20, v17
	v_cvt_f32_f16_e32 v17, v17
	v_mad_i64_i32 v[18:19], s[4:5], v14, s7, 0
	v_max_f32_e32 v14, v15, v15
	v_min_f32_e32 v14, v14, v17
	v_cvt_f16_f32_e32 v17, v14
	v_lshl_add_u64 v[14:15], v[18:19], 1, s[2:3]
	v_lshl_add_u64 v[18:19], v[28:29], 1, v[14:15]
	s_and_b64 vcc, exec, s[0:1]
	global_store_short v[18:19], v17, off
	s_cbranch_vccnz .LBB270_164
; %bb.163:
	v_lshl_add_u64 v[16:17], v[32:33], 1, v[12:13]
	global_load_ushort v16, v[16:17], off
	s_waitcnt vmcnt(0)
	v_mul_f16_e32 v16, v54, v16
	v_cvt_f32_f16_e32 v16, v16
.LBB270_164:
	v_pk_add_f16 v8, v8, v26
	v_max_f16_e32 v17, v61, v61
	v_pk_add_f16 v9, v9, v27
	v_min_f16_e32 v17, v17, v8
	v_lshrrev_b32_e32 v18, 16, v61
	v_lshrrev_b32_e32 v8, 16, v8
	;; [unrolled: 1-line block ×3, first 2 shown]
	v_min3_f16 v8, v18, v8, v19
	v_min3_f16 v8, v17, v9, v8
	v_cvt_f32_f16_e32 v8, v8
	v_max_f32_e32 v9, v16, v16
	s_and_b64 vcc, exec, s[0:1]
	v_min_f32_e32 v8, v9, v8
	v_cvt_f16_f32_e32 v16, v8
	v_lshl_add_u64 v[8:9], v[32:33], 1, v[14:15]
	global_store_short v[8:9], v16, off
	v_mov_b32_e32 v8, 0
	v_mov_b32_e32 v9, 0
	s_cbranch_vccnz .LBB270_166
; %bb.165:
	v_lshl_add_u64 v[16:17], v[34:35], 1, v[12:13]
	global_load_ushort v9, v[16:17], off
	s_waitcnt vmcnt(0)
	v_mul_f16_e32 v9, v54, v9
	v_cvt_f32_f16_e32 v9, v9
.LBB270_166:
	v_pk_add_f16 v10, v10, v26
	v_max_f16_e32 v16, v59, v59
	v_pk_add_f16 v11, v11, v27
	v_min_f16_e32 v16, v16, v10
	v_lshrrev_b32_e32 v17, 16, v59
	v_lshrrev_b32_e32 v10, 16, v10
	;; [unrolled: 1-line block ×3, first 2 shown]
	v_min3_f16 v10, v17, v10, v18
	v_min3_f16 v10, v16, v11, v10
	v_cvt_f32_f16_e32 v10, v10
	v_max_f32_e32 v9, v9, v9
	s_and_b64 vcc, exec, s[0:1]
	v_min_f32_e32 v9, v9, v10
	v_cvt_f16_f32_e32 v9, v9
	v_lshl_add_u64 v[10:11], v[34:35], 1, v[14:15]
	global_store_short v[10:11], v9, off
	s_cbranch_vccnz .LBB270_168
; %bb.167:
	v_lshl_add_u64 v[8:9], v[36:37], 1, v[12:13]
	global_load_ushort v8, v[8:9], off
	s_waitcnt vmcnt(0)
	v_mul_f16_e32 v8, v54, v8
	v_cvt_f32_f16_e32 v8, v8
.LBB270_168:
	v_pk_add_f16 v4, v4, v26
	v_max_f16_e32 v9, v58, v58
	v_pk_add_f16 v5, v5, v27
	v_min_f16_e32 v9, v9, v4
	v_lshrrev_b32_e32 v10, 16, v58
	v_lshrrev_b32_e32 v4, 16, v4
	;; [unrolled: 1-line block ×3, first 2 shown]
	v_min3_f16 v4, v10, v4, v11
	v_min3_f16 v4, v9, v5, v4
	v_cvt_f32_f16_e32 v4, v4
	v_max_f32_e32 v5, v8, v8
	s_and_b64 vcc, exec, s[0:1]
	v_min_f32_e32 v4, v5, v4
	v_cvt_f16_f32_e32 v8, v4
	v_lshl_add_u64 v[4:5], v[36:37], 1, v[14:15]
	global_store_short v[4:5], v8, off
	v_mov_b32_e32 v4, 0
	v_mov_b32_e32 v5, 0
	s_cbranch_vccnz .LBB270_170
; %bb.169:
	v_lshl_add_u64 v[8:9], v[40:41], 1, v[12:13]
	global_load_ushort v5, v[8:9], off
	s_waitcnt vmcnt(0)
	v_mul_f16_e32 v5, v54, v5
	v_cvt_f32_f16_e32 v5, v5
.LBB270_170:
	v_pk_add_f16 v6, v6, v26
	v_max_f16_e32 v8, v57, v57
	v_pk_add_f16 v7, v7, v27
	v_min_f16_e32 v8, v8, v6
	v_lshrrev_b32_e32 v9, 16, v57
	v_lshrrev_b32_e32 v6, 16, v6
	;; [unrolled: 1-line block ×3, first 2 shown]
	v_min3_f16 v6, v9, v6, v10
	v_min3_f16 v6, v8, v7, v6
	v_cvt_f32_f16_e32 v6, v6
	v_max_f32_e32 v5, v5, v5
	s_and_b64 vcc, exec, s[0:1]
	v_min_f32_e32 v5, v5, v6
	v_cvt_f16_f32_e32 v5, v5
	v_lshl_add_u64 v[6:7], v[40:41], 1, v[14:15]
	global_store_short v[6:7], v5, off
	s_cbranch_vccnz .LBB270_172
; %bb.171:
	v_lshl_add_u64 v[4:5], v[38:39], 1, v[12:13]
	global_load_ushort v4, v[4:5], off
	s_waitcnt vmcnt(0)
	v_mul_f16_e32 v4, v54, v4
	v_cvt_f32_f16_e32 v4, v4
.LBB270_172:
	v_pk_add_f16 v0, v0, v26
	v_max_f16_e32 v5, v55, v55
	v_pk_add_f16 v1, v1, v27
	v_min_f16_e32 v5, v5, v0
	v_lshrrev_b32_e32 v6, 16, v55
	v_lshrrev_b32_e32 v0, 16, v0
	;; [unrolled: 1-line block ×3, first 2 shown]
	v_min3_f16 v0, v6, v0, v7
	v_min3_f16 v0, v5, v1, v0
	v_cvt_f32_f16_e32 v0, v0
	v_max_f32_e32 v4, v4, v4
	v_pk_add_f16 v1, v2, v26
	v_max_f16_e32 v2, v56, v56
	v_min_f32_e32 v0, v4, v0
	v_cvt_f16_f32_e32 v4, v0
	v_pk_add_f16 v3, v3, v27
	v_min_f16_e32 v2, v2, v1
	v_lshrrev_b32_e32 v5, 16, v56
	v_lshrrev_b32_e32 v1, 16, v1
	;; [unrolled: 1-line block ×3, first 2 shown]
	v_min3_f16 v5, v5, v1, v0
	v_lshl_add_u64 v[0:1], v[38:39], 1, v[14:15]
	global_store_short v[0:1], v4, off
	v_min3_f16 v0, v2, v3, v5
	s_mov_b64 s[0:1], -1
	s_mov_b64 vcc, s[8:9]
	s_cbranch_vccz .LBB270_174
; %bb.173:
	v_cvt_f32_f16_e32 v1, v0
	v_lshl_add_u64 v[2:3], v[42:43], 1, v[14:15]
	s_mov_b64 s[0:1], 0
	v_min_f32_e32 v1, 0, v1
	v_cvt_f16_f32_e32 v1, v1
	global_store_short v[2:3], v1, off
.LBB270_174:
	s_andn2_b64 vcc, exec, s[0:1]
	v_mov_b32_e32 v1, 0
	s_cbranch_vccnz .LBB270_176
; %bb.175:
	v_lshlrev_b64 v[2:3], 1, v[42:43]
	v_lshl_add_u64 v[4:5], v[12:13], 0, v[2:3]
	global_load_ushort v4, v[4:5], off
	v_max_f16_e32 v5, v0, v0
	v_lshl_add_u64 v[0:1], v[14:15], 0, v[2:3]
	s_waitcnt vmcnt(0)
	v_mul_f16_e32 v2, v54, v4
	v_min_f16_e32 v2, v2, v5
	global_store_short v[0:1], v2, off
	v_lshl_add_u64 v[0:1], v[44:45], 1, v[12:13]
	global_load_ushort v0, v[0:1], off
	s_waitcnt vmcnt(0)
	v_mul_f16_e32 v0, v54, v0
	v_cvt_f32_f16_e32 v1, v0
.LBB270_176:
	v_pk_add_f16 v0, v24, v26
	v_max_f16_e32 v2, v60, v60
	v_pk_add_f16 v3, v25, v27
	v_min_f16_e32 v2, v2, v0
	v_lshrrev_b32_e32 v4, 16, v60
	v_lshrrev_b32_e32 v0, 16, v0
	;; [unrolled: 1-line block ×3, first 2 shown]
	v_min3_f16 v0, v4, v0, v5
	v_min3_f16 v0, v2, v3, v0
	v_cvt_f32_f16_e32 v0, v0
	v_max_f32_e32 v1, v1, v1
	v_min_f32_e32 v0, v1, v0
	v_cvt_f16_f32_e32 v2, v0
	v_lshl_add_u64 v[0:1], v[44:45], 1, v[14:15]
	global_store_short v[0:1], v2, off
	s_endpgm
	.section	.rodata,"a",@progbits
	.p2align	6, 0x0
	.amdhsa_kernel _ZN12_GLOBAL__N_120geam_min_plus_kernelIDF16_Dv2_DF16_S1_Li8ELi32ELi64ELi256ELi4ELi64ELi4ELi64ELi4ELc78ELc84ELb0ELb0ELb1EPKDF16_S2_DF16_EEviiiT16_PT17_ilS6_ilS4_S6_ilPT18_ili26rocblas_geam_ex_operation_
		.amdhsa_group_segment_fixed_size 5120
		.amdhsa_private_segment_fixed_size 0
		.amdhsa_kernarg_size 136
		.amdhsa_user_sgpr_count 2
		.amdhsa_user_sgpr_dispatch_ptr 0
		.amdhsa_user_sgpr_queue_ptr 0
		.amdhsa_user_sgpr_kernarg_segment_ptr 1
		.amdhsa_user_sgpr_dispatch_id 0
		.amdhsa_user_sgpr_kernarg_preload_length 0
		.amdhsa_user_sgpr_kernarg_preload_offset 0
		.amdhsa_user_sgpr_private_segment_size 0
		.amdhsa_uses_dynamic_stack 0
		.amdhsa_enable_private_segment 0
		.amdhsa_system_sgpr_workgroup_id_x 1
		.amdhsa_system_sgpr_workgroup_id_y 0
		.amdhsa_system_sgpr_workgroup_id_z 1
		.amdhsa_system_sgpr_workgroup_info 0
		.amdhsa_system_vgpr_workitem_id 1
		.amdhsa_next_free_vgpr 175
		.amdhsa_next_free_sgpr 29
		.amdhsa_accum_offset 176
		.amdhsa_reserve_vcc 1
		.amdhsa_float_round_mode_32 0
		.amdhsa_float_round_mode_16_64 0
		.amdhsa_float_denorm_mode_32 3
		.amdhsa_float_denorm_mode_16_64 3
		.amdhsa_dx10_clamp 1
		.amdhsa_ieee_mode 1
		.amdhsa_fp16_overflow 0
		.amdhsa_tg_split 0
		.amdhsa_exception_fp_ieee_invalid_op 0
		.amdhsa_exception_fp_denorm_src 0
		.amdhsa_exception_fp_ieee_div_zero 0
		.amdhsa_exception_fp_ieee_overflow 0
		.amdhsa_exception_fp_ieee_underflow 0
		.amdhsa_exception_fp_ieee_inexact 0
		.amdhsa_exception_int_div_zero 0
	.end_amdhsa_kernel
	.section	.text._ZN12_GLOBAL__N_120geam_min_plus_kernelIDF16_Dv2_DF16_S1_Li8ELi32ELi64ELi256ELi4ELi64ELi4ELi64ELi4ELc78ELc84ELb0ELb0ELb1EPKDF16_S2_DF16_EEviiiT16_PT17_ilS6_ilS4_S6_ilPT18_ili26rocblas_geam_ex_operation_,"axG",@progbits,_ZN12_GLOBAL__N_120geam_min_plus_kernelIDF16_Dv2_DF16_S1_Li8ELi32ELi64ELi256ELi4ELi64ELi4ELi64ELi4ELc78ELc84ELb0ELb0ELb1EPKDF16_S2_DF16_EEviiiT16_PT17_ilS6_ilS4_S6_ilPT18_ili26rocblas_geam_ex_operation_,comdat
.Lfunc_end270:
	.size	_ZN12_GLOBAL__N_120geam_min_plus_kernelIDF16_Dv2_DF16_S1_Li8ELi32ELi64ELi256ELi4ELi64ELi4ELi64ELi4ELc78ELc84ELb0ELb0ELb1EPKDF16_S2_DF16_EEviiiT16_PT17_ilS6_ilS4_S6_ilPT18_ili26rocblas_geam_ex_operation_, .Lfunc_end270-_ZN12_GLOBAL__N_120geam_min_plus_kernelIDF16_Dv2_DF16_S1_Li8ELi32ELi64ELi256ELi4ELi64ELi4ELi64ELi4ELc78ELc84ELb0ELb0ELb1EPKDF16_S2_DF16_EEviiiT16_PT17_ilS6_ilS4_S6_ilPT18_ili26rocblas_geam_ex_operation_
                                        ; -- End function
	.set _ZN12_GLOBAL__N_120geam_min_plus_kernelIDF16_Dv2_DF16_S1_Li8ELi32ELi64ELi256ELi4ELi64ELi4ELi64ELi4ELc78ELc84ELb0ELb0ELb1EPKDF16_S2_DF16_EEviiiT16_PT17_ilS6_ilS4_S6_ilPT18_ili26rocblas_geam_ex_operation_.num_vgpr, 175
	.set _ZN12_GLOBAL__N_120geam_min_plus_kernelIDF16_Dv2_DF16_S1_Li8ELi32ELi64ELi256ELi4ELi64ELi4ELi64ELi4ELc78ELc84ELb0ELb0ELb1EPKDF16_S2_DF16_EEviiiT16_PT17_ilS6_ilS4_S6_ilPT18_ili26rocblas_geam_ex_operation_.num_agpr, 0
	.set _ZN12_GLOBAL__N_120geam_min_plus_kernelIDF16_Dv2_DF16_S1_Li8ELi32ELi64ELi256ELi4ELi64ELi4ELi64ELi4ELc78ELc84ELb0ELb0ELb1EPKDF16_S2_DF16_EEviiiT16_PT17_ilS6_ilS4_S6_ilPT18_ili26rocblas_geam_ex_operation_.numbered_sgpr, 29
	.set _ZN12_GLOBAL__N_120geam_min_plus_kernelIDF16_Dv2_DF16_S1_Li8ELi32ELi64ELi256ELi4ELi64ELi4ELi64ELi4ELc78ELc84ELb0ELb0ELb1EPKDF16_S2_DF16_EEviiiT16_PT17_ilS6_ilS4_S6_ilPT18_ili26rocblas_geam_ex_operation_.num_named_barrier, 0
	.set _ZN12_GLOBAL__N_120geam_min_plus_kernelIDF16_Dv2_DF16_S1_Li8ELi32ELi64ELi256ELi4ELi64ELi4ELi64ELi4ELc78ELc84ELb0ELb0ELb1EPKDF16_S2_DF16_EEviiiT16_PT17_ilS6_ilS4_S6_ilPT18_ili26rocblas_geam_ex_operation_.private_seg_size, 0
	.set _ZN12_GLOBAL__N_120geam_min_plus_kernelIDF16_Dv2_DF16_S1_Li8ELi32ELi64ELi256ELi4ELi64ELi4ELi64ELi4ELc78ELc84ELb0ELb0ELb1EPKDF16_S2_DF16_EEviiiT16_PT17_ilS6_ilS4_S6_ilPT18_ili26rocblas_geam_ex_operation_.uses_vcc, 1
	.set _ZN12_GLOBAL__N_120geam_min_plus_kernelIDF16_Dv2_DF16_S1_Li8ELi32ELi64ELi256ELi4ELi64ELi4ELi64ELi4ELc78ELc84ELb0ELb0ELb1EPKDF16_S2_DF16_EEviiiT16_PT17_ilS6_ilS4_S6_ilPT18_ili26rocblas_geam_ex_operation_.uses_flat_scratch, 0
	.set _ZN12_GLOBAL__N_120geam_min_plus_kernelIDF16_Dv2_DF16_S1_Li8ELi32ELi64ELi256ELi4ELi64ELi4ELi64ELi4ELc78ELc84ELb0ELb0ELb1EPKDF16_S2_DF16_EEviiiT16_PT17_ilS6_ilS4_S6_ilPT18_ili26rocblas_geam_ex_operation_.has_dyn_sized_stack, 0
	.set _ZN12_GLOBAL__N_120geam_min_plus_kernelIDF16_Dv2_DF16_S1_Li8ELi32ELi64ELi256ELi4ELi64ELi4ELi64ELi4ELc78ELc84ELb0ELb0ELb1EPKDF16_S2_DF16_EEviiiT16_PT17_ilS6_ilS4_S6_ilPT18_ili26rocblas_geam_ex_operation_.has_recursion, 0
	.set _ZN12_GLOBAL__N_120geam_min_plus_kernelIDF16_Dv2_DF16_S1_Li8ELi32ELi64ELi256ELi4ELi64ELi4ELi64ELi4ELc78ELc84ELb0ELb0ELb1EPKDF16_S2_DF16_EEviiiT16_PT17_ilS6_ilS4_S6_ilPT18_ili26rocblas_geam_ex_operation_.has_indirect_call, 0
	.section	.AMDGPU.csdata,"",@progbits
; Kernel info:
; codeLenInByte = 18388
; TotalNumSgprs: 35
; NumVgprs: 175
; NumAgprs: 0
; TotalNumVgprs: 175
; ScratchSize: 0
; MemoryBound: 0
; FloatMode: 240
; IeeeMode: 1
; LDSByteSize: 5120 bytes/workgroup (compile time only)
; SGPRBlocks: 4
; VGPRBlocks: 21
; NumSGPRsForWavesPerEU: 35
; NumVGPRsForWavesPerEU: 175
; AccumOffset: 176
; Occupancy: 2
; WaveLimiterHint : 1
; COMPUTE_PGM_RSRC2:SCRATCH_EN: 0
; COMPUTE_PGM_RSRC2:USER_SGPR: 2
; COMPUTE_PGM_RSRC2:TRAP_HANDLER: 0
; COMPUTE_PGM_RSRC2:TGID_X_EN: 1
; COMPUTE_PGM_RSRC2:TGID_Y_EN: 0
; COMPUTE_PGM_RSRC2:TGID_Z_EN: 1
; COMPUTE_PGM_RSRC2:TIDIG_COMP_CNT: 1
; COMPUTE_PGM_RSRC3_GFX90A:ACCUM_OFFSET: 43
; COMPUTE_PGM_RSRC3_GFX90A:TG_SPLIT: 0
	.section	.text._ZN12_GLOBAL__N_120geam_min_plus_kernelIDF16_Dv2_DF16_S1_Li8ELi32ELi64ELi256ELi4ELi64ELi4ELi64ELi4ELc78ELc84ELb1ELb0ELb1EDF16_KDF16_DF16_EEviiiT16_PT17_ilS5_ilS3_S5_ilPT18_ili26rocblas_geam_ex_operation_,"axG",@progbits,_ZN12_GLOBAL__N_120geam_min_plus_kernelIDF16_Dv2_DF16_S1_Li8ELi32ELi64ELi256ELi4ELi64ELi4ELi64ELi4ELc78ELc84ELb1ELb0ELb1EDF16_KDF16_DF16_EEviiiT16_PT17_ilS5_ilS3_S5_ilPT18_ili26rocblas_geam_ex_operation_,comdat
	.globl	_ZN12_GLOBAL__N_120geam_min_plus_kernelIDF16_Dv2_DF16_S1_Li8ELi32ELi64ELi256ELi4ELi64ELi4ELi64ELi4ELc78ELc84ELb1ELb0ELb1EDF16_KDF16_DF16_EEviiiT16_PT17_ilS5_ilS3_S5_ilPT18_ili26rocblas_geam_ex_operation_ ; -- Begin function _ZN12_GLOBAL__N_120geam_min_plus_kernelIDF16_Dv2_DF16_S1_Li8ELi32ELi64ELi256ELi4ELi64ELi4ELi64ELi4ELc78ELc84ELb1ELb0ELb1EDF16_KDF16_DF16_EEviiiT16_PT17_ilS5_ilS3_S5_ilPT18_ili26rocblas_geam_ex_operation_
	.p2align	8
	.type	_ZN12_GLOBAL__N_120geam_min_plus_kernelIDF16_Dv2_DF16_S1_Li8ELi32ELi64ELi256ELi4ELi64ELi4ELi64ELi4ELc78ELc84ELb1ELb0ELb1EDF16_KDF16_DF16_EEviiiT16_PT17_ilS5_ilS3_S5_ilPT18_ili26rocblas_geam_ex_operation_,@function
_ZN12_GLOBAL__N_120geam_min_plus_kernelIDF16_Dv2_DF16_S1_Li8ELi32ELi64ELi256ELi4ELi64ELi4ELi64ELi4ELc78ELc84ELb1ELb0ELb1EDF16_KDF16_DF16_EEviiiT16_PT17_ilS5_ilS3_S5_ilPT18_ili26rocblas_geam_ex_operation_: ; @_ZN12_GLOBAL__N_120geam_min_plus_kernelIDF16_Dv2_DF16_S1_Li8ELi32ELi64ELi256ELi4ELi64ELi4ELi64ELi4ELc78ELc84ELb1ELb0ELb1EDF16_KDF16_DF16_EEviiiT16_PT17_ilS5_ilS3_S5_ilPT18_ili26rocblas_geam_ex_operation_
; %bb.0:
	s_load_dwordx2 s[14:15], s[0:1], 0x8
	s_load_dwordx4 s[4:7], s[0:1], 0x20
	s_waitcnt lgkmcnt(0)
	v_cmp_eq_f16_e64 s[8:9], s15, 0
	s_and_b64 vcc, exec, s[8:9]
	s_cbranch_vccnz .LBB271_139
; %bb.1:
	s_load_dwordx2 s[10:11], s[0:1], 0x10
	s_mul_i32 s5, s5, s3
	s_mul_hi_u32 s12, s4, s3
	s_add_i32 s5, s12, s5
	s_mul_i32 s4, s4, s3
	s_lshl_b64 s[4:5], s[4:5], 1
	s_waitcnt lgkmcnt(0)
	s_add_u32 s16, s10, s4
	s_addc_u32 s17, s11, s5
	s_andn2_b64 vcc, exec, s[8:9]
	s_mov_b64 s[4:5], -1
	s_cbranch_vccnz .LBB271_3
.LBB271_2:
	s_mov_b64 s[4:5], 0
.LBB271_3:
	s_mov_b64 s[12:13], 0
	s_andn2_b64 vcc, exec, s[4:5]
	s_mov_b64 s[18:19], 0
	s_cbranch_vccnz .LBB271_5
; %bb.4:
	s_load_dwordx2 s[4:5], s[0:1], 0x38
	s_waitcnt lgkmcnt(0)
	s_mul_i32 s5, s5, s3
	s_mul_hi_u32 s8, s4, s3
	s_add_i32 s5, s8, s5
	s_mul_i32 s4, s4, s3
	s_lshl_b64 s[4:5], s[4:5], 1
	s_add_u32 s18, s6, s4
	s_addc_u32 s19, s7, s5
.LBB271_5:
	s_load_dword s15, s[0:1], 0x40
	s_load_dwordx4 s[8:11], s[0:1], 0x58
	s_waitcnt lgkmcnt(0)
	v_cmp_eq_f16_e64 s[4:5], s15, 0
	s_and_b64 s[4:5], exec, s[4:5]
	s_mov_b64 vcc, s[4:5]
	s_cbranch_vccnz .LBB271_7
; %bb.6:
	s_load_dwordx2 s[6:7], s[0:1], 0x48
	s_mul_i32 s9, s9, s3
	s_mul_hi_u32 s12, s8, s3
	s_add_i32 s9, s12, s9
	s_mul_i32 s8, s8, s3
	s_lshl_b64 s[8:9], s[8:9], 1
	s_waitcnt lgkmcnt(0)
	s_add_u32 s12, s6, s8
	s_addc_u32 s13, s7, s9
.LBB271_7:
	s_load_dword s6, s[0:1], 0x0
	s_load_dword s22, s[0:1], 0x18
	;; [unrolled: 1-line block ×3, first 2 shown]
	v_bfe_u32 v66, v0, 10, 10
	v_and_b32_e32 v65, 0x3ff, v0
	s_waitcnt lgkmcnt(0)
	s_add_i32 s6, s6, -1
	s_ashr_i32 s7, s6, 31
	s_lshr_b32 s7, s7, 26
	s_add_i32 s6, s6, s7
	s_ashr_i32 s6, s6, 6
	s_add_i32 s7, s6, 1
	v_cvt_f32_u32_e32 v1, s7
	s_not_b32 s6, s6
	v_lshlrev_b32_e32 v62, 3, v66
	v_add_u32_e32 v0, v62, v65
	v_rcp_iflag_f32_e32 v1, v1
	v_and_b32_e32 v8, 63, v0
	v_lshrrev_b32_e32 v30, 6, v0
	v_lshlrev_b32_e32 v70, 3, v65
	v_mul_f32_e32 v1, 0x4f7ffffe, v1
	v_cvt_u32_f32_e32 v1, v1
	v_add_u32_e32 v78, 0x1000, v70
	v_readfirstlane_b32 s8, v1
	s_mul_i32 s6, s6, s8
	s_mul_hi_u32 s6, s8, s6
	s_add_i32 s8, s8, s6
	s_mul_hi_u32 s6, s2, s8
	s_mul_i32 s8, s6, s7
	s_sub_i32 s8, s2, s8
	s_add_i32 s9, s6, 1
	s_sub_i32 s21, s8, s7
	s_cmp_ge_u32 s8, s7
	s_cselect_b32 s6, s9, s6
	s_cselect_b32 s8, s21, s8
	s_add_i32 s9, s6, 1
	s_cmp_ge_u32 s8, s7
	s_cselect_b32 s6, s9, s6
	s_mul_i32 s7, s6, s7
	s_lshl_b32 s24, s6, 8
	s_sub_i32 s2, s2, s7
	s_lshl_b32 s2, s2, 6
	v_or_b32_e32 v4, s24, v8
	v_or_b32_e32 v28, s2, v8
	v_mad_i64_i32 v[6:7], s[6:7], s20, v30, 0
	v_ashrrev_i32_e32 v5, 31, v4
	v_mad_i64_i32 v[0:1], s[6:7], s22, v30, 0
	v_ashrrev_i32_e32 v29, 31, v28
	v_lshl_add_u64 v[6:7], v[6:7], 1, s[18:19]
	v_lshlrev_b64 v[32:33], 1, v[4:5]
	v_lshl_add_u64 v[0:1], v[0:1], 1, s[16:17]
	v_lshlrev_b64 v[2:3], 1, v[28:29]
	v_lshl_add_u64 v[4:5], v[6:7], 0, v[32:33]
	v_lshl_add_u64 v[0:1], v[0:1], 0, v[2:3]
	global_load_ushort v6, v[4:5], off
	global_load_ushort v7, v[4:5], off offset:128
	global_load_ushort v9, v[4:5], off offset:256
	;; [unrolled: 1-line block ×3, first 2 shown]
	global_load_ushort v11, v[0:1], off
	v_add_u32_e32 v4, 4, v30
	v_mad_i64_i32 v[0:1], s[6:7], s22, v4, 0
	v_mad_i64_i32 v[4:5], s[6:7], s20, v4, 0
	v_lshl_add_u64 v[0:1], v[0:1], 1, s[16:17]
	v_lshl_add_u64 v[4:5], v[4:5], 1, s[18:19]
	;; [unrolled: 1-line block ×4, first 2 shown]
	global_load_ushort v31, v[4:5], off
	global_load_ushort v34, v[4:5], off offset:128
	global_load_ushort v35, v[4:5], off offset:256
	;; [unrolled: 1-line block ×3, first 2 shown]
	global_load_ushort v37, v[0:1], off
	v_lshlrev_b32_e32 v8, 3, v8
	v_lshl_add_u32 v79, v30, 1, v8
	s_movk_i32 s6, 0x7c00
	s_cmp_lt_i32 s14, 9
	s_waitcnt vmcnt(9)
	ds_write_b16 v79, v6
	s_waitcnt vmcnt(8)
	ds_write_b16 v79, v7 offset:512
	s_waitcnt vmcnt(7)
	ds_write_b16 v79, v9 offset:1024
	;; [unrolled: 2-line block ×4, first 2 shown]
	s_waitcnt lgkmcnt(0)
	s_barrier
	ds_read2_b64 v[16:19], v78 offset1:8
	ds_read2_b64 v[12:15], v78 offset0:16 offset1:24
	ds_read2_b64 v[4:7], v78 offset0:32 offset1:40
	ds_read2_b64 v[38:41], v62 offset1:32
	ds_read2_b64 v[0:3], v78 offset0:48 offset1:56
	ds_read2_b64 v[24:27], v62 offset0:64 offset1:96
	;; [unrolled: 1-line block ×4, first 2 shown]
	s_waitcnt lgkmcnt(4)
	v_pk_add_f16 v42, v16, v38
	v_pk_add_f16 v43, v18, v38
	;; [unrolled: 1-line block ×6, first 2 shown]
	s_waitcnt lgkmcnt(3)
	v_pk_add_f16 v48, v0, v38
	v_pk_add_f16 v38, v2, v38
	v_pk_add_f16 v49, v16, v40
	v_pk_add_f16 v50, v18, v40
	v_pk_add_f16 v51, v12, v40
	v_pk_add_f16 v52, v14, v40
	v_pk_add_f16 v53, v4, v40
	v_pk_add_f16 v54, v6, v40
	v_pk_add_f16 v55, v0, v40
	v_pk_add_f16 v40, v2, v40
	s_waitcnt lgkmcnt(2)
	v_pk_add_f16 v56, v16, v24
	v_pk_add_f16 v57, v18, v24
	v_pk_add_f16 v58, v12, v24
	v_pk_add_f16 v59, v14, v24
	v_pk_add_f16 v60, v4, v24
	v_pk_add_f16 v61, v6, v24
	v_pk_add_f16 v63, v0, v24
	v_pk_add_f16 v24, v2, v24
	v_pk_add_f16 v64, v16, v26
	v_pk_add_f16 v67, v18, v26
	v_pk_add_f16 v68, v12, v26
	v_pk_add_f16 v69, v14, v26
	v_pk_add_f16 v71, v4, v26
	v_pk_add_f16 v72, v6, v26
	v_pk_add_f16 v73, v0, v26
	v_pk_add_f16 v26, v2, v26
	s_waitcnt lgkmcnt(1)
	v_pk_add_f16 v74, v16, v20
	v_pk_add_f16 v75, v18, v20
	v_pk_add_f16 v76, v12, v20
	v_pk_add_f16 v77, v14, v20
	v_pk_add_f16 v80, v4, v20
	v_pk_add_f16 v81, v6, v20
	v_pk_add_f16 v82, v0, v20
	v_pk_add_f16 v20, v2, v20
	v_pk_add_f16 v101, v16, v22
	v_pk_add_f16 v102, v18, v22
	v_pk_add_f16 v103, v12, v22
	v_pk_add_f16 v104, v14, v22
	v_pk_add_f16 v105, v4, v22
	v_pk_add_f16 v127, v6, v22
	v_pk_add_f16 v128, v0, v22
	v_pk_add_f16 v22, v2, v22
	s_waitcnt lgkmcnt(0)
	v_pk_add_f16 v129, v16, v8
	v_pk_add_f16 v130, v18, v8
	v_pk_add_f16 v131, v12, v8
	v_pk_add_f16 v132, v14, v8
	v_pk_add_f16 v133, v4, v8
	v_pk_add_f16 v134, v6, v8
	v_pk_add_f16 v135, v0, v8
	v_pk_add_f16 v8, v2, v8
	;; [unrolled: 1-line block ×11, first 2 shown]
	v_pk_min_f16 v10, v42, s6 op_sel_hi:[1,0]
	v_pk_min_f16 v8, v8, s6 op_sel_hi:[1,0]
	v_pk_min_f16 v126, v10, v2
	v_pk_add_f16 v2, v19, v39
	v_pk_min_f16 v10, v43, s6 op_sel_hi:[1,0]
	v_pk_min_f16 v4, v4, s6 op_sel_hi:[1,0]
	v_pk_min_f16 v125, v10, v2
	v_pk_add_f16 v2, v13, v39
	;; [unrolled: 4-line block ×3, first 2 shown]
	v_pk_min_f16 v10, v45, s6 op_sel_hi:[1,0]
	s_waitcnt vmcnt(0)
	ds_write_b16 v79, v37 offset:4608
	ds_write_b16 v79, v31 offset:2048
	;; [unrolled: 1-line block ×5, first 2 shown]
	v_pk_min_f16 v123, v10, v2
	v_pk_add_f16 v2, v5, v39
	v_pk_min_f16 v10, v46, s6 op_sel_hi:[1,0]
	s_waitcnt lgkmcnt(0)
	v_pk_min_f16 v122, v10, v2
	v_pk_add_f16 v2, v7, v39
	v_pk_min_f16 v10, v47, s6 op_sel_hi:[1,0]
	s_barrier
	v_pk_min_f16 v121, v10, v2
	v_pk_add_f16 v2, v1, v39
	v_pk_min_f16 v10, v48, s6 op_sel_hi:[1,0]
	s_nop 0
	v_pk_min_f16 v120, v10, v2
	v_pk_add_f16 v2, v3, v39
	v_pk_min_f16 v10, v38, s6 op_sel_hi:[1,0]
	s_nop 0
	;; [unrolled: 4-line block ×48, first 2 shown]
	v_pk_min_f16 v63, v10, v2
	v_pk_add_f16 v2, v1, v9
	v_pk_min_f16 v10, v135, s6 op_sel_hi:[1,0]
	v_pk_add_f16 v1, v1, v11
	v_pk_min_f16 v61, v10, v2
	v_pk_add_f16 v2, v3, v9
	s_nop 0
	v_pk_min_f16 v60, v8, v2
	v_pk_add_f16 v2, v17, v11
	v_pk_min_f16 v8, v16, s6 op_sel_hi:[1,0]
	s_nop 0
	v_pk_min_f16 v59, v8, v2
	v_pk_add_f16 v2, v19, v11
	v_pk_min_f16 v8, v18, s6 op_sel_hi:[1,0]
	s_nop 0
	v_pk_min_f16 v58, v8, v2
	v_pk_add_f16 v2, v13, v11
	v_pk_min_f16 v8, v12, s6 op_sel_hi:[1,0]
	s_nop 0
	v_pk_min_f16 v57, v8, v2
	v_pk_add_f16 v2, v15, v11
	v_pk_min_f16 v8, v14, s6 op_sel_hi:[1,0]
	s_nop 0
	v_pk_min_f16 v56, v8, v2
	v_pk_add_f16 v2, v5, v11
	s_nop 0
	v_pk_min_f16 v55, v4, v2
	v_pk_add_f16 v2, v7, v11
	v_pk_min_f16 v4, v6, s6 op_sel_hi:[1,0]
	s_nop 0
	v_pk_min_f16 v54, v4, v2
	v_pk_min_f16 v2, v136, s6 op_sel_hi:[1,0]
	s_nop 0
	v_pk_min_f16 v52, v2, v1
	v_pk_add_f16 v1, v3, v11
	s_nop 0
	v_pk_min_f16 v53, v0, v1
	s_cbranch_scc1 .LBB271_10
; %bb.8:
	v_mov_b32_e32 v0, 0x1200
	v_add_u32_e32 v2, 12, v30
	v_lshl_add_u32 v104, v65, 3, v0
	v_mad_i64_i32 v[0:1], s[6:7], v2, s22, 0
	v_add_u32_e32 v3, 8, v30
	v_lshlrev_b64 v[36:37], 1, v[0:1]
	v_mad_i64_i32 v[0:1], s[8:9], v3, s20, 0
	v_lshl_add_u64 v[34:35], v[28:29], 1, s[16:17]
	v_lshl_add_u64 v[38:39], v[0:1], 1, s[18:19]
	v_mad_i64_i32 v[0:1], s[16:17], v3, s22, 0
	s_ashr_i32 s23, s22, 31
	s_ashr_i32 s21, s20, 31
	v_lshlrev_b64 v[40:41], 1, v[0:1]
	v_mad_i64_i32 v[0:1], s[16:17], v2, s20, 0
	v_or_b32_e32 v101, 0x1000, v79
	v_add_u32_e32 v102, 0x1200, v79
	v_or_b32_e32 v103, 0x800, v79
	s_add_i32 s14, s14, -8
	v_add_u32_e32 v105, 0x800, v62
	s_lshl_b64 s[6:7], s[22:23], 4
	s_lshl_b64 s[8:9], s[20:21], 4
	v_lshl_add_u64 v[42:43], v[0:1], 1, s[18:19]
	s_mov_b32 s16, 0
.LBB271_9:                              ; =>This Inner Loop Header: Depth=1
	v_lshl_add_u64 v[46:47], v[34:35], 0, v[40:41]
	v_lshl_add_u64 v[44:45], v[38:39], 0, v[32:33]
	ds_read2_b64 v[12:15], v104 offset1:8
	ds_read2_b64 v[8:11], v104 offset0:16 offset1:24
	ds_read2_b64 v[4:7], v104 offset0:32 offset1:40
	;; [unrolled: 1-line block ×3, first 2 shown]
	ds_read2_b64 v[28:31], v105 offset1:32
	ds_read2_b64 v[24:27], v105 offset0:64 offset1:96
	ds_read2_b64 v[20:23], v105 offset0:128 offset1:160
	;; [unrolled: 1-line block ×3, first 2 shown]
	global_load_ushort v46, v[46:47], off
	s_nop 0
	global_load_ushort v47, v[44:45], off
	global_load_ushort v127, v[44:45], off offset:128
	global_load_ushort v128, v[44:45], off offset:256
	s_nop 0
	global_load_ushort v44, v[44:45], off offset:384
	v_lshl_add_u64 v[50:51], v[34:35], 0, v[36:37]
	v_lshl_add_u64 v[48:49], v[42:43], 0, v[32:33]
	v_pk_max_f16 v126, v126, v126
	v_pk_max_f16 v124, v124, v124
	;; [unrolled: 1-line block ×28, first 2 shown]
	s_waitcnt lgkmcnt(3)
	v_pk_add_f16 v45, v12, v28
	v_pk_add_f16 v129, v14, v28
	;; [unrolled: 1-line block ×16, first 2 shown]
	s_waitcnt lgkmcnt(2)
	v_pk_add_f16 v142, v12, v24
	v_pk_add_f16 v143, v14, v24
	;; [unrolled: 1-line block ×16, first 2 shown]
	s_waitcnt lgkmcnt(1)
	v_pk_add_f16 v156, v12, v20
	v_pk_add_f16 v157, v14, v20
	;; [unrolled: 1-line block ×15, first 2 shown]
	s_waitcnt vmcnt(4)
	ds_write_b16 v101, v46
	s_waitcnt vmcnt(3)
	ds_write_b16 v79, v47
	s_waitcnt vmcnt(2)
	ds_write_b16 v79, v127 offset:512
	s_waitcnt vmcnt(1)
	ds_write_b16 v79, v128 offset:1024
	;; [unrolled: 2-line block ×3, first 2 shown]
	s_waitcnt lgkmcnt(0)
	s_barrier
	global_load_ushort v44, v[50:51], off
	global_load_ushort v46, v[48:49], off
	global_load_ushort v47, v[48:49], off offset:128
	s_nop 0
	global_load_ushort v50, v[48:49], off offset:256
	global_load_ushort v51, v[48:49], off offset:384
	v_pk_add_f16 v22, v2, v22
	v_pk_add_f16 v170, v12, v16
	;; [unrolled: 1-line block ×17, first 2 shown]
	v_pk_max_f16 v125, v125, v125
	v_pk_add_f16 v18, v13, v29
	v_pk_add_f16 v177, v15, v29
	;; [unrolled: 1-line block ×64, first 2 shown]
	v_pk_min_f16 v19, v126, v45
	v_pk_min_f16 v124, v124, v130
	;; [unrolled: 1-line block ×57, first 2 shown]
	ds_read2_b64 v[0:3], v78 offset1:8
	ds_read2_b64 v[4:7], v78 offset0:16 offset1:24
	ds_read2_b64 v[8:11], v78 offset0:32 offset1:40
	ds_read2_b64 v[12:15], v62 offset1:32
	ds_read2_b64 v[16:19], v78 offset0:48 offset1:56
	ds_read2_b64 v[20:23], v62 offset0:64 offset1:96
	;; [unrolled: 1-line block ×4, first 2 shown]
	v_pk_max_f16 v110, v110, v110
	v_pk_max_f16 v109, v109, v109
	;; [unrolled: 1-line block ×35, first 2 shown]
	v_pk_min_f16 v110, v110, v142
	v_pk_min_f16 v109, v109, v143
	;; [unrolled: 1-line block ×71, first 2 shown]
	s_waitcnt lgkmcnt(4)
	v_pk_add_f16 v48, v0, v12
	v_pk_add_f16 v49, v2, v12
	;; [unrolled: 1-line block ×6, first 2 shown]
	s_waitcnt lgkmcnt(3)
	v_pk_add_f16 v130, v16, v12
	v_pk_add_f16 v12, v18, v12
	v_pk_add_f16 v131, v0, v14
	v_pk_add_f16 v132, v2, v14
	v_pk_add_f16 v133, v4, v14
	v_pk_add_f16 v134, v6, v14
	v_pk_add_f16 v135, v8, v14
	v_pk_add_f16 v136, v10, v14
	v_pk_add_f16 v137, v16, v14
	v_pk_add_f16 v14, v18, v14
	s_waitcnt lgkmcnt(2)
	v_pk_add_f16 v138, v0, v20
	v_pk_add_f16 v139, v2, v20
	v_pk_add_f16 v140, v4, v20
	v_pk_add_f16 v141, v6, v20
	v_pk_add_f16 v142, v8, v20
	v_pk_add_f16 v143, v10, v20
	v_pk_add_f16 v144, v16, v20
	v_pk_add_f16 v20, v18, v20
	v_pk_add_f16 v145, v0, v22
	v_pk_add_f16 v146, v2, v22
	v_pk_add_f16 v147, v4, v22
	v_pk_add_f16 v148, v6, v22
	v_pk_add_f16 v149, v8, v22
	v_pk_add_f16 v150, v10, v22
	v_pk_add_f16 v151, v16, v22
	v_pk_add_f16 v22, v18, v22
	s_waitcnt lgkmcnt(1)
	v_pk_add_f16 v152, v0, v24
	v_pk_add_f16 v153, v2, v24
	v_pk_add_f16 v154, v4, v24
	v_pk_add_f16 v155, v6, v24
	v_pk_add_f16 v156, v8, v24
	v_pk_add_f16 v157, v10, v24
	;; [unrolled: 17-line block ×3, first 2 shown]
	v_pk_add_f16 v172, v16, v28
	v_pk_add_f16 v28, v18, v28
	;; [unrolled: 1-line block ×10, first 2 shown]
	s_add_i32 s16, s16, 8
	v_pk_add_f16 v30, v1, v13
	v_pk_add_f16 v173, v3, v13
	;; [unrolled: 1-line block ×64, first 2 shown]
	v_pk_min_f16 v31, v52, v48
	v_pk_min_f16 v45, v45, v49
	;; [unrolled: 1-line block ×64, first 2 shown]
	v_lshl_add_u64 v[34:35], v[34:35], 0, s[6:7]
	v_lshl_add_u64 v[38:39], v[38:39], 0, s[8:9]
	;; [unrolled: 1-line block ×3, first 2 shown]
	s_cmp_ge_i32 s16, s14
	v_pk_min_f16 v126, v31, v30
	v_pk_min_f16 v125, v45, v173
	;; [unrolled: 1-line block ×64, first 2 shown]
	s_waitcnt vmcnt(4)
	ds_write_b16 v102, v44
	s_waitcnt vmcnt(3)
	ds_write_b16 v103, v46
	s_waitcnt vmcnt(2)
	ds_write_b16 v103, v47 offset:512
	s_waitcnt vmcnt(1)
	ds_write_b16 v103, v50 offset:1024
	;; [unrolled: 2-line block ×3, first 2 shown]
	s_waitcnt lgkmcnt(0)
	s_barrier
	s_cbranch_scc0 .LBB271_9
.LBB271_10:
	s_load_dword s8, s[0:1], 0x50
	ds_read_b64 v[30:31], v70 offset:4608
	ds_read_b64 v[46:47], v62 offset:2048
	v_add_u32_e32 v28, s2, v65
	v_add_u32_e32 v65, s24, v66
	v_cmp_neq_f16_e64 s[6:7], s15, 0
	s_waitcnt lgkmcnt(0)
	v_mad_i64_i32 v[0:1], s[16:17], v65, s8, 0
	v_ashrrev_i32_e32 v29, 31, v28
	v_lshl_add_u64 v[48:49], v[0:1], 1, s[12:13]
	v_mov_b32_e32 v34, 0
	s_and_b64 vcc, exec, s[6:7]
	v_mov_b32_e32 v35, 0
	s_cbranch_vccz .LBB271_12
; %bb.11:
	v_lshl_add_u64 v[0:1], v[28:29], 1, v[48:49]
	global_load_ushort v0, v[0:1], off
	s_waitcnt vmcnt(0)
	v_mul_f16_e32 v0, s15, v0
	v_cvt_f32_f16_e32 v35, v0
.LBB271_12:
	v_add_u32_e32 v0, 0x1000, v70
	v_pk_add_f16 v32, v30, v46
	v_max_f16_e32 v33, v126, v126
	v_pk_add_f16 v37, v31, v47
	ds_read2_b64 v[8:11], v0 offset0:72 offset1:80
	ds_read2_b64 v[4:7], v0 offset0:88 offset1:96
	;; [unrolled: 1-line block ×3, first 2 shown]
	ds_read_b64 v[24:25], v70 offset:5056
	s_load_dword s9, s[0:1], 0x68
	s_load_dwordx2 s[16:17], s[0:1], 0x70
	v_min_f16_e32 v36, v33, v32
	v_lshrrev_b32_e32 v33, 16, v126
	v_lshrrev_b32_e32 v32, 16, v32
	;; [unrolled: 1-line block ×3, first 2 shown]
	v_min3_f16 v38, v33, v32, v38
	v_min3_f16 v36, v36, v37, v38
	v_cvt_f32_f16_e32 v38, v36
	v_add_u32_e32 v12, 0x800, v62
	ds_read2_b64 v[20:23], v12 offset0:32 offset1:64
	ds_read2_b64 v[16:19], v12 offset0:96 offset1:128
	;; [unrolled: 1-line block ×3, first 2 shown]
	ds_read_b64 v[26:27], v62 offset:3840
	s_waitcnt lgkmcnt(0)
	s_mul_i32 s0, s17, s3
	s_mul_hi_u32 s1, s16, s3
	s_add_i32 s1, s1, s0
	s_mul_i32 s0, s16, s3
	v_max_f32_e32 v35, v35, v35
	s_lshl_b64 s[0:1], s[0:1], 1
	v_min_f32_e32 v35, v35, v38
	s_add_u32 s2, s10, s0
	v_cvt_f16_f32_e32 v35, v35
	s_addc_u32 s3, s11, s1
	v_mad_i64_i32 v[36:37], s[0:1], v65, s9, 0
	v_add_u32_e32 v32, 8, v28
	v_lshl_add_u64 v[50:51], v[36:37], 1, s[2:3]
	v_cndmask_b32_e64 v38, 0, 1, s[6:7]
	v_ashrrev_i32_e32 v33, 31, v32
	v_lshl_add_u64 v[36:37], v[28:29], 1, v[50:51]
	v_cmp_ne_u32_e64 s[0:1], 1, v38
	s_andn2_b64 vcc, exec, s[6:7]
	global_store_short v[36:37], v35, off
	s_cbranch_vccnz .LBB271_14
; %bb.13:
	v_lshl_add_u64 v[34:35], v[32:33], 1, v[48:49]
	global_load_ushort v34, v[34:35], off
	s_waitcnt vmcnt(0)
	v_mul_f16_e32 v34, s15, v34
	v_cvt_f32_f16_e32 v34, v34
.LBB271_14:
	v_pk_add_f16 v35, v8, v46
	v_max_f16_e32 v36, v125, v125
	v_pk_add_f16 v38, v9, v47
	v_min_f16_e32 v36, v36, v35
	v_lshrrev_b32_e32 v37, 16, v125
	v_lshrrev_b32_e32 v35, 16, v35
	;; [unrolled: 1-line block ×3, first 2 shown]
	v_min3_f16 v35, v37, v35, v39
	v_min3_f16 v35, v36, v38, v35
	v_cvt_f32_f16_e32 v35, v35
	v_max_f32_e32 v34, v34, v34
	v_lshl_add_u64 v[36:37], v[32:33], 1, v[50:51]
	s_and_b64 vcc, exec, s[0:1]
	v_min_f32_e32 v34, v34, v35
	v_cvt_f16_f32_e32 v38, v34
	v_add_u32_e32 v34, 16, v28
	v_ashrrev_i32_e32 v35, 31, v34
	global_store_short v[36:37], v38, off
	v_mov_b32_e32 v38, 0
	v_mov_b32_e32 v37, 0
	s_cbranch_vccnz .LBB271_16
; %bb.15:
	v_lshl_add_u64 v[36:37], v[34:35], 1, v[48:49]
	global_load_ushort v36, v[36:37], off
	s_waitcnt vmcnt(0)
	v_mul_f16_e32 v36, s15, v36
	v_cvt_f32_f16_e32 v37, v36
.LBB271_16:
	v_pk_add_f16 v36, v10, v46
	v_max_f16_e32 v39, v124, v124
	v_pk_add_f16 v41, v11, v47
	v_min_f16_e32 v39, v39, v36
	v_lshrrev_b32_e32 v40, 16, v124
	v_lshrrev_b32_e32 v36, 16, v36
	;; [unrolled: 1-line block ×3, first 2 shown]
	v_min3_f16 v36, v40, v36, v42
	v_min3_f16 v36, v39, v41, v36
	v_cvt_f32_f16_e32 v39, v36
	v_max_f32_e32 v37, v37, v37
	v_add_u32_e32 v36, 24, v28
	v_lshl_add_u64 v[40:41], v[34:35], 1, v[50:51]
	v_min_f32_e32 v37, v37, v39
	v_cvt_f16_f32_e32 v39, v37
	v_ashrrev_i32_e32 v37, 31, v36
	s_and_b64 vcc, exec, s[0:1]
	global_store_short v[40:41], v39, off
	s_cbranch_vccnz .LBB271_18
; %bb.17:
	v_lshl_add_u64 v[38:39], v[36:37], 1, v[48:49]
	global_load_ushort v38, v[38:39], off
	s_waitcnt vmcnt(0)
	v_mul_f16_e32 v38, s15, v38
	v_cvt_f32_f16_e32 v38, v38
.LBB271_18:
	v_pk_add_f16 v39, v4, v46
	v_max_f16_e32 v40, v123, v123
	v_pk_add_f16 v42, v5, v47
	v_min_f16_e32 v40, v40, v39
	v_lshrrev_b32_e32 v41, 16, v123
	v_lshrrev_b32_e32 v39, 16, v39
	;; [unrolled: 1-line block ×3, first 2 shown]
	v_min3_f16 v39, v41, v39, v43
	v_min3_f16 v39, v40, v42, v39
	v_cvt_f32_f16_e32 v39, v39
	v_max_f32_e32 v38, v38, v38
	v_add_u32_e32 v40, 32, v28
	v_ashrrev_i32_e32 v41, 31, v40
	v_min_f32_e32 v38, v38, v39
	v_cvt_f16_f32_e32 v42, v38
	v_lshl_add_u64 v[38:39], v[36:37], 1, v[50:51]
	s_and_b64 vcc, exec, s[0:1]
	global_store_short v[38:39], v42, off
	v_mov_b32_e32 v42, 0
	v_mov_b32_e32 v39, 0
	s_cbranch_vccnz .LBB271_20
; %bb.19:
	v_lshl_add_u64 v[38:39], v[40:41], 1, v[48:49]
	global_load_ushort v38, v[38:39], off
	s_waitcnt vmcnt(0)
	v_mul_f16_e32 v38, s15, v38
	v_cvt_f32_f16_e32 v39, v38
.LBB271_20:
	v_pk_add_f16 v38, v6, v46
	v_max_f16_e32 v43, v122, v122
	v_pk_add_f16 v45, v7, v47
	v_min_f16_e32 v43, v43, v38
	v_lshrrev_b32_e32 v44, 16, v122
	v_lshrrev_b32_e32 v38, 16, v38
	;; [unrolled: 1-line block ×3, first 2 shown]
	v_min3_f16 v38, v44, v38, v62
	v_min3_f16 v38, v43, v45, v38
	v_cvt_f32_f16_e32 v43, v38
	v_max_f32_e32 v39, v39, v39
	v_add_u32_e32 v38, 40, v28
	v_lshl_add_u64 v[44:45], v[40:41], 1, v[50:51]
	v_min_f32_e32 v39, v39, v43
	v_cvt_f16_f32_e32 v43, v39
	v_ashrrev_i32_e32 v39, 31, v38
	s_and_b64 vcc, exec, s[0:1]
	global_store_short v[44:45], v43, off
	s_cbranch_vccnz .LBB271_22
; %bb.21:
	v_lshl_add_u64 v[42:43], v[38:39], 1, v[48:49]
	global_load_ushort v42, v[42:43], off
	s_waitcnt vmcnt(0)
	v_mul_f16_e32 v42, s15, v42
	v_cvt_f32_f16_e32 v42, v42
.LBB271_22:
	v_pk_add_f16 v43, v0, v46
	v_max_f16_e32 v44, v121, v121
	v_pk_add_f16 v62, v1, v47
	v_min_f16_e32 v44, v44, v43
	v_lshrrev_b32_e32 v45, 16, v121
	v_lshrrev_b32_e32 v43, 16, v43
	;; [unrolled: 1-line block ×3, first 2 shown]
	v_min3_f16 v43, v45, v43, v66
	v_min3_f16 v43, v44, v62, v43
	v_cvt_f32_f16_e32 v43, v43
	v_max_f32_e32 v42, v42, v42
	v_lshl_add_u64 v[44:45], v[38:39], 1, v[50:51]
	s_and_b64 vcc, exec, s[0:1]
	v_min_f32_e32 v42, v42, v43
	v_cvt_f16_f32_e32 v62, v42
	v_add_u32_e32 v42, 48, v28
	v_ashrrev_i32_e32 v43, 31, v42
	global_store_short v[44:45], v62, off
	v_mov_b32_e32 v62, 0
	v_mov_b32_e32 v45, 0
	s_cbranch_vccnz .LBB271_24
; %bb.23:
	v_lshl_add_u64 v[44:45], v[42:43], 1, v[48:49]
	global_load_ushort v44, v[44:45], off
	s_waitcnt vmcnt(0)
	v_mul_f16_e32 v44, s15, v44
	v_cvt_f32_f16_e32 v45, v44
.LBB271_24:
	v_pk_add_f16 v44, v2, v46
	v_max_f16_e32 v66, v120, v120
	v_pk_add_f16 v78, v3, v47
	v_min_f16_e32 v66, v66, v44
	v_lshrrev_b32_e32 v70, 16, v120
	v_lshrrev_b32_e32 v44, 16, v44
	;; [unrolled: 1-line block ×3, first 2 shown]
	v_min3_f16 v44, v70, v44, v79
	v_min3_f16 v44, v66, v78, v44
	v_cvt_f32_f16_e32 v66, v44
	v_max_f32_e32 v45, v45, v45
	v_add_u32_e32 v44, 56, v28
	v_lshl_add_u64 v[78:79], v[42:43], 1, v[50:51]
	v_min_f32_e32 v45, v45, v66
	v_cvt_f16_f32_e32 v66, v45
	v_ashrrev_i32_e32 v45, 31, v44
	s_and_b64 vcc, exec, s[0:1]
	global_store_short v[78:79], v66, off
	s_cbranch_vccnz .LBB271_26
; %bb.25:
	v_lshl_add_u64 v[48:49], v[44:45], 1, v[48:49]
	global_load_ushort v48, v[48:49], off
	s_waitcnt vmcnt(0)
	v_mul_f16_e32 v48, s15, v48
	v_cvt_f32_f16_e32 v62, v48
.LBB271_26:
	v_pk_add_f16 v46, v24, v46
	v_max_f16_e32 v48, v119, v119
	v_pk_add_f16 v47, v25, v47
	v_min_f16_e32 v48, v48, v46
	v_lshrrev_b32_e32 v49, 16, v119
	v_lshrrev_b32_e32 v46, 16, v46
	;; [unrolled: 1-line block ×3, first 2 shown]
	v_min3_f16 v46, v49, v46, v66
	v_min3_f16 v46, v48, v47, v46
	v_cvt_f32_f16_e32 v46, v46
	v_max_f32_e32 v47, v62, v62
	s_and_b64 vcc, exec, s[0:1]
	v_mov_b32_e32 v49, 0
	v_min_f32_e32 v46, v47, v46
	v_cvt_f16_f32_e32 v48, v46
	v_lshl_add_u64 v[46:47], v[44:45], 1, v[50:51]
	v_mov_b32_e32 v50, 0
	global_store_short v[46:47], v48, off
	v_add_u32_e32 v48, 32, v65
	v_mad_i64_i32 v[46:47], s[6:7], v48, s8, 0
	v_lshl_add_u64 v[46:47], v[46:47], 1, s[12:13]
	s_cbranch_vccnz .LBB271_28
; %bb.27:
	v_lshl_add_u64 v[78:79], v[28:29], 1, v[46:47]
	global_load_ushort v49, v[78:79], off
	s_waitcnt vmcnt(0)
	v_mul_f16_e32 v49, s15, v49
	v_cvt_f32_f16_e32 v49, v49
.LBB271_28:
	v_pk_add_f16 v51, v30, v20
	v_max_f16_e32 v62, v118, v118
	v_pk_add_f16 v70, v31, v21
	v_min_f16_e32 v62, v62, v51
	v_lshrrev_b32_e32 v66, 16, v118
	v_lshrrev_b32_e32 v51, 16, v51
	;; [unrolled: 1-line block ×3, first 2 shown]
	v_min3_f16 v51, v66, v51, v78
	v_min3_f16 v51, v62, v70, v51
	v_cvt_f32_f16_e32 v51, v51
	v_mad_i64_i32 v[78:79], s[6:7], v48, s9, 0
	v_max_f32_e32 v48, v49, v49
	v_min_f32_e32 v48, v48, v51
	v_cvt_f16_f32_e32 v51, v48
	v_lshl_add_u64 v[48:49], v[78:79], 1, s[2:3]
	v_lshl_add_u64 v[78:79], v[28:29], 1, v[48:49]
	s_and_b64 vcc, exec, s[0:1]
	global_store_short v[78:79], v51, off
	s_cbranch_vccnz .LBB271_30
; %bb.29:
	v_lshl_add_u64 v[50:51], v[32:33], 1, v[46:47]
	global_load_ushort v50, v[50:51], off
	s_waitcnt vmcnt(0)
	v_mul_f16_e32 v50, s15, v50
	v_cvt_f32_f16_e32 v50, v50
.LBB271_30:
	v_pk_add_f16 v51, v8, v20
	v_max_f16_e32 v62, v117, v117
	v_pk_add_f16 v70, v9, v21
	v_min_f16_e32 v62, v62, v51
	v_lshrrev_b32_e32 v66, 16, v117
	v_lshrrev_b32_e32 v51, 16, v51
	v_lshrrev_b32_e32 v78, 16, v70
	v_min3_f16 v51, v66, v51, v78
	v_min3_f16 v51, v62, v70, v51
	v_cvt_f32_f16_e32 v51, v51
	v_max_f32_e32 v50, v50, v50
	s_and_b64 vcc, exec, s[0:1]
	v_min_f32_e32 v50, v50, v51
	v_cvt_f16_f32_e32 v62, v50
	v_lshl_add_u64 v[50:51], v[32:33], 1, v[48:49]
	global_store_short v[50:51], v62, off
	v_mov_b32_e32 v50, 0
	v_mov_b32_e32 v51, 0
	s_cbranch_vccnz .LBB271_32
; %bb.31:
	v_lshl_add_u64 v[78:79], v[34:35], 1, v[46:47]
	global_load_ushort v51, v[78:79], off
	s_waitcnt vmcnt(0)
	v_mul_f16_e32 v51, s15, v51
	v_cvt_f32_f16_e32 v51, v51
.LBB271_32:
	v_pk_add_f16 v62, v10, v20
	v_max_f16_e32 v66, v116, v116
	v_pk_add_f16 v78, v11, v21
	v_min_f16_e32 v66, v66, v62
	v_lshrrev_b32_e32 v70, 16, v116
	v_lshrrev_b32_e32 v62, 16, v62
	v_lshrrev_b32_e32 v79, 16, v78
	v_min3_f16 v62, v70, v62, v79
	v_min3_f16 v62, v66, v78, v62
	v_cvt_f32_f16_e32 v62, v62
	v_max_f32_e32 v51, v51, v51
	v_lshl_add_u64 v[78:79], v[34:35], 1, v[48:49]
	s_and_b64 vcc, exec, s[0:1]
	v_min_f32_e32 v51, v51, v62
	v_cvt_f16_f32_e32 v51, v51
	global_store_short v[78:79], v51, off
	s_cbranch_vccnz .LBB271_34
; %bb.33:
	v_lshl_add_u64 v[50:51], v[36:37], 1, v[46:47]
	global_load_ushort v50, v[50:51], off
	s_waitcnt vmcnt(0)
	v_mul_f16_e32 v50, s15, v50
	v_cvt_f32_f16_e32 v50, v50
.LBB271_34:
	v_pk_add_f16 v51, v4, v20
	v_max_f16_e32 v62, v115, v115
	v_pk_add_f16 v70, v5, v21
	v_min_f16_e32 v62, v62, v51
	v_lshrrev_b32_e32 v66, 16, v115
	v_lshrrev_b32_e32 v51, 16, v51
	v_lshrrev_b32_e32 v78, 16, v70
	v_min3_f16 v51, v66, v51, v78
	v_min3_f16 v51, v62, v70, v51
	v_cvt_f32_f16_e32 v51, v51
	v_max_f32_e32 v50, v50, v50
	s_and_b64 vcc, exec, s[0:1]
	v_min_f32_e32 v50, v50, v51
	v_cvt_f16_f32_e32 v62, v50
	v_lshl_add_u64 v[50:51], v[36:37], 1, v[48:49]
	global_store_short v[50:51], v62, off
	v_mov_b32_e32 v50, 0
	v_mov_b32_e32 v51, 0
	s_cbranch_vccnz .LBB271_36
; %bb.35:
	v_lshl_add_u64 v[78:79], v[40:41], 1, v[46:47]
	global_load_ushort v51, v[78:79], off
	s_waitcnt vmcnt(0)
	v_mul_f16_e32 v51, s15, v51
	v_cvt_f32_f16_e32 v51, v51
.LBB271_36:
	v_pk_add_f16 v62, v6, v20
	v_max_f16_e32 v66, v114, v114
	v_pk_add_f16 v78, v7, v21
	v_min_f16_e32 v66, v66, v62
	v_lshrrev_b32_e32 v70, 16, v114
	v_lshrrev_b32_e32 v62, 16, v62
	v_lshrrev_b32_e32 v79, 16, v78
	v_min3_f16 v62, v70, v62, v79
	v_min3_f16 v62, v66, v78, v62
	v_cvt_f32_f16_e32 v62, v62
	v_max_f32_e32 v51, v51, v51
	v_lshl_add_u64 v[78:79], v[40:41], 1, v[48:49]
	s_and_b64 vcc, exec, s[0:1]
	v_min_f32_e32 v51, v51, v62
	v_cvt_f16_f32_e32 v51, v51
	;; [unrolled: 50-line block ×3, first 2 shown]
	global_store_short v[78:79], v51, off
	s_cbranch_vccnz .LBB271_42
; %bb.41:
	v_lshl_add_u64 v[46:47], v[44:45], 1, v[46:47]
	global_load_ushort v46, v[46:47], off
	s_waitcnt vmcnt(0)
	v_mul_f16_e32 v46, s15, v46
	v_cvt_f32_f16_e32 v50, v46
.LBB271_42:
	v_pk_add_f16 v20, v24, v20
	v_max_f16_e32 v46, v111, v111
	v_pk_add_f16 v21, v25, v21
	v_min_f16_e32 v46, v46, v20
	v_lshrrev_b32_e32 v47, 16, v111
	v_lshrrev_b32_e32 v20, 16, v20
	;; [unrolled: 1-line block ×3, first 2 shown]
	v_min3_f16 v20, v47, v20, v51
	v_min3_f16 v20, v46, v21, v20
	v_cvt_f32_f16_e32 v20, v20
	v_max_f32_e32 v21, v50, v50
	s_and_b64 vcc, exec, s[0:1]
	v_mov_b32_e32 v47, 0
	v_min_f32_e32 v20, v21, v20
	v_cvt_f16_f32_e32 v46, v20
	v_lshl_add_u64 v[20:21], v[44:45], 1, v[48:49]
	v_mov_b32_e32 v48, 0
	global_store_short v[20:21], v46, off
	v_add_u32_e32 v46, 64, v65
	v_mad_i64_i32 v[20:21], s[6:7], v46, s8, 0
	v_lshl_add_u64 v[20:21], v[20:21], 1, s[12:13]
	s_cbranch_vccnz .LBB271_44
; %bb.43:
	v_lshl_add_u64 v[50:51], v[28:29], 1, v[20:21]
	global_load_ushort v47, v[50:51], off
	s_waitcnt vmcnt(0)
	v_mul_f16_e32 v47, s15, v47
	v_cvt_f32_f16_e32 v47, v47
.LBB271_44:
	v_pk_add_f16 v49, v30, v22
	v_max_f16_e32 v50, v110, v110
	v_pk_add_f16 v62, v31, v23
	v_min_f16_e32 v50, v50, v49
	v_lshrrev_b32_e32 v51, 16, v110
	v_lshrrev_b32_e32 v49, 16, v49
	;; [unrolled: 1-line block ×3, first 2 shown]
	v_min3_f16 v49, v51, v49, v66
	v_min3_f16 v49, v50, v62, v49
	v_cvt_f32_f16_e32 v49, v49
	v_mad_i64_i32 v[50:51], s[6:7], v46, s9, 0
	v_max_f32_e32 v46, v47, v47
	v_min_f32_e32 v46, v46, v49
	v_cvt_f16_f32_e32 v49, v46
	v_lshl_add_u64 v[46:47], v[50:51], 1, s[2:3]
	v_lshl_add_u64 v[50:51], v[28:29], 1, v[46:47]
	s_and_b64 vcc, exec, s[0:1]
	global_store_short v[50:51], v49, off
	s_cbranch_vccnz .LBB271_46
; %bb.45:
	v_lshl_add_u64 v[48:49], v[32:33], 1, v[20:21]
	global_load_ushort v48, v[48:49], off
	s_waitcnt vmcnt(0)
	v_mul_f16_e32 v48, s15, v48
	v_cvt_f32_f16_e32 v48, v48
.LBB271_46:
	v_pk_add_f16 v49, v8, v22
	v_max_f16_e32 v50, v109, v109
	v_pk_add_f16 v62, v9, v23
	v_min_f16_e32 v50, v50, v49
	v_lshrrev_b32_e32 v51, 16, v109
	v_lshrrev_b32_e32 v49, 16, v49
	v_lshrrev_b32_e32 v66, 16, v62
	v_min3_f16 v49, v51, v49, v66
	v_min3_f16 v49, v50, v62, v49
	v_cvt_f32_f16_e32 v49, v49
	v_max_f32_e32 v48, v48, v48
	s_and_b64 vcc, exec, s[0:1]
	v_min_f32_e32 v48, v48, v49
	v_cvt_f16_f32_e32 v50, v48
	v_lshl_add_u64 v[48:49], v[32:33], 1, v[46:47]
	global_store_short v[48:49], v50, off
	v_mov_b32_e32 v48, 0
	v_mov_b32_e32 v49, 0
	s_cbranch_vccnz .LBB271_48
; %bb.47:
	v_lshl_add_u64 v[50:51], v[34:35], 1, v[20:21]
	global_load_ushort v49, v[50:51], off
	s_waitcnt vmcnt(0)
	v_mul_f16_e32 v49, s15, v49
	v_cvt_f32_f16_e32 v49, v49
.LBB271_48:
	v_pk_add_f16 v50, v10, v22
	v_max_f16_e32 v51, v108, v108
	v_pk_add_f16 v66, v11, v23
	v_min_f16_e32 v51, v51, v50
	v_lshrrev_b32_e32 v62, 16, v108
	v_lshrrev_b32_e32 v50, 16, v50
	v_lshrrev_b32_e32 v70, 16, v66
	v_min3_f16 v50, v62, v50, v70
	v_min3_f16 v50, v51, v66, v50
	v_cvt_f32_f16_e32 v50, v50
	v_max_f32_e32 v49, v49, v49
	s_and_b64 vcc, exec, s[0:1]
	v_min_f32_e32 v49, v49, v50
	v_cvt_f16_f32_e32 v49, v49
	v_lshl_add_u64 v[50:51], v[34:35], 1, v[46:47]
	global_store_short v[50:51], v49, off
	s_cbranch_vccnz .LBB271_50
; %bb.49:
	v_lshl_add_u64 v[48:49], v[36:37], 1, v[20:21]
	global_load_ushort v48, v[48:49], off
	s_waitcnt vmcnt(0)
	v_mul_f16_e32 v48, s15, v48
	v_cvt_f32_f16_e32 v48, v48
.LBB271_50:
	v_pk_add_f16 v49, v4, v22
	v_max_f16_e32 v50, v107, v107
	v_pk_add_f16 v62, v5, v23
	v_min_f16_e32 v50, v50, v49
	v_lshrrev_b32_e32 v51, 16, v107
	v_lshrrev_b32_e32 v49, 16, v49
	v_lshrrev_b32_e32 v66, 16, v62
	v_min3_f16 v49, v51, v49, v66
	v_min3_f16 v49, v50, v62, v49
	v_cvt_f32_f16_e32 v49, v49
	v_max_f32_e32 v48, v48, v48
	s_and_b64 vcc, exec, s[0:1]
	v_min_f32_e32 v48, v48, v49
	v_cvt_f16_f32_e32 v50, v48
	v_lshl_add_u64 v[48:49], v[36:37], 1, v[46:47]
	global_store_short v[48:49], v50, off
	v_mov_b32_e32 v48, 0
	v_mov_b32_e32 v49, 0
	s_cbranch_vccnz .LBB271_52
; %bb.51:
	v_lshl_add_u64 v[50:51], v[40:41], 1, v[20:21]
	global_load_ushort v49, v[50:51], off
	s_waitcnt vmcnt(0)
	v_mul_f16_e32 v49, s15, v49
	v_cvt_f32_f16_e32 v49, v49
.LBB271_52:
	v_pk_add_f16 v50, v6, v22
	v_max_f16_e32 v51, v106, v106
	v_pk_add_f16 v66, v7, v23
	v_min_f16_e32 v51, v51, v50
	v_lshrrev_b32_e32 v62, 16, v106
	v_lshrrev_b32_e32 v50, 16, v50
	v_lshrrev_b32_e32 v70, 16, v66
	v_min3_f16 v50, v62, v50, v70
	v_min3_f16 v50, v51, v66, v50
	v_cvt_f32_f16_e32 v50, v50
	v_max_f32_e32 v49, v49, v49
	s_and_b64 vcc, exec, s[0:1]
	v_min_f32_e32 v49, v49, v50
	v_cvt_f16_f32_e32 v49, v49
	v_lshl_add_u64 v[50:51], v[40:41], 1, v[46:47]
	;; [unrolled: 50-line block ×3, first 2 shown]
	global_store_short v[50:51], v49, off
	s_cbranch_vccnz .LBB271_58
; %bb.57:
	v_lshl_add_u64 v[20:21], v[44:45], 1, v[20:21]
	global_load_ushort v20, v[20:21], off
	s_waitcnt vmcnt(0)
	v_mul_f16_e32 v20, s15, v20
	v_cvt_f32_f16_e32 v48, v20
.LBB271_58:
	v_pk_add_f16 v20, v24, v22
	v_max_f16_e32 v21, v98, v98
	v_pk_add_f16 v23, v25, v23
	v_min_f16_e32 v21, v21, v20
	v_lshrrev_b32_e32 v22, 16, v98
	v_lshrrev_b32_e32 v20, 16, v20
	;; [unrolled: 1-line block ×3, first 2 shown]
	v_min3_f16 v20, v22, v20, v49
	v_min3_f16 v20, v21, v23, v20
	v_cvt_f32_f16_e32 v20, v20
	v_max_f32_e32 v21, v48, v48
	s_and_b64 vcc, exec, s[0:1]
	v_mov_b32_e32 v23, 0
	v_min_f32_e32 v20, v21, v20
	v_cvt_f16_f32_e32 v22, v20
	v_lshl_add_u64 v[20:21], v[44:45], 1, v[46:47]
	v_mov_b32_e32 v46, 0
	global_store_short v[20:21], v22, off
	v_add_u32_e32 v22, 0x60, v65
	v_mad_i64_i32 v[20:21], s[6:7], v22, s8, 0
	v_lshl_add_u64 v[20:21], v[20:21], 1, s[12:13]
	s_cbranch_vccnz .LBB271_60
; %bb.59:
	v_lshl_add_u64 v[48:49], v[28:29], 1, v[20:21]
	global_load_ushort v23, v[48:49], off
	s_waitcnt vmcnt(0)
	v_mul_f16_e32 v23, s15, v23
	v_cvt_f32_f16_e32 v23, v23
.LBB271_60:
	v_pk_add_f16 v47, v30, v16
	v_max_f16_e32 v48, v97, v97
	v_pk_add_f16 v50, v31, v17
	v_min_f16_e32 v48, v48, v47
	v_lshrrev_b32_e32 v49, 16, v97
	v_lshrrev_b32_e32 v47, 16, v47
	;; [unrolled: 1-line block ×3, first 2 shown]
	v_min3_f16 v47, v49, v47, v51
	v_min3_f16 v47, v48, v50, v47
	v_cvt_f32_f16_e32 v47, v47
	v_mad_i64_i32 v[48:49], s[6:7], v22, s9, 0
	v_max_f32_e32 v22, v23, v23
	v_min_f32_e32 v22, v22, v47
	v_cvt_f16_f32_e32 v47, v22
	v_lshl_add_u64 v[22:23], v[48:49], 1, s[2:3]
	v_lshl_add_u64 v[48:49], v[28:29], 1, v[22:23]
	s_and_b64 vcc, exec, s[0:1]
	global_store_short v[48:49], v47, off
	s_cbranch_vccnz .LBB271_62
; %bb.61:
	v_lshl_add_u64 v[46:47], v[32:33], 1, v[20:21]
	global_load_ushort v46, v[46:47], off
	s_waitcnt vmcnt(0)
	v_mul_f16_e32 v46, s15, v46
	v_cvt_f32_f16_e32 v46, v46
.LBB271_62:
	v_pk_add_f16 v47, v8, v16
	v_max_f16_e32 v48, v96, v96
	v_pk_add_f16 v50, v9, v17
	v_min_f16_e32 v48, v48, v47
	v_lshrrev_b32_e32 v49, 16, v96
	v_lshrrev_b32_e32 v47, 16, v47
	v_lshrrev_b32_e32 v51, 16, v50
	v_min3_f16 v47, v49, v47, v51
	v_min3_f16 v47, v48, v50, v47
	v_cvt_f32_f16_e32 v47, v47
	v_max_f32_e32 v46, v46, v46
	s_and_b64 vcc, exec, s[0:1]
	v_min_f32_e32 v46, v46, v47
	v_cvt_f16_f32_e32 v48, v46
	v_lshl_add_u64 v[46:47], v[32:33], 1, v[22:23]
	global_store_short v[46:47], v48, off
	v_mov_b32_e32 v46, 0
	v_mov_b32_e32 v47, 0
	s_cbranch_vccnz .LBB271_64
; %bb.63:
	v_lshl_add_u64 v[48:49], v[34:35], 1, v[20:21]
	global_load_ushort v47, v[48:49], off
	s_waitcnt vmcnt(0)
	v_mul_f16_e32 v47, s15, v47
	v_cvt_f32_f16_e32 v47, v47
.LBB271_64:
	v_pk_add_f16 v48, v10, v16
	v_max_f16_e32 v49, v95, v95
	v_pk_add_f16 v51, v11, v17
	v_min_f16_e32 v49, v49, v48
	v_lshrrev_b32_e32 v50, 16, v95
	v_lshrrev_b32_e32 v48, 16, v48
	v_lshrrev_b32_e32 v62, 16, v51
	v_min3_f16 v48, v50, v48, v62
	v_min3_f16 v48, v49, v51, v48
	v_cvt_f32_f16_e32 v48, v48
	v_max_f32_e32 v47, v47, v47
	s_and_b64 vcc, exec, s[0:1]
	v_min_f32_e32 v47, v47, v48
	v_cvt_f16_f32_e32 v47, v47
	v_lshl_add_u64 v[48:49], v[34:35], 1, v[22:23]
	global_store_short v[48:49], v47, off
	s_cbranch_vccnz .LBB271_66
; %bb.65:
	v_lshl_add_u64 v[46:47], v[36:37], 1, v[20:21]
	global_load_ushort v46, v[46:47], off
	s_waitcnt vmcnt(0)
	v_mul_f16_e32 v46, s15, v46
	v_cvt_f32_f16_e32 v46, v46
.LBB271_66:
	v_pk_add_f16 v47, v4, v16
	v_max_f16_e32 v48, v94, v94
	v_pk_add_f16 v50, v5, v17
	v_min_f16_e32 v48, v48, v47
	v_lshrrev_b32_e32 v49, 16, v94
	v_lshrrev_b32_e32 v47, 16, v47
	v_lshrrev_b32_e32 v51, 16, v50
	v_min3_f16 v47, v49, v47, v51
	v_min3_f16 v47, v48, v50, v47
	v_cvt_f32_f16_e32 v47, v47
	v_max_f32_e32 v46, v46, v46
	s_and_b64 vcc, exec, s[0:1]
	v_min_f32_e32 v46, v46, v47
	v_cvt_f16_f32_e32 v48, v46
	v_lshl_add_u64 v[46:47], v[36:37], 1, v[22:23]
	global_store_short v[46:47], v48, off
	v_mov_b32_e32 v46, 0
	v_mov_b32_e32 v47, 0
	s_cbranch_vccnz .LBB271_68
; %bb.67:
	v_lshl_add_u64 v[48:49], v[40:41], 1, v[20:21]
	global_load_ushort v47, v[48:49], off
	s_waitcnt vmcnt(0)
	v_mul_f16_e32 v47, s15, v47
	v_cvt_f32_f16_e32 v47, v47
.LBB271_68:
	v_pk_add_f16 v48, v6, v16
	v_max_f16_e32 v49, v93, v93
	v_pk_add_f16 v51, v7, v17
	v_min_f16_e32 v49, v49, v48
	v_lshrrev_b32_e32 v50, 16, v93
	v_lshrrev_b32_e32 v48, 16, v48
	v_lshrrev_b32_e32 v62, 16, v51
	v_min3_f16 v48, v50, v48, v62
	v_min3_f16 v48, v49, v51, v48
	v_cvt_f32_f16_e32 v48, v48
	v_max_f32_e32 v47, v47, v47
	s_and_b64 vcc, exec, s[0:1]
	v_min_f32_e32 v47, v47, v48
	v_cvt_f16_f32_e32 v47, v47
	v_lshl_add_u64 v[48:49], v[40:41], 1, v[22:23]
	;; [unrolled: 50-line block ×3, first 2 shown]
	global_store_short v[48:49], v47, off
	s_cbranch_vccnz .LBB271_74
; %bb.73:
	v_lshl_add_u64 v[20:21], v[44:45], 1, v[20:21]
	global_load_ushort v20, v[20:21], off
	s_waitcnt vmcnt(0)
	v_mul_f16_e32 v20, s15, v20
	v_cvt_f32_f16_e32 v46, v20
.LBB271_74:
	v_pk_add_f16 v16, v24, v16
	v_max_f16_e32 v20, v90, v90
	v_pk_add_f16 v17, v25, v17
	v_min_f16_e32 v20, v20, v16
	v_lshrrev_b32_e32 v21, 16, v90
	v_lshrrev_b32_e32 v16, 16, v16
	;; [unrolled: 1-line block ×3, first 2 shown]
	v_min3_f16 v16, v21, v16, v47
	v_min3_f16 v16, v20, v17, v16
	v_cvt_f32_f16_e32 v16, v16
	v_max_f32_e32 v17, v46, v46
	s_and_b64 vcc, exec, s[0:1]
	v_mov_b32_e32 v21, 0
	v_min_f32_e32 v16, v17, v16
	v_cvt_f16_f32_e32 v20, v16
	v_lshl_add_u64 v[16:17], v[44:45], 1, v[22:23]
	v_mov_b32_e32 v22, 0
	global_store_short v[16:17], v20, off
	v_add_u32_e32 v20, 0x80, v65
	v_mad_i64_i32 v[16:17], s[6:7], v20, s8, 0
	v_lshl_add_u64 v[16:17], v[16:17], 1, s[12:13]
	s_cbranch_vccnz .LBB271_76
; %bb.75:
	v_lshl_add_u64 v[46:47], v[28:29], 1, v[16:17]
	global_load_ushort v21, v[46:47], off
	s_waitcnt vmcnt(0)
	v_mul_f16_e32 v21, s15, v21
	v_cvt_f32_f16_e32 v21, v21
.LBB271_76:
	v_pk_add_f16 v23, v30, v18
	v_max_f16_e32 v46, v89, v89
	v_pk_add_f16 v48, v31, v19
	v_min_f16_e32 v46, v46, v23
	v_lshrrev_b32_e32 v47, 16, v89
	v_lshrrev_b32_e32 v23, 16, v23
	;; [unrolled: 1-line block ×3, first 2 shown]
	v_min3_f16 v23, v47, v23, v49
	v_min3_f16 v23, v46, v48, v23
	v_cvt_f32_f16_e32 v23, v23
	v_mad_i64_i32 v[46:47], s[6:7], v20, s9, 0
	v_max_f32_e32 v20, v21, v21
	v_min_f32_e32 v20, v20, v23
	v_cvt_f16_f32_e32 v23, v20
	v_lshl_add_u64 v[20:21], v[46:47], 1, s[2:3]
	v_lshl_add_u64 v[46:47], v[28:29], 1, v[20:21]
	s_and_b64 vcc, exec, s[0:1]
	global_store_short v[46:47], v23, off
	s_cbranch_vccnz .LBB271_78
; %bb.77:
	v_lshl_add_u64 v[22:23], v[32:33], 1, v[16:17]
	global_load_ushort v22, v[22:23], off
	s_waitcnt vmcnt(0)
	v_mul_f16_e32 v22, s15, v22
	v_cvt_f32_f16_e32 v22, v22
.LBB271_78:
	v_pk_add_f16 v23, v8, v18
	v_max_f16_e32 v46, v88, v88
	v_pk_add_f16 v48, v9, v19
	v_min_f16_e32 v46, v46, v23
	v_lshrrev_b32_e32 v47, 16, v88
	v_lshrrev_b32_e32 v23, 16, v23
	v_lshrrev_b32_e32 v49, 16, v48
	v_min3_f16 v23, v47, v23, v49
	v_min3_f16 v23, v46, v48, v23
	v_cvt_f32_f16_e32 v23, v23
	v_max_f32_e32 v22, v22, v22
	s_and_b64 vcc, exec, s[0:1]
	v_min_f32_e32 v22, v22, v23
	v_cvt_f16_f32_e32 v46, v22
	v_lshl_add_u64 v[22:23], v[32:33], 1, v[20:21]
	global_store_short v[22:23], v46, off
	v_mov_b32_e32 v22, 0
	v_mov_b32_e32 v23, 0
	s_cbranch_vccnz .LBB271_80
; %bb.79:
	v_lshl_add_u64 v[46:47], v[34:35], 1, v[16:17]
	global_load_ushort v23, v[46:47], off
	s_waitcnt vmcnt(0)
	v_mul_f16_e32 v23, s15, v23
	v_cvt_f32_f16_e32 v23, v23
.LBB271_80:
	v_pk_add_f16 v46, v10, v18
	v_max_f16_e32 v47, v87, v87
	v_pk_add_f16 v49, v11, v19
	v_min_f16_e32 v47, v47, v46
	v_lshrrev_b32_e32 v48, 16, v87
	v_lshrrev_b32_e32 v46, 16, v46
	v_lshrrev_b32_e32 v50, 16, v49
	v_min3_f16 v46, v48, v46, v50
	v_min3_f16 v46, v47, v49, v46
	v_cvt_f32_f16_e32 v46, v46
	v_max_f32_e32 v23, v23, v23
	s_and_b64 vcc, exec, s[0:1]
	v_min_f32_e32 v23, v23, v46
	v_cvt_f16_f32_e32 v23, v23
	v_lshl_add_u64 v[46:47], v[34:35], 1, v[20:21]
	global_store_short v[46:47], v23, off
	s_cbranch_vccnz .LBB271_82
; %bb.81:
	v_lshl_add_u64 v[22:23], v[36:37], 1, v[16:17]
	global_load_ushort v22, v[22:23], off
	s_waitcnt vmcnt(0)
	v_mul_f16_e32 v22, s15, v22
	v_cvt_f32_f16_e32 v22, v22
.LBB271_82:
	v_pk_add_f16 v23, v4, v18
	v_max_f16_e32 v46, v86, v86
	v_pk_add_f16 v48, v5, v19
	v_min_f16_e32 v46, v46, v23
	v_lshrrev_b32_e32 v47, 16, v86
	v_lshrrev_b32_e32 v23, 16, v23
	v_lshrrev_b32_e32 v49, 16, v48
	v_min3_f16 v23, v47, v23, v49
	v_min3_f16 v23, v46, v48, v23
	v_cvt_f32_f16_e32 v23, v23
	v_max_f32_e32 v22, v22, v22
	s_and_b64 vcc, exec, s[0:1]
	v_min_f32_e32 v22, v22, v23
	v_cvt_f16_f32_e32 v46, v22
	v_lshl_add_u64 v[22:23], v[36:37], 1, v[20:21]
	global_store_short v[22:23], v46, off
	v_mov_b32_e32 v22, 0
	v_mov_b32_e32 v23, 0
	s_cbranch_vccnz .LBB271_84
; %bb.83:
	v_lshl_add_u64 v[46:47], v[40:41], 1, v[16:17]
	global_load_ushort v23, v[46:47], off
	s_waitcnt vmcnt(0)
	v_mul_f16_e32 v23, s15, v23
	v_cvt_f32_f16_e32 v23, v23
.LBB271_84:
	v_pk_add_f16 v46, v6, v18
	v_max_f16_e32 v47, v85, v85
	v_pk_add_f16 v49, v7, v19
	v_min_f16_e32 v47, v47, v46
	v_lshrrev_b32_e32 v48, 16, v85
	v_lshrrev_b32_e32 v46, 16, v46
	v_lshrrev_b32_e32 v50, 16, v49
	v_min3_f16 v46, v48, v46, v50
	v_min3_f16 v46, v47, v49, v46
	v_cvt_f32_f16_e32 v46, v46
	v_max_f32_e32 v23, v23, v23
	s_and_b64 vcc, exec, s[0:1]
	v_min_f32_e32 v23, v23, v46
	v_cvt_f16_f32_e32 v23, v23
	v_lshl_add_u64 v[46:47], v[40:41], 1, v[20:21]
	;; [unrolled: 50-line block ×3, first 2 shown]
	global_store_short v[46:47], v23, off
	s_cbranch_vccnz .LBB271_90
; %bb.89:
	v_lshl_add_u64 v[16:17], v[44:45], 1, v[16:17]
	global_load_ushort v16, v[16:17], off
	s_waitcnt vmcnt(0)
	v_mul_f16_e32 v16, s15, v16
	v_cvt_f32_f16_e32 v22, v16
.LBB271_90:
	v_pk_add_f16 v16, v24, v18
	v_max_f16_e32 v17, v82, v82
	v_pk_add_f16 v19, v25, v19
	v_min_f16_e32 v17, v17, v16
	v_lshrrev_b32_e32 v18, 16, v82
	v_lshrrev_b32_e32 v16, 16, v16
	;; [unrolled: 1-line block ×3, first 2 shown]
	v_min3_f16 v16, v18, v16, v23
	v_min3_f16 v16, v17, v19, v16
	v_cvt_f32_f16_e32 v16, v16
	v_max_f32_e32 v17, v22, v22
	s_and_b64 vcc, exec, s[0:1]
	v_mov_b32_e32 v19, 0
	v_min_f32_e32 v16, v17, v16
	v_cvt_f16_f32_e32 v18, v16
	v_lshl_add_u64 v[16:17], v[44:45], 1, v[20:21]
	v_mov_b32_e32 v20, 0
	global_store_short v[16:17], v18, off
	v_add_u32_e32 v18, 0xa0, v65
	v_mad_i64_i32 v[16:17], s[6:7], v18, s8, 0
	v_lshl_add_u64 v[16:17], v[16:17], 1, s[12:13]
	s_cbranch_vccnz .LBB271_92
; %bb.91:
	v_lshl_add_u64 v[22:23], v[28:29], 1, v[16:17]
	global_load_ushort v19, v[22:23], off
	s_waitcnt vmcnt(0)
	v_mul_f16_e32 v19, s15, v19
	v_cvt_f32_f16_e32 v19, v19
.LBB271_92:
	v_pk_add_f16 v21, v30, v12
	v_max_f16_e32 v22, v81, v81
	v_pk_add_f16 v46, v31, v13
	v_min_f16_e32 v22, v22, v21
	v_lshrrev_b32_e32 v23, 16, v81
	v_lshrrev_b32_e32 v21, 16, v21
	;; [unrolled: 1-line block ×3, first 2 shown]
	v_min3_f16 v21, v23, v21, v47
	v_min3_f16 v21, v22, v46, v21
	v_cvt_f32_f16_e32 v21, v21
	v_mad_i64_i32 v[22:23], s[6:7], v18, s9, 0
	v_max_f32_e32 v18, v19, v19
	v_min_f32_e32 v18, v18, v21
	v_cvt_f16_f32_e32 v21, v18
	v_lshl_add_u64 v[18:19], v[22:23], 1, s[2:3]
	v_lshl_add_u64 v[22:23], v[28:29], 1, v[18:19]
	s_and_b64 vcc, exec, s[0:1]
	global_store_short v[22:23], v21, off
	s_cbranch_vccnz .LBB271_94
; %bb.93:
	v_lshl_add_u64 v[20:21], v[32:33], 1, v[16:17]
	global_load_ushort v20, v[20:21], off
	s_waitcnt vmcnt(0)
	v_mul_f16_e32 v20, s15, v20
	v_cvt_f32_f16_e32 v20, v20
.LBB271_94:
	v_pk_add_f16 v21, v8, v12
	v_max_f16_e32 v22, v80, v80
	v_pk_add_f16 v46, v9, v13
	v_min_f16_e32 v22, v22, v21
	v_lshrrev_b32_e32 v23, 16, v80
	v_lshrrev_b32_e32 v21, 16, v21
	v_lshrrev_b32_e32 v47, 16, v46
	v_min3_f16 v21, v23, v21, v47
	v_min3_f16 v21, v22, v46, v21
	v_cvt_f32_f16_e32 v21, v21
	v_max_f32_e32 v20, v20, v20
	s_and_b64 vcc, exec, s[0:1]
	v_min_f32_e32 v20, v20, v21
	v_cvt_f16_f32_e32 v22, v20
	v_lshl_add_u64 v[20:21], v[32:33], 1, v[18:19]
	global_store_short v[20:21], v22, off
	v_mov_b32_e32 v20, 0
	v_mov_b32_e32 v21, 0
	s_cbranch_vccnz .LBB271_96
; %bb.95:
	v_lshl_add_u64 v[22:23], v[34:35], 1, v[16:17]
	global_load_ushort v21, v[22:23], off
	s_waitcnt vmcnt(0)
	v_mul_f16_e32 v21, s15, v21
	v_cvt_f32_f16_e32 v21, v21
.LBB271_96:
	v_pk_add_f16 v22, v10, v12
	v_max_f16_e32 v23, v77, v77
	v_pk_add_f16 v47, v11, v13
	v_min_f16_e32 v23, v23, v22
	v_lshrrev_b32_e32 v46, 16, v77
	v_lshrrev_b32_e32 v22, 16, v22
	v_lshrrev_b32_e32 v48, 16, v47
	v_min3_f16 v22, v46, v22, v48
	v_min3_f16 v22, v23, v47, v22
	v_cvt_f32_f16_e32 v22, v22
	v_max_f32_e32 v21, v21, v21
	s_and_b64 vcc, exec, s[0:1]
	v_min_f32_e32 v21, v21, v22
	v_cvt_f16_f32_e32 v21, v21
	v_lshl_add_u64 v[22:23], v[34:35], 1, v[18:19]
	global_store_short v[22:23], v21, off
	s_cbranch_vccnz .LBB271_98
; %bb.97:
	v_lshl_add_u64 v[20:21], v[36:37], 1, v[16:17]
	global_load_ushort v20, v[20:21], off
	s_waitcnt vmcnt(0)
	v_mul_f16_e32 v20, s15, v20
	v_cvt_f32_f16_e32 v20, v20
.LBB271_98:
	v_pk_add_f16 v21, v4, v12
	v_max_f16_e32 v22, v76, v76
	v_pk_add_f16 v46, v5, v13
	v_min_f16_e32 v22, v22, v21
	v_lshrrev_b32_e32 v23, 16, v76
	v_lshrrev_b32_e32 v21, 16, v21
	v_lshrrev_b32_e32 v47, 16, v46
	v_min3_f16 v21, v23, v21, v47
	v_min3_f16 v21, v22, v46, v21
	v_cvt_f32_f16_e32 v21, v21
	v_max_f32_e32 v20, v20, v20
	s_and_b64 vcc, exec, s[0:1]
	v_min_f32_e32 v20, v20, v21
	v_cvt_f16_f32_e32 v22, v20
	v_lshl_add_u64 v[20:21], v[36:37], 1, v[18:19]
	global_store_short v[20:21], v22, off
	v_mov_b32_e32 v20, 0
	v_mov_b32_e32 v21, 0
	s_cbranch_vccnz .LBB271_100
; %bb.99:
	v_lshl_add_u64 v[22:23], v[40:41], 1, v[16:17]
	global_load_ushort v21, v[22:23], off
	s_waitcnt vmcnt(0)
	v_mul_f16_e32 v21, s15, v21
	v_cvt_f32_f16_e32 v21, v21
.LBB271_100:
	v_pk_add_f16 v22, v6, v12
	v_max_f16_e32 v23, v75, v75
	v_pk_add_f16 v47, v7, v13
	v_min_f16_e32 v23, v23, v22
	v_lshrrev_b32_e32 v46, 16, v75
	v_lshrrev_b32_e32 v22, 16, v22
	v_lshrrev_b32_e32 v48, 16, v47
	v_min3_f16 v22, v46, v22, v48
	v_min3_f16 v22, v23, v47, v22
	v_cvt_f32_f16_e32 v22, v22
	v_max_f32_e32 v21, v21, v21
	s_and_b64 vcc, exec, s[0:1]
	v_min_f32_e32 v21, v21, v22
	v_cvt_f16_f32_e32 v21, v21
	v_lshl_add_u64 v[22:23], v[40:41], 1, v[18:19]
	;; [unrolled: 50-line block ×3, first 2 shown]
	global_store_short v[22:23], v21, off
	s_cbranch_vccnz .LBB271_106
; %bb.105:
	v_lshl_add_u64 v[16:17], v[44:45], 1, v[16:17]
	global_load_ushort v16, v[16:17], off
	s_waitcnt vmcnt(0)
	v_mul_f16_e32 v16, s15, v16
	v_cvt_f32_f16_e32 v20, v16
.LBB271_106:
	v_pk_add_f16 v12, v24, v12
	v_max_f16_e32 v16, v72, v72
	v_pk_add_f16 v13, v25, v13
	v_min_f16_e32 v16, v16, v12
	v_lshrrev_b32_e32 v17, 16, v72
	v_lshrrev_b32_e32 v12, 16, v12
	;; [unrolled: 1-line block ×3, first 2 shown]
	v_min3_f16 v12, v17, v12, v21
	v_min3_f16 v12, v16, v13, v12
	v_cvt_f32_f16_e32 v12, v12
	v_max_f32_e32 v13, v20, v20
	s_and_b64 vcc, exec, s[0:1]
	v_mov_b32_e32 v17, 0
	v_min_f32_e32 v12, v13, v12
	v_cvt_f16_f32_e32 v16, v12
	v_lshl_add_u64 v[12:13], v[44:45], 1, v[18:19]
	v_mov_b32_e32 v18, 0
	global_store_short v[12:13], v16, off
	v_add_u32_e32 v16, 0xc0, v65
	v_mad_i64_i32 v[12:13], s[6:7], v16, s8, 0
	v_lshl_add_u64 v[12:13], v[12:13], 1, s[12:13]
	s_cbranch_vccnz .LBB271_108
; %bb.107:
	v_lshl_add_u64 v[20:21], v[28:29], 1, v[12:13]
	global_load_ushort v17, v[20:21], off
	s_waitcnt vmcnt(0)
	v_mul_f16_e32 v17, s15, v17
	v_cvt_f32_f16_e32 v17, v17
.LBB271_108:
	v_pk_add_f16 v19, v30, v14
	v_max_f16_e32 v20, v71, v71
	v_pk_add_f16 v22, v31, v15
	v_min_f16_e32 v20, v20, v19
	v_lshrrev_b32_e32 v21, 16, v71
	v_lshrrev_b32_e32 v19, 16, v19
	;; [unrolled: 1-line block ×3, first 2 shown]
	v_min3_f16 v19, v21, v19, v23
	v_min3_f16 v19, v20, v22, v19
	v_cvt_f32_f16_e32 v19, v19
	v_mad_i64_i32 v[20:21], s[6:7], v16, s9, 0
	v_max_f32_e32 v16, v17, v17
	v_min_f32_e32 v16, v16, v19
	v_cvt_f16_f32_e32 v19, v16
	v_lshl_add_u64 v[16:17], v[20:21], 1, s[2:3]
	v_lshl_add_u64 v[20:21], v[28:29], 1, v[16:17]
	s_and_b64 vcc, exec, s[0:1]
	global_store_short v[20:21], v19, off
	s_cbranch_vccnz .LBB271_110
; %bb.109:
	v_lshl_add_u64 v[18:19], v[32:33], 1, v[12:13]
	global_load_ushort v18, v[18:19], off
	s_waitcnt vmcnt(0)
	v_mul_f16_e32 v18, s15, v18
	v_cvt_f32_f16_e32 v18, v18
.LBB271_110:
	v_pk_add_f16 v19, v8, v14
	v_max_f16_e32 v20, v69, v69
	v_pk_add_f16 v22, v9, v15
	v_min_f16_e32 v20, v20, v19
	v_lshrrev_b32_e32 v21, 16, v69
	v_lshrrev_b32_e32 v19, 16, v19
	v_lshrrev_b32_e32 v23, 16, v22
	v_min3_f16 v19, v21, v19, v23
	v_min3_f16 v19, v20, v22, v19
	v_cvt_f32_f16_e32 v19, v19
	v_max_f32_e32 v18, v18, v18
	s_and_b64 vcc, exec, s[0:1]
	v_min_f32_e32 v18, v18, v19
	v_cvt_f16_f32_e32 v20, v18
	v_lshl_add_u64 v[18:19], v[32:33], 1, v[16:17]
	global_store_short v[18:19], v20, off
	v_mov_b32_e32 v18, 0
	v_mov_b32_e32 v19, 0
	s_cbranch_vccnz .LBB271_112
; %bb.111:
	v_lshl_add_u64 v[20:21], v[34:35], 1, v[12:13]
	global_load_ushort v19, v[20:21], off
	s_waitcnt vmcnt(0)
	v_mul_f16_e32 v19, s15, v19
	v_cvt_f32_f16_e32 v19, v19
.LBB271_112:
	v_pk_add_f16 v20, v10, v14
	v_max_f16_e32 v21, v68, v68
	v_pk_add_f16 v23, v11, v15
	v_min_f16_e32 v21, v21, v20
	v_lshrrev_b32_e32 v22, 16, v68
	v_lshrrev_b32_e32 v20, 16, v20
	v_lshrrev_b32_e32 v46, 16, v23
	v_min3_f16 v20, v22, v20, v46
	v_min3_f16 v20, v21, v23, v20
	v_cvt_f32_f16_e32 v20, v20
	v_max_f32_e32 v19, v19, v19
	s_and_b64 vcc, exec, s[0:1]
	v_min_f32_e32 v19, v19, v20
	v_cvt_f16_f32_e32 v19, v19
	v_lshl_add_u64 v[20:21], v[34:35], 1, v[16:17]
	global_store_short v[20:21], v19, off
	s_cbranch_vccnz .LBB271_114
; %bb.113:
	v_lshl_add_u64 v[18:19], v[36:37], 1, v[12:13]
	global_load_ushort v18, v[18:19], off
	s_waitcnt vmcnt(0)
	v_mul_f16_e32 v18, s15, v18
	v_cvt_f32_f16_e32 v18, v18
.LBB271_114:
	v_pk_add_f16 v19, v4, v14
	v_max_f16_e32 v20, v67, v67
	v_pk_add_f16 v22, v5, v15
	v_min_f16_e32 v20, v20, v19
	v_lshrrev_b32_e32 v21, 16, v67
	v_lshrrev_b32_e32 v19, 16, v19
	v_lshrrev_b32_e32 v23, 16, v22
	v_min3_f16 v19, v21, v19, v23
	v_min3_f16 v19, v20, v22, v19
	v_cvt_f32_f16_e32 v19, v19
	v_max_f32_e32 v18, v18, v18
	s_and_b64 vcc, exec, s[0:1]
	v_min_f32_e32 v18, v18, v19
	v_cvt_f16_f32_e32 v20, v18
	v_lshl_add_u64 v[18:19], v[36:37], 1, v[16:17]
	global_store_short v[18:19], v20, off
	v_mov_b32_e32 v18, 0
	v_mov_b32_e32 v19, 0
	s_cbranch_vccnz .LBB271_116
; %bb.115:
	v_lshl_add_u64 v[20:21], v[40:41], 1, v[12:13]
	global_load_ushort v19, v[20:21], off
	s_waitcnt vmcnt(0)
	v_mul_f16_e32 v19, s15, v19
	v_cvt_f32_f16_e32 v19, v19
.LBB271_116:
	v_pk_add_f16 v20, v6, v14
	v_max_f16_e32 v21, v64, v64
	v_pk_add_f16 v23, v7, v15
	v_min_f16_e32 v21, v21, v20
	v_lshrrev_b32_e32 v22, 16, v64
	v_lshrrev_b32_e32 v20, 16, v20
	v_lshrrev_b32_e32 v46, 16, v23
	v_min3_f16 v20, v22, v20, v46
	v_min3_f16 v20, v21, v23, v20
	v_cvt_f32_f16_e32 v20, v20
	v_max_f32_e32 v19, v19, v19
	s_and_b64 vcc, exec, s[0:1]
	v_min_f32_e32 v19, v19, v20
	v_cvt_f16_f32_e32 v19, v19
	v_lshl_add_u64 v[20:21], v[40:41], 1, v[16:17]
	;; [unrolled: 50-line block ×3, first 2 shown]
	global_store_short v[20:21], v19, off
	s_cbranch_vccnz .LBB271_122
; %bb.121:
	v_lshl_add_u64 v[12:13], v[44:45], 1, v[12:13]
	global_load_ushort v12, v[12:13], off
	s_waitcnt vmcnt(0)
	v_mul_f16_e32 v12, s15, v12
	v_cvt_f32_f16_e32 v18, v12
.LBB271_122:
	v_pk_add_f16 v12, v24, v14
	v_max_f16_e32 v13, v60, v60
	v_pk_add_f16 v15, v25, v15
	v_min_f16_e32 v13, v13, v12
	v_lshrrev_b32_e32 v14, 16, v60
	v_lshrrev_b32_e32 v12, 16, v12
	;; [unrolled: 1-line block ×3, first 2 shown]
	v_min3_f16 v12, v14, v12, v19
	v_min3_f16 v12, v13, v15, v12
	v_cvt_f32_f16_e32 v12, v12
	v_max_f32_e32 v13, v18, v18
	s_and_b64 vcc, exec, s[0:1]
	v_mov_b32_e32 v15, 0
	v_min_f32_e32 v12, v13, v12
	v_cvt_f16_f32_e32 v14, v12
	v_lshl_add_u64 v[12:13], v[44:45], 1, v[16:17]
	v_mov_b32_e32 v16, 0
	global_store_short v[12:13], v14, off
	v_add_u32_e32 v14, 0xe0, v65
	v_mad_i64_i32 v[12:13], s[6:7], v14, s8, 0
	v_lshl_add_u64 v[12:13], v[12:13], 1, s[12:13]
	s_cbranch_vccnz .LBB271_124
; %bb.123:
	v_lshl_add_u64 v[18:19], v[28:29], 1, v[12:13]
	global_load_ushort v15, v[18:19], off
	s_waitcnt vmcnt(0)
	v_mul_f16_e32 v15, s15, v15
	v_cvt_f32_f16_e32 v15, v15
.LBB271_124:
	v_pk_add_f16 v17, v30, v26
	v_max_f16_e32 v18, v59, v59
	v_pk_add_f16 v20, v31, v27
	v_min_f16_e32 v18, v18, v17
	v_lshrrev_b32_e32 v19, 16, v59
	v_lshrrev_b32_e32 v17, 16, v17
	;; [unrolled: 1-line block ×3, first 2 shown]
	v_min3_f16 v17, v19, v17, v21
	v_min3_f16 v17, v18, v20, v17
	v_cvt_f32_f16_e32 v17, v17
	v_mad_i64_i32 v[18:19], s[6:7], v14, s9, 0
	v_max_f32_e32 v14, v15, v15
	v_min_f32_e32 v14, v14, v17
	v_cvt_f16_f32_e32 v17, v14
	v_lshl_add_u64 v[14:15], v[18:19], 1, s[2:3]
	v_lshl_add_u64 v[18:19], v[28:29], 1, v[14:15]
	s_and_b64 vcc, exec, s[0:1]
	global_store_short v[18:19], v17, off
	s_cbranch_vccnz .LBB271_126
; %bb.125:
	v_lshl_add_u64 v[16:17], v[32:33], 1, v[12:13]
	global_load_ushort v16, v[16:17], off
	s_waitcnt vmcnt(0)
	v_mul_f16_e32 v16, s15, v16
	v_cvt_f32_f16_e32 v16, v16
.LBB271_126:
	v_pk_add_f16 v8, v8, v26
	v_max_f16_e32 v17, v58, v58
	v_pk_add_f16 v9, v9, v27
	v_min_f16_e32 v17, v17, v8
	v_lshrrev_b32_e32 v18, 16, v58
	v_lshrrev_b32_e32 v8, 16, v8
	;; [unrolled: 1-line block ×3, first 2 shown]
	v_min3_f16 v8, v18, v8, v19
	v_min3_f16 v8, v17, v9, v8
	v_cvt_f32_f16_e32 v8, v8
	v_max_f32_e32 v9, v16, v16
	s_and_b64 vcc, exec, s[0:1]
	v_min_f32_e32 v8, v9, v8
	v_cvt_f16_f32_e32 v16, v8
	v_lshl_add_u64 v[8:9], v[32:33], 1, v[14:15]
	global_store_short v[8:9], v16, off
	v_mov_b32_e32 v8, 0
	v_mov_b32_e32 v9, 0
	s_cbranch_vccnz .LBB271_128
; %bb.127:
	v_lshl_add_u64 v[16:17], v[34:35], 1, v[12:13]
	global_load_ushort v9, v[16:17], off
	s_waitcnt vmcnt(0)
	v_mul_f16_e32 v9, s15, v9
	v_cvt_f32_f16_e32 v9, v9
.LBB271_128:
	v_pk_add_f16 v10, v10, v26
	v_max_f16_e32 v16, v57, v57
	v_pk_add_f16 v11, v11, v27
	v_min_f16_e32 v16, v16, v10
	v_lshrrev_b32_e32 v17, 16, v57
	v_lshrrev_b32_e32 v10, 16, v10
	;; [unrolled: 1-line block ×3, first 2 shown]
	v_min3_f16 v10, v17, v10, v18
	v_min3_f16 v10, v16, v11, v10
	v_cvt_f32_f16_e32 v10, v10
	v_max_f32_e32 v9, v9, v9
	s_and_b64 vcc, exec, s[0:1]
	v_min_f32_e32 v9, v9, v10
	v_cvt_f16_f32_e32 v9, v9
	v_lshl_add_u64 v[10:11], v[34:35], 1, v[14:15]
	global_store_short v[10:11], v9, off
	s_cbranch_vccnz .LBB271_130
; %bb.129:
	v_lshl_add_u64 v[8:9], v[36:37], 1, v[12:13]
	global_load_ushort v8, v[8:9], off
	s_waitcnt vmcnt(0)
	v_mul_f16_e32 v8, s15, v8
	v_cvt_f32_f16_e32 v8, v8
.LBB271_130:
	v_pk_add_f16 v4, v4, v26
	v_max_f16_e32 v9, v56, v56
	v_pk_add_f16 v5, v5, v27
	v_min_f16_e32 v9, v9, v4
	v_lshrrev_b32_e32 v10, 16, v56
	v_lshrrev_b32_e32 v4, 16, v4
	;; [unrolled: 1-line block ×3, first 2 shown]
	v_min3_f16 v4, v10, v4, v11
	v_min3_f16 v4, v9, v5, v4
	v_cvt_f32_f16_e32 v4, v4
	v_max_f32_e32 v5, v8, v8
	s_and_b64 vcc, exec, s[0:1]
	v_min_f32_e32 v4, v5, v4
	v_cvt_f16_f32_e32 v8, v4
	v_lshl_add_u64 v[4:5], v[36:37], 1, v[14:15]
	global_store_short v[4:5], v8, off
	v_mov_b32_e32 v4, 0
	v_mov_b32_e32 v5, 0
	s_cbranch_vccnz .LBB271_132
; %bb.131:
	v_lshl_add_u64 v[8:9], v[40:41], 1, v[12:13]
	global_load_ushort v5, v[8:9], off
	s_waitcnt vmcnt(0)
	v_mul_f16_e32 v5, s15, v5
	v_cvt_f32_f16_e32 v5, v5
.LBB271_132:
	v_pk_add_f16 v6, v6, v26
	v_max_f16_e32 v8, v55, v55
	v_pk_add_f16 v7, v7, v27
	v_min_f16_e32 v8, v8, v6
	v_lshrrev_b32_e32 v9, 16, v55
	v_lshrrev_b32_e32 v6, 16, v6
	;; [unrolled: 1-line block ×3, first 2 shown]
	v_min3_f16 v6, v9, v6, v10
	v_min3_f16 v6, v8, v7, v6
	v_cvt_f32_f16_e32 v6, v6
	v_max_f32_e32 v5, v5, v5
	s_and_b64 vcc, exec, s[0:1]
	v_min_f32_e32 v5, v5, v6
	v_cvt_f16_f32_e32 v5, v5
	v_lshl_add_u64 v[6:7], v[40:41], 1, v[14:15]
	global_store_short v[6:7], v5, off
	s_cbranch_vccnz .LBB271_134
; %bb.133:
	v_lshl_add_u64 v[4:5], v[38:39], 1, v[12:13]
	global_load_ushort v4, v[4:5], off
	s_waitcnt vmcnt(0)
	v_mul_f16_e32 v4, s15, v4
	v_cvt_f32_f16_e32 v4, v4
.LBB271_134:
	v_pk_add_f16 v0, v0, v26
	v_max_f16_e32 v5, v54, v54
	v_pk_add_f16 v1, v1, v27
	v_min_f16_e32 v5, v5, v0
	v_lshrrev_b32_e32 v6, 16, v54
	v_lshrrev_b32_e32 v0, 16, v0
	v_lshrrev_b32_e32 v7, 16, v1
	v_min3_f16 v0, v6, v0, v7
	v_min3_f16 v0, v5, v1, v0
	v_cvt_f32_f16_e32 v0, v0
	v_max_f32_e32 v4, v4, v4
	v_pk_add_f16 v1, v2, v26
	v_max_f16_e32 v2, v52, v52
	v_min_f32_e32 v0, v4, v0
	v_cvt_f16_f32_e32 v4, v0
	v_pk_add_f16 v3, v3, v27
	v_min_f16_e32 v2, v2, v1
	v_lshrrev_b32_e32 v5, 16, v52
	v_lshrrev_b32_e32 v1, 16, v1
	;; [unrolled: 1-line block ×3, first 2 shown]
	v_min3_f16 v5, v5, v1, v0
	v_lshl_add_u64 v[0:1], v[38:39], 1, v[14:15]
	global_store_short v[0:1], v4, off
	v_min3_f16 v0, v2, v3, v5
	s_mov_b64 s[0:1], -1
	s_mov_b64 vcc, s[4:5]
	s_cbranch_vccz .LBB271_136
; %bb.135:
	v_cvt_f32_f16_e32 v1, v0
	v_lshl_add_u64 v[2:3], v[42:43], 1, v[14:15]
	s_mov_b64 s[0:1], 0
	v_min_f32_e32 v1, 0, v1
	v_cvt_f16_f32_e32 v1, v1
	global_store_short v[2:3], v1, off
.LBB271_136:
	s_andn2_b64 vcc, exec, s[0:1]
	v_mov_b32_e32 v1, 0
	s_cbranch_vccnz .LBB271_138
; %bb.137:
	v_lshlrev_b64 v[2:3], 1, v[42:43]
	v_lshl_add_u64 v[4:5], v[12:13], 0, v[2:3]
	global_load_ushort v4, v[4:5], off
	v_max_f16_e32 v5, v0, v0
	v_lshl_add_u64 v[0:1], v[14:15], 0, v[2:3]
	s_waitcnt vmcnt(0)
	v_mul_f16_e32 v2, s15, v4
	v_min_f16_e32 v2, v2, v5
	global_store_short v[0:1], v2, off
	v_lshl_add_u64 v[0:1], v[44:45], 1, v[12:13]
	global_load_ushort v0, v[0:1], off
	s_waitcnt vmcnt(0)
	v_mul_f16_e32 v0, s15, v0
	v_cvt_f32_f16_e32 v1, v0
.LBB271_138:
	v_pk_add_f16 v0, v24, v26
	v_max_f16_e32 v2, v53, v53
	v_pk_add_f16 v3, v25, v27
	v_min_f16_e32 v2, v2, v0
	v_lshrrev_b32_e32 v4, 16, v53
	v_lshrrev_b32_e32 v0, 16, v0
	;; [unrolled: 1-line block ×3, first 2 shown]
	v_min3_f16 v0, v4, v0, v5
	v_min3_f16 v0, v2, v3, v0
	v_cvt_f32_f16_e32 v0, v0
	v_max_f32_e32 v1, v1, v1
	v_min_f32_e32 v0, v1, v0
	v_cvt_f16_f32_e32 v2, v0
	v_lshl_add_u64 v[0:1], v[44:45], 1, v[14:15]
	global_store_short v[0:1], v2, off
	s_endpgm
.LBB271_139:
	s_mov_b64 s[16:17], 0
	s_andn2_b64 vcc, exec, s[8:9]
	s_mov_b64 s[4:5], -1
	s_cbranch_vccz .LBB271_2
	s_branch .LBB271_3
	.section	.rodata,"a",@progbits
	.p2align	6, 0x0
	.amdhsa_kernel _ZN12_GLOBAL__N_120geam_min_plus_kernelIDF16_Dv2_DF16_S1_Li8ELi32ELi64ELi256ELi4ELi64ELi4ELi64ELi4ELc78ELc84ELb1ELb0ELb1EDF16_KDF16_DF16_EEviiiT16_PT17_ilS5_ilS3_S5_ilPT18_ili26rocblas_geam_ex_operation_
		.amdhsa_group_segment_fixed_size 5120
		.amdhsa_private_segment_fixed_size 0
		.amdhsa_kernarg_size 128
		.amdhsa_user_sgpr_count 2
		.amdhsa_user_sgpr_dispatch_ptr 0
		.amdhsa_user_sgpr_queue_ptr 0
		.amdhsa_user_sgpr_kernarg_segment_ptr 1
		.amdhsa_user_sgpr_dispatch_id 0
		.amdhsa_user_sgpr_kernarg_preload_length 0
		.amdhsa_user_sgpr_kernarg_preload_offset 0
		.amdhsa_user_sgpr_private_segment_size 0
		.amdhsa_uses_dynamic_stack 0
		.amdhsa_enable_private_segment 0
		.amdhsa_system_sgpr_workgroup_id_x 1
		.amdhsa_system_sgpr_workgroup_id_y 0
		.amdhsa_system_sgpr_workgroup_id_z 1
		.amdhsa_system_sgpr_workgroup_info 0
		.amdhsa_system_vgpr_workitem_id 1
		.amdhsa_next_free_vgpr 225
		.amdhsa_next_free_sgpr 25
		.amdhsa_accum_offset 228
		.amdhsa_reserve_vcc 1
		.amdhsa_float_round_mode_32 0
		.amdhsa_float_round_mode_16_64 0
		.amdhsa_float_denorm_mode_32 3
		.amdhsa_float_denorm_mode_16_64 3
		.amdhsa_dx10_clamp 1
		.amdhsa_ieee_mode 1
		.amdhsa_fp16_overflow 0
		.amdhsa_tg_split 0
		.amdhsa_exception_fp_ieee_invalid_op 0
		.amdhsa_exception_fp_denorm_src 0
		.amdhsa_exception_fp_ieee_div_zero 0
		.amdhsa_exception_fp_ieee_overflow 0
		.amdhsa_exception_fp_ieee_underflow 0
		.amdhsa_exception_fp_ieee_inexact 0
		.amdhsa_exception_int_div_zero 0
	.end_amdhsa_kernel
	.section	.text._ZN12_GLOBAL__N_120geam_min_plus_kernelIDF16_Dv2_DF16_S1_Li8ELi32ELi64ELi256ELi4ELi64ELi4ELi64ELi4ELc78ELc84ELb1ELb0ELb1EDF16_KDF16_DF16_EEviiiT16_PT17_ilS5_ilS3_S5_ilPT18_ili26rocblas_geam_ex_operation_,"axG",@progbits,_ZN12_GLOBAL__N_120geam_min_plus_kernelIDF16_Dv2_DF16_S1_Li8ELi32ELi64ELi256ELi4ELi64ELi4ELi64ELi4ELc78ELc84ELb1ELb0ELb1EDF16_KDF16_DF16_EEviiiT16_PT17_ilS5_ilS3_S5_ilPT18_ili26rocblas_geam_ex_operation_,comdat
.Lfunc_end271:
	.size	_ZN12_GLOBAL__N_120geam_min_plus_kernelIDF16_Dv2_DF16_S1_Li8ELi32ELi64ELi256ELi4ELi64ELi4ELi64ELi4ELc78ELc84ELb1ELb0ELb1EDF16_KDF16_DF16_EEviiiT16_PT17_ilS5_ilS3_S5_ilPT18_ili26rocblas_geam_ex_operation_, .Lfunc_end271-_ZN12_GLOBAL__N_120geam_min_plus_kernelIDF16_Dv2_DF16_S1_Li8ELi32ELi64ELi256ELi4ELi64ELi4ELi64ELi4ELc78ELc84ELb1ELb0ELb1EDF16_KDF16_DF16_EEviiiT16_PT17_ilS5_ilS3_S5_ilPT18_ili26rocblas_geam_ex_operation_
                                        ; -- End function
	.set _ZN12_GLOBAL__N_120geam_min_plus_kernelIDF16_Dv2_DF16_S1_Li8ELi32ELi64ELi256ELi4ELi64ELi4ELi64ELi4ELc78ELc84ELb1ELb0ELb1EDF16_KDF16_DF16_EEviiiT16_PT17_ilS5_ilS3_S5_ilPT18_ili26rocblas_geam_ex_operation_.num_vgpr, 225
	.set _ZN12_GLOBAL__N_120geam_min_plus_kernelIDF16_Dv2_DF16_S1_Li8ELi32ELi64ELi256ELi4ELi64ELi4ELi64ELi4ELc78ELc84ELb1ELb0ELb1EDF16_KDF16_DF16_EEviiiT16_PT17_ilS5_ilS3_S5_ilPT18_ili26rocblas_geam_ex_operation_.num_agpr, 0
	.set _ZN12_GLOBAL__N_120geam_min_plus_kernelIDF16_Dv2_DF16_S1_Li8ELi32ELi64ELi256ELi4ELi64ELi4ELi64ELi4ELc78ELc84ELb1ELb0ELb1EDF16_KDF16_DF16_EEviiiT16_PT17_ilS5_ilS3_S5_ilPT18_ili26rocblas_geam_ex_operation_.numbered_sgpr, 25
	.set _ZN12_GLOBAL__N_120geam_min_plus_kernelIDF16_Dv2_DF16_S1_Li8ELi32ELi64ELi256ELi4ELi64ELi4ELi64ELi4ELc78ELc84ELb1ELb0ELb1EDF16_KDF16_DF16_EEviiiT16_PT17_ilS5_ilS3_S5_ilPT18_ili26rocblas_geam_ex_operation_.num_named_barrier, 0
	.set _ZN12_GLOBAL__N_120geam_min_plus_kernelIDF16_Dv2_DF16_S1_Li8ELi32ELi64ELi256ELi4ELi64ELi4ELi64ELi4ELc78ELc84ELb1ELb0ELb1EDF16_KDF16_DF16_EEviiiT16_PT17_ilS5_ilS3_S5_ilPT18_ili26rocblas_geam_ex_operation_.private_seg_size, 0
	.set _ZN12_GLOBAL__N_120geam_min_plus_kernelIDF16_Dv2_DF16_S1_Li8ELi32ELi64ELi256ELi4ELi64ELi4ELi64ELi4ELc78ELc84ELb1ELb0ELb1EDF16_KDF16_DF16_EEviiiT16_PT17_ilS5_ilS3_S5_ilPT18_ili26rocblas_geam_ex_operation_.uses_vcc, 1
	.set _ZN12_GLOBAL__N_120geam_min_plus_kernelIDF16_Dv2_DF16_S1_Li8ELi32ELi64ELi256ELi4ELi64ELi4ELi64ELi4ELc78ELc84ELb1ELb0ELb1EDF16_KDF16_DF16_EEviiiT16_PT17_ilS5_ilS3_S5_ilPT18_ili26rocblas_geam_ex_operation_.uses_flat_scratch, 0
	.set _ZN12_GLOBAL__N_120geam_min_plus_kernelIDF16_Dv2_DF16_S1_Li8ELi32ELi64ELi256ELi4ELi64ELi4ELi64ELi4ELc78ELc84ELb1ELb0ELb1EDF16_KDF16_DF16_EEviiiT16_PT17_ilS5_ilS3_S5_ilPT18_ili26rocblas_geam_ex_operation_.has_dyn_sized_stack, 0
	.set _ZN12_GLOBAL__N_120geam_min_plus_kernelIDF16_Dv2_DF16_S1_Li8ELi32ELi64ELi256ELi4ELi64ELi4ELi64ELi4ELc78ELc84ELb1ELb0ELb1EDF16_KDF16_DF16_EEviiiT16_PT17_ilS5_ilS3_S5_ilPT18_ili26rocblas_geam_ex_operation_.has_recursion, 0
	.set _ZN12_GLOBAL__N_120geam_min_plus_kernelIDF16_Dv2_DF16_S1_Li8ELi32ELi64ELi256ELi4ELi64ELi4ELi64ELi4ELc78ELc84ELb1ELb0ELb1EDF16_KDF16_DF16_EEviiiT16_PT17_ilS5_ilS3_S5_ilPT18_ili26rocblas_geam_ex_operation_.has_indirect_call, 0
	.section	.AMDGPU.csdata,"",@progbits
; Kernel info:
; codeLenInByte = 16896
; TotalNumSgprs: 31
; NumVgprs: 225
; NumAgprs: 0
; TotalNumVgprs: 225
; ScratchSize: 0
; MemoryBound: 0
; FloatMode: 240
; IeeeMode: 1
; LDSByteSize: 5120 bytes/workgroup (compile time only)
; SGPRBlocks: 3
; VGPRBlocks: 28
; NumSGPRsForWavesPerEU: 31
; NumVGPRsForWavesPerEU: 225
; AccumOffset: 228
; Occupancy: 2
; WaveLimiterHint : 1
; COMPUTE_PGM_RSRC2:SCRATCH_EN: 0
; COMPUTE_PGM_RSRC2:USER_SGPR: 2
; COMPUTE_PGM_RSRC2:TRAP_HANDLER: 0
; COMPUTE_PGM_RSRC2:TGID_X_EN: 1
; COMPUTE_PGM_RSRC2:TGID_Y_EN: 0
; COMPUTE_PGM_RSRC2:TGID_Z_EN: 1
; COMPUTE_PGM_RSRC2:TIDIG_COMP_CNT: 1
; COMPUTE_PGM_RSRC3_GFX90A:ACCUM_OFFSET: 56
; COMPUTE_PGM_RSRC3_GFX90A:TG_SPLIT: 0
	.section	.text._ZN12_GLOBAL__N_120geam_min_plus_kernelIDF16_Dv2_DF16_S1_Li8ELi32ELi64ELi256ELi4ELi64ELi4ELi64ELi4ELc78ELc84ELb0ELb0ELb1EDF16_KDF16_DF16_EEviiiT16_PT17_ilS5_ilS3_S5_ilPT18_ili26rocblas_geam_ex_operation_,"axG",@progbits,_ZN12_GLOBAL__N_120geam_min_plus_kernelIDF16_Dv2_DF16_S1_Li8ELi32ELi64ELi256ELi4ELi64ELi4ELi64ELi4ELc78ELc84ELb0ELb0ELb1EDF16_KDF16_DF16_EEviiiT16_PT17_ilS5_ilS3_S5_ilPT18_ili26rocblas_geam_ex_operation_,comdat
	.globl	_ZN12_GLOBAL__N_120geam_min_plus_kernelIDF16_Dv2_DF16_S1_Li8ELi32ELi64ELi256ELi4ELi64ELi4ELi64ELi4ELc78ELc84ELb0ELb0ELb1EDF16_KDF16_DF16_EEviiiT16_PT17_ilS5_ilS3_S5_ilPT18_ili26rocblas_geam_ex_operation_ ; -- Begin function _ZN12_GLOBAL__N_120geam_min_plus_kernelIDF16_Dv2_DF16_S1_Li8ELi32ELi64ELi256ELi4ELi64ELi4ELi64ELi4ELc78ELc84ELb0ELb0ELb1EDF16_KDF16_DF16_EEviiiT16_PT17_ilS5_ilS3_S5_ilPT18_ili26rocblas_geam_ex_operation_
	.p2align	8
	.type	_ZN12_GLOBAL__N_120geam_min_plus_kernelIDF16_Dv2_DF16_S1_Li8ELi32ELi64ELi256ELi4ELi64ELi4ELi64ELi4ELc78ELc84ELb0ELb0ELb1EDF16_KDF16_DF16_EEviiiT16_PT17_ilS5_ilS3_S5_ilPT18_ili26rocblas_geam_ex_operation_,@function
_ZN12_GLOBAL__N_120geam_min_plus_kernelIDF16_Dv2_DF16_S1_Li8ELi32ELi64ELi256ELi4ELi64ELi4ELi64ELi4ELc78ELc84ELb0ELb0ELb1EDF16_KDF16_DF16_EEviiiT16_PT17_ilS5_ilS3_S5_ilPT18_ili26rocblas_geam_ex_operation_: ; @_ZN12_GLOBAL__N_120geam_min_plus_kernelIDF16_Dv2_DF16_S1_Li8ELi32ELi64ELi256ELi4ELi64ELi4ELi64ELi4ELc78ELc84ELb0ELb0ELb1EDF16_KDF16_DF16_EEviiiT16_PT17_ilS5_ilS3_S5_ilPT18_ili26rocblas_geam_ex_operation_
; %bb.0:
	s_load_dwordx2 s[18:19], s[0:1], 0x8
	s_load_dwordx4 s[8:11], s[0:1], 0x20
	s_waitcnt lgkmcnt(0)
	v_cmp_eq_f16_e64 s[6:7], s19, 0
	s_and_b64 s[4:5], exec, s[6:7]
	s_mov_b64 vcc, s[4:5]
	s_cbranch_vccnz .LBB272_11
; %bb.1:
	s_load_dwordx2 s[12:13], s[0:1], 0x10
	s_mul_i32 s9, s9, s3
	s_mul_hi_u32 s14, s8, s3
	s_add_i32 s9, s14, s9
	s_mul_i32 s8, s8, s3
	s_lshl_b64 s[8:9], s[8:9], 1
	s_waitcnt lgkmcnt(0)
	s_add_u32 s20, s12, s8
	s_addc_u32 s21, s13, s9
	s_andn2_b64 vcc, exec, s[6:7]
	s_mov_b64 s[6:7], -1
	s_cbranch_vccnz .LBB272_3
.LBB272_2:
	s_mov_b64 s[6:7], 0
.LBB272_3:
	s_mov_b64 s[16:17], 0
	s_andn2_b64 vcc, exec, s[6:7]
	s_mov_b64 s[22:23], 0
	s_cbranch_vccnz .LBB272_5
; %bb.4:
	s_load_dwordx2 s[6:7], s[0:1], 0x38
	s_waitcnt lgkmcnt(0)
	s_mul_i32 s7, s7, s3
	s_mul_hi_u32 s8, s6, s3
	s_add_i32 s7, s8, s7
	s_mul_i32 s6, s6, s3
	s_lshl_b64 s[6:7], s[6:7], 1
	s_add_u32 s22, s10, s6
	s_addc_u32 s23, s11, s7
.LBB272_5:
	s_load_dword s28, s[0:1], 0x40
	s_load_dwordx4 s[12:15], s[0:1], 0x58
	v_cmp_neq_f16_e64 s[10:11], s19, 0
	s_waitcnt lgkmcnt(0)
	v_cmp_eq_f16_e64 s[6:7], s28, 0
	s_and_b64 s[8:9], exec, s[6:7]
	s_mov_b64 vcc, s[8:9]
	s_cbranch_vccnz .LBB272_7
; %bb.6:
	s_load_dwordx2 s[6:7], s[0:1], 0x48
	s_mul_i32 s13, s13, s3
	s_mul_hi_u32 s16, s12, s3
	s_add_i32 s13, s16, s13
	s_mul_i32 s12, s12, s3
	s_lshl_b64 s[12:13], s[12:13], 1
	s_waitcnt lgkmcnt(0)
	s_add_u32 s16, s6, s12
	s_addc_u32 s17, s7, s13
.LBB272_7:
	s_load_dword s6, s[0:1], 0x0
	s_load_dword s24, s[0:1], 0x18
	v_and_b32_e32 v80, 0x3ff, v0
	v_bfe_u32 v82, v0, 10, 10
	v_cndmask_b32_e64 v0, 0, 1, s[10:11]
	s_waitcnt lgkmcnt(0)
	s_add_i32 s6, s6, -1
	s_ashr_i32 s7, s6, 31
	s_lshr_b32 s7, s7, 26
	s_add_i32 s6, s6, s7
	s_ashr_i32 s12, s6, 6
	s_add_i32 s26, s12, 1
	v_cvt_f32_u32_e32 v1, s26
	v_cmp_ne_u32_e64 s[6:7], 1, v0
	s_not_b32 s12, s12
	s_ashr_i32 s25, s24, 31
	v_rcp_iflag_f32_e32 v1, v1
	v_lshl_add_u32 v2, v82, 3, v80
	v_and_b32_e32 v29, 63, v2
	v_lshrrev_b32_e32 v28, 6, v2
	v_mul_f32_e32 v0, 0x4f7ffffe, v1
	v_cvt_u32_f32_e32 v0, v0
	v_mov_b32_e32 v7, 0
	v_mov_b32_e32 v6, 0
	v_readfirstlane_b32 s13, v0
	s_mul_i32 s12, s12, s13
	s_mul_hi_u32 s12, s13, s12
	s_add_i32 s13, s13, s12
	s_mul_hi_u32 s12, s2, s13
	s_mul_i32 s13, s12, s26
	s_sub_i32 s13, s2, s13
	s_add_i32 s27, s12, 1
	s_sub_i32 s29, s13, s26
	s_cmp_ge_u32 s13, s26
	s_cselect_b32 s12, s27, s12
	s_cselect_b32 s13, s29, s13
	s_add_i32 s27, s12, 1
	s_cmp_ge_u32 s13, s26
	s_cselect_b32 s13, s27, s12
	s_mul_i32 s12, s13, s26
	s_sub_i32 s26, s2, s12
	s_lshl_b32 s29, s26, 6
	v_or_b32_e32 v2, s29, v29
	s_andn2_b64 vcc, exec, s[10:11]
	v_ashrrev_i32_e32 v3, 31, v2
	s_cbranch_vccnz .LBB272_9
; %bb.8:
	v_mad_i64_i32 v[0:1], s[10:11], s24, v28, 0
	v_lshl_add_u64 v[0:1], v[0:1], 1, s[20:21]
	v_lshl_add_u64 v[0:1], v[2:3], 1, v[0:1]
	global_load_ushort v0, v[0:1], off
	s_waitcnt vmcnt(0)
	v_mul_f16_e32 v6, s19, v0
.LBB272_9:
	s_load_dword s26, s[0:1], 0x30
	s_lshl_b32 s30, s13, 8
	v_or_b32_e32 v0, s30, v29
	s_and_b64 vcc, exec, s[6:7]
	v_ashrrev_i32_e32 v1, 31, v0
	s_waitcnt lgkmcnt(0)
	v_mad_i64_i32 v[4:5], s[10:11], v28, s26, 0
	v_lshl_add_u64 v[4:5], v[4:5], 1, s[22:23]
	s_cbranch_vccnz .LBB272_12
; %bb.10:
	v_lshl_add_u64 v[8:9], v[0:1], 1, v[4:5]
	global_load_ushort v7, v[8:9], off
	global_load_ushort v10, v[8:9], off offset:128
	s_waitcnt vmcnt(1)
	v_mul_f16_e32 v8, s19, v7
	s_waitcnt vmcnt(0)
	v_mul_f16_e32 v7, s19, v10
	v_pack_b32_f16 v9, v8, 0
	s_branch .LBB272_13
.LBB272_11:
	s_mov_b64 s[20:21], 0
	s_andn2_b64 vcc, exec, s[6:7]
	s_mov_b64 s[6:7], -1
	s_cbranch_vccz .LBB272_2
	s_branch .LBB272_3
.LBB272_12:
	v_mov_b32_e32 v9, 0
.LBB272_13:
	s_mov_b32 s10, 0x5040100
	v_mov_b32_e32 v8, 0
	s_ashr_i32 s27, s26, 31
	v_perm_b32 v32, v7, v9, s10
	s_mov_b64 vcc, s[4:5]
	s_cbranch_vccz .LBB272_15
; %bb.14:
	v_and_b32_e32 v33, 0xffff0000, v8
	v_mov_b32_e32 v31, 0
	v_mov_b32_e32 v30, 0
	s_cbranch_execz .LBB272_16
	s_branch .LBB272_17
.LBB272_15:
	v_mov_b32_e32 v31, 0
	v_mov_b32_e32 v30, 0
.LBB272_16:
	v_lshl_add_u64 v[4:5], v[0:1], 1, v[4:5]
	global_load_ushort v7, v[4:5], off offset:256
	global_load_ushort v9, v[4:5], off offset:384
	s_mov_b32 s10, 0xffff
	s_waitcnt vmcnt(1)
	v_mul_f16_e32 v4, s19, v7
	v_bfi_b32 v33, s10, v4, v8
	s_waitcnt vmcnt(0)
	v_mul_f16_e32 v30, s19, v9
.LBB272_17:
	s_and_b64 vcc, exec, s[6:7]
	v_add_u32_e32 v4, 4, v28
	s_cbranch_vccnz .LBB272_19
; %bb.18:
	v_mad_i64_i32 v[8:9], s[10:11], s24, v4, 0
	v_lshl_add_u64 v[8:9], v[8:9], 1, s[20:21]
	v_lshl_add_u64 v[2:3], v[2:3], 1, v[8:9]
	global_load_ushort v2, v[2:3], off
	s_waitcnt vmcnt(0)
	v_mul_f16_e32 v31, s19, v2
.LBB272_19:
	v_mad_i64_i32 v[2:3], s[10:11], v4, s26, 0
	s_and_b64 vcc, exec, s[6:7]
	v_lshl_add_u64 v[2:3], v[2:3], 1, s[22:23]
	s_cbranch_vccnz .LBB272_21
; %bb.20:
	v_lshl_add_u64 v[4:5], v[0:1], 1, v[2:3]
	global_load_ushort v7, v[4:5], off
	global_load_ushort v8, v[4:5], off offset:128
	s_waitcnt vmcnt(1)
	v_mul_f16_e32 v4, s19, v7
	s_waitcnt vmcnt(0)
	v_mul_f16_e32 v5, s19, v8
	v_pack_b32_f16 v7, v4, 0
	s_branch .LBB272_22
.LBB272_21:
	v_mov_b32_e32 v7, 0
	v_mov_b32_e32 v5, 0
.LBB272_22:
	s_mov_b32 s10, 0x5040100
	v_mov_b32_e32 v4, 0
	v_perm_b32 v46, v5, v7, s10
	s_mov_b64 vcc, s[4:5]
	s_cbranch_vccz .LBB272_24
; %bb.23:
	v_and_b32_e32 v47, 0xffff0000, v4
	v_mov_b32_e32 v34, 0
	s_cbranch_execz .LBB272_25
	s_branch .LBB272_26
.LBB272_24:
	v_mov_b32_e32 v34, 0
.LBB272_25:
	v_lshl_add_u64 v[0:1], v[0:1], 1, v[2:3]
	global_load_ushort v2, v[0:1], off offset:256
	global_load_ushort v3, v[0:1], off offset:384
	s_mov_b32 s10, 0xffff
	s_waitcnt vmcnt(1)
	v_mul_f16_e32 v0, s19, v2
	v_bfi_b32 v47, s10, v0, v4
	s_waitcnt vmcnt(0)
	v_mul_f16_e32 v34, s19, v3
.LBB272_26:
	v_lshlrev_b32_e32 v0, 3, v29
	v_lshlrev_b32_e32 v94, 3, v80
	v_lshl_add_u32 v105, v28, 1, v0
	v_add_u32_e32 v106, 0x1000, v94
	ds_write_b16 v105, v6 offset:4096
	ds_write_b16 v105, v32
	ds_write_b16_d16_hi v105, v32 offset:512
	ds_write_b16 v105, v33 offset:1024
	ds_write_b16 v105, v30 offset:1536
	s_waitcnt lgkmcnt(0)
	s_barrier
	v_lshlrev_b32_e32 v92, 3, v82
	ds_read2_b64 v[16:19], v106 offset1:8
	ds_read2_b64 v[12:15], v106 offset0:16 offset1:24
	ds_read2_b64 v[4:7], v106 offset0:32 offset1:40
	ds_read2_b64 v[36:39], v92 offset1:32
	ds_read2_b64 v[0:3], v106 offset0:48 offset1:56
	ds_read2_b64 v[24:27], v92 offset0:64 offset1:96
	;; [unrolled: 1-line block ×4, first 2 shown]
	s_waitcnt lgkmcnt(4)
	v_pk_add_f16 v35, v16, v36
	s_movk_i32 s10, 0x7c00
	v_pk_add_f16 v40, v18, v36
	v_pk_add_f16 v41, v12, v36
	;; [unrolled: 1-line block ×5, first 2 shown]
	s_waitcnt lgkmcnt(3)
	v_pk_add_f16 v45, v0, v36
	v_pk_add_f16 v36, v2, v36
	v_pk_add_f16 v48, v16, v38
	v_pk_add_f16 v49, v18, v38
	v_pk_add_f16 v50, v12, v38
	v_pk_add_f16 v51, v14, v38
	v_pk_add_f16 v52, v4, v38
	v_pk_add_f16 v53, v6, v38
	v_pk_add_f16 v54, v0, v38
	v_pk_add_f16 v38, v2, v38
	s_waitcnt lgkmcnt(2)
	v_pk_add_f16 v55, v16, v24
	v_pk_add_f16 v56, v18, v24
	v_pk_add_f16 v57, v12, v24
	v_pk_add_f16 v58, v14, v24
	v_pk_add_f16 v59, v4, v24
	v_pk_add_f16 v60, v6, v24
	v_pk_add_f16 v61, v0, v24
	v_pk_add_f16 v24, v2, v24
	v_pk_add_f16 v62, v16, v26
	v_pk_add_f16 v63, v18, v26
	v_pk_add_f16 v64, v12, v26
	v_pk_add_f16 v65, v14, v26
	v_pk_add_f16 v66, v4, v26
	v_pk_add_f16 v67, v6, v26
	v_pk_add_f16 v68, v0, v26
	v_pk_add_f16 v26, v2, v26
	s_waitcnt lgkmcnt(1)
	v_pk_add_f16 v69, v16, v20
	v_pk_add_f16 v70, v18, v20
	v_pk_add_f16 v71, v12, v20
	v_pk_add_f16 v72, v14, v20
	v_pk_add_f16 v73, v4, v20
	v_pk_add_f16 v74, v6, v20
	;; [unrolled: 17-line block ×3, first 2 shown]
	v_pk_add_f16 v136, v0, v8
	v_pk_add_f16 v8, v2, v8
	;; [unrolled: 1-line block ×11, first 2 shown]
	v_pk_min_f16 v10, v35, s10 op_sel_hi:[1,0]
	v_pk_min_f16 v8, v8, s10 op_sel_hi:[1,0]
	v_pk_min_f16 v123, v10, v2
	v_pk_add_f16 v2, v19, v37
	v_pk_min_f16 v10, v40, s10 op_sel_hi:[1,0]
	v_pk_min_f16 v4, v4, s10 op_sel_hi:[1,0]
	v_pk_min_f16 v122, v10, v2
	v_pk_add_f16 v2, v13, v37
	;; [unrolled: 4-line block ×3, first 2 shown]
	v_pk_min_f16 v10, v42, s10 op_sel_hi:[1,0]
	s_cmp_lt_i32 s18, 9
	v_pk_min_f16 v120, v10, v2
	v_pk_add_f16 v2, v5, v37
	v_pk_min_f16 v10, v43, s10 op_sel_hi:[1,0]
	ds_write_b16 v105, v31 offset:4608
	ds_write_b16 v105, v46 offset:2048
	ds_write_b16_d16_hi v105, v46 offset:2560
	ds_write_b16 v105, v47 offset:3072
	ds_write_b16 v105, v34 offset:3584
	v_pk_min_f16 v119, v10, v2
	v_pk_add_f16 v2, v7, v37
	v_pk_min_f16 v10, v44, s10 op_sel_hi:[1,0]
	s_waitcnt lgkmcnt(0)
	v_pk_min_f16 v118, v10, v2
	v_pk_add_f16 v2, v1, v37
	v_pk_min_f16 v10, v45, s10 op_sel_hi:[1,0]
	s_barrier
	v_pk_min_f16 v117, v10, v2
	v_pk_add_f16 v2, v3, v37
	v_pk_min_f16 v10, v36, s10 op_sel_hi:[1,0]
	s_nop 0
	v_pk_min_f16 v116, v10, v2
	v_pk_add_f16 v2, v17, v39
	v_pk_min_f16 v10, v48, s10 op_sel_hi:[1,0]
	s_nop 0
	;; [unrolled: 4-line block ×47, first 2 shown]
	v_pk_min_f16 v64, v10, v2
	v_pk_add_f16 v2, v1, v9
	v_pk_min_f16 v10, v136, s10 op_sel_hi:[1,0]
	v_pk_add_f16 v1, v1, v11
	v_pk_min_f16 v63, v10, v2
	v_pk_add_f16 v2, v3, v9
	s_nop 0
	v_pk_min_f16 v62, v8, v2
	v_pk_add_f16 v2, v17, v11
	v_pk_min_f16 v8, v16, s10 op_sel_hi:[1,0]
	s_nop 0
	v_pk_min_f16 v61, v8, v2
	v_pk_add_f16 v2, v19, v11
	v_pk_min_f16 v8, v18, s10 op_sel_hi:[1,0]
	;; [unrolled: 4-line block ×4, first 2 shown]
	s_nop 0
	v_pk_min_f16 v57, v8, v2
	v_pk_add_f16 v2, v5, v11
	s_nop 0
	v_pk_min_f16 v56, v4, v2
	v_pk_add_f16 v2, v7, v11
	v_pk_min_f16 v4, v6, s10 op_sel_hi:[1,0]
	s_nop 0
	v_pk_min_f16 v54, v4, v2
	v_pk_min_f16 v2, v137, s10 op_sel_hi:[1,0]
	s_nop 0
	v_pk_min_f16 v55, v2, v1
	v_pk_add_f16 v1, v3, v11
	s_nop 0
	v_pk_min_f16 v59, v0, v1
	s_cbranch_scc1 .LBB272_49
; %bb.27:
	v_mov_b32_e32 v0, 0x1200
	v_lshl_add_u32 v127, v80, 3, v0
	v_mov_b32_e32 v0, 0x800
	v_add_u32_e32 v2, 12, v28
	s_mov_b32 s31, 0x5040100
	v_lshl_add_u32 v128, v82, 3, v0
	v_mad_i64_i32 v[0:1], s[10:11], v2, s24, 0
	v_perm_b32 v47, v34, v47, s31
	v_lshlrev_b64 v[34:35], 1, v[0:1]
	v_lshl_or_b32 v0, s2, 6, v29
	s_lshl_b32 s2, s12, 6
	v_subrev_u32_e32 v0, s2, v0
	v_ashrrev_i32_e32 v1, 31, v0
	v_lshl_add_u64 v[36:37], v[0:1], 1, s[20:21]
	v_add_u32_e32 v0, s30, v29
	v_ashrrev_i32_e32 v1, 31, v0
	v_lshlrev_b64 v[38:39], 1, v[0:1]
	v_mad_i64_i32 v[0:1], s[12:13], v2, s26, 0
	v_add_u32_e32 v2, 8, v28
	v_lshl_add_u64 v[40:41], v[0:1], 1, s[22:23]
	v_mad_i64_i32 v[0:1], s[20:21], v2, s26, 0
	v_lshl_add_u64 v[42:43], v[0:1], 1, s[22:23]
	v_mad_i64_i32 v[0:1], s[20:21], v2, s24, 0
	v_or_b32_e32 v124, 0x1000, v105
	v_add_u32_e32 v125, 0x1200, v105
	v_or_b32_e32 v126, 0x800, v105
	s_add_i32 s18, s18, -8
	v_perm_b32 v33, v30, v33, s31
	s_lshl_b64 s[10:11], s[24:25], 4
	s_lshl_b64 s[12:13], s[26:27], 4
	v_lshlrev_b64 v[44:45], 1, v[0:1]
	s_mov_b32 s2, 0
	s_mov_b32 s22, 0xffff
	s_and_b64 vcc, exec, s[6:7]
	s_cbranch_vccz .LBB272_30
	s_branch .LBB272_29
.LBB272_28:
	v_mov_b32_e32 v46, v48
	s_and_b64 vcc, exec, s[6:7]
	s_cbranch_vccz .LBB272_30
.LBB272_29:
	v_mov_b32_e32 v48, 0
	s_mov_b64 s[20:21], -1
	s_mov_b64 vcc, s[4:5]
                                        ; implicit-def: $vgpr0_vgpr1
	s_cbranch_vccnz .LBB272_31
	s_branch .LBB272_32
.LBB272_30:
	v_lshl_add_u64 v[0:1], v[36:37], 0, v[44:45]
	global_load_ushort v0, v[0:1], off
	s_waitcnt vmcnt(0)
	v_mul_f16_e32 v48, s19, v0
	s_mov_b64 s[20:21], -1
	s_mov_b64 vcc, s[4:5]
                                        ; implicit-def: $vgpr0_vgpr1
	s_cbranch_vccz .LBB272_32
.LBB272_31:
	v_and_b32_e32 v0, 0xffff0000, v32
	v_mov_b32_e32 v1, v33
	s_mov_b64 s[20:21], 0
.LBB272_32:
	v_mov_b32_e32 v4, 0
	s_andn2_b64 vcc, exec, s[20:21]
	v_lshl_add_u64 v[2:3], v[42:43], 0, v[38:39]
	s_cbranch_vccnz .LBB272_40
; %bb.33:
	global_load_ushort v0, v[2:3], off
	global_load_ushort v1, v[2:3], off offset:128
	s_waitcnt vmcnt(1)
	v_mul_f16_e32 v0, s19, v0
	v_bfi_b32 v32, s22, v0, v32
	s_waitcnt vmcnt(0)
	v_mul_f16_e32 v4, s19, v1
	v_mov_b64_e32 v[0:1], v[32:33]
	v_perm_b32 v32, v4, v0, s31
	s_mov_b64 s[20:21], -1
	s_mov_b64 vcc, s[4:5]
	s_cbranch_vccnz .LBB272_41
.LBB272_34:
	v_mov_b32_e32 v129, 0
	s_andn2_b64 vcc, exec, s[20:21]
	v_mov_b32_e32 v130, 0
	s_cbranch_vccnz .LBB272_36
.LBB272_35:
	global_load_ushort v0, v[2:3], off offset:256
	global_load_ushort v4, v[2:3], off offset:384
	s_waitcnt vmcnt(1)
	v_mul_f16_e32 v0, s19, v0
	v_bfi_b32 v33, s22, v0, v1
	s_waitcnt vmcnt(0)
	v_mul_f16_e32 v130, s19, v4
.LBB272_36:
	ds_read2_b64 v[12:15], v127 offset1:8
	ds_read2_b64 v[8:11], v127 offset0:16 offset1:24
	ds_read2_b64 v[4:7], v127 offset0:32 offset1:40
	;; [unrolled: 1-line block ×3, first 2 shown]
	ds_read2_b64 v[28:31], v128 offset1:32
	ds_read2_b64 v[24:27], v128 offset0:64 offset1:96
	ds_read2_b64 v[20:23], v128 offset0:128 offset1:160
	;; [unrolled: 1-line block ×3, first 2 shown]
	s_and_b64 vcc, exec, s[6:7]
	ds_write_b16 v124, v48
	ds_write_b16 v105, v32
	ds_write_b16_d16_hi v105, v32 offset:512
	ds_write_b16 v105, v33 offset:1024
	ds_write_b16 v105, v130 offset:1536
	s_waitcnt lgkmcnt(0)
	s_barrier
	s_cbranch_vccnz .LBB272_38
; %bb.37:
	v_lshl_add_u64 v[48:49], v[36:37], 0, v[34:35]
	global_load_ushort v48, v[48:49], off
	s_waitcnt vmcnt(0)
	v_mul_f16_e32 v129, s19, v48
.LBB272_38:
	s_mov_b64 s[20:21], -1
	s_mov_b64 vcc, s[4:5]
                                        ; implicit-def: $vgpr50_vgpr51
	s_cbranch_vccz .LBB272_42
; %bb.39:
	v_and_b32_e32 v50, 0xffff0000, v46
	v_mov_b32_e32 v51, v47
	v_mov_b32_e32 v48, 0
	v_lshl_add_u64 v[52:53], v[40:41], 0, v[38:39]
	s_cbranch_execnz .LBB272_44
	s_branch .LBB272_43
.LBB272_40:
	v_perm_b32 v32, v4, v0, s31
	s_mov_b64 s[20:21], -1
	s_mov_b64 vcc, s[4:5]
	s_cbranch_vccz .LBB272_34
.LBB272_41:
	v_and_b32_e32 v33, 0xffff0000, v1
	v_mov_b32_e32 v129, 0
	v_mov_b32_e32 v130, 0
	s_cbranch_execz .LBB272_35
	s_branch .LBB272_36
.LBB272_42:
	v_mov_b32_e32 v48, 0
	s_andn2_b64 vcc, exec, s[20:21]
	v_lshl_add_u64 v[52:53], v[40:41], 0, v[38:39]
	s_cbranch_vccnz .LBB272_44
.LBB272_43:
	global_load_ushort v48, v[52:53], off
	global_load_ushort v49, v[52:53], off offset:128
	s_waitcnt vmcnt(1)
	v_mul_f16_e32 v48, s19, v48
	v_bfi_b32 v46, s22, v48, v46
	s_waitcnt vmcnt(0)
	v_mul_f16_e32 v48, s19, v49
	v_mov_b64_e32 v[50:51], v[46:47]
.LBB272_44:
	v_perm_b32 v48, v48, v50, s31
	s_mov_b64 s[20:21], -1
	s_mov_b64 vcc, s[4:5]
                                        ; implicit-def: $vgpr49
	s_cbranch_vccz .LBB272_46
; %bb.45:
	v_and_b32_e32 v49, 0xffff0000, v51
	v_mov_b32_e32 v50, 0
	s_cbranch_execz .LBB272_47
	s_branch .LBB272_48
.LBB272_46:
	s_andn2_b64 vcc, exec, s[20:21]
	v_mov_b32_e32 v50, 0
	s_cbranch_vccnz .LBB272_48
.LBB272_47:
	global_load_ushort v46, v[52:53], off offset:256
	global_load_ushort v47, v[52:53], off offset:384
	s_waitcnt vmcnt(1)
	v_mul_f16_e32 v46, s19, v46
	v_bfi_b32 v49, s22, v46, v51
	s_waitcnt vmcnt(0)
	v_mul_f16_e32 v50, s19, v47
.LBB272_48:
	v_pk_add_f16 v46, v12, v28
	v_pk_max_f16 v47, v123, v123
	v_pk_max_f16 v51, v122, v122
	v_pk_min_f16 v46, v47, v46
	v_pk_add_f16 v47, v14, v28
	v_pk_max_f16 v52, v121, v121
	v_pk_min_f16 v47, v51, v47
	v_pk_add_f16 v51, v8, v28
	v_pk_max_f16 v53, v120, v120
	v_pk_min_f16 v51, v52, v51
	v_pk_add_f16 v52, v10, v28
	v_pk_max_f16 v119, v119, v119
	v_pk_min_f16 v52, v53, v52
	v_pk_add_f16 v53, v4, v28
	v_pk_max_f16 v118, v118, v118
	v_pk_min_f16 v53, v119, v53
	v_pk_add_f16 v119, v6, v28
	v_pk_max_f16 v116, v116, v116
	v_pk_min_f16 v118, v118, v119
	v_pk_add_f16 v119, v0, v28
	v_pk_add_f16 v28, v2, v28
	v_pk_max_f16 v115, v115, v115
	v_pk_min_f16 v28, v116, v28
	v_pk_add_f16 v116, v12, v30
	v_pk_max_f16 v114, v114, v114
	v_pk_min_f16 v115, v115, v116
	v_pk_add_f16 v116, v14, v30
	v_pk_max_f16 v113, v113, v113
	v_pk_min_f16 v114, v114, v116
	v_pk_add_f16 v116, v8, v30
	v_pk_max_f16 v112, v112, v112
	v_pk_min_f16 v113, v113, v116
	v_pk_add_f16 v116, v10, v30
	v_pk_max_f16 v111, v111, v111
	v_pk_min_f16 v112, v112, v116
	v_pk_add_f16 v116, v4, v30
	v_pk_max_f16 v110, v110, v110
	v_pk_min_f16 v111, v111, v116
	v_pk_add_f16 v116, v6, v30
	v_pk_max_f16 v108, v108, v108
	v_pk_min_f16 v110, v110, v116
	v_pk_add_f16 v116, v0, v30
	v_pk_add_f16 v30, v2, v30
	v_pk_max_f16 v107, v107, v107
	v_pk_min_f16 v30, v108, v30
	v_pk_add_f16 v108, v12, v24
	;; [unrolled: 22-line block ×6, first 2 shown]
	v_pk_max_f16 v68, v68, v68
	v_pk_min_f16 v69, v69, v70
	v_pk_add_f16 v70, v14, v16
	v_pk_max_f16 v67, v67, v67
	v_pk_min_f16 v68, v68, v70
	v_pk_add_f16 v70, v8, v16
	;; [unrolled: 3-line block ×5, first 2 shown]
	v_pk_add_f16 v12, v12, v18
	v_pk_min_f16 v64, v64, v70
	v_pk_add_f16 v70, v0, v16
	v_pk_add_f16 v16, v2, v16
	;; [unrolled: 1-line block ×9, first 2 shown]
	v_pk_max_f16 v18, v59, v59
	v_pk_max_f16 v54, v54, v54
	v_pk_min_f16 v2, v18, v2
	v_pk_add_f16 v18, v13, v29
	v_pk_max_f16 v117, v117, v117
	v_pk_min_f16 v46, v46, v18
	v_pk_add_f16 v18, v15, v29
	v_pk_min_f16 v6, v54, v6
	v_pk_min_f16 v47, v47, v18
	v_pk_add_f16 v18, v9, v29
	v_pk_max_f16 v54, v55, v55
	v_pk_min_f16 v51, v51, v18
	v_pk_add_f16 v18, v11, v29
	v_pk_min_f16 v117, v117, v119
	v_pk_min_f16 v52, v52, v18
	v_pk_add_f16 v18, v5, v29
	v_pk_min_f16 v0, v54, v0
	v_pk_min_f16 v53, v53, v18
	v_pk_add_f16 v18, v7, v29
	v_pk_max_f16 v56, v56, v56
	v_pk_min_f16 v54, v118, v18
	v_pk_add_f16 v18, v1, v29
	v_pk_max_f16 v57, v57, v57
	v_pk_min_f16 v55, v117, v18
	v_pk_add_f16 v18, v3, v29
	v_pk_min_f16 v4, v56, v4
	v_pk_min_f16 v56, v28, v18
	v_pk_add_f16 v18, v13, v31
	v_pk_max_f16 v58, v58, v58
	v_pk_min_f16 v10, v57, v10
	v_pk_min_f16 v57, v115, v18
	v_pk_add_f16 v18, v15, v31
	v_pk_min_f16 v8, v58, v8
	v_pk_min_f16 v58, v114, v18
	v_pk_add_f16 v18, v9, v31
	v_pk_max_f16 v60, v60, v60
	v_pk_min_f16 v59, v113, v18
	v_pk_add_f16 v18, v11, v31
	v_pk_max_f16 v61, v61, v61
	v_pk_min_f16 v14, v60, v14
	v_pk_min_f16 v60, v112, v18
	v_pk_add_f16 v18, v5, v31
	v_pk_max_f16 v109, v109, v109
	v_pk_max_f16 v62, v62, v62
	v_pk_min_f16 v12, v61, v12
	v_pk_min_f16 v61, v111, v18
	v_pk_add_f16 v18, v7, v31
	v_pk_min_f16 v109, v109, v116
	v_pk_max_f16 v63, v63, v63
	v_pk_min_f16 v16, v62, v16
	v_pk_min_f16 v62, v110, v18
	v_pk_add_f16 v18, v1, v31
	v_pk_max_f16 v71, v71, v71
	v_pk_min_f16 v63, v63, v70
	v_pk_min_f16 v70, v109, v18
	v_pk_add_f16 v18, v3, v31
	;; [unrolled: 4-line block ×4, first 2 shown]
	v_pk_min_f16 v89, v89, v98
	v_pk_min_f16 v98, v104, v18
	v_pk_add_f16 v18, v9, v25
	v_pk_max_f16 v99, v99, v99
	v_pk_min_f16 v103, v103, v18
	v_pk_add_f16 v18, v11, v25
	v_pk_min_f16 v99, v99, v108
	v_pk_min_f16 v102, v102, v18
	v_pk_add_f16 v18, v5, v25
	v_pk_max_f16 v61, v61, v61
	v_pk_min_f16 v101, v101, v18
	v_pk_add_f16 v18, v7, v25
	v_pk_max_f16 v54, v54, v54
	;; [unrolled: 3-line block ×6, first 2 shown]
	v_pk_min_f16 v96, v96, v18
	v_pk_add_f16 v18, v9, v27
	v_perm_b32 v33, v130, v33, s31
	v_pk_min_f16 v95, v95, v18
	v_pk_add_f16 v18, v11, v27
	v_pk_max_f16 v46, v46, v46
	v_pk_min_f16 v93, v93, v18
	v_pk_add_f16 v18, v5, v27
	v_pk_max_f16 v51, v51, v51
	;; [unrolled: 3-line block ×5, first 2 shown]
	v_pk_min_f16 v132, v26, v18
	v_pk_add_f16 v18, v13, v21
	s_add_i32 s2, s2, 8
	v_pk_min_f16 v87, v87, v18
	v_pk_add_f16 v18, v15, v21
	v_lshl_add_u64 v[36:37], v[36:37], 0, s[10:11]
	v_pk_min_f16 v86, v86, v18
	v_pk_add_f16 v18, v9, v21
	v_lshl_add_u64 v[40:41], v[40:41], 0, s[12:13]
	v_pk_min_f16 v85, v85, v18
	v_pk_add_f16 v18, v11, v21
	s_cmp_ge_i32 s2, s18
	v_pk_min_f16 v84, v84, v18
	v_pk_add_f16 v18, v5, v21
	v_lshl_add_u64 v[42:43], v[42:43], 0, s[12:13]
	v_pk_min_f16 v83, v83, v18
	v_pk_add_f16 v18, v7, v21
	s_nop 0
	v_pk_min_f16 v81, v81, v18
	v_pk_add_f16 v18, v1, v21
	s_nop 0
	;; [unrolled: 3-line block ×11, first 2 shown]
	v_pk_min_f16 v134, v22, v18
	v_pk_add_f16 v18, v13, v17
	v_pk_add_f16 v13, v13, v19
	v_pk_min_f16 v69, v69, v18
	v_pk_add_f16 v18, v15, v17
	v_pk_min_f16 v136, v12, v13
	v_pk_min_f16 v68, v68, v18
	v_pk_add_f16 v18, v9, v17
	v_pk_add_f16 v9, v9, v19
	v_pk_min_f16 v67, v67, v18
	v_pk_add_f16 v18, v11, v17
	v_pk_add_f16 v12, v15, v19
	;; [unrolled: 3-line block ×3, first 2 shown]
	v_pk_min_f16 v65, v65, v18
	v_pk_add_f16 v18, v7, v17
	v_pk_min_f16 v138, v8, v9
	v_pk_min_f16 v64, v64, v18
	v_pk_add_f16 v18, v1, v17
	v_pk_add_f16 v1, v1, v19
	;; [unrolled: 1-line block ×4, first 2 shown]
	v_pk_min_f16 v140, v4, v5
	v_pk_add_f16 v4, v7, v19
	v_pk_min_f16 v142, v0, v1
	v_pk_add_f16 v0, v3, v19
	v_pk_min_f16 v63, v63, v18
	v_pk_min_f16 v135, v16, v17
	;; [unrolled: 1-line block ×6, first 2 shown]
	ds_read2_b64 v[16:19], v106 offset1:8
	ds_read2_b64 v[8:11], v106 offset0:16 offset1:24
	ds_read2_b64 v[4:7], v106 offset0:32 offset1:40
	ds_read2_b64 v[28:31], v92 offset1:32
	ds_read2_b64 v[0:3], v106 offset0:48 offset1:56
	ds_read2_b64 v[24:27], v92 offset0:64 offset1:96
	;; [unrolled: 1-line block ×4, first 2 shown]
	s_waitcnt lgkmcnt(4)
	v_pk_add_f16 v145, v4, v30
	v_pk_add_f16 v111, v6, v28
	v_pk_add_f16 v165, v5, v31
	v_pk_min_f16 v61, v61, v145
	v_pk_add_f16 v146, v6, v30
	v_pk_min_f16 v54, v54, v111
	v_pk_min_f16 v111, v61, v165
	v_pk_max_f16 v61, v62, v62
	v_pk_add_f16 v110, v4, v28
	v_pk_add_f16 v166, v7, v31
	v_pk_min_f16 v61, v61, v146
	s_waitcnt lgkmcnt(3)
	v_pk_add_f16 v147, v0, v30
	v_pk_min_f16 v53, v53, v110
	v_pk_min_f16 v110, v61, v166
	v_pk_max_f16 v61, v70, v70
	v_pk_add_f16 v104, v16, v28
	v_pk_add_f16 v107, v18, v28
	;; [unrolled: 1-line block ×7, first 2 shown]
	v_pk_min_f16 v61, v61, v147
	v_pk_add_f16 v113, v16, v30
	v_pk_add_f16 v114, v18, v30
	;; [unrolled: 1-line block ×13, first 2 shown]
	v_pk_min_f16 v47, v47, v107
	v_pk_min_f16 v52, v52, v109
	;; [unrolled: 1-line block ×4, first 2 shown]
	v_pk_max_f16 v61, v78, v78
	v_pk_add_f16 v161, v17, v31
	v_pk_add_f16 v162, v19, v31
	v_pk_add_f16 v163, v9, v31
	v_pk_add_f16 v164, v11, v31
	v_pk_add_f16 v31, v3, v31
	v_pk_min_f16 v122, v47, v116
	v_pk_min_f16 v116, v28, v29
	v_pk_max_f16 v29, v57, v57
	v_pk_max_f16 v57, v58, v58
	v_pk_min_f16 v30, v61, v30
	s_waitcnt lgkmcnt(2)
	v_pk_add_f16 v148, v16, v24
	v_pk_min_f16 v46, v46, v104
	v_pk_min_f16 v51, v51, v108
	;; [unrolled: 1-line block ×8, first 2 shown]
	v_pk_max_f16 v30, v88, v88
	v_pk_add_f16 v149, v18, v24
	v_pk_add_f16 v150, v8, v24
	;; [unrolled: 1-line block ×15, first 2 shown]
	v_pk_min_f16 v123, v46, v115
	s_waitcnt lgkmcnt(1)
	v_pk_add_f16 v46, v16, v20
	v_pk_add_f16 v171, v18, v20
	;; [unrolled: 1-line block ×4, first 2 shown]
	v_pk_min_f16 v121, v51, v117
	v_pk_add_f16 v51, v4, v20
	v_pk_add_f16 v173, v6, v20
	v_pk_min_f16 v120, v52, v118
	v_pk_add_f16 v52, v0, v20
	v_pk_add_f16 v20, v2, v20
	v_pk_min_f16 v119, v53, v119
	v_pk_add_f16 v53, v16, v22
	v_pk_add_f16 v174, v18, v22
	v_pk_min_f16 v118, v54, v159
	v_pk_add_f16 v54, v8, v22
	v_pk_add_f16 v159, v10, v22
	v_pk_min_f16 v117, v55, v160
	v_pk_add_f16 v55, v4, v22
	v_pk_add_f16 v56, v6, v22
	v_pk_add_f16 v28, v0, v22
	v_pk_add_f16 v22, v2, v22
	v_pk_min_f16 v115, v29, v161
	s_waitcnt lgkmcnt(0)
	v_pk_add_f16 v29, v16, v12
	v_pk_add_f16 v58, v18, v12
	v_pk_min_f16 v114, v57, v162
	v_pk_add_f16 v57, v8, v12
	v_pk_add_f16 v130, v10, v12
	v_pk_min_f16 v113, v59, v163
	;; [unrolled: 3-line block ×3, first 2 shown]
	v_pk_add_f16 v60, v0, v12
	v_pk_add_f16 v12, v2, v12
	;; [unrolled: 1-line block ×9, first 2 shown]
	v_pk_min_f16 v30, v30, v148
	v_pk_add_f16 v31, v17, v25
	v_pk_add_f16 v2, v2, v14
	v_pk_max_f16 v14, v98, v98
	v_pk_min_f16 v107, v30, v31
	v_pk_min_f16 v14, v14, v149
	v_pk_add_f16 v30, v19, v25
	ds_write_b16 v125, v129
	ds_write_b16 v126, v48
	ds_write_b16_d16_hi v126, v48 offset:512
	ds_write_b16 v126, v49 offset:1024
	ds_write_b16 v126, v50 offset:1536
	v_pk_min_f16 v104, v14, v30
	v_pk_max_f16 v30, v103, v103
	v_pk_add_f16 v14, v9, v25
	v_pk_min_f16 v30, v30, v150
	s_waitcnt lgkmcnt(0)
	v_pk_min_f16 v103, v30, v14
	v_pk_max_f16 v30, v102, v102
	v_pk_add_f16 v14, v11, v25
	v_pk_min_f16 v30, v30, v151
	s_barrier
	v_pk_min_f16 v102, v30, v14
	v_pk_max_f16 v30, v101, v101
	v_pk_add_f16 v14, v5, v25
	v_pk_min_f16 v30, v30, v152
	s_nop 0
	v_pk_min_f16 v101, v30, v14
	v_pk_max_f16 v30, v100, v100
	v_pk_add_f16 v14, v7, v25
	v_pk_min_f16 v30, v30, v153
	s_nop 0
	;; [unrolled: 5-line block ×3, first 2 shown]
	v_pk_min_f16 v99, v30, v14
	v_pk_add_f16 v14, v3, v25
	v_pk_max_f16 v25, v131, v131
	s_nop 0
	v_pk_min_f16 v24, v25, v24
	s_nop 0
	v_pk_min_f16 v98, v24, v14
	v_pk_max_f16 v24, v97, v97
	v_pk_add_f16 v14, v17, v27
	v_pk_min_f16 v24, v24, v155
	s_nop 0
	v_pk_min_f16 v97, v24, v14
	v_pk_max_f16 v24, v96, v96
	v_pk_add_f16 v14, v19, v27
	;; [unrolled: 5-line block ×11, first 2 shown]
	v_pk_min_f16 v24, v24, v47
	v_perm_b32 v47, v50, v49, s31
	v_pk_min_f16 v85, v24, v14
	v_pk_max_f16 v24, v84, v84
	v_pk_add_f16 v14, v11, v21
	v_pk_min_f16 v24, v24, v172
	s_nop 0
	v_pk_min_f16 v84, v24, v14
	v_pk_max_f16 v24, v83, v83
	v_pk_add_f16 v14, v5, v21
	v_pk_min_f16 v24, v24, v51
	s_nop 0
	;; [unrolled: 5-line block ×4, first 2 shown]
	v_pk_min_f16 v79, v24, v14
	v_pk_add_f16 v14, v3, v21
	v_pk_max_f16 v21, v133, v133
	s_nop 0
	v_pk_min_f16 v20, v21, v20
	s_nop 0
	v_pk_min_f16 v78, v20, v14
	v_pk_max_f16 v20, v77, v77
	v_pk_add_f16 v14, v17, v23
	v_pk_min_f16 v20, v20, v53
	s_nop 0
	v_pk_min_f16 v77, v20, v14
	v_pk_max_f16 v20, v76, v76
	v_pk_add_f16 v14, v19, v23
	;; [unrolled: 5-line block ×11, first 2 shown]
	v_pk_min_f16 v20, v20, v57
	v_pk_add_f16 v9, v9, v15
	v_pk_min_f16 v67, v20, v14
	v_pk_max_f16 v20, v66, v66
	v_pk_add_f16 v14, v11, v13
	v_pk_min_f16 v20, v20, v130
	s_nop 0
	v_pk_min_f16 v66, v20, v14
	v_pk_max_f16 v20, v65, v65
	v_pk_add_f16 v14, v5, v13
	v_pk_min_f16 v20, v20, v59
	v_pk_add_f16 v5, v5, v15
	v_pk_min_f16 v65, v20, v14
	v_pk_max_f16 v20, v64, v64
	v_pk_add_f16 v14, v7, v13
	v_pk_min_f16 v20, v20, v144
	s_nop 0
	v_pk_min_f16 v64, v20, v14
	v_pk_max_f16 v20, v63, v63
	v_pk_add_f16 v14, v1, v13
	v_pk_min_f16 v20, v20, v60
	v_pk_add_f16 v13, v3, v13
	v_pk_min_f16 v63, v20, v14
	v_pk_max_f16 v14, v135, v135
	v_pk_add_f16 v1, v1, v15
	v_pk_min_f16 v12, v14, v12
	s_nop 0
	v_pk_min_f16 v62, v12, v13
	v_pk_max_f16 v13, v136, v136
	v_pk_add_f16 v12, v17, v15
	v_pk_min_f16 v13, v13, v16
	s_nop 0
	v_pk_min_f16 v61, v13, v12
	v_pk_max_f16 v13, v137, v137
	v_pk_add_f16 v12, v19, v15
	v_pk_min_f16 v13, v13, v18
	s_nop 0
	v_pk_min_f16 v60, v13, v12
	v_pk_max_f16 v12, v138, v138
	s_nop 0
	v_pk_min_f16 v8, v12, v8
	s_nop 0
	v_pk_min_f16 v58, v8, v9
	v_pk_max_f16 v9, v139, v139
	v_pk_add_f16 v8, v11, v15
	v_pk_min_f16 v9, v9, v10
	s_nop 0
	v_pk_min_f16 v57, v9, v8
	v_pk_max_f16 v8, v140, v140
	s_nop 0
	;; [unrolled: 10-line block ×3, first 2 shown]
	v_pk_min_f16 v0, v4, v0
	s_nop 0
	v_pk_min_f16 v55, v0, v1
	v_pk_max_f16 v1, v143, v143
	v_pk_add_f16 v0, v3, v15
	v_pk_min_f16 v1, v1, v2
	s_nop 0
	v_pk_min_f16 v59, v1, v0
	s_cbranch_scc0 .LBB272_28
.LBB272_49:
	s_load_dword s6, s[0:1], 0x50
	ds_read_b64 v[30:31], v94 offset:4608
	ds_read_b64 v[46:47], v92 offset:2048
	v_add_u32_e32 v52, s30, v82
	v_cmp_neq_f16_e64 s[4:5], s28, 0
	v_add_u32_e32 v28, s29, v80
	s_waitcnt lgkmcnt(0)
	v_mad_i64_i32 v[0:1], s[10:11], v52, s6, 0
	v_ashrrev_i32_e32 v29, 31, v28
	v_lshl_add_u64 v[48:49], v[0:1], 1, s[16:17]
	v_mov_b32_e32 v34, 0
	s_and_b64 vcc, exec, s[4:5]
	v_mov_b32_e32 v35, 0
	s_cbranch_vccz .LBB272_51
; %bb.50:
	v_lshl_add_u64 v[0:1], v[28:29], 1, v[48:49]
	global_load_ushort v0, v[0:1], off
	s_waitcnt vmcnt(0)
	v_mul_f16_e32 v0, s28, v0
	v_cvt_f32_f16_e32 v35, v0
.LBB272_51:
	v_add_u32_e32 v0, 0x1000, v94
	v_pk_add_f16 v32, v30, v46
	v_max_f16_e32 v33, v123, v123
	v_pk_add_f16 v37, v31, v47
	ds_read2_b64 v[8:11], v0 offset0:72 offset1:80
	ds_read2_b64 v[4:7], v0 offset0:88 offset1:96
	;; [unrolled: 1-line block ×3, first 2 shown]
	ds_read_b64 v[24:25], v94 offset:5056
	s_load_dword s7, s[0:1], 0x68
	s_load_dwordx2 s[10:11], s[0:1], 0x70
	v_min_f16_e32 v36, v33, v32
	v_lshrrev_b32_e32 v33, 16, v123
	v_lshrrev_b32_e32 v32, 16, v32
	;; [unrolled: 1-line block ×3, first 2 shown]
	v_min3_f16 v38, v33, v32, v38
	v_min3_f16 v36, v36, v37, v38
	v_cvt_f32_f16_e32 v38, v36
	v_add_u32_e32 v12, 0x800, v92
	ds_read2_b64 v[20:23], v12 offset0:32 offset1:64
	ds_read2_b64 v[16:19], v12 offset0:96 offset1:128
	;; [unrolled: 1-line block ×3, first 2 shown]
	ds_read_b64 v[26:27], v92 offset:3840
	s_waitcnt lgkmcnt(0)
	s_mul_i32 s0, s11, s3
	s_mul_hi_u32 s1, s10, s3
	s_add_i32 s1, s1, s0
	s_mul_i32 s0, s10, s3
	v_max_f32_e32 v35, v35, v35
	s_lshl_b64 s[0:1], s[0:1], 1
	v_min_f32_e32 v35, v35, v38
	s_add_u32 s2, s14, s0
	v_cvt_f16_f32_e32 v35, v35
	s_addc_u32 s3, s15, s1
	v_mad_i64_i32 v[36:37], s[0:1], v52, s7, 0
	v_add_u32_e32 v32, 8, v28
	v_lshl_add_u64 v[50:51], v[36:37], 1, s[2:3]
	v_cndmask_b32_e64 v38, 0, 1, s[4:5]
	v_ashrrev_i32_e32 v33, 31, v32
	v_lshl_add_u64 v[36:37], v[28:29], 1, v[50:51]
	v_cmp_ne_u32_e64 s[0:1], 1, v38
	s_andn2_b64 vcc, exec, s[4:5]
	global_store_short v[36:37], v35, off
	s_cbranch_vccnz .LBB272_53
; %bb.52:
	v_lshl_add_u64 v[34:35], v[32:33], 1, v[48:49]
	global_load_ushort v34, v[34:35], off
	s_waitcnt vmcnt(0)
	v_mul_f16_e32 v34, s28, v34
	v_cvt_f32_f16_e32 v34, v34
.LBB272_53:
	v_pk_add_f16 v35, v8, v46
	v_max_f16_e32 v36, v122, v122
	v_pk_add_f16 v38, v9, v47
	v_min_f16_e32 v36, v36, v35
	v_lshrrev_b32_e32 v37, 16, v122
	v_lshrrev_b32_e32 v35, 16, v35
	;; [unrolled: 1-line block ×3, first 2 shown]
	v_min3_f16 v35, v37, v35, v39
	v_min3_f16 v35, v36, v38, v35
	v_cvt_f32_f16_e32 v35, v35
	v_max_f32_e32 v34, v34, v34
	v_lshl_add_u64 v[36:37], v[32:33], 1, v[50:51]
	s_and_b64 vcc, exec, s[0:1]
	v_min_f32_e32 v34, v34, v35
	v_cvt_f16_f32_e32 v38, v34
	v_add_u32_e32 v34, 16, v28
	v_ashrrev_i32_e32 v35, 31, v34
	global_store_short v[36:37], v38, off
	v_mov_b32_e32 v38, 0
	v_mov_b32_e32 v37, 0
	s_cbranch_vccnz .LBB272_55
; %bb.54:
	v_lshl_add_u64 v[36:37], v[34:35], 1, v[48:49]
	global_load_ushort v36, v[36:37], off
	s_waitcnt vmcnt(0)
	v_mul_f16_e32 v36, s28, v36
	v_cvt_f32_f16_e32 v37, v36
.LBB272_55:
	v_pk_add_f16 v36, v10, v46
	v_max_f16_e32 v39, v121, v121
	v_pk_add_f16 v41, v11, v47
	v_min_f16_e32 v39, v39, v36
	v_lshrrev_b32_e32 v40, 16, v121
	v_lshrrev_b32_e32 v36, 16, v36
	;; [unrolled: 1-line block ×3, first 2 shown]
	v_min3_f16 v36, v40, v36, v42
	v_min3_f16 v36, v39, v41, v36
	v_cvt_f32_f16_e32 v39, v36
	v_max_f32_e32 v37, v37, v37
	v_add_u32_e32 v36, 24, v28
	v_lshl_add_u64 v[40:41], v[34:35], 1, v[50:51]
	v_min_f32_e32 v37, v37, v39
	v_cvt_f16_f32_e32 v39, v37
	v_ashrrev_i32_e32 v37, 31, v36
	s_and_b64 vcc, exec, s[0:1]
	global_store_short v[40:41], v39, off
	s_cbranch_vccnz .LBB272_57
; %bb.56:
	v_lshl_add_u64 v[38:39], v[36:37], 1, v[48:49]
	global_load_ushort v38, v[38:39], off
	s_waitcnt vmcnt(0)
	v_mul_f16_e32 v38, s28, v38
	v_cvt_f32_f16_e32 v38, v38
.LBB272_57:
	v_pk_add_f16 v39, v4, v46
	v_max_f16_e32 v40, v120, v120
	v_pk_add_f16 v42, v5, v47
	v_min_f16_e32 v40, v40, v39
	v_lshrrev_b32_e32 v41, 16, v120
	v_lshrrev_b32_e32 v39, 16, v39
	;; [unrolled: 1-line block ×3, first 2 shown]
	v_min3_f16 v39, v41, v39, v43
	v_min3_f16 v39, v40, v42, v39
	v_cvt_f32_f16_e32 v39, v39
	v_max_f32_e32 v38, v38, v38
	v_add_u32_e32 v40, 32, v28
	v_ashrrev_i32_e32 v41, 31, v40
	v_min_f32_e32 v38, v38, v39
	v_cvt_f16_f32_e32 v42, v38
	v_lshl_add_u64 v[38:39], v[36:37], 1, v[50:51]
	s_and_b64 vcc, exec, s[0:1]
	global_store_short v[38:39], v42, off
	v_mov_b32_e32 v42, 0
	v_mov_b32_e32 v39, 0
	s_cbranch_vccnz .LBB272_59
; %bb.58:
	v_lshl_add_u64 v[38:39], v[40:41], 1, v[48:49]
	global_load_ushort v38, v[38:39], off
	s_waitcnt vmcnt(0)
	v_mul_f16_e32 v38, s28, v38
	v_cvt_f32_f16_e32 v39, v38
.LBB272_59:
	v_pk_add_f16 v38, v6, v46
	v_max_f16_e32 v43, v119, v119
	v_pk_add_f16 v45, v7, v47
	v_min_f16_e32 v43, v43, v38
	v_lshrrev_b32_e32 v44, 16, v119
	v_lshrrev_b32_e32 v38, 16, v38
	;; [unrolled: 1-line block ×3, first 2 shown]
	v_min3_f16 v38, v44, v38, v53
	v_min3_f16 v38, v43, v45, v38
	v_cvt_f32_f16_e32 v43, v38
	v_max_f32_e32 v39, v39, v39
	v_add_u32_e32 v38, 40, v28
	v_lshl_add_u64 v[44:45], v[40:41], 1, v[50:51]
	v_min_f32_e32 v39, v39, v43
	v_cvt_f16_f32_e32 v43, v39
	v_ashrrev_i32_e32 v39, 31, v38
	s_and_b64 vcc, exec, s[0:1]
	global_store_short v[44:45], v43, off
	s_cbranch_vccnz .LBB272_61
; %bb.60:
	v_lshl_add_u64 v[42:43], v[38:39], 1, v[48:49]
	global_load_ushort v42, v[42:43], off
	s_waitcnt vmcnt(0)
	v_mul_f16_e32 v42, s28, v42
	v_cvt_f32_f16_e32 v42, v42
.LBB272_61:
	v_pk_add_f16 v43, v0, v46
	v_max_f16_e32 v44, v118, v118
	v_pk_add_f16 v53, v1, v47
	v_min_f16_e32 v44, v44, v43
	v_lshrrev_b32_e32 v45, 16, v118
	v_lshrrev_b32_e32 v43, 16, v43
	;; [unrolled: 1-line block ×3, first 2 shown]
	v_min3_f16 v43, v45, v43, v80
	v_min3_f16 v43, v44, v53, v43
	v_cvt_f32_f16_e32 v43, v43
	v_max_f32_e32 v42, v42, v42
	v_lshl_add_u64 v[44:45], v[38:39], 1, v[50:51]
	s_and_b64 vcc, exec, s[0:1]
	v_min_f32_e32 v42, v42, v43
	v_cvt_f16_f32_e32 v53, v42
	v_add_u32_e32 v42, 48, v28
	v_ashrrev_i32_e32 v43, 31, v42
	global_store_short v[44:45], v53, off
	v_mov_b32_e32 v53, 0
	v_mov_b32_e32 v45, 0
	s_cbranch_vccnz .LBB272_63
; %bb.62:
	v_lshl_add_u64 v[44:45], v[42:43], 1, v[48:49]
	global_load_ushort v44, v[44:45], off
	s_waitcnt vmcnt(0)
	v_mul_f16_e32 v44, s28, v44
	v_cvt_f32_f16_e32 v45, v44
.LBB272_63:
	v_pk_add_f16 v44, v2, v46
	v_max_f16_e32 v80, v117, v117
	v_pk_add_f16 v92, v3, v47
	v_min_f16_e32 v80, v80, v44
	v_lshrrev_b32_e32 v82, 16, v117
	v_lshrrev_b32_e32 v44, 16, v44
	v_lshrrev_b32_e32 v94, 16, v92
	v_min3_f16 v44, v82, v44, v94
	v_min3_f16 v44, v80, v92, v44
	v_cvt_f32_f16_e32 v80, v44
	v_max_f32_e32 v45, v45, v45
	v_add_u32_e32 v44, 56, v28
	v_lshl_add_u64 v[118:119], v[42:43], 1, v[50:51]
	v_min_f32_e32 v45, v45, v80
	v_cvt_f16_f32_e32 v80, v45
	v_ashrrev_i32_e32 v45, 31, v44
	s_and_b64 vcc, exec, s[0:1]
	global_store_short v[118:119], v80, off
	s_cbranch_vccnz .LBB272_65
; %bb.64:
	v_lshl_add_u64 v[48:49], v[44:45], 1, v[48:49]
	global_load_ushort v48, v[48:49], off
	s_waitcnt vmcnt(0)
	v_mul_f16_e32 v48, s28, v48
	v_cvt_f32_f16_e32 v53, v48
.LBB272_65:
	v_pk_add_f16 v46, v24, v46
	v_max_f16_e32 v48, v116, v116
	v_pk_add_f16 v47, v25, v47
	v_min_f16_e32 v48, v48, v46
	v_lshrrev_b32_e32 v49, 16, v116
	v_lshrrev_b32_e32 v46, 16, v46
	;; [unrolled: 1-line block ×3, first 2 shown]
	v_min3_f16 v46, v49, v46, v80
	v_min3_f16 v46, v48, v47, v46
	v_cvt_f32_f16_e32 v46, v46
	v_max_f32_e32 v47, v53, v53
	s_and_b64 vcc, exec, s[0:1]
	v_mov_b32_e32 v49, 0
	v_min_f32_e32 v46, v47, v46
	v_cvt_f16_f32_e32 v48, v46
	v_lshl_add_u64 v[46:47], v[44:45], 1, v[50:51]
	v_mov_b32_e32 v50, 0
	global_store_short v[46:47], v48, off
	v_add_u32_e32 v48, 32, v52
	v_mad_i64_i32 v[46:47], s[4:5], v48, s6, 0
	v_lshl_add_u64 v[46:47], v[46:47], 1, s[16:17]
	s_cbranch_vccnz .LBB272_67
; %bb.66:
	v_lshl_add_u64 v[116:117], v[28:29], 1, v[46:47]
	global_load_ushort v49, v[116:117], off
	s_waitcnt vmcnt(0)
	v_mul_f16_e32 v49, s28, v49
	v_cvt_f32_f16_e32 v49, v49
.LBB272_67:
	v_pk_add_f16 v51, v30, v20
	v_max_f16_e32 v53, v115, v115
	v_pk_add_f16 v82, v31, v21
	v_min_f16_e32 v53, v53, v51
	v_lshrrev_b32_e32 v80, 16, v115
	v_lshrrev_b32_e32 v51, 16, v51
	;; [unrolled: 1-line block ×3, first 2 shown]
	v_min3_f16 v51, v80, v51, v92
	v_min3_f16 v51, v53, v82, v51
	v_cvt_f32_f16_e32 v51, v51
	v_mad_i64_i32 v[116:117], s[4:5], v48, s7, 0
	v_max_f32_e32 v48, v49, v49
	v_min_f32_e32 v48, v48, v51
	v_cvt_f16_f32_e32 v51, v48
	v_lshl_add_u64 v[48:49], v[116:117], 1, s[2:3]
	v_lshl_add_u64 v[116:117], v[28:29], 1, v[48:49]
	s_and_b64 vcc, exec, s[0:1]
	global_store_short v[116:117], v51, off
	s_cbranch_vccnz .LBB272_69
; %bb.68:
	v_lshl_add_u64 v[50:51], v[32:33], 1, v[46:47]
	global_load_ushort v50, v[50:51], off
	s_waitcnt vmcnt(0)
	v_mul_f16_e32 v50, s28, v50
	v_cvt_f32_f16_e32 v50, v50
.LBB272_69:
	v_pk_add_f16 v51, v8, v20
	v_max_f16_e32 v53, v114, v114
	v_pk_add_f16 v82, v9, v21
	v_min_f16_e32 v53, v53, v51
	v_lshrrev_b32_e32 v80, 16, v114
	v_lshrrev_b32_e32 v51, 16, v51
	v_lshrrev_b32_e32 v92, 16, v82
	v_min3_f16 v51, v80, v51, v92
	v_min3_f16 v51, v53, v82, v51
	v_cvt_f32_f16_e32 v51, v51
	v_max_f32_e32 v50, v50, v50
	s_and_b64 vcc, exec, s[0:1]
	v_min_f32_e32 v50, v50, v51
	v_cvt_f16_f32_e32 v53, v50
	v_lshl_add_u64 v[50:51], v[32:33], 1, v[48:49]
	global_store_short v[50:51], v53, off
	v_mov_b32_e32 v50, 0
	v_mov_b32_e32 v51, 0
	s_cbranch_vccnz .LBB272_71
; %bb.70:
	v_lshl_add_u64 v[114:115], v[34:35], 1, v[46:47]
	global_load_ushort v51, v[114:115], off
	s_waitcnt vmcnt(0)
	v_mul_f16_e32 v51, s28, v51
	v_cvt_f32_f16_e32 v51, v51
.LBB272_71:
	v_pk_add_f16 v53, v10, v20
	v_max_f16_e32 v80, v113, v113
	v_pk_add_f16 v92, v11, v21
	v_min_f16_e32 v80, v80, v53
	v_lshrrev_b32_e32 v82, 16, v113
	v_lshrrev_b32_e32 v53, 16, v53
	v_lshrrev_b32_e32 v94, 16, v92
	v_min3_f16 v53, v82, v53, v94
	v_min3_f16 v53, v80, v92, v53
	v_cvt_f32_f16_e32 v53, v53
	v_max_f32_e32 v51, v51, v51
	v_lshl_add_u64 v[114:115], v[34:35], 1, v[48:49]
	s_and_b64 vcc, exec, s[0:1]
	v_min_f32_e32 v51, v51, v53
	v_cvt_f16_f32_e32 v51, v51
	global_store_short v[114:115], v51, off
	s_cbranch_vccnz .LBB272_73
; %bb.72:
	v_lshl_add_u64 v[50:51], v[36:37], 1, v[46:47]
	global_load_ushort v50, v[50:51], off
	s_waitcnt vmcnt(0)
	v_mul_f16_e32 v50, s28, v50
	v_cvt_f32_f16_e32 v50, v50
.LBB272_73:
	v_pk_add_f16 v51, v4, v20
	v_max_f16_e32 v53, v112, v112
	v_pk_add_f16 v82, v5, v21
	v_min_f16_e32 v53, v53, v51
	v_lshrrev_b32_e32 v80, 16, v112
	v_lshrrev_b32_e32 v51, 16, v51
	v_lshrrev_b32_e32 v92, 16, v82
	v_min3_f16 v51, v80, v51, v92
	v_min3_f16 v51, v53, v82, v51
	v_cvt_f32_f16_e32 v51, v51
	v_max_f32_e32 v50, v50, v50
	s_and_b64 vcc, exec, s[0:1]
	v_min_f32_e32 v50, v50, v51
	v_cvt_f16_f32_e32 v53, v50
	v_lshl_add_u64 v[50:51], v[36:37], 1, v[48:49]
	global_store_short v[50:51], v53, off
	v_mov_b32_e32 v50, 0
	v_mov_b32_e32 v51, 0
	s_cbranch_vccnz .LBB272_75
; %bb.74:
	v_lshl_add_u64 v[112:113], v[40:41], 1, v[46:47]
	global_load_ushort v51, v[112:113], off
	s_waitcnt vmcnt(0)
	v_mul_f16_e32 v51, s28, v51
	v_cvt_f32_f16_e32 v51, v51
.LBB272_75:
	v_pk_add_f16 v53, v6, v20
	v_max_f16_e32 v80, v111, v111
	v_pk_add_f16 v92, v7, v21
	v_min_f16_e32 v80, v80, v53
	v_lshrrev_b32_e32 v82, 16, v111
	v_lshrrev_b32_e32 v53, 16, v53
	v_lshrrev_b32_e32 v94, 16, v92
	v_min3_f16 v53, v82, v53, v94
	v_min3_f16 v53, v80, v92, v53
	v_cvt_f32_f16_e32 v53, v53
	v_max_f32_e32 v51, v51, v51
	v_lshl_add_u64 v[112:113], v[40:41], 1, v[48:49]
	s_and_b64 vcc, exec, s[0:1]
	v_min_f32_e32 v51, v51, v53
	v_cvt_f16_f32_e32 v51, v51
	;; [unrolled: 50-line block ×3, first 2 shown]
	global_store_short v[110:111], v51, off
	s_cbranch_vccnz .LBB272_81
; %bb.80:
	v_lshl_add_u64 v[46:47], v[44:45], 1, v[46:47]
	global_load_ushort v46, v[46:47], off
	s_waitcnt vmcnt(0)
	v_mul_f16_e32 v46, s28, v46
	v_cvt_f32_f16_e32 v50, v46
.LBB272_81:
	v_pk_add_f16 v20, v24, v20
	v_max_f16_e32 v46, v108, v108
	v_pk_add_f16 v21, v25, v21
	v_min_f16_e32 v46, v46, v20
	v_lshrrev_b32_e32 v47, 16, v108
	v_lshrrev_b32_e32 v20, 16, v20
	;; [unrolled: 1-line block ×3, first 2 shown]
	v_min3_f16 v20, v47, v20, v51
	v_min3_f16 v20, v46, v21, v20
	v_cvt_f32_f16_e32 v20, v20
	v_max_f32_e32 v21, v50, v50
	s_and_b64 vcc, exec, s[0:1]
	v_mov_b32_e32 v47, 0
	v_min_f32_e32 v20, v21, v20
	v_cvt_f16_f32_e32 v46, v20
	v_lshl_add_u64 v[20:21], v[44:45], 1, v[48:49]
	v_mov_b32_e32 v48, 0
	global_store_short v[20:21], v46, off
	v_add_u32_e32 v46, 64, v52
	v_mad_i64_i32 v[20:21], s[4:5], v46, s6, 0
	v_lshl_add_u64 v[20:21], v[20:21], 1, s[16:17]
	s_cbranch_vccnz .LBB272_83
; %bb.82:
	v_lshl_add_u64 v[50:51], v[28:29], 1, v[20:21]
	global_load_ushort v47, v[50:51], off
	s_waitcnt vmcnt(0)
	v_mul_f16_e32 v47, s28, v47
	v_cvt_f32_f16_e32 v47, v47
.LBB272_83:
	v_pk_add_f16 v49, v30, v22
	v_max_f16_e32 v50, v107, v107
	v_pk_add_f16 v53, v31, v23
	v_min_f16_e32 v50, v50, v49
	v_lshrrev_b32_e32 v51, 16, v107
	v_lshrrev_b32_e32 v49, 16, v49
	;; [unrolled: 1-line block ×3, first 2 shown]
	v_min3_f16 v49, v51, v49, v80
	v_min3_f16 v49, v50, v53, v49
	v_cvt_f32_f16_e32 v49, v49
	v_mad_i64_i32 v[50:51], s[4:5], v46, s7, 0
	v_max_f32_e32 v46, v47, v47
	v_min_f32_e32 v46, v46, v49
	v_cvt_f16_f32_e32 v49, v46
	v_lshl_add_u64 v[46:47], v[50:51], 1, s[2:3]
	v_lshl_add_u64 v[50:51], v[28:29], 1, v[46:47]
	s_and_b64 vcc, exec, s[0:1]
	global_store_short v[50:51], v49, off
	s_cbranch_vccnz .LBB272_85
; %bb.84:
	v_lshl_add_u64 v[48:49], v[32:33], 1, v[20:21]
	global_load_ushort v48, v[48:49], off
	s_waitcnt vmcnt(0)
	v_mul_f16_e32 v48, s28, v48
	v_cvt_f32_f16_e32 v48, v48
.LBB272_85:
	v_pk_add_f16 v49, v8, v22
	v_max_f16_e32 v50, v104, v104
	v_pk_add_f16 v53, v9, v23
	v_min_f16_e32 v50, v50, v49
	v_lshrrev_b32_e32 v51, 16, v104
	v_lshrrev_b32_e32 v49, 16, v49
	v_lshrrev_b32_e32 v80, 16, v53
	v_min3_f16 v49, v51, v49, v80
	v_min3_f16 v49, v50, v53, v49
	v_cvt_f32_f16_e32 v49, v49
	v_max_f32_e32 v48, v48, v48
	s_and_b64 vcc, exec, s[0:1]
	v_min_f32_e32 v48, v48, v49
	v_cvt_f16_f32_e32 v50, v48
	v_lshl_add_u64 v[48:49], v[32:33], 1, v[46:47]
	global_store_short v[48:49], v50, off
	v_mov_b32_e32 v48, 0
	v_mov_b32_e32 v49, 0
	s_cbranch_vccnz .LBB272_87
; %bb.86:
	v_lshl_add_u64 v[50:51], v[34:35], 1, v[20:21]
	global_load_ushort v49, v[50:51], off
	s_waitcnt vmcnt(0)
	v_mul_f16_e32 v49, s28, v49
	v_cvt_f32_f16_e32 v49, v49
.LBB272_87:
	v_pk_add_f16 v50, v10, v22
	v_max_f16_e32 v51, v103, v103
	v_pk_add_f16 v80, v11, v23
	v_min_f16_e32 v51, v51, v50
	v_lshrrev_b32_e32 v53, 16, v103
	v_lshrrev_b32_e32 v50, 16, v50
	v_lshrrev_b32_e32 v82, 16, v80
	v_min3_f16 v50, v53, v50, v82
	v_min3_f16 v50, v51, v80, v50
	v_cvt_f32_f16_e32 v50, v50
	v_max_f32_e32 v49, v49, v49
	s_and_b64 vcc, exec, s[0:1]
	v_min_f32_e32 v49, v49, v50
	v_cvt_f16_f32_e32 v49, v49
	v_lshl_add_u64 v[50:51], v[34:35], 1, v[46:47]
	global_store_short v[50:51], v49, off
	s_cbranch_vccnz .LBB272_89
; %bb.88:
	v_lshl_add_u64 v[48:49], v[36:37], 1, v[20:21]
	global_load_ushort v48, v[48:49], off
	s_waitcnt vmcnt(0)
	v_mul_f16_e32 v48, s28, v48
	v_cvt_f32_f16_e32 v48, v48
.LBB272_89:
	v_pk_add_f16 v49, v4, v22
	v_max_f16_e32 v50, v102, v102
	v_pk_add_f16 v53, v5, v23
	v_min_f16_e32 v50, v50, v49
	v_lshrrev_b32_e32 v51, 16, v102
	v_lshrrev_b32_e32 v49, 16, v49
	v_lshrrev_b32_e32 v80, 16, v53
	v_min3_f16 v49, v51, v49, v80
	v_min3_f16 v49, v50, v53, v49
	v_cvt_f32_f16_e32 v49, v49
	v_max_f32_e32 v48, v48, v48
	s_and_b64 vcc, exec, s[0:1]
	v_min_f32_e32 v48, v48, v49
	v_cvt_f16_f32_e32 v50, v48
	v_lshl_add_u64 v[48:49], v[36:37], 1, v[46:47]
	global_store_short v[48:49], v50, off
	v_mov_b32_e32 v48, 0
	v_mov_b32_e32 v49, 0
	s_cbranch_vccnz .LBB272_91
; %bb.90:
	v_lshl_add_u64 v[50:51], v[40:41], 1, v[20:21]
	global_load_ushort v49, v[50:51], off
	s_waitcnt vmcnt(0)
	v_mul_f16_e32 v49, s28, v49
	v_cvt_f32_f16_e32 v49, v49
.LBB272_91:
	v_pk_add_f16 v50, v6, v22
	v_max_f16_e32 v51, v101, v101
	v_pk_add_f16 v80, v7, v23
	v_min_f16_e32 v51, v51, v50
	v_lshrrev_b32_e32 v53, 16, v101
	v_lshrrev_b32_e32 v50, 16, v50
	v_lshrrev_b32_e32 v82, 16, v80
	v_min3_f16 v50, v53, v50, v82
	v_min3_f16 v50, v51, v80, v50
	v_cvt_f32_f16_e32 v50, v50
	v_max_f32_e32 v49, v49, v49
	s_and_b64 vcc, exec, s[0:1]
	v_min_f32_e32 v49, v49, v50
	v_cvt_f16_f32_e32 v49, v49
	v_lshl_add_u64 v[50:51], v[40:41], 1, v[46:47]
	;; [unrolled: 50-line block ×3, first 2 shown]
	global_store_short v[50:51], v49, off
	s_cbranch_vccnz .LBB272_97
; %bb.96:
	v_lshl_add_u64 v[20:21], v[44:45], 1, v[20:21]
	global_load_ushort v20, v[20:21], off
	s_waitcnt vmcnt(0)
	v_mul_f16_e32 v20, s28, v20
	v_cvt_f32_f16_e32 v48, v20
.LBB272_97:
	v_pk_add_f16 v20, v24, v22
	v_max_f16_e32 v21, v98, v98
	v_pk_add_f16 v23, v25, v23
	v_min_f16_e32 v21, v21, v20
	v_lshrrev_b32_e32 v22, 16, v98
	v_lshrrev_b32_e32 v20, 16, v20
	;; [unrolled: 1-line block ×3, first 2 shown]
	v_min3_f16 v20, v22, v20, v49
	v_min3_f16 v20, v21, v23, v20
	v_cvt_f32_f16_e32 v20, v20
	v_max_f32_e32 v21, v48, v48
	s_and_b64 vcc, exec, s[0:1]
	v_mov_b32_e32 v23, 0
	v_min_f32_e32 v20, v21, v20
	v_cvt_f16_f32_e32 v22, v20
	v_lshl_add_u64 v[20:21], v[44:45], 1, v[46:47]
	v_mov_b32_e32 v46, 0
	global_store_short v[20:21], v22, off
	v_add_u32_e32 v22, 0x60, v52
	v_mad_i64_i32 v[20:21], s[4:5], v22, s6, 0
	v_lshl_add_u64 v[20:21], v[20:21], 1, s[16:17]
	s_cbranch_vccnz .LBB272_99
; %bb.98:
	v_lshl_add_u64 v[48:49], v[28:29], 1, v[20:21]
	global_load_ushort v23, v[48:49], off
	s_waitcnt vmcnt(0)
	v_mul_f16_e32 v23, s28, v23
	v_cvt_f32_f16_e32 v23, v23
.LBB272_99:
	v_pk_add_f16 v47, v30, v16
	v_max_f16_e32 v48, v97, v97
	v_pk_add_f16 v50, v31, v17
	v_min_f16_e32 v48, v48, v47
	v_lshrrev_b32_e32 v49, 16, v97
	v_lshrrev_b32_e32 v47, 16, v47
	v_lshrrev_b32_e32 v51, 16, v50
	v_min3_f16 v47, v49, v47, v51
	v_min3_f16 v47, v48, v50, v47
	v_cvt_f32_f16_e32 v47, v47
	v_mad_i64_i32 v[48:49], s[4:5], v22, s7, 0
	v_max_f32_e32 v22, v23, v23
	v_min_f32_e32 v22, v22, v47
	v_cvt_f16_f32_e32 v47, v22
	v_lshl_add_u64 v[22:23], v[48:49], 1, s[2:3]
	v_lshl_add_u64 v[48:49], v[28:29], 1, v[22:23]
	s_and_b64 vcc, exec, s[0:1]
	global_store_short v[48:49], v47, off
	s_cbranch_vccnz .LBB272_101
; %bb.100:
	v_lshl_add_u64 v[46:47], v[32:33], 1, v[20:21]
	global_load_ushort v46, v[46:47], off
	s_waitcnt vmcnt(0)
	v_mul_f16_e32 v46, s28, v46
	v_cvt_f32_f16_e32 v46, v46
.LBB272_101:
	v_pk_add_f16 v47, v8, v16
	v_max_f16_e32 v48, v96, v96
	v_pk_add_f16 v50, v9, v17
	v_min_f16_e32 v48, v48, v47
	v_lshrrev_b32_e32 v49, 16, v96
	v_lshrrev_b32_e32 v47, 16, v47
	v_lshrrev_b32_e32 v51, 16, v50
	v_min3_f16 v47, v49, v47, v51
	v_min3_f16 v47, v48, v50, v47
	v_cvt_f32_f16_e32 v47, v47
	v_max_f32_e32 v46, v46, v46
	s_and_b64 vcc, exec, s[0:1]
	v_min_f32_e32 v46, v46, v47
	v_cvt_f16_f32_e32 v48, v46
	v_lshl_add_u64 v[46:47], v[32:33], 1, v[22:23]
	global_store_short v[46:47], v48, off
	v_mov_b32_e32 v46, 0
	v_mov_b32_e32 v47, 0
	s_cbranch_vccnz .LBB272_103
; %bb.102:
	v_lshl_add_u64 v[48:49], v[34:35], 1, v[20:21]
	global_load_ushort v47, v[48:49], off
	s_waitcnt vmcnt(0)
	v_mul_f16_e32 v47, s28, v47
	v_cvt_f32_f16_e32 v47, v47
.LBB272_103:
	v_pk_add_f16 v48, v10, v16
	v_max_f16_e32 v49, v95, v95
	v_pk_add_f16 v51, v11, v17
	v_min_f16_e32 v49, v49, v48
	v_lshrrev_b32_e32 v50, 16, v95
	v_lshrrev_b32_e32 v48, 16, v48
	v_lshrrev_b32_e32 v53, 16, v51
	v_min3_f16 v48, v50, v48, v53
	v_min3_f16 v48, v49, v51, v48
	v_cvt_f32_f16_e32 v48, v48
	v_max_f32_e32 v47, v47, v47
	s_and_b64 vcc, exec, s[0:1]
	v_min_f32_e32 v47, v47, v48
	v_cvt_f16_f32_e32 v47, v47
	v_lshl_add_u64 v[48:49], v[34:35], 1, v[22:23]
	global_store_short v[48:49], v47, off
	s_cbranch_vccnz .LBB272_105
; %bb.104:
	v_lshl_add_u64 v[46:47], v[36:37], 1, v[20:21]
	global_load_ushort v46, v[46:47], off
	s_waitcnt vmcnt(0)
	v_mul_f16_e32 v46, s28, v46
	v_cvt_f32_f16_e32 v46, v46
.LBB272_105:
	v_pk_add_f16 v47, v4, v16
	v_max_f16_e32 v48, v93, v93
	v_pk_add_f16 v50, v5, v17
	v_min_f16_e32 v48, v48, v47
	v_lshrrev_b32_e32 v49, 16, v93
	v_lshrrev_b32_e32 v47, 16, v47
	v_lshrrev_b32_e32 v51, 16, v50
	v_min3_f16 v47, v49, v47, v51
	v_min3_f16 v47, v48, v50, v47
	v_cvt_f32_f16_e32 v47, v47
	v_max_f32_e32 v46, v46, v46
	s_and_b64 vcc, exec, s[0:1]
	v_min_f32_e32 v46, v46, v47
	v_cvt_f16_f32_e32 v48, v46
	v_lshl_add_u64 v[46:47], v[36:37], 1, v[22:23]
	global_store_short v[46:47], v48, off
	v_mov_b32_e32 v46, 0
	v_mov_b32_e32 v47, 0
	s_cbranch_vccnz .LBB272_107
; %bb.106:
	v_lshl_add_u64 v[48:49], v[40:41], 1, v[20:21]
	global_load_ushort v47, v[48:49], off
	s_waitcnt vmcnt(0)
	v_mul_f16_e32 v47, s28, v47
	v_cvt_f32_f16_e32 v47, v47
.LBB272_107:
	v_pk_add_f16 v48, v6, v16
	v_max_f16_e32 v49, v91, v91
	v_pk_add_f16 v51, v7, v17
	v_min_f16_e32 v49, v49, v48
	v_lshrrev_b32_e32 v50, 16, v91
	v_lshrrev_b32_e32 v48, 16, v48
	v_lshrrev_b32_e32 v53, 16, v51
	v_min3_f16 v48, v50, v48, v53
	v_min3_f16 v48, v49, v51, v48
	v_cvt_f32_f16_e32 v48, v48
	v_max_f32_e32 v47, v47, v47
	s_and_b64 vcc, exec, s[0:1]
	v_min_f32_e32 v47, v47, v48
	v_cvt_f16_f32_e32 v47, v47
	v_lshl_add_u64 v[48:49], v[40:41], 1, v[22:23]
	;; [unrolled: 50-line block ×3, first 2 shown]
	global_store_short v[48:49], v47, off
	s_cbranch_vccnz .LBB272_113
; %bb.112:
	v_lshl_add_u64 v[20:21], v[44:45], 1, v[20:21]
	global_load_ushort v20, v[20:21], off
	s_waitcnt vmcnt(0)
	v_mul_f16_e32 v20, s28, v20
	v_cvt_f32_f16_e32 v46, v20
.LBB272_113:
	v_pk_add_f16 v16, v24, v16
	v_max_f16_e32 v20, v88, v88
	v_pk_add_f16 v17, v25, v17
	v_min_f16_e32 v20, v20, v16
	v_lshrrev_b32_e32 v21, 16, v88
	v_lshrrev_b32_e32 v16, 16, v16
	;; [unrolled: 1-line block ×3, first 2 shown]
	v_min3_f16 v16, v21, v16, v47
	v_min3_f16 v16, v20, v17, v16
	v_cvt_f32_f16_e32 v16, v16
	v_max_f32_e32 v17, v46, v46
	s_and_b64 vcc, exec, s[0:1]
	v_mov_b32_e32 v21, 0
	v_min_f32_e32 v16, v17, v16
	v_cvt_f16_f32_e32 v20, v16
	v_lshl_add_u64 v[16:17], v[44:45], 1, v[22:23]
	v_mov_b32_e32 v22, 0
	global_store_short v[16:17], v20, off
	v_add_u32_e32 v20, 0x80, v52
	v_mad_i64_i32 v[16:17], s[4:5], v20, s6, 0
	v_lshl_add_u64 v[16:17], v[16:17], 1, s[16:17]
	s_cbranch_vccnz .LBB272_115
; %bb.114:
	v_lshl_add_u64 v[46:47], v[28:29], 1, v[16:17]
	global_load_ushort v21, v[46:47], off
	s_waitcnt vmcnt(0)
	v_mul_f16_e32 v21, s28, v21
	v_cvt_f32_f16_e32 v21, v21
.LBB272_115:
	v_pk_add_f16 v23, v30, v18
	v_max_f16_e32 v46, v87, v87
	v_pk_add_f16 v48, v31, v19
	v_min_f16_e32 v46, v46, v23
	v_lshrrev_b32_e32 v47, 16, v87
	v_lshrrev_b32_e32 v23, 16, v23
	;; [unrolled: 1-line block ×3, first 2 shown]
	v_min3_f16 v23, v47, v23, v49
	v_min3_f16 v23, v46, v48, v23
	v_cvt_f32_f16_e32 v23, v23
	v_mad_i64_i32 v[46:47], s[4:5], v20, s7, 0
	v_max_f32_e32 v20, v21, v21
	v_min_f32_e32 v20, v20, v23
	v_cvt_f16_f32_e32 v23, v20
	v_lshl_add_u64 v[20:21], v[46:47], 1, s[2:3]
	v_lshl_add_u64 v[46:47], v[28:29], 1, v[20:21]
	s_and_b64 vcc, exec, s[0:1]
	global_store_short v[46:47], v23, off
	s_cbranch_vccnz .LBB272_117
; %bb.116:
	v_lshl_add_u64 v[22:23], v[32:33], 1, v[16:17]
	global_load_ushort v22, v[22:23], off
	s_waitcnt vmcnt(0)
	v_mul_f16_e32 v22, s28, v22
	v_cvt_f32_f16_e32 v22, v22
.LBB272_117:
	v_pk_add_f16 v23, v8, v18
	v_max_f16_e32 v46, v86, v86
	v_pk_add_f16 v48, v9, v19
	v_min_f16_e32 v46, v46, v23
	v_lshrrev_b32_e32 v47, 16, v86
	v_lshrrev_b32_e32 v23, 16, v23
	v_lshrrev_b32_e32 v49, 16, v48
	v_min3_f16 v23, v47, v23, v49
	v_min3_f16 v23, v46, v48, v23
	v_cvt_f32_f16_e32 v23, v23
	v_max_f32_e32 v22, v22, v22
	s_and_b64 vcc, exec, s[0:1]
	v_min_f32_e32 v22, v22, v23
	v_cvt_f16_f32_e32 v46, v22
	v_lshl_add_u64 v[22:23], v[32:33], 1, v[20:21]
	global_store_short v[22:23], v46, off
	v_mov_b32_e32 v22, 0
	v_mov_b32_e32 v23, 0
	s_cbranch_vccnz .LBB272_119
; %bb.118:
	v_lshl_add_u64 v[46:47], v[34:35], 1, v[16:17]
	global_load_ushort v23, v[46:47], off
	s_waitcnt vmcnt(0)
	v_mul_f16_e32 v23, s28, v23
	v_cvt_f32_f16_e32 v23, v23
.LBB272_119:
	v_pk_add_f16 v46, v10, v18
	v_max_f16_e32 v47, v85, v85
	v_pk_add_f16 v49, v11, v19
	v_min_f16_e32 v47, v47, v46
	v_lshrrev_b32_e32 v48, 16, v85
	v_lshrrev_b32_e32 v46, 16, v46
	v_lshrrev_b32_e32 v50, 16, v49
	v_min3_f16 v46, v48, v46, v50
	v_min3_f16 v46, v47, v49, v46
	v_cvt_f32_f16_e32 v46, v46
	v_max_f32_e32 v23, v23, v23
	s_and_b64 vcc, exec, s[0:1]
	v_min_f32_e32 v23, v23, v46
	v_cvt_f16_f32_e32 v23, v23
	v_lshl_add_u64 v[46:47], v[34:35], 1, v[20:21]
	global_store_short v[46:47], v23, off
	s_cbranch_vccnz .LBB272_121
; %bb.120:
	v_lshl_add_u64 v[22:23], v[36:37], 1, v[16:17]
	global_load_ushort v22, v[22:23], off
	s_waitcnt vmcnt(0)
	v_mul_f16_e32 v22, s28, v22
	v_cvt_f32_f16_e32 v22, v22
.LBB272_121:
	v_pk_add_f16 v23, v4, v18
	v_max_f16_e32 v46, v84, v84
	v_pk_add_f16 v48, v5, v19
	v_min_f16_e32 v46, v46, v23
	v_lshrrev_b32_e32 v47, 16, v84
	v_lshrrev_b32_e32 v23, 16, v23
	v_lshrrev_b32_e32 v49, 16, v48
	v_min3_f16 v23, v47, v23, v49
	v_min3_f16 v23, v46, v48, v23
	v_cvt_f32_f16_e32 v23, v23
	v_max_f32_e32 v22, v22, v22
	s_and_b64 vcc, exec, s[0:1]
	v_min_f32_e32 v22, v22, v23
	v_cvt_f16_f32_e32 v46, v22
	v_lshl_add_u64 v[22:23], v[36:37], 1, v[20:21]
	global_store_short v[22:23], v46, off
	v_mov_b32_e32 v22, 0
	v_mov_b32_e32 v23, 0
	s_cbranch_vccnz .LBB272_123
; %bb.122:
	v_lshl_add_u64 v[46:47], v[40:41], 1, v[16:17]
	global_load_ushort v23, v[46:47], off
	s_waitcnt vmcnt(0)
	v_mul_f16_e32 v23, s28, v23
	v_cvt_f32_f16_e32 v23, v23
.LBB272_123:
	v_pk_add_f16 v46, v6, v18
	v_max_f16_e32 v47, v83, v83
	v_pk_add_f16 v49, v7, v19
	v_min_f16_e32 v47, v47, v46
	v_lshrrev_b32_e32 v48, 16, v83
	v_lshrrev_b32_e32 v46, 16, v46
	v_lshrrev_b32_e32 v50, 16, v49
	v_min3_f16 v46, v48, v46, v50
	v_min3_f16 v46, v47, v49, v46
	v_cvt_f32_f16_e32 v46, v46
	v_max_f32_e32 v23, v23, v23
	s_and_b64 vcc, exec, s[0:1]
	v_min_f32_e32 v23, v23, v46
	v_cvt_f16_f32_e32 v23, v23
	v_lshl_add_u64 v[46:47], v[40:41], 1, v[20:21]
	;; [unrolled: 50-line block ×3, first 2 shown]
	global_store_short v[46:47], v23, off
	s_cbranch_vccnz .LBB272_129
; %bb.128:
	v_lshl_add_u64 v[16:17], v[44:45], 1, v[16:17]
	global_load_ushort v16, v[16:17], off
	s_waitcnt vmcnt(0)
	v_mul_f16_e32 v16, s28, v16
	v_cvt_f32_f16_e32 v22, v16
.LBB272_129:
	v_pk_add_f16 v16, v24, v18
	v_max_f16_e32 v17, v78, v78
	v_pk_add_f16 v19, v25, v19
	v_min_f16_e32 v17, v17, v16
	v_lshrrev_b32_e32 v18, 16, v78
	v_lshrrev_b32_e32 v16, 16, v16
	;; [unrolled: 1-line block ×3, first 2 shown]
	v_min3_f16 v16, v18, v16, v23
	v_min3_f16 v16, v17, v19, v16
	v_cvt_f32_f16_e32 v16, v16
	v_max_f32_e32 v17, v22, v22
	s_and_b64 vcc, exec, s[0:1]
	v_mov_b32_e32 v19, 0
	v_min_f32_e32 v16, v17, v16
	v_cvt_f16_f32_e32 v18, v16
	v_lshl_add_u64 v[16:17], v[44:45], 1, v[20:21]
	v_mov_b32_e32 v20, 0
	global_store_short v[16:17], v18, off
	v_add_u32_e32 v18, 0xa0, v52
	v_mad_i64_i32 v[16:17], s[4:5], v18, s6, 0
	v_lshl_add_u64 v[16:17], v[16:17], 1, s[16:17]
	s_cbranch_vccnz .LBB272_131
; %bb.130:
	v_lshl_add_u64 v[22:23], v[28:29], 1, v[16:17]
	global_load_ushort v19, v[22:23], off
	s_waitcnt vmcnt(0)
	v_mul_f16_e32 v19, s28, v19
	v_cvt_f32_f16_e32 v19, v19
.LBB272_131:
	v_pk_add_f16 v21, v30, v12
	v_max_f16_e32 v22, v77, v77
	v_pk_add_f16 v46, v31, v13
	v_min_f16_e32 v22, v22, v21
	v_lshrrev_b32_e32 v23, 16, v77
	v_lshrrev_b32_e32 v21, 16, v21
	;; [unrolled: 1-line block ×3, first 2 shown]
	v_min3_f16 v21, v23, v21, v47
	v_min3_f16 v21, v22, v46, v21
	v_cvt_f32_f16_e32 v21, v21
	v_mad_i64_i32 v[22:23], s[4:5], v18, s7, 0
	v_max_f32_e32 v18, v19, v19
	v_min_f32_e32 v18, v18, v21
	v_cvt_f16_f32_e32 v21, v18
	v_lshl_add_u64 v[18:19], v[22:23], 1, s[2:3]
	v_lshl_add_u64 v[22:23], v[28:29], 1, v[18:19]
	s_and_b64 vcc, exec, s[0:1]
	global_store_short v[22:23], v21, off
	s_cbranch_vccnz .LBB272_133
; %bb.132:
	v_lshl_add_u64 v[20:21], v[32:33], 1, v[16:17]
	global_load_ushort v20, v[20:21], off
	s_waitcnt vmcnt(0)
	v_mul_f16_e32 v20, s28, v20
	v_cvt_f32_f16_e32 v20, v20
.LBB272_133:
	v_pk_add_f16 v21, v8, v12
	v_max_f16_e32 v22, v76, v76
	v_pk_add_f16 v46, v9, v13
	v_min_f16_e32 v22, v22, v21
	v_lshrrev_b32_e32 v23, 16, v76
	v_lshrrev_b32_e32 v21, 16, v21
	v_lshrrev_b32_e32 v47, 16, v46
	v_min3_f16 v21, v23, v21, v47
	v_min3_f16 v21, v22, v46, v21
	v_cvt_f32_f16_e32 v21, v21
	v_max_f32_e32 v20, v20, v20
	s_and_b64 vcc, exec, s[0:1]
	v_min_f32_e32 v20, v20, v21
	v_cvt_f16_f32_e32 v22, v20
	v_lshl_add_u64 v[20:21], v[32:33], 1, v[18:19]
	global_store_short v[20:21], v22, off
	v_mov_b32_e32 v20, 0
	v_mov_b32_e32 v21, 0
	s_cbranch_vccnz .LBB272_135
; %bb.134:
	v_lshl_add_u64 v[22:23], v[34:35], 1, v[16:17]
	global_load_ushort v21, v[22:23], off
	s_waitcnt vmcnt(0)
	v_mul_f16_e32 v21, s28, v21
	v_cvt_f32_f16_e32 v21, v21
.LBB272_135:
	v_pk_add_f16 v22, v10, v12
	v_max_f16_e32 v23, v75, v75
	v_pk_add_f16 v47, v11, v13
	v_min_f16_e32 v23, v23, v22
	v_lshrrev_b32_e32 v46, 16, v75
	v_lshrrev_b32_e32 v22, 16, v22
	v_lshrrev_b32_e32 v48, 16, v47
	v_min3_f16 v22, v46, v22, v48
	v_min3_f16 v22, v23, v47, v22
	v_cvt_f32_f16_e32 v22, v22
	v_max_f32_e32 v21, v21, v21
	s_and_b64 vcc, exec, s[0:1]
	v_min_f32_e32 v21, v21, v22
	v_cvt_f16_f32_e32 v21, v21
	v_lshl_add_u64 v[22:23], v[34:35], 1, v[18:19]
	global_store_short v[22:23], v21, off
	s_cbranch_vccnz .LBB272_137
; %bb.136:
	v_lshl_add_u64 v[20:21], v[36:37], 1, v[16:17]
	global_load_ushort v20, v[20:21], off
	s_waitcnt vmcnt(0)
	v_mul_f16_e32 v20, s28, v20
	v_cvt_f32_f16_e32 v20, v20
.LBB272_137:
	v_pk_add_f16 v21, v4, v12
	v_max_f16_e32 v22, v74, v74
	v_pk_add_f16 v46, v5, v13
	v_min_f16_e32 v22, v22, v21
	v_lshrrev_b32_e32 v23, 16, v74
	v_lshrrev_b32_e32 v21, 16, v21
	v_lshrrev_b32_e32 v47, 16, v46
	v_min3_f16 v21, v23, v21, v47
	v_min3_f16 v21, v22, v46, v21
	v_cvt_f32_f16_e32 v21, v21
	v_max_f32_e32 v20, v20, v20
	s_and_b64 vcc, exec, s[0:1]
	v_min_f32_e32 v20, v20, v21
	v_cvt_f16_f32_e32 v22, v20
	v_lshl_add_u64 v[20:21], v[36:37], 1, v[18:19]
	global_store_short v[20:21], v22, off
	v_mov_b32_e32 v20, 0
	v_mov_b32_e32 v21, 0
	s_cbranch_vccnz .LBB272_139
; %bb.138:
	v_lshl_add_u64 v[22:23], v[40:41], 1, v[16:17]
	global_load_ushort v21, v[22:23], off
	s_waitcnt vmcnt(0)
	v_mul_f16_e32 v21, s28, v21
	v_cvt_f32_f16_e32 v21, v21
.LBB272_139:
	v_pk_add_f16 v22, v6, v12
	v_max_f16_e32 v23, v73, v73
	v_pk_add_f16 v47, v7, v13
	v_min_f16_e32 v23, v23, v22
	v_lshrrev_b32_e32 v46, 16, v73
	v_lshrrev_b32_e32 v22, 16, v22
	v_lshrrev_b32_e32 v48, 16, v47
	v_min3_f16 v22, v46, v22, v48
	v_min3_f16 v22, v23, v47, v22
	v_cvt_f32_f16_e32 v22, v22
	v_max_f32_e32 v21, v21, v21
	s_and_b64 vcc, exec, s[0:1]
	v_min_f32_e32 v21, v21, v22
	v_cvt_f16_f32_e32 v21, v21
	v_lshl_add_u64 v[22:23], v[40:41], 1, v[18:19]
	;; [unrolled: 50-line block ×3, first 2 shown]
	global_store_short v[22:23], v21, off
	s_cbranch_vccnz .LBB272_145
; %bb.144:
	v_lshl_add_u64 v[16:17], v[44:45], 1, v[16:17]
	global_load_ushort v16, v[16:17], off
	s_waitcnt vmcnt(0)
	v_mul_f16_e32 v16, s28, v16
	v_cvt_f32_f16_e32 v20, v16
.LBB272_145:
	v_pk_add_f16 v12, v24, v12
	v_max_f16_e32 v16, v70, v70
	v_pk_add_f16 v13, v25, v13
	v_min_f16_e32 v16, v16, v12
	v_lshrrev_b32_e32 v17, 16, v70
	v_lshrrev_b32_e32 v12, 16, v12
	;; [unrolled: 1-line block ×3, first 2 shown]
	v_min3_f16 v12, v17, v12, v21
	v_min3_f16 v12, v16, v13, v12
	v_cvt_f32_f16_e32 v12, v12
	v_max_f32_e32 v13, v20, v20
	s_and_b64 vcc, exec, s[0:1]
	v_mov_b32_e32 v17, 0
	v_min_f32_e32 v12, v13, v12
	v_cvt_f16_f32_e32 v16, v12
	v_lshl_add_u64 v[12:13], v[44:45], 1, v[18:19]
	v_mov_b32_e32 v18, 0
	global_store_short v[12:13], v16, off
	v_add_u32_e32 v16, 0xc0, v52
	v_mad_i64_i32 v[12:13], s[4:5], v16, s6, 0
	v_lshl_add_u64 v[12:13], v[12:13], 1, s[16:17]
	s_cbranch_vccnz .LBB272_147
; %bb.146:
	v_lshl_add_u64 v[20:21], v[28:29], 1, v[12:13]
	global_load_ushort v17, v[20:21], off
	s_waitcnt vmcnt(0)
	v_mul_f16_e32 v17, s28, v17
	v_cvt_f32_f16_e32 v17, v17
.LBB272_147:
	v_pk_add_f16 v19, v30, v14
	v_max_f16_e32 v20, v69, v69
	v_pk_add_f16 v22, v31, v15
	v_min_f16_e32 v20, v20, v19
	v_lshrrev_b32_e32 v21, 16, v69
	v_lshrrev_b32_e32 v19, 16, v19
	;; [unrolled: 1-line block ×3, first 2 shown]
	v_min3_f16 v19, v21, v19, v23
	v_min3_f16 v19, v20, v22, v19
	v_cvt_f32_f16_e32 v19, v19
	v_mad_i64_i32 v[20:21], s[4:5], v16, s7, 0
	v_max_f32_e32 v16, v17, v17
	v_min_f32_e32 v16, v16, v19
	v_cvt_f16_f32_e32 v19, v16
	v_lshl_add_u64 v[16:17], v[20:21], 1, s[2:3]
	v_lshl_add_u64 v[20:21], v[28:29], 1, v[16:17]
	s_and_b64 vcc, exec, s[0:1]
	global_store_short v[20:21], v19, off
	s_cbranch_vccnz .LBB272_149
; %bb.148:
	v_lshl_add_u64 v[18:19], v[32:33], 1, v[12:13]
	global_load_ushort v18, v[18:19], off
	s_waitcnt vmcnt(0)
	v_mul_f16_e32 v18, s28, v18
	v_cvt_f32_f16_e32 v18, v18
.LBB272_149:
	v_pk_add_f16 v19, v8, v14
	v_max_f16_e32 v20, v68, v68
	v_pk_add_f16 v22, v9, v15
	v_min_f16_e32 v20, v20, v19
	v_lshrrev_b32_e32 v21, 16, v68
	v_lshrrev_b32_e32 v19, 16, v19
	v_lshrrev_b32_e32 v23, 16, v22
	v_min3_f16 v19, v21, v19, v23
	v_min3_f16 v19, v20, v22, v19
	v_cvt_f32_f16_e32 v19, v19
	v_max_f32_e32 v18, v18, v18
	s_and_b64 vcc, exec, s[0:1]
	v_min_f32_e32 v18, v18, v19
	v_cvt_f16_f32_e32 v20, v18
	v_lshl_add_u64 v[18:19], v[32:33], 1, v[16:17]
	global_store_short v[18:19], v20, off
	v_mov_b32_e32 v18, 0
	v_mov_b32_e32 v19, 0
	s_cbranch_vccnz .LBB272_151
; %bb.150:
	v_lshl_add_u64 v[20:21], v[34:35], 1, v[12:13]
	global_load_ushort v19, v[20:21], off
	s_waitcnt vmcnt(0)
	v_mul_f16_e32 v19, s28, v19
	v_cvt_f32_f16_e32 v19, v19
.LBB272_151:
	v_pk_add_f16 v20, v10, v14
	v_max_f16_e32 v21, v67, v67
	v_pk_add_f16 v23, v11, v15
	v_min_f16_e32 v21, v21, v20
	v_lshrrev_b32_e32 v22, 16, v67
	v_lshrrev_b32_e32 v20, 16, v20
	v_lshrrev_b32_e32 v46, 16, v23
	v_min3_f16 v20, v22, v20, v46
	v_min3_f16 v20, v21, v23, v20
	v_cvt_f32_f16_e32 v20, v20
	v_max_f32_e32 v19, v19, v19
	s_and_b64 vcc, exec, s[0:1]
	v_min_f32_e32 v19, v19, v20
	v_cvt_f16_f32_e32 v19, v19
	v_lshl_add_u64 v[20:21], v[34:35], 1, v[16:17]
	global_store_short v[20:21], v19, off
	s_cbranch_vccnz .LBB272_153
; %bb.152:
	v_lshl_add_u64 v[18:19], v[36:37], 1, v[12:13]
	global_load_ushort v18, v[18:19], off
	s_waitcnt vmcnt(0)
	v_mul_f16_e32 v18, s28, v18
	v_cvt_f32_f16_e32 v18, v18
.LBB272_153:
	v_pk_add_f16 v19, v4, v14
	v_max_f16_e32 v20, v66, v66
	v_pk_add_f16 v22, v5, v15
	v_min_f16_e32 v20, v20, v19
	v_lshrrev_b32_e32 v21, 16, v66
	v_lshrrev_b32_e32 v19, 16, v19
	v_lshrrev_b32_e32 v23, 16, v22
	v_min3_f16 v19, v21, v19, v23
	v_min3_f16 v19, v20, v22, v19
	v_cvt_f32_f16_e32 v19, v19
	v_max_f32_e32 v18, v18, v18
	s_and_b64 vcc, exec, s[0:1]
	v_min_f32_e32 v18, v18, v19
	v_cvt_f16_f32_e32 v20, v18
	v_lshl_add_u64 v[18:19], v[36:37], 1, v[16:17]
	global_store_short v[18:19], v20, off
	v_mov_b32_e32 v18, 0
	v_mov_b32_e32 v19, 0
	s_cbranch_vccnz .LBB272_155
; %bb.154:
	v_lshl_add_u64 v[20:21], v[40:41], 1, v[12:13]
	global_load_ushort v19, v[20:21], off
	s_waitcnt vmcnt(0)
	v_mul_f16_e32 v19, s28, v19
	v_cvt_f32_f16_e32 v19, v19
.LBB272_155:
	v_pk_add_f16 v20, v6, v14
	v_max_f16_e32 v21, v65, v65
	v_pk_add_f16 v23, v7, v15
	v_min_f16_e32 v21, v21, v20
	v_lshrrev_b32_e32 v22, 16, v65
	v_lshrrev_b32_e32 v20, 16, v20
	v_lshrrev_b32_e32 v46, 16, v23
	v_min3_f16 v20, v22, v20, v46
	v_min3_f16 v20, v21, v23, v20
	v_cvt_f32_f16_e32 v20, v20
	v_max_f32_e32 v19, v19, v19
	s_and_b64 vcc, exec, s[0:1]
	v_min_f32_e32 v19, v19, v20
	v_cvt_f16_f32_e32 v19, v19
	v_lshl_add_u64 v[20:21], v[40:41], 1, v[16:17]
	;; [unrolled: 50-line block ×3, first 2 shown]
	global_store_short v[20:21], v19, off
	s_cbranch_vccnz .LBB272_161
; %bb.160:
	v_lshl_add_u64 v[12:13], v[44:45], 1, v[12:13]
	global_load_ushort v12, v[12:13], off
	s_waitcnt vmcnt(0)
	v_mul_f16_e32 v12, s28, v12
	v_cvt_f32_f16_e32 v18, v12
.LBB272_161:
	v_pk_add_f16 v12, v24, v14
	v_max_f16_e32 v13, v62, v62
	v_pk_add_f16 v15, v25, v15
	v_min_f16_e32 v13, v13, v12
	v_lshrrev_b32_e32 v14, 16, v62
	v_lshrrev_b32_e32 v12, 16, v12
	;; [unrolled: 1-line block ×3, first 2 shown]
	v_min3_f16 v12, v14, v12, v19
	v_min3_f16 v12, v13, v15, v12
	v_cvt_f32_f16_e32 v12, v12
	v_max_f32_e32 v13, v18, v18
	s_and_b64 vcc, exec, s[0:1]
	v_mov_b32_e32 v15, 0
	v_min_f32_e32 v12, v13, v12
	v_cvt_f16_f32_e32 v14, v12
	v_lshl_add_u64 v[12:13], v[44:45], 1, v[16:17]
	v_mov_b32_e32 v16, 0
	global_store_short v[12:13], v14, off
	v_add_u32_e32 v14, 0xe0, v52
	v_mad_i64_i32 v[12:13], s[4:5], v14, s6, 0
	v_lshl_add_u64 v[12:13], v[12:13], 1, s[16:17]
	s_cbranch_vccnz .LBB272_163
; %bb.162:
	v_lshl_add_u64 v[18:19], v[28:29], 1, v[12:13]
	global_load_ushort v15, v[18:19], off
	s_waitcnt vmcnt(0)
	v_mul_f16_e32 v15, s28, v15
	v_cvt_f32_f16_e32 v15, v15
.LBB272_163:
	v_pk_add_f16 v17, v30, v26
	v_max_f16_e32 v18, v61, v61
	v_pk_add_f16 v20, v31, v27
	v_min_f16_e32 v18, v18, v17
	v_lshrrev_b32_e32 v19, 16, v61
	v_lshrrev_b32_e32 v17, 16, v17
	;; [unrolled: 1-line block ×3, first 2 shown]
	v_min3_f16 v17, v19, v17, v21
	v_min3_f16 v17, v18, v20, v17
	v_cvt_f32_f16_e32 v17, v17
	v_mad_i64_i32 v[18:19], s[4:5], v14, s7, 0
	v_max_f32_e32 v14, v15, v15
	v_min_f32_e32 v14, v14, v17
	v_cvt_f16_f32_e32 v17, v14
	v_lshl_add_u64 v[14:15], v[18:19], 1, s[2:3]
	v_lshl_add_u64 v[18:19], v[28:29], 1, v[14:15]
	s_and_b64 vcc, exec, s[0:1]
	global_store_short v[18:19], v17, off
	s_cbranch_vccnz .LBB272_165
; %bb.164:
	v_lshl_add_u64 v[16:17], v[32:33], 1, v[12:13]
	global_load_ushort v16, v[16:17], off
	s_waitcnt vmcnt(0)
	v_mul_f16_e32 v16, s28, v16
	v_cvt_f32_f16_e32 v16, v16
.LBB272_165:
	v_pk_add_f16 v8, v8, v26
	v_max_f16_e32 v17, v60, v60
	v_pk_add_f16 v9, v9, v27
	v_min_f16_e32 v17, v17, v8
	v_lshrrev_b32_e32 v18, 16, v60
	v_lshrrev_b32_e32 v8, 16, v8
	;; [unrolled: 1-line block ×3, first 2 shown]
	v_min3_f16 v8, v18, v8, v19
	v_min3_f16 v8, v17, v9, v8
	v_cvt_f32_f16_e32 v8, v8
	v_max_f32_e32 v9, v16, v16
	s_and_b64 vcc, exec, s[0:1]
	v_min_f32_e32 v8, v9, v8
	v_cvt_f16_f32_e32 v16, v8
	v_lshl_add_u64 v[8:9], v[32:33], 1, v[14:15]
	global_store_short v[8:9], v16, off
	v_mov_b32_e32 v8, 0
	v_mov_b32_e32 v9, 0
	s_cbranch_vccnz .LBB272_167
; %bb.166:
	v_lshl_add_u64 v[16:17], v[34:35], 1, v[12:13]
	global_load_ushort v9, v[16:17], off
	s_waitcnt vmcnt(0)
	v_mul_f16_e32 v9, s28, v9
	v_cvt_f32_f16_e32 v9, v9
.LBB272_167:
	v_pk_add_f16 v10, v10, v26
	v_max_f16_e32 v16, v58, v58
	v_pk_add_f16 v11, v11, v27
	v_min_f16_e32 v16, v16, v10
	v_lshrrev_b32_e32 v17, 16, v58
	v_lshrrev_b32_e32 v10, 16, v10
	;; [unrolled: 1-line block ×3, first 2 shown]
	v_min3_f16 v10, v17, v10, v18
	v_min3_f16 v10, v16, v11, v10
	v_cvt_f32_f16_e32 v10, v10
	v_max_f32_e32 v9, v9, v9
	s_and_b64 vcc, exec, s[0:1]
	v_min_f32_e32 v9, v9, v10
	v_cvt_f16_f32_e32 v9, v9
	v_lshl_add_u64 v[10:11], v[34:35], 1, v[14:15]
	global_store_short v[10:11], v9, off
	s_cbranch_vccnz .LBB272_169
; %bb.168:
	v_lshl_add_u64 v[8:9], v[36:37], 1, v[12:13]
	global_load_ushort v8, v[8:9], off
	s_waitcnt vmcnt(0)
	v_mul_f16_e32 v8, s28, v8
	v_cvt_f32_f16_e32 v8, v8
.LBB272_169:
	v_pk_add_f16 v4, v4, v26
	v_max_f16_e32 v9, v57, v57
	v_pk_add_f16 v5, v5, v27
	v_min_f16_e32 v9, v9, v4
	v_lshrrev_b32_e32 v10, 16, v57
	v_lshrrev_b32_e32 v4, 16, v4
	;; [unrolled: 1-line block ×3, first 2 shown]
	v_min3_f16 v4, v10, v4, v11
	v_min3_f16 v4, v9, v5, v4
	v_cvt_f32_f16_e32 v4, v4
	v_max_f32_e32 v5, v8, v8
	s_and_b64 vcc, exec, s[0:1]
	v_min_f32_e32 v4, v5, v4
	v_cvt_f16_f32_e32 v8, v4
	v_lshl_add_u64 v[4:5], v[36:37], 1, v[14:15]
	global_store_short v[4:5], v8, off
	v_mov_b32_e32 v4, 0
	v_mov_b32_e32 v5, 0
	s_cbranch_vccnz .LBB272_171
; %bb.170:
	v_lshl_add_u64 v[8:9], v[40:41], 1, v[12:13]
	global_load_ushort v5, v[8:9], off
	s_waitcnt vmcnt(0)
	v_mul_f16_e32 v5, s28, v5
	v_cvt_f32_f16_e32 v5, v5
.LBB272_171:
	v_pk_add_f16 v6, v6, v26
	v_max_f16_e32 v8, v56, v56
	v_pk_add_f16 v7, v7, v27
	v_min_f16_e32 v8, v8, v6
	v_lshrrev_b32_e32 v9, 16, v56
	v_lshrrev_b32_e32 v6, 16, v6
	;; [unrolled: 1-line block ×3, first 2 shown]
	v_min3_f16 v6, v9, v6, v10
	v_min3_f16 v6, v8, v7, v6
	v_cvt_f32_f16_e32 v6, v6
	v_max_f32_e32 v5, v5, v5
	s_and_b64 vcc, exec, s[0:1]
	v_min_f32_e32 v5, v5, v6
	v_cvt_f16_f32_e32 v5, v5
	v_lshl_add_u64 v[6:7], v[40:41], 1, v[14:15]
	global_store_short v[6:7], v5, off
	s_cbranch_vccnz .LBB272_173
; %bb.172:
	v_lshl_add_u64 v[4:5], v[38:39], 1, v[12:13]
	global_load_ushort v4, v[4:5], off
	s_waitcnt vmcnt(0)
	v_mul_f16_e32 v4, s28, v4
	v_cvt_f32_f16_e32 v4, v4
.LBB272_173:
	v_pk_add_f16 v0, v0, v26
	v_max_f16_e32 v5, v54, v54
	v_pk_add_f16 v1, v1, v27
	v_min_f16_e32 v5, v5, v0
	v_lshrrev_b32_e32 v6, 16, v54
	v_lshrrev_b32_e32 v0, 16, v0
	;; [unrolled: 1-line block ×3, first 2 shown]
	v_min3_f16 v0, v6, v0, v7
	v_min3_f16 v0, v5, v1, v0
	v_cvt_f32_f16_e32 v0, v0
	v_max_f32_e32 v4, v4, v4
	v_pk_add_f16 v1, v2, v26
	v_max_f16_e32 v2, v55, v55
	v_min_f32_e32 v0, v4, v0
	v_cvt_f16_f32_e32 v4, v0
	v_pk_add_f16 v3, v3, v27
	v_min_f16_e32 v2, v2, v1
	v_lshrrev_b32_e32 v5, 16, v55
	v_lshrrev_b32_e32 v1, 16, v1
	;; [unrolled: 1-line block ×3, first 2 shown]
	v_min3_f16 v5, v5, v1, v0
	v_lshl_add_u64 v[0:1], v[38:39], 1, v[14:15]
	global_store_short v[0:1], v4, off
	v_min3_f16 v0, v2, v3, v5
	s_mov_b64 s[0:1], -1
	s_mov_b64 vcc, s[8:9]
	s_cbranch_vccz .LBB272_175
; %bb.174:
	v_cvt_f32_f16_e32 v1, v0
	v_lshl_add_u64 v[2:3], v[42:43], 1, v[14:15]
	s_mov_b64 s[0:1], 0
	v_min_f32_e32 v1, 0, v1
	v_cvt_f16_f32_e32 v1, v1
	global_store_short v[2:3], v1, off
.LBB272_175:
	s_andn2_b64 vcc, exec, s[0:1]
	v_mov_b32_e32 v1, 0
	s_cbranch_vccnz .LBB272_177
; %bb.176:
	v_lshlrev_b64 v[2:3], 1, v[42:43]
	v_lshl_add_u64 v[4:5], v[12:13], 0, v[2:3]
	global_load_ushort v4, v[4:5], off
	v_max_f16_e32 v5, v0, v0
	v_lshl_add_u64 v[0:1], v[14:15], 0, v[2:3]
	s_waitcnt vmcnt(0)
	v_mul_f16_e32 v2, s28, v4
	v_min_f16_e32 v2, v2, v5
	global_store_short v[0:1], v2, off
	v_lshl_add_u64 v[0:1], v[44:45], 1, v[12:13]
	global_load_ushort v0, v[0:1], off
	s_waitcnt vmcnt(0)
	v_mul_f16_e32 v0, s28, v0
	v_cvt_f32_f16_e32 v1, v0
.LBB272_177:
	v_pk_add_f16 v0, v24, v26
	v_max_f16_e32 v2, v59, v59
	v_pk_add_f16 v3, v25, v27
	v_min_f16_e32 v2, v2, v0
	v_lshrrev_b32_e32 v4, 16, v59
	v_lshrrev_b32_e32 v0, 16, v0
	;; [unrolled: 1-line block ×3, first 2 shown]
	v_min3_f16 v0, v4, v0, v5
	v_min3_f16 v0, v2, v3, v0
	v_cvt_f32_f16_e32 v0, v0
	v_max_f32_e32 v1, v1, v1
	v_min_f32_e32 v0, v1, v0
	v_cvt_f16_f32_e32 v2, v0
	v_lshl_add_u64 v[0:1], v[44:45], 1, v[14:15]
	global_store_short v[0:1], v2, off
	s_endpgm
	.section	.rodata,"a",@progbits
	.p2align	6, 0x0
	.amdhsa_kernel _ZN12_GLOBAL__N_120geam_min_plus_kernelIDF16_Dv2_DF16_S1_Li8ELi32ELi64ELi256ELi4ELi64ELi4ELi64ELi4ELc78ELc84ELb0ELb0ELb1EDF16_KDF16_DF16_EEviiiT16_PT17_ilS5_ilS3_S5_ilPT18_ili26rocblas_geam_ex_operation_
		.amdhsa_group_segment_fixed_size 5120
		.amdhsa_private_segment_fixed_size 0
		.amdhsa_kernarg_size 128
		.amdhsa_user_sgpr_count 2
		.amdhsa_user_sgpr_dispatch_ptr 0
		.amdhsa_user_sgpr_queue_ptr 0
		.amdhsa_user_sgpr_kernarg_segment_ptr 1
		.amdhsa_user_sgpr_dispatch_id 0
		.amdhsa_user_sgpr_kernarg_preload_length 0
		.amdhsa_user_sgpr_kernarg_preload_offset 0
		.amdhsa_user_sgpr_private_segment_size 0
		.amdhsa_uses_dynamic_stack 0
		.amdhsa_enable_private_segment 0
		.amdhsa_system_sgpr_workgroup_id_x 1
		.amdhsa_system_sgpr_workgroup_id_y 0
		.amdhsa_system_sgpr_workgroup_id_z 1
		.amdhsa_system_sgpr_workgroup_info 0
		.amdhsa_system_vgpr_workitem_id 1
		.amdhsa_next_free_vgpr 175
		.amdhsa_next_free_sgpr 32
		.amdhsa_accum_offset 176
		.amdhsa_reserve_vcc 1
		.amdhsa_float_round_mode_32 0
		.amdhsa_float_round_mode_16_64 0
		.amdhsa_float_denorm_mode_32 3
		.amdhsa_float_denorm_mode_16_64 3
		.amdhsa_dx10_clamp 1
		.amdhsa_ieee_mode 1
		.amdhsa_fp16_overflow 0
		.amdhsa_tg_split 0
		.amdhsa_exception_fp_ieee_invalid_op 0
		.amdhsa_exception_fp_denorm_src 0
		.amdhsa_exception_fp_ieee_div_zero 0
		.amdhsa_exception_fp_ieee_overflow 0
		.amdhsa_exception_fp_ieee_underflow 0
		.amdhsa_exception_fp_ieee_inexact 0
		.amdhsa_exception_int_div_zero 0
	.end_amdhsa_kernel
	.section	.text._ZN12_GLOBAL__N_120geam_min_plus_kernelIDF16_Dv2_DF16_S1_Li8ELi32ELi64ELi256ELi4ELi64ELi4ELi64ELi4ELc78ELc84ELb0ELb0ELb1EDF16_KDF16_DF16_EEviiiT16_PT17_ilS5_ilS3_S5_ilPT18_ili26rocblas_geam_ex_operation_,"axG",@progbits,_ZN12_GLOBAL__N_120geam_min_plus_kernelIDF16_Dv2_DF16_S1_Li8ELi32ELi64ELi256ELi4ELi64ELi4ELi64ELi4ELc78ELc84ELb0ELb0ELb1EDF16_KDF16_DF16_EEviiiT16_PT17_ilS5_ilS3_S5_ilPT18_ili26rocblas_geam_ex_operation_,comdat
.Lfunc_end272:
	.size	_ZN12_GLOBAL__N_120geam_min_plus_kernelIDF16_Dv2_DF16_S1_Li8ELi32ELi64ELi256ELi4ELi64ELi4ELi64ELi4ELc78ELc84ELb0ELb0ELb1EDF16_KDF16_DF16_EEviiiT16_PT17_ilS5_ilS3_S5_ilPT18_ili26rocblas_geam_ex_operation_, .Lfunc_end272-_ZN12_GLOBAL__N_120geam_min_plus_kernelIDF16_Dv2_DF16_S1_Li8ELi32ELi64ELi256ELi4ELi64ELi4ELi64ELi4ELc78ELc84ELb0ELb0ELb1EDF16_KDF16_DF16_EEviiiT16_PT17_ilS5_ilS3_S5_ilPT18_ili26rocblas_geam_ex_operation_
                                        ; -- End function
	.set _ZN12_GLOBAL__N_120geam_min_plus_kernelIDF16_Dv2_DF16_S1_Li8ELi32ELi64ELi256ELi4ELi64ELi4ELi64ELi4ELc78ELc84ELb0ELb0ELb1EDF16_KDF16_DF16_EEviiiT16_PT17_ilS5_ilS3_S5_ilPT18_ili26rocblas_geam_ex_operation_.num_vgpr, 175
	.set _ZN12_GLOBAL__N_120geam_min_plus_kernelIDF16_Dv2_DF16_S1_Li8ELi32ELi64ELi256ELi4ELi64ELi4ELi64ELi4ELc78ELc84ELb0ELb0ELb1EDF16_KDF16_DF16_EEviiiT16_PT17_ilS5_ilS3_S5_ilPT18_ili26rocblas_geam_ex_operation_.num_agpr, 0
	.set _ZN12_GLOBAL__N_120geam_min_plus_kernelIDF16_Dv2_DF16_S1_Li8ELi32ELi64ELi256ELi4ELi64ELi4ELi64ELi4ELc78ELc84ELb0ELb0ELb1EDF16_KDF16_DF16_EEviiiT16_PT17_ilS5_ilS3_S5_ilPT18_ili26rocblas_geam_ex_operation_.numbered_sgpr, 32
	.set _ZN12_GLOBAL__N_120geam_min_plus_kernelIDF16_Dv2_DF16_S1_Li8ELi32ELi64ELi256ELi4ELi64ELi4ELi64ELi4ELc78ELc84ELb0ELb0ELb1EDF16_KDF16_DF16_EEviiiT16_PT17_ilS5_ilS3_S5_ilPT18_ili26rocblas_geam_ex_operation_.num_named_barrier, 0
	.set _ZN12_GLOBAL__N_120geam_min_plus_kernelIDF16_Dv2_DF16_S1_Li8ELi32ELi64ELi256ELi4ELi64ELi4ELi64ELi4ELc78ELc84ELb0ELb0ELb1EDF16_KDF16_DF16_EEviiiT16_PT17_ilS5_ilS3_S5_ilPT18_ili26rocblas_geam_ex_operation_.private_seg_size, 0
	.set _ZN12_GLOBAL__N_120geam_min_plus_kernelIDF16_Dv2_DF16_S1_Li8ELi32ELi64ELi256ELi4ELi64ELi4ELi64ELi4ELc78ELc84ELb0ELb0ELb1EDF16_KDF16_DF16_EEviiiT16_PT17_ilS5_ilS3_S5_ilPT18_ili26rocblas_geam_ex_operation_.uses_vcc, 1
	.set _ZN12_GLOBAL__N_120geam_min_plus_kernelIDF16_Dv2_DF16_S1_Li8ELi32ELi64ELi256ELi4ELi64ELi4ELi64ELi4ELc78ELc84ELb0ELb0ELb1EDF16_KDF16_DF16_EEviiiT16_PT17_ilS5_ilS3_S5_ilPT18_ili26rocblas_geam_ex_operation_.uses_flat_scratch, 0
	.set _ZN12_GLOBAL__N_120geam_min_plus_kernelIDF16_Dv2_DF16_S1_Li8ELi32ELi64ELi256ELi4ELi64ELi4ELi64ELi4ELc78ELc84ELb0ELb0ELb1EDF16_KDF16_DF16_EEviiiT16_PT17_ilS5_ilS3_S5_ilPT18_ili26rocblas_geam_ex_operation_.has_dyn_sized_stack, 0
	.set _ZN12_GLOBAL__N_120geam_min_plus_kernelIDF16_Dv2_DF16_S1_Li8ELi32ELi64ELi256ELi4ELi64ELi4ELi64ELi4ELc78ELc84ELb0ELb0ELb1EDF16_KDF16_DF16_EEviiiT16_PT17_ilS5_ilS3_S5_ilPT18_ili26rocblas_geam_ex_operation_.has_recursion, 0
	.set _ZN12_GLOBAL__N_120geam_min_plus_kernelIDF16_Dv2_DF16_S1_Li8ELi32ELi64ELi256ELi4ELi64ELi4ELi64ELi4ELc78ELc84ELb0ELb0ELb1EDF16_KDF16_DF16_EEviiiT16_PT17_ilS5_ilS3_S5_ilPT18_ili26rocblas_geam_ex_operation_.has_indirect_call, 0
	.section	.AMDGPU.csdata,"",@progbits
; Kernel info:
; codeLenInByte = 18368
; TotalNumSgprs: 38
; NumVgprs: 175
; NumAgprs: 0
; TotalNumVgprs: 175
; ScratchSize: 0
; MemoryBound: 0
; FloatMode: 240
; IeeeMode: 1
; LDSByteSize: 5120 bytes/workgroup (compile time only)
; SGPRBlocks: 4
; VGPRBlocks: 21
; NumSGPRsForWavesPerEU: 38
; NumVGPRsForWavesPerEU: 175
; AccumOffset: 176
; Occupancy: 2
; WaveLimiterHint : 1
; COMPUTE_PGM_RSRC2:SCRATCH_EN: 0
; COMPUTE_PGM_RSRC2:USER_SGPR: 2
; COMPUTE_PGM_RSRC2:TRAP_HANDLER: 0
; COMPUTE_PGM_RSRC2:TGID_X_EN: 1
; COMPUTE_PGM_RSRC2:TGID_Y_EN: 0
; COMPUTE_PGM_RSRC2:TGID_Z_EN: 1
; COMPUTE_PGM_RSRC2:TIDIG_COMP_CNT: 1
; COMPUTE_PGM_RSRC3_GFX90A:ACCUM_OFFSET: 43
; COMPUTE_PGM_RSRC3_GFX90A:TG_SPLIT: 0
	.section	.text._ZN12_GLOBAL__N_120geam_min_plus_kernelIDF16_Dv2_DF16_S1_Li8ELi32ELi64ELi256ELi4ELi64ELi4ELi64ELi4ELc78ELc84ELb0ELb1ELb1EPKDF16_S2_DF16_EEviiiT16_PT17_ilS6_ilS4_S6_ilPT18_ili26rocblas_geam_ex_operation_,"axG",@progbits,_ZN12_GLOBAL__N_120geam_min_plus_kernelIDF16_Dv2_DF16_S1_Li8ELi32ELi64ELi256ELi4ELi64ELi4ELi64ELi4ELc78ELc84ELb0ELb1ELb1EPKDF16_S2_DF16_EEviiiT16_PT17_ilS6_ilS4_S6_ilPT18_ili26rocblas_geam_ex_operation_,comdat
	.globl	_ZN12_GLOBAL__N_120geam_min_plus_kernelIDF16_Dv2_DF16_S1_Li8ELi32ELi64ELi256ELi4ELi64ELi4ELi64ELi4ELc78ELc84ELb0ELb1ELb1EPKDF16_S2_DF16_EEviiiT16_PT17_ilS6_ilS4_S6_ilPT18_ili26rocblas_geam_ex_operation_ ; -- Begin function _ZN12_GLOBAL__N_120geam_min_plus_kernelIDF16_Dv2_DF16_S1_Li8ELi32ELi64ELi256ELi4ELi64ELi4ELi64ELi4ELc78ELc84ELb0ELb1ELb1EPKDF16_S2_DF16_EEviiiT16_PT17_ilS6_ilS4_S6_ilPT18_ili26rocblas_geam_ex_operation_
	.p2align	8
	.type	_ZN12_GLOBAL__N_120geam_min_plus_kernelIDF16_Dv2_DF16_S1_Li8ELi32ELi64ELi256ELi4ELi64ELi4ELi64ELi4ELc78ELc84ELb0ELb1ELb1EPKDF16_S2_DF16_EEviiiT16_PT17_ilS6_ilS4_S6_ilPT18_ili26rocblas_geam_ex_operation_,@function
_ZN12_GLOBAL__N_120geam_min_plus_kernelIDF16_Dv2_DF16_S1_Li8ELi32ELi64ELi256ELi4ELi64ELi4ELi64ELi4ELc78ELc84ELb0ELb1ELb1EPKDF16_S2_DF16_EEviiiT16_PT17_ilS6_ilS4_S6_ilPT18_ili26rocblas_geam_ex_operation_: ; @_ZN12_GLOBAL__N_120geam_min_plus_kernelIDF16_Dv2_DF16_S1_Li8ELi32ELi64ELi256ELi4ELi64ELi4ELi64ELi4ELc78ELc84ELb0ELb1ELb1EPKDF16_S2_DF16_EEviiiT16_PT17_ilS6_ilS4_S6_ilPT18_ili26rocblas_geam_ex_operation_
; %bb.0:
	s_load_dwordx4 s[4:7], s[0:1], 0x10
	s_load_dwordx4 s[8:11], s[0:1], 0x28
	;; [unrolled: 1-line block ×3, first 2 shown]
	s_mov_b32 s28, s3
	s_mov_b32 s29, 0
	s_lshl_b64 s[16:17], s[28:29], 1
	s_waitcnt lgkmcnt(0)
	s_add_u32 s4, s4, s16
	s_addc_u32 s5, s5, s17
	v_mov_b32_e32 v1, 0
	global_load_ushort v50, v1, s[4:5]
	s_add_u32 s4, s14, s16
	s_addc_u32 s5, s15, s17
	global_load_ushort v52, v1, s[4:5]
	s_load_dwordx2 s[22:23], s[0:1], 0x50
	s_mov_b64 s[30:31], 0
	s_mov_b64 s[34:35], 0
	s_waitcnt vmcnt(1)
	v_cmp_eq_f16_e32 vcc, 0, v50
	v_cmp_neq_f16_e64 s[4:5], 0, v50
	s_cbranch_vccnz .LBB273_2
; %bb.1:
	s_mul_i32 s3, s9, s28
	s_mul_hi_u32 s9, s8, s28
	s_add_i32 s9, s9, s3
	s_mul_i32 s8, s8, s28
	s_lshl_b64 s[8:9], s[8:9], 1
	s_add_u32 s34, s6, s8
	s_addc_u32 s35, s7, s9
.LBB273_2:
	s_andn2_b64 vcc, exec, s[4:5]
	s_cbranch_vccnz .LBB273_4
; %bb.3:
	s_mul_i32 s3, s13, s28
	s_mul_hi_u32 s4, s12, s28
	s_add_i32 s5, s4, s3
	s_mul_i32 s4, s12, s28
	s_lshl_b64 s[4:5], s[4:5], 1
	s_add_u32 s30, s10, s4
	s_addc_u32 s31, s11, s5
.LBB273_4:
	s_load_dwordx4 s[16:19], s[0:1], 0x60
	s_waitcnt vmcnt(0)
	v_cmp_eq_f16_e32 vcc, 0, v52
	v_cmp_neq_f16_e64 s[20:21], 0, v52
	s_cbranch_vccnz .LBB273_6
; %bb.5:
	s_waitcnt lgkmcnt(0)
	s_mul_i32 s3, s17, s28
	s_mul_hi_u32 s4, s16, s28
	s_add_i32 s5, s4, s3
	s_mul_i32 s4, s16, s28
	s_lshl_b64 s[4:5], s[4:5], 1
	s_add_u32 s22, s22, s4
	s_addc_u32 s23, s23, s5
	s_branch .LBB273_7
.LBB273_6:
	s_waitcnt lgkmcnt(0)
	s_mov_b64 s[22:23], 0
.LBB273_7:
	s_load_dwordx4 s[24:27], s[0:1], 0x0
	s_load_dword s36, s[0:1], 0x20
	v_and_b32_e32 v48, 0x3ff, v0
	v_bfe_u32 v49, v0, 10, 10
	v_cmp_eq_f16_e32 vcc, 0, v50
	s_waitcnt lgkmcnt(0)
	s_add_i32 s3, s24, -1
	s_ashr_i32 s4, s3, 31
	s_lshr_b32 s4, s4, 26
	s_add_i32 s3, s3, s4
	s_ashr_i32 s3, s3, 6
	s_add_i32 s4, s3, 1
	v_cvt_f32_u32_e32 v1, s4
	s_not_b32 s3, s3
	s_ashr_i32 s37, s36, 31
                                        ; implicit-def: $vgpr3
                                        ; implicit-def: $sgpr9
	v_rcp_iflag_f32_e32 v0, v1
	v_lshl_add_u32 v1, v49, 3, v48
	v_and_b32_e32 v2, 63, v1
	v_lshrrev_b32_e32 v51, 6, v1
	v_mul_f32_e32 v0, 0x4f7ffffe, v0
	v_cvt_u32_f32_e32 v0, v0
	v_cmp_le_i32_e64 s[14:15], s26, v51
	v_readfirstlane_b32 s5, v0
	s_mul_i32 s3, s3, s5
	s_mul_hi_u32 s3, s5, s3
	s_add_i32 s5, s5, s3
	s_mul_hi_u32 s3, s2, s5
	s_mul_i32 s5, s3, s4
	s_sub_i32 s5, s2, s5
	s_add_i32 s6, s3, 1
	s_sub_i32 s7, s5, s4
	s_cmp_ge_u32 s5, s4
	s_cselect_b32 s3, s6, s3
	s_cselect_b32 s5, s7, s5
	s_add_i32 s6, s3, 1
	s_cmp_ge_u32 s5, s4
	s_cselect_b32 s8, s6, s3
	s_mul_i32 s3, s8, s4
	s_sub_i32 s2, s2, s3
	s_lshl_b32 s33, s2, 6
	v_or_b32_e32 v28, s33, v2
	v_cmp_le_i32_e64 s[4:5], s24, v28
	s_or_b64 s[6:7], s[4:5], s[14:15]
	s_nor_b64 s[2:3], vcc, s[6:7]
	v_ashrrev_i32_e32 v29, 31, v28
	s_and_saveexec_b64 s[10:11], s[2:3]
	s_xor_b64 s[2:3], exec, s[10:11]
	s_cbranch_execz .LBB273_9
; %bb.8:
	s_add_i32 s9, s26, -1
	v_min_u32_e32 v0, s9, v51
	v_mad_i64_i32 v[0:1], s[10:11], s36, v0, 0
	v_lshl_add_u64 v[0:1], v[0:1], 1, s[34:35]
	v_lshl_add_u64 v[0:1], v[28:29], 1, v[0:1]
	global_load_ushort v0, v[0:1], off
	s_waitcnt vmcnt(0)
	v_mul_f16_e32 v3, v50, v0
.LBB273_9:
	s_or_saveexec_b64 s[2:3], s[2:3]
	v_mov_b32_e32 v0, s9
	s_xor_b64 exec, exec, s[2:3]
; %bb.10:
	v_mov_b32_e32 v0, 0x7c00
	v_cndmask_b32_e64 v3, 0, v0, s[6:7]
	s_add_i32 s6, s26, -1
	v_mov_b32_e32 v0, s6
; %bb.11:
	s_or_b64 exec, exec, s[2:3]
	s_load_dword s27, s[0:1], 0x38
	s_lshl_b32 s38, s8, 8
	v_min_i32_e32 v0, v51, v0
	v_or_b32_e32 v32, s38, v2
	v_cmp_le_i32_e64 s[6:7], s25, v32
	s_waitcnt lgkmcnt(0)
	v_mad_i64_i32 v[0:1], s[2:3], v0, s27, 0
	v_mov_b32_e32 v5, 0x7c00
	s_or_b64 s[2:3], s[6:7], s[14:15]
	v_lshl_add_u64 v[0:1], v[0:1], 1, s[30:31]
	v_cndmask_b32_e64 v4, 0, v5, s[2:3]
	s_nor_b64 s[8:9], vcc, s[2:3]
	v_ashrrev_i32_e32 v33, 31, v32
	s_and_saveexec_b64 s[2:3], s[8:9]
	s_cbranch_execz .LBB273_13
; %bb.12:
	v_lshl_add_u64 v[6:7], v[32:33], 1, v[0:1]
	global_load_ushort v4, v[6:7], off
	s_waitcnt vmcnt(0)
	v_mul_f16_e32 v4, v50, v4
.LBB273_13:
	s_or_b64 exec, exec, s[2:3]
	v_or_b32_e32 v6, 64, v32
	s_add_i32 s16, s25, -1
	v_cmp_le_i32_e64 s[8:9], s25, v6
	v_min_i32_e32 v34, s16, v6
	s_or_b64 s[2:3], s[8:9], s[14:15]
	v_cndmask_b32_e64 v5, 0, v5, s[2:3]
	s_nor_b64 s[10:11], s[2:3], vcc
	v_ashrrev_i32_e32 v35, 31, v34
	s_and_saveexec_b64 s[2:3], s[10:11]
	s_cbranch_execz .LBB273_15
; %bb.14:
	v_lshl_add_u64 v[6:7], v[34:35], 1, v[0:1]
	global_load_ushort v5, v[6:7], off
	s_waitcnt vmcnt(0)
	v_mul_f16_e32 v5, v50, v5
.LBB273_15:
	s_or_b64 exec, exec, s[2:3]
	v_or_b32_e32 v6, 0x80, v32
	v_cmp_le_i32_e64 s[10:11], s25, v6
	v_min_i32_e32 v36, s16, v6
	v_mov_b32_e32 v7, 0x7c00
	s_or_b64 s[2:3], s[10:11], s[14:15]
	v_cndmask_b32_e64 v6, 0, v7, s[2:3]
	s_nor_b64 s[12:13], s[2:3], vcc
	v_ashrrev_i32_e32 v37, 31, v36
	s_and_saveexec_b64 s[2:3], s[12:13]
	s_cbranch_execz .LBB273_17
; %bb.16:
	v_lshl_add_u64 v[8:9], v[36:37], 1, v[0:1]
	global_load_ushort v6, v[8:9], off
	s_waitcnt vmcnt(0)
	v_mul_f16_e32 v6, v50, v6
.LBB273_17:
	s_or_b64 exec, exec, s[2:3]
	v_or_b32_e32 v8, 0xc0, v32
	v_cmp_le_i32_e64 s[12:13], s25, v8
	v_min_i32_e32 v38, s16, v8
	s_or_b64 s[2:3], s[12:13], s[14:15]
	v_cndmask_b32_e64 v7, 0, v7, s[2:3]
	s_nor_b64 s[14:15], s[2:3], vcc
	v_ashrrev_i32_e32 v39, 31, v38
	s_and_saveexec_b64 s[2:3], s[14:15]
	s_cbranch_execz .LBB273_19
; %bb.18:
	v_lshl_add_u64 v[0:1], v[38:39], 1, v[0:1]
	global_load_ushort v0, v[0:1], off
	s_waitcnt vmcnt(0)
	v_mul_f16_e32 v7, v50, v0
.LBB273_19:
	s_or_b64 exec, exec, s[2:3]
	v_add_u32_e32 v0, 4, v51
	v_cmp_le_i32_e64 s[14:15], s26, v0
	s_or_b64 s[16:17], s[4:5], s[14:15]
	s_nor_b64 s[2:3], vcc, s[16:17]
                                        ; implicit-def: $vgpr30
                                        ; implicit-def: $sgpr29
	s_and_saveexec_b64 s[40:41], s[2:3]
	s_xor_b64 s[2:3], exec, s[40:41]
	s_cbranch_execz .LBB273_21
; %bb.20:
	s_add_i32 s29, s26, -1
	v_min_u32_e32 v1, s29, v0
	v_mad_u64_u32 v[8:9], s[40:41], s36, v1, 0
	v_mov_b32_e32 v10, v9
	v_mad_u64_u32 v[10:11], s[40:41], s37, v1, v[10:11]
	v_mov_b32_e32 v9, v10
	v_lshl_add_u64 v[8:9], v[8:9], 1, s[34:35]
	v_lshl_add_u64 v[8:9], v[28:29], 1, v[8:9]
	global_load_ushort v1, v[8:9], off
	s_waitcnt vmcnt(0)
	v_mul_f16_e32 v30, v50, v1
.LBB273_21:
	s_or_saveexec_b64 s[2:3], s[2:3]
	v_mov_b32_e32 v1, s29
	s_xor_b64 exec, exec, s[2:3]
; %bb.22:
	v_mov_b32_e32 v1, 0x7c00
	v_cndmask_b32_e64 v30, 0, v1, s[16:17]
	s_add_i32 s16, s26, -1
	v_mov_b32_e32 v1, s16
; %bb.23:
	s_or_b64 exec, exec, s[2:3]
	v_min_i32_e32 v0, v0, v1
	v_mad_i64_i32 v[0:1], s[2:3], v0, s27, 0
	v_mov_b32_e32 v8, 0x7c00
	s_or_b64 s[2:3], s[6:7], s[14:15]
	v_lshl_add_u64 v[0:1], v[0:1], 1, s[30:31]
	v_cndmask_b32_e64 v31, 0, v8, s[2:3]
	s_nor_b64 s[16:17], vcc, s[2:3]
	s_and_saveexec_b64 s[2:3], s[16:17]
	s_cbranch_execz .LBB273_25
; %bb.24:
	v_lshl_add_u64 v[10:11], v[32:33], 1, v[0:1]
	global_load_ushort v9, v[10:11], off
	s_waitcnt vmcnt(0)
	v_mul_f16_e32 v31, v50, v9
.LBB273_25:
	s_or_b64 exec, exec, s[2:3]
	s_or_b64 s[2:3], s[8:9], s[14:15]
	v_cndmask_b32_e64 v40, 0, v8, s[2:3]
	s_nor_b64 s[16:17], s[2:3], vcc
	s_and_saveexec_b64 s[2:3], s[16:17]
	s_cbranch_execz .LBB273_27
; %bb.26:
	v_lshl_add_u64 v[8:9], v[34:35], 1, v[0:1]
	global_load_ushort v8, v[8:9], off
	s_waitcnt vmcnt(0)
	v_mul_f16_e32 v40, v50, v8
.LBB273_27:
	s_or_b64 exec, exec, s[2:3]
	v_mov_b32_e32 v8, 0x7c00
	s_or_b64 s[2:3], s[10:11], s[14:15]
	v_cndmask_b32_e64 v41, 0, v8, s[2:3]
	s_nor_b64 s[16:17], s[2:3], vcc
	s_and_saveexec_b64 s[2:3], s[16:17]
	s_cbranch_execz .LBB273_29
; %bb.28:
	v_lshl_add_u64 v[10:11], v[36:37], 1, v[0:1]
	global_load_ushort v9, v[10:11], off
	s_waitcnt vmcnt(0)
	v_mul_f16_e32 v41, v50, v9
.LBB273_29:
	s_or_b64 exec, exec, s[2:3]
	s_or_b64 s[2:3], s[12:13], s[14:15]
	v_cndmask_b32_e64 v42, 0, v8, s[2:3]
	s_nor_b64 s[16:17], s[2:3], vcc
	s_movk_i32 s14, 0x7c00
	s_and_saveexec_b64 s[2:3], s[16:17]
	s_cbranch_execz .LBB273_31
; %bb.30:
	v_lshl_add_u64 v[0:1], v[38:39], 1, v[0:1]
	global_load_ushort v0, v[0:1], off
	s_waitcnt vmcnt(0)
	v_mul_f16_e32 v42, v50, v0
.LBB273_31:
	s_or_b64 exec, exec, s[2:3]
	v_lshlrev_b32_e32 v0, 3, v2
	v_lshlrev_b32_e32 v104, 3, v48
	v_lshl_add_u32 v111, v51, 1, v0
	v_add_u32_e32 v112, 0x1000, v104
	ds_write_b16 v111, v3 offset:4096
	ds_write_b16 v111, v4
	ds_write_b16 v111, v5 offset:512
	ds_write_b16 v111, v6 offset:1024
	;; [unrolled: 1-line block ×3, first 2 shown]
	s_waitcnt lgkmcnt(0)
	s_barrier
	v_lshlrev_b32_e32 v93, 3, v49
	ds_read2_b64 v[16:19], v112 offset1:8
	ds_read2_b64 v[12:15], v112 offset0:16 offset1:24
	ds_read2_b64 v[4:7], v112 offset0:32 offset1:40
	ds_read2_b64 v[44:47], v93 offset1:32
	ds_read2_b64 v[0:3], v112 offset0:48 offset1:56
	ds_read2_b64 v[24:27], v93 offset0:64 offset1:96
	;; [unrolled: 1-line block ×4, first 2 shown]
	s_waitcnt lgkmcnt(4)
	v_pk_add_f16 v43, v16, v44
	v_pk_add_f16 v53, v18, v44
	;; [unrolled: 1-line block ×6, first 2 shown]
	s_waitcnt lgkmcnt(3)
	v_pk_add_f16 v58, v0, v44
	v_pk_add_f16 v44, v2, v44
	v_pk_add_f16 v59, v16, v46
	v_pk_add_f16 v60, v18, v46
	v_pk_add_f16 v61, v12, v46
	v_pk_add_f16 v62, v14, v46
	v_pk_add_f16 v63, v4, v46
	v_pk_add_f16 v64, v6, v46
	v_pk_add_f16 v65, v0, v46
	v_pk_add_f16 v46, v2, v46
	s_waitcnt lgkmcnt(2)
	v_pk_add_f16 v66, v16, v24
	v_pk_add_f16 v67, v18, v24
	v_pk_add_f16 v68, v12, v24
	v_pk_add_f16 v69, v14, v24
	v_pk_add_f16 v70, v4, v24
	v_pk_add_f16 v71, v6, v24
	v_pk_add_f16 v72, v0, v24
	v_pk_add_f16 v24, v2, v24
	v_pk_add_f16 v73, v16, v26
	v_pk_add_f16 v74, v18, v26
	v_pk_add_f16 v75, v12, v26
	v_pk_add_f16 v76, v14, v26
	v_pk_add_f16 v77, v4, v26
	v_pk_add_f16 v78, v6, v26
	v_pk_add_f16 v79, v0, v26
	v_pk_add_f16 v26, v2, v26
	s_waitcnt lgkmcnt(1)
	v_pk_add_f16 v80, v16, v20
	v_pk_add_f16 v81, v18, v20
	v_pk_add_f16 v82, v12, v20
	v_pk_add_f16 v121, v14, v20
	v_pk_add_f16 v122, v4, v20
	v_pk_add_f16 v123, v6, v20
	;; [unrolled: 17-line block ×3, first 2 shown]
	v_pk_add_f16 v138, v0, v8
	v_pk_add_f16 v8, v2, v8
	;; [unrolled: 1-line block ×11, first 2 shown]
	v_pk_min_f16 v10, v43, s14 op_sel_hi:[1,0]
	v_pk_min_f16 v8, v8, s14 op_sel_hi:[1,0]
	v_pk_min_f16 v120, v10, v2
	v_pk_add_f16 v2, v19, v45
	v_pk_min_f16 v10, v53, s14 op_sel_hi:[1,0]
	v_pk_min_f16 v4, v4, s14 op_sel_hi:[1,0]
	v_pk_min_f16 v119, v10, v2
	v_pk_add_f16 v2, v13, v45
	;; [unrolled: 4-line block ×3, first 2 shown]
	v_pk_min_f16 v10, v55, s14 op_sel_hi:[1,0]
	s_cmp_lt_i32 s26, 9
	v_pk_min_f16 v117, v10, v2
	v_pk_add_f16 v2, v5, v45
	v_pk_min_f16 v10, v56, s14 op_sel_hi:[1,0]
	ds_write_b16 v111, v30 offset:4608
	ds_write_b16 v111, v31 offset:2048
	;; [unrolled: 1-line block ×5, first 2 shown]
	v_pk_min_f16 v116, v10, v2
	v_pk_add_f16 v2, v7, v45
	v_pk_min_f16 v10, v57, s14 op_sel_hi:[1,0]
	s_waitcnt lgkmcnt(0)
	v_pk_min_f16 v115, v10, v2
	v_pk_add_f16 v2, v1, v45
	v_pk_min_f16 v10, v58, s14 op_sel_hi:[1,0]
	s_barrier
	v_pk_min_f16 v114, v10, v2
	v_pk_add_f16 v2, v3, v45
	v_pk_min_f16 v10, v44, s14 op_sel_hi:[1,0]
	s_nop 0
	v_pk_min_f16 v113, v10, v2
	v_pk_add_f16 v2, v17, v47
	v_pk_min_f16 v10, v59, s14 op_sel_hi:[1,0]
	s_nop 0
	;; [unrolled: 4-line block ×47, first 2 shown]
	v_pk_min_f16 v63, v10, v2
	v_pk_add_f16 v2, v1, v9
	v_pk_min_f16 v10, v138, s14 op_sel_hi:[1,0]
	v_pk_add_f16 v1, v1, v11
	v_pk_min_f16 v62, v10, v2
	v_pk_add_f16 v2, v3, v9
	s_nop 0
	v_pk_min_f16 v61, v8, v2
	v_pk_add_f16 v2, v17, v11
	v_pk_min_f16 v8, v16, s14 op_sel_hi:[1,0]
	s_nop 0
	v_pk_min_f16 v60, v8, v2
	v_pk_add_f16 v2, v19, v11
	v_pk_min_f16 v8, v18, s14 op_sel_hi:[1,0]
	;; [unrolled: 4-line block ×4, first 2 shown]
	s_nop 0
	v_pk_min_f16 v57, v8, v2
	v_pk_add_f16 v2, v5, v11
	s_nop 0
	v_pk_min_f16 v55, v4, v2
	v_pk_add_f16 v2, v7, v11
	v_pk_min_f16 v4, v6, s14 op_sel_hi:[1,0]
	s_nop 0
	v_pk_min_f16 v54, v4, v2
	v_pk_min_f16 v2, v139, s14 op_sel_hi:[1,0]
	s_nop 0
	v_pk_min_f16 v53, v2, v1
	v_pk_add_f16 v1, v3, v11
	s_nop 0
	v_pk_min_f16 v56, v0, v1
	s_cbranch_scc1 .LBB273_58
; %bb.32:
	v_mov_b32_e32 v0, 0x1200
	v_lshl_add_u32 v124, v48, 3, v0
	v_add_u32_e32 v0, v93, v48
	v_lshrrev_b32_e32 v2, 6, v0
	v_add_u32_e32 v0, 12, v2
	v_mad_i64_i32 v[0:1], s[2:3], v0, s36, 0
	v_lshlrev_b64 v[42:43], 1, v[0:1]
	v_add_u32_e32 v0, 8, v2
	v_mad_i64_i32 v[0:1], s[2:3], v0, s36, 0
	v_or_b32_e32 v121, 0x1000, v111
	v_add_u32_e32 v122, 0x1200, v111
	v_or_b32_e32 v123, 0x800, v111
	s_add_i32 s29, s26, -8
	v_lshl_add_u64 v[40:41], v[28:29], 1, s[34:35]
	v_add_u32_e32 v125, 0x800, v93
	s_add_i32 s39, s26, -1
	s_lshl_b64 s[34:35], s[36:37], 4
	v_lshlrev_b64 v[44:45], 1, v[0:1]
	s_mov_b32 s36, 0
	v_mov_b32_e32 v126, 0x7c00
	s_branch .LBB273_34
.LBB273_33:                             ;   in Loop: Header=BB273_34 Depth=1
	s_or_b64 exec, exec, s[2:3]
	v_pk_add_f16 v46, v12, v28
	v_pk_max_f16 v47, v120, v120
	v_pk_max_f16 v119, v119, v119
	v_pk_min_f16 v46, v47, v46
	v_pk_add_f16 v47, v14, v28
	v_pk_max_f16 v118, v118, v118
	v_pk_min_f16 v47, v119, v47
	v_pk_add_f16 v119, v8, v28
	v_pk_max_f16 v117, v117, v117
	v_pk_min_f16 v118, v118, v119
	v_pk_add_f16 v119, v10, v28
	v_pk_max_f16 v116, v116, v116
	v_pk_min_f16 v117, v117, v119
	v_pk_add_f16 v119, v4, v28
	v_pk_max_f16 v115, v115, v115
	v_pk_min_f16 v116, v116, v119
	v_pk_add_f16 v119, v6, v28
	v_pk_max_f16 v113, v113, v113
	v_pk_min_f16 v115, v115, v119
	v_pk_add_f16 v119, v0, v28
	v_pk_add_f16 v28, v2, v28
	v_pk_max_f16 v110, v110, v110
	v_pk_min_f16 v28, v113, v28
	v_pk_add_f16 v113, v12, v30
	v_pk_max_f16 v109, v109, v109
	v_pk_min_f16 v110, v110, v113
	v_pk_add_f16 v113, v14, v30
	v_pk_max_f16 v108, v108, v108
	v_pk_min_f16 v109, v109, v113
	v_pk_add_f16 v113, v8, v30
	v_pk_max_f16 v107, v107, v107
	v_pk_min_f16 v108, v108, v113
	v_pk_add_f16 v113, v10, v30
	v_pk_max_f16 v106, v106, v106
	v_pk_min_f16 v107, v107, v113
	v_pk_add_f16 v113, v4, v30
	v_pk_max_f16 v105, v105, v105
	v_pk_min_f16 v106, v106, v113
	v_pk_add_f16 v113, v6, v30
	v_pk_max_f16 v102, v102, v102
	v_pk_min_f16 v105, v105, v113
	v_pk_add_f16 v113, v0, v30
	v_pk_add_f16 v30, v2, v30
	v_pk_max_f16 v101, v101, v101
	v_pk_min_f16 v30, v102, v30
	v_pk_add_f16 v102, v12, v24
	;; [unrolled: 22-line block ×6, first 2 shown]
	v_pk_max_f16 v67, v67, v67
	v_pk_min_f16 v68, v68, v69
	v_pk_add_f16 v69, v14, v16
	v_pk_max_f16 v66, v66, v66
	v_pk_min_f16 v67, v67, v69
	v_pk_add_f16 v69, v8, v16
	;; [unrolled: 3-line block ×5, first 2 shown]
	v_pk_add_f16 v12, v12, v18
	v_pk_min_f16 v63, v63, v69
	v_pk_add_f16 v69, v0, v16
	v_pk_add_f16 v16, v2, v16
	;; [unrolled: 1-line block ×9, first 2 shown]
	v_pk_max_f16 v18, v56, v56
	v_pk_max_f16 v53, v53, v53
	v_pk_min_f16 v2, v18, v2
	v_pk_add_f16 v18, v13, v29
	v_pk_max_f16 v54, v54, v54
	v_pk_min_f16 v46, v46, v18
	v_pk_add_f16 v18, v15, v29
	v_pk_min_f16 v0, v53, v0
	v_pk_min_f16 v47, v47, v18
	v_pk_add_f16 v18, v9, v29
	v_pk_max_f16 v55, v55, v55
	v_pk_min_f16 v53, v118, v18
	v_pk_add_f16 v18, v11, v29
	v_pk_min_f16 v6, v54, v6
	v_pk_min_f16 v54, v117, v18
	v_pk_add_f16 v18, v5, v29
	v_pk_max_f16 v114, v114, v114
	v_pk_min_f16 v4, v55, v4
	v_pk_min_f16 v55, v116, v18
	v_pk_add_f16 v18, v7, v29
	v_pk_min_f16 v114, v114, v119
	v_pk_max_f16 v57, v57, v57
	v_pk_min_f16 v56, v115, v18
	v_pk_add_f16 v18, v1, v29
	v_pk_max_f16 v58, v58, v58
	v_pk_min_f16 v10, v57, v10
	v_pk_min_f16 v57, v114, v18
	v_pk_add_f16 v18, v3, v29
	v_pk_max_f16 v59, v59, v59
	v_pk_min_f16 v8, v58, v8
	;; [unrolled: 4-line block ×6, first 2 shown]
	v_pk_min_f16 v69, v107, v18
	v_pk_add_f16 v18, v5, v31
	v_pk_max_f16 v103, v103, v103
	v_pk_max_f16 v78, v78, v78
	v_pk_min_f16 v70, v70, v77
	v_pk_min_f16 v77, v106, v18
	v_pk_add_f16 v18, v7, v31
	v_pk_min_f16 v103, v103, v113
	v_pk_max_f16 v86, v86, v86
	v_pk_min_f16 v78, v78, v85
	v_pk_min_f16 v85, v105, v18
	v_pk_add_f16 v18, v1, v31
	v_pk_max_f16 v95, v95, v95
	v_pk_min_f16 v86, v86, v94
	v_pk_min_f16 v94, v103, v18
	v_pk_add_f16 v18, v3, v31
	v_pk_min_f16 v95, v95, v102
	v_pk_min_f16 v102, v30, v18
	v_pk_add_f16 v18, v13, v25
	v_pk_max_f16 v46, v46, v46
	v_pk_min_f16 v101, v101, v18
	v_pk_add_f16 v18, v15, v25
	v_pk_max_f16 v47, v47, v47
	;; [unrolled: 3-line block ×6, first 2 shown]
	v_pk_min_f16 v96, v96, v18
	v_pk_add_f16 v18, v1, v25
	s_add_i32 s36, s36, 8
	v_pk_min_f16 v95, v95, v18
	v_pk_add_f16 v18, v3, v25
	s_cmp_ge_i32 s36, s29
	v_pk_min_f16 v132, v24, v18
	v_pk_add_f16 v18, v13, v27
	v_lshl_add_u64 v[40:41], v[40:41], 0, s[34:35]
	v_pk_min_f16 v92, v92, v18
	v_pk_add_f16 v18, v15, v27
	s_nop 0
	v_pk_min_f16 v91, v91, v18
	v_pk_add_f16 v18, v9, v27
	s_nop 0
	v_pk_min_f16 v90, v90, v18
	v_pk_add_f16 v18, v11, v27
	s_nop 0
	v_pk_min_f16 v89, v89, v18
	v_pk_add_f16 v18, v5, v27
	s_nop 0
	v_pk_min_f16 v88, v88, v18
	v_pk_add_f16 v18, v7, v27
	s_nop 0
	v_pk_min_f16 v87, v87, v18
	v_pk_add_f16 v18, v1, v27
	s_nop 0
	v_pk_min_f16 v86, v86, v18
	v_pk_add_f16 v18, v3, v27
	s_nop 0
	v_pk_min_f16 v133, v26, v18
	v_pk_add_f16 v18, v13, v21
	s_nop 0
	v_pk_min_f16 v84, v84, v18
	v_pk_add_f16 v18, v15, v21
	s_nop 0
	v_pk_min_f16 v83, v83, v18
	v_pk_add_f16 v18, v9, v21
	s_nop 0
	v_pk_min_f16 v82, v82, v18
	v_pk_add_f16 v18, v11, v21
	s_nop 0
	v_pk_min_f16 v81, v81, v18
	v_pk_add_f16 v18, v5, v21
	s_nop 0
	v_pk_min_f16 v80, v80, v18
	v_pk_add_f16 v18, v7, v21
	s_nop 0
	v_pk_min_f16 v79, v79, v18
	v_pk_add_f16 v18, v1, v21
	s_nop 0
	v_pk_min_f16 v78, v78, v18
	v_pk_add_f16 v18, v3, v21
	s_nop 0
	v_pk_min_f16 v134, v20, v18
	v_pk_add_f16 v18, v13, v23
	s_nop 0
	v_pk_min_f16 v76, v76, v18
	v_pk_add_f16 v18, v15, v23
	s_nop 0
	v_pk_min_f16 v75, v75, v18
	v_pk_add_f16 v18, v9, v23
	s_nop 0
	v_pk_min_f16 v74, v74, v18
	v_pk_add_f16 v18, v11, v23
	s_nop 0
	v_pk_min_f16 v73, v73, v18
	v_pk_add_f16 v18, v5, v23
	s_nop 0
	v_pk_min_f16 v72, v72, v18
	v_pk_add_f16 v18, v7, v23
	s_nop 0
	v_pk_min_f16 v71, v71, v18
	v_pk_add_f16 v18, v1, v23
	s_nop 0
	v_pk_min_f16 v70, v70, v18
	v_pk_add_f16 v18, v3, v23
	s_nop 0
	v_pk_min_f16 v135, v22, v18
	v_pk_add_f16 v18, v13, v17
	v_pk_add_f16 v13, v13, v19
	v_pk_min_f16 v68, v68, v18
	v_pk_add_f16 v18, v15, v17
	v_pk_min_f16 v137, v12, v13
	v_pk_min_f16 v67, v67, v18
	v_pk_add_f16 v18, v9, v17
	v_pk_add_f16 v9, v9, v19
	v_pk_min_f16 v66, v66, v18
	v_pk_add_f16 v18, v11, v17
	v_pk_add_f16 v12, v15, v19
	v_pk_min_f16 v65, v65, v18
	v_pk_add_f16 v18, v5, v17
	v_pk_add_f16 v5, v5, v19
	v_pk_min_f16 v64, v64, v18
	v_pk_add_f16 v18, v7, v17
	v_pk_min_f16 v139, v8, v9
	v_pk_min_f16 v63, v63, v18
	v_pk_add_f16 v18, v1, v17
	v_pk_add_f16 v1, v1, v19
	;; [unrolled: 1-line block ×4, first 2 shown]
	v_pk_min_f16 v141, v4, v5
	v_pk_add_f16 v4, v7, v19
	v_pk_min_f16 v143, v0, v1
	v_pk_add_f16 v0, v3, v19
	v_pk_min_f16 v62, v62, v18
	v_pk_min_f16 v136, v16, v17
	;; [unrolled: 1-line block ×6, first 2 shown]
	ds_read2_b64 v[16:19], v112 offset1:8
	ds_read2_b64 v[8:11], v112 offset0:16 offset1:24
	ds_read2_b64 v[4:7], v112 offset0:32 offset1:40
	ds_read2_b64 v[24:27], v93 offset1:32
	ds_read2_b64 v[0:3], v112 offset0:48 offset1:56
	ds_read2_b64 v[28:31], v93 offset0:64 offset1:96
	;; [unrolled: 1-line block ×4, first 2 shown]
	s_waitcnt lgkmcnt(4)
	v_pk_add_f16 v103, v16, v24
	v_pk_add_f16 v105, v18, v24
	v_pk_min_f16 v46, v46, v103
	v_pk_add_f16 v103, v17, v25
	v_pk_add_f16 v106, v8, v24
	v_pk_min_f16 v120, v46, v103
	v_pk_min_f16 v47, v47, v105
	v_pk_add_f16 v103, v19, v25
	v_pk_add_f16 v107, v10, v24
	v_pk_min_f16 v119, v47, v103
	;; [unrolled: 4-line block ×4, first 2 shown]
	v_pk_min_f16 v55, v55, v108
	v_pk_add_f16 v103, v5, v25
	v_pk_min_f16 v56, v56, v109
	v_pk_min_f16 v116, v55, v103
	v_pk_add_f16 v103, v7, v25
	s_waitcnt lgkmcnt(3)
	v_pk_add_f16 v110, v0, v24
	v_pk_min_f16 v115, v56, v103
	v_pk_max_f16 v56, v57, v57
	v_pk_add_f16 v57, v1, v25
	v_pk_min_f16 v56, v56, v110
	v_pk_add_f16 v24, v2, v24
	v_pk_min_f16 v114, v56, v57
	v_pk_max_f16 v56, v58, v58
	v_pk_add_f16 v25, v3, v25
	v_pk_min_f16 v24, v56, v24
	;; [unrolled: 5-line block ×7, first 2 shown]
	v_pk_add_f16 v150, v6, v26
	v_pk_min_f16 v106, v24, v25
	v_pk_max_f16 v24, v85, v85
	v_pk_add_f16 v151, v0, v26
	v_pk_add_f16 v26, v2, v26
	s_waitcnt lgkmcnt(2)
	v_pk_add_f16 v152, v16, v28
	v_pk_add_f16 v153, v18, v28
	v_pk_add_f16 v154, v8, v28
	v_pk_add_f16 v155, v10, v28
	v_pk_add_f16 v156, v4, v28
	v_pk_add_f16 v157, v6, v28
	v_pk_add_f16 v158, v0, v28
	v_pk_add_f16 v28, v2, v28
	v_pk_add_f16 v159, v16, v30
	v_pk_add_f16 v160, v18, v30
	v_pk_add_f16 v161, v8, v30
	v_pk_add_f16 v162, v10, v30
	v_pk_add_f16 v163, v4, v30
	v_pk_add_f16 v164, v6, v30
	v_pk_add_f16 v165, v0, v30
	v_pk_add_f16 v30, v2, v30
	s_waitcnt lgkmcnt(1)
	v_pk_add_f16 v166, v16, v20
	v_pk_add_f16 v167, v18, v20
	v_pk_add_f16 v168, v8, v20
	v_pk_add_f16 v169, v10, v20
	v_pk_add_f16 v170, v4, v20
	v_pk_add_f16 v171, v6, v20
	v_pk_add_f16 v172, v0, v20
	v_pk_add_f16 v20, v2, v20
	v_pk_add_f16 v173, v16, v22
	v_pk_add_f16 v174, v18, v22
	v_pk_add_f16 v175, v8, v22
	v_pk_add_f16 v176, v10, v22
	v_pk_add_f16 v177, v4, v22
	v_pk_add_f16 v178, v6, v22
	;; [unrolled: 17-line block ×3, first 2 shown]
	v_pk_add_f16 v0, v0, v14
	v_pk_min_f16 v24, v24, v150
	v_pk_add_f16 v25, v7, v27
	v_pk_add_f16 v2, v2, v14
	v_pk_max_f16 v14, v94, v94
	v_pk_min_f16 v105, v24, v25
	v_pk_min_f16 v14, v14, v151
	v_pk_add_f16 v24, v1, v27
	ds_write_b16 v122, v127
	ds_write_b16 v123, v128
	ds_write_b16 v123, v129 offset:512
	ds_write_b16 v123, v130 offset:1024
	;; [unrolled: 1-line block ×3, first 2 shown]
	v_pk_min_f16 v103, v14, v24
	v_pk_max_f16 v24, v102, v102
	v_pk_add_f16 v14, v3, v27
	v_pk_min_f16 v24, v24, v26
	s_waitcnt lgkmcnt(0)
	v_pk_min_f16 v102, v24, v14
	v_pk_max_f16 v24, v101, v101
	v_pk_add_f16 v14, v17, v29
	v_pk_min_f16 v24, v24, v152
	s_barrier
	v_pk_min_f16 v101, v24, v14
	v_pk_max_f16 v24, v100, v100
	v_pk_add_f16 v14, v19, v29
	v_pk_min_f16 v24, v24, v153
	s_nop 0
	v_pk_min_f16 v100, v24, v14
	v_pk_max_f16 v24, v99, v99
	v_pk_add_f16 v14, v9, v29
	v_pk_min_f16 v24, v24, v154
	s_nop 0
	;; [unrolled: 5-line block ×22, first 2 shown]
	v_pk_min_f16 v78, v24, v14
	v_pk_add_f16 v14, v3, v21
	v_pk_max_f16 v21, v134, v134
	s_nop 0
	v_pk_min_f16 v20, v21, v20
	s_nop 0
	v_pk_min_f16 v77, v20, v14
	v_pk_max_f16 v20, v76, v76
	v_pk_add_f16 v14, v17, v23
	v_pk_min_f16 v20, v20, v173
	s_nop 0
	v_pk_min_f16 v76, v20, v14
	v_pk_max_f16 v20, v75, v75
	v_pk_add_f16 v14, v19, v23
	;; [unrolled: 5-line block ×11, first 2 shown]
	v_pk_min_f16 v20, v20, v46
	v_pk_add_f16 v9, v9, v15
	v_pk_min_f16 v66, v20, v14
	v_pk_max_f16 v20, v65, v65
	v_pk_add_f16 v14, v11, v13
	v_pk_min_f16 v20, v20, v47
	s_nop 0
	v_pk_min_f16 v65, v20, v14
	v_pk_max_f16 v20, v64, v64
	v_pk_add_f16 v14, v5, v13
	v_pk_min_f16 v20, v20, v53
	v_pk_add_f16 v5, v5, v15
	v_pk_min_f16 v64, v20, v14
	v_pk_max_f16 v20, v63, v63
	v_pk_add_f16 v14, v7, v13
	v_pk_min_f16 v20, v20, v54
	s_nop 0
	v_pk_min_f16 v63, v20, v14
	v_pk_max_f16 v20, v62, v62
	v_pk_add_f16 v14, v1, v13
	;; [unrolled: 10-line block ×3, first 2 shown]
	v_pk_min_f16 v13, v13, v16
	s_nop 0
	v_pk_min_f16 v60, v13, v12
	v_pk_max_f16 v13, v138, v138
	v_pk_add_f16 v12, v19, v15
	v_pk_min_f16 v13, v13, v18
	s_nop 0
	v_pk_min_f16 v59, v13, v12
	v_pk_max_f16 v12, v139, v139
	s_nop 0
	v_pk_min_f16 v8, v12, v8
	s_nop 0
	v_pk_min_f16 v58, v8, v9
	v_pk_max_f16 v9, v140, v140
	v_pk_add_f16 v8, v11, v15
	v_pk_min_f16 v9, v9, v10
	s_nop 0
	v_pk_min_f16 v57, v9, v8
	v_pk_max_f16 v8, v141, v141
	s_nop 0
	v_pk_min_f16 v4, v8, v4
	s_nop 0
	v_pk_min_f16 v55, v4, v5
	v_pk_max_f16 v5, v142, v142
	v_pk_add_f16 v4, v7, v15
	v_pk_min_f16 v5, v5, v6
	s_nop 0
	v_pk_min_f16 v54, v5, v4
	v_pk_max_f16 v4, v143, v143
	s_nop 0
	v_pk_min_f16 v0, v4, v0
	s_nop 0
	v_pk_min_f16 v53, v0, v1
	v_pk_max_f16 v1, v144, v144
	v_pk_add_f16 v0, v3, v15
	v_pk_min_f16 v1, v1, v2
	s_nop 0
	v_pk_min_f16 v56, v1, v0
	s_cbranch_scc1 .LBB273_58
.LBB273_34:                             ; =>This Inner Loop Header: Depth=1
	v_add_u32_e32 v46, s36, v51
	v_add_u32_e32 v0, 8, v46
	v_cmp_le_i32_e64 s[14:15], s26, v0
	s_or_b64 s[16:17], s[4:5], s[14:15]
	s_nor_b64 s[2:3], vcc, s[16:17]
                                        ; implicit-def: $vgpr47
	s_and_saveexec_b64 s[40:41], s[2:3]
	s_xor_b64 s[2:3], exec, s[40:41]
	s_cbranch_execz .LBB273_36
; %bb.35:                               ;   in Loop: Header=BB273_34 Depth=1
	v_lshl_add_u64 v[2:3], v[40:41], 0, v[44:45]
	global_load_ushort v1, v[2:3], off
	s_waitcnt vmcnt(0)
	v_mul_f16_e32 v47, v50, v1
.LBB273_36:                             ;   in Loop: Header=BB273_34 Depth=1
	s_andn2_saveexec_b64 s[2:3], s[2:3]
; %bb.37:                               ;   in Loop: Header=BB273_34 Depth=1
	v_cndmask_b32_e64 v47, 0, v126, s[16:17]
; %bb.38:                               ;   in Loop: Header=BB273_34 Depth=1
	s_or_b64 exec, exec, s[2:3]
	v_min_i32_e32 v0, s39, v0
	v_mad_i64_i32 v[0:1], s[2:3], v0, s27, 0
	s_or_b64 s[2:3], s[6:7], s[14:15]
	v_lshl_add_u64 v[0:1], v[0:1], 1, s[30:31]
	v_cndmask_b32_e64 v127, 0, v126, s[2:3]
	s_nor_b64 s[16:17], vcc, s[2:3]
	s_and_saveexec_b64 s[2:3], s[16:17]
	s_cbranch_execz .LBB273_40
; %bb.39:                               ;   in Loop: Header=BB273_34 Depth=1
	v_lshl_add_u64 v[2:3], v[32:33], 1, v[0:1]
	global_load_ushort v2, v[2:3], off
	s_waitcnt vmcnt(0)
	v_mul_f16_e32 v127, v50, v2
.LBB273_40:                             ;   in Loop: Header=BB273_34 Depth=1
	s_or_b64 exec, exec, s[2:3]
	s_or_b64 s[2:3], s[8:9], s[14:15]
	v_cndmask_b32_e64 v128, 0, v126, s[2:3]
	s_nor_b64 s[16:17], s[2:3], vcc
	s_and_saveexec_b64 s[2:3], s[16:17]
	s_cbranch_execz .LBB273_42
; %bb.41:                               ;   in Loop: Header=BB273_34 Depth=1
	v_lshl_add_u64 v[2:3], v[34:35], 1, v[0:1]
	global_load_ushort v2, v[2:3], off
	s_waitcnt vmcnt(0)
	v_mul_f16_e32 v128, v50, v2
.LBB273_42:                             ;   in Loop: Header=BB273_34 Depth=1
	s_or_b64 exec, exec, s[2:3]
	s_or_b64 s[2:3], s[10:11], s[14:15]
	v_cndmask_b32_e64 v129, 0, v126, s[2:3]
	s_nor_b64 s[16:17], s[2:3], vcc
	;; [unrolled: 12-line block ×3, first 2 shown]
	s_and_saveexec_b64 s[2:3], s[14:15]
	s_cbranch_execz .LBB273_46
; %bb.45:                               ;   in Loop: Header=BB273_34 Depth=1
	v_lshl_add_u64 v[0:1], v[38:39], 1, v[0:1]
	global_load_ushort v0, v[0:1], off
	s_waitcnt vmcnt(0)
	v_mul_f16_e32 v130, v50, v0
.LBB273_46:                             ;   in Loop: Header=BB273_34 Depth=1
	s_or_b64 exec, exec, s[2:3]
	ds_read2_b64 v[12:15], v124 offset1:8
	ds_read2_b64 v[8:11], v124 offset0:16 offset1:24
	ds_read2_b64 v[4:7], v124 offset0:32 offset1:40
	;; [unrolled: 1-line block ×3, first 2 shown]
	ds_read2_b64 v[28:31], v125 offset1:32
	ds_read2_b64 v[24:27], v125 offset0:64 offset1:96
	ds_read2_b64 v[20:23], v125 offset0:128 offset1:160
	;; [unrolled: 1-line block ×3, first 2 shown]
	v_add_u32_e32 v46, 12, v46
	v_cmp_le_i32_e64 s[14:15], s26, v46
	s_or_b64 s[16:17], s[4:5], s[14:15]
	s_nor_b64 s[2:3], vcc, s[16:17]
	ds_write_b16 v121, v47
	ds_write_b16 v111, v127
	ds_write_b16 v111, v128 offset:512
	ds_write_b16 v111, v129 offset:1024
	;; [unrolled: 1-line block ×3, first 2 shown]
	s_waitcnt lgkmcnt(0)
	s_barrier
                                        ; implicit-def: $vgpr127
	s_and_saveexec_b64 s[40:41], s[2:3]
	s_xor_b64 s[2:3], exec, s[40:41]
	s_cbranch_execz .LBB273_48
; %bb.47:                               ;   in Loop: Header=BB273_34 Depth=1
	v_lshl_add_u64 v[128:129], v[40:41], 0, v[42:43]
	global_load_ushort v47, v[128:129], off
	s_waitcnt vmcnt(0)
	v_mul_f16_e32 v127, v50, v47
.LBB273_48:                             ;   in Loop: Header=BB273_34 Depth=1
	s_andn2_saveexec_b64 s[2:3], s[2:3]
; %bb.49:                               ;   in Loop: Header=BB273_34 Depth=1
	v_cndmask_b32_e64 v127, 0, v126, s[16:17]
; %bb.50:                               ;   in Loop: Header=BB273_34 Depth=1
	s_or_b64 exec, exec, s[2:3]
	v_min_i32_e32 v46, s39, v46
	v_mad_i64_i32 v[46:47], s[2:3], v46, s27, 0
	s_or_b64 s[2:3], s[6:7], s[14:15]
	v_lshl_add_u64 v[46:47], v[46:47], 1, s[30:31]
	v_cndmask_b32_e64 v128, 0, v126, s[2:3]
	s_nor_b64 s[16:17], vcc, s[2:3]
	s_and_saveexec_b64 s[2:3], s[16:17]
	s_cbranch_execz .LBB273_52
; %bb.51:                               ;   in Loop: Header=BB273_34 Depth=1
	v_lshl_add_u64 v[128:129], v[32:33], 1, v[46:47]
	global_load_ushort v128, v[128:129], off
	s_waitcnt vmcnt(0)
	v_mul_f16_e32 v128, v50, v128
.LBB273_52:                             ;   in Loop: Header=BB273_34 Depth=1
	s_or_b64 exec, exec, s[2:3]
	s_or_b64 s[2:3], s[8:9], s[14:15]
	v_cndmask_b32_e64 v129, 0, v126, s[2:3]
	s_nor_b64 s[16:17], s[2:3], vcc
	s_and_saveexec_b64 s[2:3], s[16:17]
	s_cbranch_execz .LBB273_54
; %bb.53:                               ;   in Loop: Header=BB273_34 Depth=1
	v_lshl_add_u64 v[130:131], v[34:35], 1, v[46:47]
	global_load_ushort v129, v[130:131], off
	s_waitcnt vmcnt(0)
	v_mul_f16_e32 v129, v50, v129
.LBB273_54:                             ;   in Loop: Header=BB273_34 Depth=1
	s_or_b64 exec, exec, s[2:3]
	s_or_b64 s[2:3], s[10:11], s[14:15]
	v_cndmask_b32_e64 v130, 0, v126, s[2:3]
	s_nor_b64 s[16:17], s[2:3], vcc
	;; [unrolled: 12-line block ×3, first 2 shown]
	s_and_saveexec_b64 s[2:3], s[14:15]
	s_cbranch_execz .LBB273_33
; %bb.57:                               ;   in Loop: Header=BB273_34 Depth=1
	v_lshl_add_u64 v[46:47], v[38:39], 1, v[46:47]
	global_load_ushort v46, v[46:47], off
	s_waitcnt vmcnt(0)
	v_mul_f16_e32 v131, v50, v46
	s_branch .LBB273_33
.LBB273_58:
	s_load_dwordx2 s[2:3], s[0:1], 0x78
	s_load_dword s30, s[0:1], 0x58
	s_load_dword s29, s[0:1], 0x70
	v_add_u32_e32 v0, 0x1000, v104
	v_add_u32_e32 v4, 0x800, v93
	s_waitcnt lgkmcnt(0)
	s_mul_i32 s1, s3, s28
	s_mul_hi_u32 s3, s2, s28
	s_mul_i32 s0, s2, s28
	s_add_i32 s1, s3, s1
	ds_read2_b64 v[16:19], v0 offset0:64 offset1:72
	ds_read2_b64 v[12:15], v0 offset0:80 offset1:88
	;; [unrolled: 1-line block ×4, first 2 shown]
	ds_read2_b64 v[28:31], v4 offset1:32
	ds_read2_b64 v[24:27], v4 offset0:64 offset1:96
	ds_read2_b64 v[20:23], v4 offset0:128 offset1:160
	;; [unrolled: 1-line block ×3, first 2 shown]
	s_lshl_b64 s[0:1], s[0:1], 1
	s_add_u32 s26, s18, s0
	v_add_u32_e32 v93, s38, v49
	s_addc_u32 s27, s19, s1
	v_mad_i64_i32 v[34:35], s[0:1], v93, s30, 0
	v_add_u32_e32 v32, s33, v48
	v_lshl_add_u64 v[50:51], v[34:35], 1, s[22:23]
	v_mad_i64_i32 v[34:35], s[0:1], v93, s29, 0
	v_cmp_gt_i32_e64 s[4:5], s24, v32
	v_cmp_gt_i32_e64 s[18:19], s25, v93
	v_lshl_add_u64 v[48:49], v[34:35], 1, s[26:27]
	v_cndmask_b32_e64 v34, 0, 1, s[20:21]
	v_ashrrev_i32_e32 v33, 31, v32
	s_and_b64 s[6:7], s[4:5], s[18:19]
	v_cmp_ne_u32_e64 s[0:1], 1, v34
	s_and_saveexec_b64 s[2:3], s[6:7]
	s_cbranch_execz .LBB273_63
; %bb.59:
	s_and_b64 vcc, exec, s[0:1]
	s_cbranch_vccnz .LBB273_61
; %bb.60:
	v_lshl_add_u64 v[34:35], v[32:33], 1, v[50:51]
	global_load_ushort v34, v[34:35], off
	s_waitcnt vmcnt(0)
	v_mul_f16_e32 v34, v52, v34
	v_cvt_f32_f16_e32 v34, v34
	s_branch .LBB273_62
.LBB273_61:
	v_mov_b32_e32 v34, 0
.LBB273_62:
	s_waitcnt lgkmcnt(3)
	v_pk_add_f16 v35, v16, v28
	v_max_f16_e32 v36, v120, v120
	v_pk_add_f16 v38, v17, v29
	v_min_f16_e32 v36, v36, v35
	v_lshrrev_b32_e32 v37, 16, v120
	v_lshrrev_b32_e32 v35, 16, v35
	v_lshrrev_b32_e32 v39, 16, v38
	v_min3_f16 v35, v37, v35, v39
	v_min3_f16 v35, v36, v38, v35
	v_cvt_f32_f16_e32 v35, v35
	v_max_f32_e32 v34, v34, v34
	v_min_f32_e32 v34, v34, v35
	v_cvt_f16_f32_e32 v36, v34
	v_lshl_add_u64 v[34:35], v[32:33], 1, v[48:49]
	global_store_short v[34:35], v36, off
.LBB273_63:
	s_or_b64 exec, exec, s[2:3]
	v_add_u32_e32 v34, 8, v32
	v_cmp_gt_i32_e64 s[2:3], s24, v34
	v_ashrrev_i32_e32 v35, 31, v34
	s_and_b64 s[8:9], s[2:3], s[18:19]
	s_and_saveexec_b64 s[6:7], s[8:9]
	s_cbranch_execz .LBB273_68
; %bb.64:
	s_and_b64 vcc, exec, s[0:1]
	s_cbranch_vccnz .LBB273_66
; %bb.65:
	v_lshl_add_u64 v[36:37], v[34:35], 1, v[50:51]
	global_load_ushort v36, v[36:37], off
	s_waitcnt vmcnt(0)
	v_mul_f16_e32 v36, v52, v36
	v_cvt_f32_f16_e32 v36, v36
	s_branch .LBB273_67
.LBB273_66:
	v_mov_b32_e32 v36, 0
.LBB273_67:
	s_waitcnt lgkmcnt(3)
	v_pk_add_f16 v37, v18, v28
	v_max_f16_e32 v38, v119, v119
	v_pk_add_f16 v40, v19, v29
	v_min_f16_e32 v38, v38, v37
	v_lshrrev_b32_e32 v39, 16, v119
	v_lshrrev_b32_e32 v37, 16, v37
	v_lshrrev_b32_e32 v41, 16, v40
	v_min3_f16 v37, v39, v37, v41
	v_min3_f16 v37, v38, v40, v37
	v_cvt_f32_f16_e32 v37, v37
	v_max_f32_e32 v36, v36, v36
	v_min_f32_e32 v36, v36, v37
	v_cvt_f16_f32_e32 v38, v36
	v_lshl_add_u64 v[36:37], v[34:35], 1, v[48:49]
	global_store_short v[36:37], v38, off
.LBB273_68:
	s_or_b64 exec, exec, s[6:7]
	v_add_u32_e32 v36, 16, v32
	v_cmp_gt_i32_e64 s[6:7], s24, v36
	v_ashrrev_i32_e32 v37, 31, v36
	s_and_b64 s[10:11], s[6:7], s[18:19]
	;; [unrolled: 37-line block ×7, first 2 shown]
	s_and_saveexec_b64 s[18:19], s[20:21]
	s_cbranch_execz .LBB273_98
; %bb.94:
	s_and_b64 vcc, exec, s[0:1]
	s_cbranch_vccnz .LBB273_96
; %bb.95:
	v_lshl_add_u64 v[50:51], v[46:47], 1, v[50:51]
	global_load_ushort v50, v[50:51], off
	s_waitcnt vmcnt(0)
	v_mul_f16_e32 v50, v52, v50
	v_cvt_f32_f16_e32 v50, v50
	s_branch .LBB273_97
.LBB273_96:
	v_mov_b32_e32 v50, 0
.LBB273_97:
	s_waitcnt lgkmcnt(3)
	v_pk_add_f16 v28, v2, v28
	v_max_f16_e32 v51, v113, v113
	v_pk_add_f16 v29, v3, v29
	v_min_f16_e32 v51, v51, v28
	v_lshrrev_b32_e32 v104, 16, v113
	v_lshrrev_b32_e32 v28, 16, v28
	;; [unrolled: 1-line block ×3, first 2 shown]
	v_min3_f16 v28, v104, v28, v111
	v_min3_f16 v28, v51, v29, v28
	v_cvt_f32_f16_e32 v28, v28
	v_max_f32_e32 v29, v50, v50
	v_min_f32_e32 v28, v29, v28
	v_cvt_f16_f32_e32 v50, v28
	v_lshl_add_u64 v[28:29], v[46:47], 1, v[48:49]
	global_store_short v[28:29], v50, off
.LBB273_98:
	s_or_b64 exec, exec, s[18:19]
	v_add_u32_e32 v50, 32, v93
	s_waitcnt lgkmcnt(3)
	v_mad_i64_i32 v[28:29], s[20:21], v50, s30, 0
	v_cmp_gt_i32_e64 s[18:19], s25, v50
	v_lshl_add_u64 v[48:49], v[28:29], 1, s[22:23]
	v_mad_i64_i32 v[28:29], s[20:21], v50, s29, 0
	v_lshl_add_u64 v[28:29], v[28:29], 1, s[26:27]
	s_and_b64 s[34:35], s[4:5], s[18:19]
	s_and_saveexec_b64 s[20:21], s[34:35]
	s_cbranch_execnz .LBB273_106
; %bb.99:
	s_or_b64 exec, exec, s[20:21]
	s_and_b64 s[34:35], s[2:3], s[18:19]
	s_and_saveexec_b64 s[20:21], s[34:35]
	s_cbranch_execnz .LBB273_110
.LBB273_100:
	s_or_b64 exec, exec, s[20:21]
	s_and_b64 s[34:35], s[6:7], s[18:19]
	s_and_saveexec_b64 s[20:21], s[34:35]
	s_cbranch_execnz .LBB273_114
.LBB273_101:
	s_or_b64 exec, exec, s[20:21]
	s_and_b64 s[34:35], s[8:9], s[18:19]
	s_and_saveexec_b64 s[20:21], s[34:35]
	s_cbranch_execnz .LBB273_118
.LBB273_102:
	s_or_b64 exec, exec, s[20:21]
	s_and_b64 s[34:35], s[10:11], s[18:19]
	s_and_saveexec_b64 s[20:21], s[34:35]
	s_cbranch_execnz .LBB273_122
.LBB273_103:
	s_or_b64 exec, exec, s[20:21]
	s_and_b64 s[34:35], s[12:13], s[18:19]
	s_and_saveexec_b64 s[20:21], s[34:35]
	s_cbranch_execnz .LBB273_126
.LBB273_104:
	s_or_b64 exec, exec, s[20:21]
	s_and_b64 s[34:35], s[14:15], s[18:19]
	s_and_saveexec_b64 s[20:21], s[34:35]
	s_cbranch_execnz .LBB273_130
.LBB273_105:
	s_or_b64 exec, exec, s[20:21]
	s_and_b64 s[20:21], s[16:17], s[18:19]
	s_and_saveexec_b64 s[18:19], s[20:21]
	s_cbranch_execnz .LBB273_134
	s_branch .LBB273_138
.LBB273_106:
	s_and_b64 vcc, exec, s[0:1]
	s_cbranch_vccnz .LBB273_108
; %bb.107:
	v_lshl_add_u64 v[50:51], v[32:33], 1, v[48:49]
	global_load_ushort v50, v[50:51], off
	s_waitcnt vmcnt(0)
	v_mul_f16_e32 v50, v52, v50
	v_cvt_f32_f16_e32 v50, v50
	s_branch .LBB273_109
.LBB273_108:
	v_mov_b32_e32 v50, 0
.LBB273_109:
	v_pk_add_f16 v51, v16, v30
	v_max_f16_e32 v104, v110, v110
	v_pk_add_f16 v111, v17, v31
	v_min_f16_e32 v104, v104, v51
	v_lshrrev_b32_e32 v110, 16, v110
	v_lshrrev_b32_e32 v51, 16, v51
	;; [unrolled: 1-line block ×3, first 2 shown]
	v_min3_f16 v51, v110, v51, v112
	v_min3_f16 v51, v104, v111, v51
	v_cvt_f32_f16_e32 v51, v51
	v_max_f32_e32 v50, v50, v50
	v_min_f32_e32 v50, v50, v51
	v_cvt_f16_f32_e32 v104, v50
	v_lshl_add_u64 v[50:51], v[32:33], 1, v[28:29]
	global_store_short v[50:51], v104, off
	s_or_b64 exec, exec, s[20:21]
	s_and_b64 s[34:35], s[2:3], s[18:19]
	s_and_saveexec_b64 s[20:21], s[34:35]
	s_cbranch_execz .LBB273_100
.LBB273_110:
	s_and_b64 vcc, exec, s[0:1]
	s_cbranch_vccnz .LBB273_112
; %bb.111:
	v_lshl_add_u64 v[50:51], v[34:35], 1, v[48:49]
	global_load_ushort v50, v[50:51], off
	s_waitcnt vmcnt(0)
	v_mul_f16_e32 v50, v52, v50
	v_cvt_f32_f16_e32 v50, v50
	s_branch .LBB273_113
.LBB273_112:
	v_mov_b32_e32 v50, 0
.LBB273_113:
	v_pk_add_f16 v51, v18, v30
	v_max_f16_e32 v104, v109, v109
	v_pk_add_f16 v110, v19, v31
	v_min_f16_e32 v104, v104, v51
	v_lshrrev_b32_e32 v109, 16, v109
	v_lshrrev_b32_e32 v51, 16, v51
	;; [unrolled: 1-line block ×3, first 2 shown]
	v_min3_f16 v51, v109, v51, v111
	v_min3_f16 v51, v104, v110, v51
	v_cvt_f32_f16_e32 v51, v51
	v_max_f32_e32 v50, v50, v50
	v_min_f32_e32 v50, v50, v51
	v_cvt_f16_f32_e32 v104, v50
	v_lshl_add_u64 v[50:51], v[34:35], 1, v[28:29]
	global_store_short v[50:51], v104, off
	s_or_b64 exec, exec, s[20:21]
	s_and_b64 s[34:35], s[6:7], s[18:19]
	s_and_saveexec_b64 s[20:21], s[34:35]
	s_cbranch_execz .LBB273_101
.LBB273_114:
	s_and_b64 vcc, exec, s[0:1]
	s_cbranch_vccnz .LBB273_116
; %bb.115:
	v_lshl_add_u64 v[50:51], v[36:37], 1, v[48:49]
	global_load_ushort v50, v[50:51], off
	s_waitcnt vmcnt(0)
	v_mul_f16_e32 v50, v52, v50
	v_cvt_f32_f16_e32 v50, v50
	s_branch .LBB273_117
.LBB273_116:
	v_mov_b32_e32 v50, 0
.LBB273_117:
	v_pk_add_f16 v51, v12, v30
	v_max_f16_e32 v104, v108, v108
	v_pk_add_f16 v109, v13, v31
	v_min_f16_e32 v104, v104, v51
	v_lshrrev_b32_e32 v108, 16, v108
	v_lshrrev_b32_e32 v51, 16, v51
	;; [unrolled: 1-line block ×3, first 2 shown]
	v_min3_f16 v51, v108, v51, v110
	v_min3_f16 v51, v104, v109, v51
	v_cvt_f32_f16_e32 v51, v51
	v_max_f32_e32 v50, v50, v50
	v_min_f32_e32 v50, v50, v51
	v_cvt_f16_f32_e32 v104, v50
	v_lshl_add_u64 v[50:51], v[36:37], 1, v[28:29]
	global_store_short v[50:51], v104, off
	s_or_b64 exec, exec, s[20:21]
	s_and_b64 s[34:35], s[8:9], s[18:19]
	s_and_saveexec_b64 s[20:21], s[34:35]
	s_cbranch_execz .LBB273_102
.LBB273_118:
	s_and_b64 vcc, exec, s[0:1]
	s_cbranch_vccnz .LBB273_120
; %bb.119:
	v_lshl_add_u64 v[50:51], v[38:39], 1, v[48:49]
	global_load_ushort v50, v[50:51], off
	s_waitcnt vmcnt(0)
	v_mul_f16_e32 v50, v52, v50
	v_cvt_f32_f16_e32 v50, v50
	s_branch .LBB273_121
.LBB273_120:
	v_mov_b32_e32 v50, 0
.LBB273_121:
	v_pk_add_f16 v51, v14, v30
	v_max_f16_e32 v104, v107, v107
	v_pk_add_f16 v108, v15, v31
	v_min_f16_e32 v104, v104, v51
	v_lshrrev_b32_e32 v107, 16, v107
	v_lshrrev_b32_e32 v51, 16, v51
	;; [unrolled: 1-line block ×3, first 2 shown]
	v_min3_f16 v51, v107, v51, v109
	v_min3_f16 v51, v104, v108, v51
	v_cvt_f32_f16_e32 v51, v51
	v_max_f32_e32 v50, v50, v50
	v_min_f32_e32 v50, v50, v51
	v_cvt_f16_f32_e32 v104, v50
	v_lshl_add_u64 v[50:51], v[38:39], 1, v[28:29]
	global_store_short v[50:51], v104, off
	s_or_b64 exec, exec, s[20:21]
	s_and_b64 s[34:35], s[10:11], s[18:19]
	s_and_saveexec_b64 s[20:21], s[34:35]
	s_cbranch_execz .LBB273_103
.LBB273_122:
	s_and_b64 vcc, exec, s[0:1]
	s_cbranch_vccnz .LBB273_124
; %bb.123:
	v_lshl_add_u64 v[50:51], v[40:41], 1, v[48:49]
	global_load_ushort v50, v[50:51], off
	s_waitcnt vmcnt(0)
	v_mul_f16_e32 v50, v52, v50
	v_cvt_f32_f16_e32 v50, v50
	s_branch .LBB273_125
.LBB273_124:
	v_mov_b32_e32 v50, 0
.LBB273_125:
	v_pk_add_f16 v51, v8, v30
	v_max_f16_e32 v104, v106, v106
	v_pk_add_f16 v107, v9, v31
	v_min_f16_e32 v104, v104, v51
	v_lshrrev_b32_e32 v106, 16, v106
	v_lshrrev_b32_e32 v51, 16, v51
	;; [unrolled: 1-line block ×3, first 2 shown]
	v_min3_f16 v51, v106, v51, v108
	v_min3_f16 v51, v104, v107, v51
	v_cvt_f32_f16_e32 v51, v51
	v_max_f32_e32 v50, v50, v50
	v_min_f32_e32 v50, v50, v51
	v_cvt_f16_f32_e32 v104, v50
	v_lshl_add_u64 v[50:51], v[40:41], 1, v[28:29]
	global_store_short v[50:51], v104, off
	s_or_b64 exec, exec, s[20:21]
	s_and_b64 s[34:35], s[12:13], s[18:19]
	s_and_saveexec_b64 s[20:21], s[34:35]
	s_cbranch_execz .LBB273_104
.LBB273_126:
	s_and_b64 vcc, exec, s[0:1]
	s_cbranch_vccnz .LBB273_128
; %bb.127:
	v_lshl_add_u64 v[50:51], v[42:43], 1, v[48:49]
	global_load_ushort v50, v[50:51], off
	s_waitcnt vmcnt(0)
	v_mul_f16_e32 v50, v52, v50
	v_cvt_f32_f16_e32 v50, v50
	s_branch .LBB273_129
.LBB273_128:
	v_mov_b32_e32 v50, 0
.LBB273_129:
	v_pk_add_f16 v51, v10, v30
	v_max_f16_e32 v104, v105, v105
	v_pk_add_f16 v106, v11, v31
	v_min_f16_e32 v104, v104, v51
	v_lshrrev_b32_e32 v105, 16, v105
	v_lshrrev_b32_e32 v51, 16, v51
	;; [unrolled: 1-line block ×3, first 2 shown]
	v_min3_f16 v51, v105, v51, v107
	v_min3_f16 v51, v104, v106, v51
	v_cvt_f32_f16_e32 v51, v51
	v_max_f32_e32 v50, v50, v50
	v_min_f32_e32 v50, v50, v51
	v_cvt_f16_f32_e32 v104, v50
	v_lshl_add_u64 v[50:51], v[42:43], 1, v[28:29]
	global_store_short v[50:51], v104, off
	s_or_b64 exec, exec, s[20:21]
	s_and_b64 s[34:35], s[14:15], s[18:19]
	s_and_saveexec_b64 s[20:21], s[34:35]
	s_cbranch_execz .LBB273_105
.LBB273_130:
	s_and_b64 vcc, exec, s[0:1]
	s_cbranch_vccnz .LBB273_132
; %bb.131:
	v_lshl_add_u64 v[50:51], v[44:45], 1, v[48:49]
	global_load_ushort v50, v[50:51], off
	s_waitcnt vmcnt(0)
	v_mul_f16_e32 v50, v52, v50
	v_cvt_f32_f16_e32 v50, v50
	s_branch .LBB273_133
.LBB273_132:
	v_mov_b32_e32 v50, 0
.LBB273_133:
	v_pk_add_f16 v51, v0, v30
	v_max_f16_e32 v104, v103, v103
	v_pk_add_f16 v105, v1, v31
	v_min_f16_e32 v104, v104, v51
	v_lshrrev_b32_e32 v103, 16, v103
	v_lshrrev_b32_e32 v51, 16, v51
	;; [unrolled: 1-line block ×3, first 2 shown]
	v_min3_f16 v51, v103, v51, v106
	v_min3_f16 v51, v104, v105, v51
	v_cvt_f32_f16_e32 v51, v51
	v_max_f32_e32 v50, v50, v50
	v_min_f32_e32 v50, v50, v51
	v_cvt_f16_f32_e32 v103, v50
	v_lshl_add_u64 v[50:51], v[44:45], 1, v[28:29]
	global_store_short v[50:51], v103, off
	s_or_b64 exec, exec, s[20:21]
	s_and_b64 s[20:21], s[16:17], s[18:19]
	s_and_saveexec_b64 s[18:19], s[20:21]
	s_cbranch_execz .LBB273_138
.LBB273_134:
	s_and_b64 vcc, exec, s[0:1]
	s_cbranch_vccnz .LBB273_136
; %bb.135:
	v_lshl_add_u64 v[48:49], v[46:47], 1, v[48:49]
	global_load_ushort v48, v[48:49], off
	s_waitcnt vmcnt(0)
	v_mul_f16_e32 v48, v52, v48
	v_cvt_f32_f16_e32 v48, v48
	s_branch .LBB273_137
.LBB273_136:
	v_mov_b32_e32 v48, 0
.LBB273_137:
	v_pk_add_f16 v30, v2, v30
	v_max_f16_e32 v49, v102, v102
	v_pk_add_f16 v31, v3, v31
	v_min_f16_e32 v49, v49, v30
	v_lshrrev_b32_e32 v50, 16, v102
	v_lshrrev_b32_e32 v30, 16, v30
	;; [unrolled: 1-line block ×3, first 2 shown]
	v_min3_f16 v30, v50, v30, v51
	v_min3_f16 v30, v49, v31, v30
	v_cvt_f32_f16_e32 v30, v30
	v_max_f32_e32 v31, v48, v48
	v_lshl_add_u64 v[28:29], v[46:47], 1, v[28:29]
	v_min_f32_e32 v30, v31, v30
	v_cvt_f16_f32_e32 v30, v30
	global_store_short v[28:29], v30, off
.LBB273_138:
	s_or_b64 exec, exec, s[18:19]
	v_add_u32_e32 v48, 64, v93
	v_mad_i64_i32 v[28:29], s[20:21], v48, s30, 0
	v_cmp_gt_i32_e64 s[18:19], s25, v48
	v_lshl_add_u64 v[30:31], v[28:29], 1, s[22:23]
	v_mad_i64_i32 v[28:29], s[20:21], v48, s29, 0
	v_lshl_add_u64 v[28:29], v[28:29], 1, s[26:27]
	s_and_b64 s[34:35], s[4:5], s[18:19]
	s_and_saveexec_b64 s[20:21], s[34:35]
	s_cbranch_execnz .LBB273_146
; %bb.139:
	s_or_b64 exec, exec, s[20:21]
	s_and_b64 s[34:35], s[2:3], s[18:19]
	s_and_saveexec_b64 s[20:21], s[34:35]
	s_cbranch_execnz .LBB273_150
.LBB273_140:
	s_or_b64 exec, exec, s[20:21]
	s_and_b64 s[34:35], s[6:7], s[18:19]
	s_and_saveexec_b64 s[20:21], s[34:35]
	s_cbranch_execnz .LBB273_154
.LBB273_141:
	s_or_b64 exec, exec, s[20:21]
	s_and_b64 s[34:35], s[8:9], s[18:19]
	s_and_saveexec_b64 s[20:21], s[34:35]
	s_cbranch_execnz .LBB273_158
.LBB273_142:
	s_or_b64 exec, exec, s[20:21]
	s_and_b64 s[34:35], s[10:11], s[18:19]
	s_and_saveexec_b64 s[20:21], s[34:35]
	s_cbranch_execnz .LBB273_162
.LBB273_143:
	s_or_b64 exec, exec, s[20:21]
	s_and_b64 s[34:35], s[12:13], s[18:19]
	s_and_saveexec_b64 s[20:21], s[34:35]
	s_cbranch_execnz .LBB273_166
.LBB273_144:
	s_or_b64 exec, exec, s[20:21]
	s_and_b64 s[34:35], s[14:15], s[18:19]
	s_and_saveexec_b64 s[20:21], s[34:35]
	s_cbranch_execnz .LBB273_170
.LBB273_145:
	s_or_b64 exec, exec, s[20:21]
	s_and_b64 s[20:21], s[16:17], s[18:19]
	s_and_saveexec_b64 s[18:19], s[20:21]
	s_cbranch_execnz .LBB273_174
	s_branch .LBB273_178
.LBB273_146:
	s_and_b64 vcc, exec, s[0:1]
	s_cbranch_vccnz .LBB273_148
; %bb.147:
	v_lshl_add_u64 v[48:49], v[32:33], 1, v[30:31]
	global_load_ushort v48, v[48:49], off
	s_waitcnt vmcnt(0)
	v_mul_f16_e32 v48, v52, v48
	v_cvt_f32_f16_e32 v48, v48
	s_branch .LBB273_149
.LBB273_148:
	v_mov_b32_e32 v48, 0
.LBB273_149:
	s_waitcnt lgkmcnt(2)
	v_pk_add_f16 v49, v16, v24
	v_max_f16_e32 v50, v101, v101
	v_lshrrev_b32_e32 v51, 16, v101
	v_pk_add_f16 v101, v17, v25
	v_min_f16_e32 v50, v50, v49
	v_lshrrev_b32_e32 v49, 16, v49
	v_lshrrev_b32_e32 v102, 16, v101
	v_min3_f16 v49, v51, v49, v102
	v_min3_f16 v49, v50, v101, v49
	v_cvt_f32_f16_e32 v49, v49
	v_max_f32_e32 v48, v48, v48
	v_min_f32_e32 v48, v48, v49
	v_cvt_f16_f32_e32 v50, v48
	v_lshl_add_u64 v[48:49], v[32:33], 1, v[28:29]
	global_store_short v[48:49], v50, off
	s_or_b64 exec, exec, s[20:21]
	s_and_b64 s[34:35], s[2:3], s[18:19]
	s_and_saveexec_b64 s[20:21], s[34:35]
	s_cbranch_execz .LBB273_140
.LBB273_150:
	s_and_b64 vcc, exec, s[0:1]
	s_cbranch_vccnz .LBB273_152
; %bb.151:
	v_lshl_add_u64 v[48:49], v[34:35], 1, v[30:31]
	global_load_ushort v48, v[48:49], off
	s_waitcnt vmcnt(0)
	v_mul_f16_e32 v48, v52, v48
	v_cvt_f32_f16_e32 v48, v48
	s_branch .LBB273_153
.LBB273_152:
	v_mov_b32_e32 v48, 0
.LBB273_153:
	s_waitcnt lgkmcnt(2)
	v_pk_add_f16 v49, v18, v24
	v_max_f16_e32 v50, v100, v100
	v_lshrrev_b32_e32 v51, 16, v100
	v_pk_add_f16 v100, v19, v25
	v_min_f16_e32 v50, v50, v49
	v_lshrrev_b32_e32 v49, 16, v49
	v_lshrrev_b32_e32 v101, 16, v100
	v_min3_f16 v49, v51, v49, v101
	v_min3_f16 v49, v50, v100, v49
	v_cvt_f32_f16_e32 v49, v49
	v_max_f32_e32 v48, v48, v48
	v_min_f32_e32 v48, v48, v49
	v_cvt_f16_f32_e32 v50, v48
	v_lshl_add_u64 v[48:49], v[34:35], 1, v[28:29]
	global_store_short v[48:49], v50, off
	s_or_b64 exec, exec, s[20:21]
	s_and_b64 s[34:35], s[6:7], s[18:19]
	s_and_saveexec_b64 s[20:21], s[34:35]
	s_cbranch_execz .LBB273_141
.LBB273_154:
	s_and_b64 vcc, exec, s[0:1]
	s_cbranch_vccnz .LBB273_156
; %bb.155:
	v_lshl_add_u64 v[48:49], v[36:37], 1, v[30:31]
	global_load_ushort v48, v[48:49], off
	s_waitcnt vmcnt(0)
	v_mul_f16_e32 v48, v52, v48
	v_cvt_f32_f16_e32 v48, v48
	s_branch .LBB273_157
.LBB273_156:
	v_mov_b32_e32 v48, 0
.LBB273_157:
	s_waitcnt lgkmcnt(2)
	v_pk_add_f16 v49, v12, v24
	v_max_f16_e32 v50, v99, v99
	v_lshrrev_b32_e32 v51, 16, v99
	v_pk_add_f16 v99, v13, v25
	v_min_f16_e32 v50, v50, v49
	v_lshrrev_b32_e32 v49, 16, v49
	v_lshrrev_b32_e32 v100, 16, v99
	v_min3_f16 v49, v51, v49, v100
	v_min3_f16 v49, v50, v99, v49
	v_cvt_f32_f16_e32 v49, v49
	v_max_f32_e32 v48, v48, v48
	v_min_f32_e32 v48, v48, v49
	v_cvt_f16_f32_e32 v50, v48
	v_lshl_add_u64 v[48:49], v[36:37], 1, v[28:29]
	global_store_short v[48:49], v50, off
	s_or_b64 exec, exec, s[20:21]
	s_and_b64 s[34:35], s[8:9], s[18:19]
	s_and_saveexec_b64 s[20:21], s[34:35]
	s_cbranch_execz .LBB273_142
.LBB273_158:
	s_and_b64 vcc, exec, s[0:1]
	s_cbranch_vccnz .LBB273_160
; %bb.159:
	v_lshl_add_u64 v[48:49], v[38:39], 1, v[30:31]
	global_load_ushort v48, v[48:49], off
	s_waitcnt vmcnt(0)
	v_mul_f16_e32 v48, v52, v48
	v_cvt_f32_f16_e32 v48, v48
	s_branch .LBB273_161
.LBB273_160:
	v_mov_b32_e32 v48, 0
.LBB273_161:
	s_waitcnt lgkmcnt(2)
	v_pk_add_f16 v49, v14, v24
	v_max_f16_e32 v50, v98, v98
	v_lshrrev_b32_e32 v51, 16, v98
	v_pk_add_f16 v98, v15, v25
	v_min_f16_e32 v50, v50, v49
	v_lshrrev_b32_e32 v49, 16, v49
	v_lshrrev_b32_e32 v99, 16, v98
	v_min3_f16 v49, v51, v49, v99
	v_min3_f16 v49, v50, v98, v49
	v_cvt_f32_f16_e32 v49, v49
	v_max_f32_e32 v48, v48, v48
	v_min_f32_e32 v48, v48, v49
	v_cvt_f16_f32_e32 v50, v48
	v_lshl_add_u64 v[48:49], v[38:39], 1, v[28:29]
	global_store_short v[48:49], v50, off
	s_or_b64 exec, exec, s[20:21]
	s_and_b64 s[34:35], s[10:11], s[18:19]
	s_and_saveexec_b64 s[20:21], s[34:35]
	s_cbranch_execz .LBB273_143
.LBB273_162:
	s_and_b64 vcc, exec, s[0:1]
	s_cbranch_vccnz .LBB273_164
; %bb.163:
	v_lshl_add_u64 v[48:49], v[40:41], 1, v[30:31]
	global_load_ushort v48, v[48:49], off
	s_waitcnt vmcnt(0)
	v_mul_f16_e32 v48, v52, v48
	v_cvt_f32_f16_e32 v48, v48
	s_branch .LBB273_165
.LBB273_164:
	v_mov_b32_e32 v48, 0
.LBB273_165:
	s_waitcnt lgkmcnt(2)
	v_pk_add_f16 v49, v8, v24
	v_max_f16_e32 v50, v97, v97
	v_lshrrev_b32_e32 v51, 16, v97
	v_pk_add_f16 v97, v9, v25
	v_min_f16_e32 v50, v50, v49
	v_lshrrev_b32_e32 v49, 16, v49
	v_lshrrev_b32_e32 v98, 16, v97
	v_min3_f16 v49, v51, v49, v98
	v_min3_f16 v49, v50, v97, v49
	v_cvt_f32_f16_e32 v49, v49
	v_max_f32_e32 v48, v48, v48
	v_min_f32_e32 v48, v48, v49
	v_cvt_f16_f32_e32 v50, v48
	v_lshl_add_u64 v[48:49], v[40:41], 1, v[28:29]
	global_store_short v[48:49], v50, off
	s_or_b64 exec, exec, s[20:21]
	s_and_b64 s[34:35], s[12:13], s[18:19]
	s_and_saveexec_b64 s[20:21], s[34:35]
	s_cbranch_execz .LBB273_144
.LBB273_166:
	s_and_b64 vcc, exec, s[0:1]
	s_cbranch_vccnz .LBB273_168
; %bb.167:
	v_lshl_add_u64 v[48:49], v[42:43], 1, v[30:31]
	global_load_ushort v48, v[48:49], off
	s_waitcnt vmcnt(0)
	v_mul_f16_e32 v48, v52, v48
	v_cvt_f32_f16_e32 v48, v48
	s_branch .LBB273_169
.LBB273_168:
	v_mov_b32_e32 v48, 0
.LBB273_169:
	s_waitcnt lgkmcnt(2)
	v_pk_add_f16 v49, v10, v24
	v_max_f16_e32 v50, v96, v96
	v_lshrrev_b32_e32 v51, 16, v96
	v_pk_add_f16 v96, v11, v25
	v_min_f16_e32 v50, v50, v49
	v_lshrrev_b32_e32 v49, 16, v49
	v_lshrrev_b32_e32 v97, 16, v96
	v_min3_f16 v49, v51, v49, v97
	v_min3_f16 v49, v50, v96, v49
	v_cvt_f32_f16_e32 v49, v49
	v_max_f32_e32 v48, v48, v48
	v_min_f32_e32 v48, v48, v49
	v_cvt_f16_f32_e32 v50, v48
	v_lshl_add_u64 v[48:49], v[42:43], 1, v[28:29]
	global_store_short v[48:49], v50, off
	s_or_b64 exec, exec, s[20:21]
	s_and_b64 s[34:35], s[14:15], s[18:19]
	s_and_saveexec_b64 s[20:21], s[34:35]
	s_cbranch_execz .LBB273_145
.LBB273_170:
	s_and_b64 vcc, exec, s[0:1]
	s_cbranch_vccnz .LBB273_172
; %bb.171:
	v_lshl_add_u64 v[48:49], v[44:45], 1, v[30:31]
	global_load_ushort v48, v[48:49], off
	s_waitcnt vmcnt(0)
	v_mul_f16_e32 v48, v52, v48
	v_cvt_f32_f16_e32 v48, v48
	s_branch .LBB273_173
.LBB273_172:
	v_mov_b32_e32 v48, 0
.LBB273_173:
	s_waitcnt lgkmcnt(2)
	v_pk_add_f16 v49, v0, v24
	v_max_f16_e32 v50, v95, v95
	v_lshrrev_b32_e32 v51, 16, v95
	v_pk_add_f16 v95, v1, v25
	v_min_f16_e32 v50, v50, v49
	v_lshrrev_b32_e32 v49, 16, v49
	v_lshrrev_b32_e32 v96, 16, v95
	v_min3_f16 v49, v51, v49, v96
	v_min3_f16 v49, v50, v95, v49
	v_cvt_f32_f16_e32 v49, v49
	v_max_f32_e32 v48, v48, v48
	v_min_f32_e32 v48, v48, v49
	v_cvt_f16_f32_e32 v50, v48
	v_lshl_add_u64 v[48:49], v[44:45], 1, v[28:29]
	global_store_short v[48:49], v50, off
	s_or_b64 exec, exec, s[20:21]
	s_and_b64 s[20:21], s[16:17], s[18:19]
	s_and_saveexec_b64 s[18:19], s[20:21]
	s_cbranch_execz .LBB273_178
.LBB273_174:
	s_and_b64 vcc, exec, s[0:1]
	s_cbranch_vccnz .LBB273_176
; %bb.175:
	v_lshl_add_u64 v[30:31], v[46:47], 1, v[30:31]
	global_load_ushort v30, v[30:31], off
	s_waitcnt vmcnt(0)
	v_mul_f16_e32 v30, v52, v30
	v_cvt_f32_f16_e32 v30, v30
	s_branch .LBB273_177
.LBB273_176:
	v_mov_b32_e32 v30, 0
.LBB273_177:
	s_waitcnt lgkmcnt(2)
	v_pk_add_f16 v24, v2, v24
	v_max_f16_e32 v31, v94, v94
	v_pk_add_f16 v25, v3, v25
	v_min_f16_e32 v31, v31, v24
	v_lshrrev_b32_e32 v48, 16, v94
	v_lshrrev_b32_e32 v24, 16, v24
	;; [unrolled: 1-line block ×3, first 2 shown]
	v_min3_f16 v24, v48, v24, v49
	v_min3_f16 v24, v31, v25, v24
	v_cvt_f32_f16_e32 v24, v24
	v_max_f32_e32 v25, v30, v30
	v_min_f32_e32 v24, v25, v24
	v_cvt_f16_f32_e32 v30, v24
	v_lshl_add_u64 v[24:25], v[46:47], 1, v[28:29]
	global_store_short v[24:25], v30, off
.LBB273_178:
	s_or_b64 exec, exec, s[18:19]
	v_add_u32_e32 v30, 0x60, v93
	s_waitcnt lgkmcnt(2)
	v_mad_i64_i32 v[24:25], s[20:21], v30, s30, 0
	v_cmp_gt_i32_e64 s[18:19], s25, v30
	v_lshl_add_u64 v[28:29], v[24:25], 1, s[22:23]
	v_mad_i64_i32 v[24:25], s[20:21], v30, s29, 0
	v_lshl_add_u64 v[24:25], v[24:25], 1, s[26:27]
	s_and_b64 s[34:35], s[4:5], s[18:19]
	s_and_saveexec_b64 s[20:21], s[34:35]
	s_cbranch_execnz .LBB273_186
; %bb.179:
	s_or_b64 exec, exec, s[20:21]
	s_and_b64 s[34:35], s[2:3], s[18:19]
	s_and_saveexec_b64 s[20:21], s[34:35]
	s_cbranch_execnz .LBB273_190
.LBB273_180:
	s_or_b64 exec, exec, s[20:21]
	s_and_b64 s[34:35], s[6:7], s[18:19]
	s_and_saveexec_b64 s[20:21], s[34:35]
	s_cbranch_execnz .LBB273_194
.LBB273_181:
	s_or_b64 exec, exec, s[20:21]
	s_and_b64 s[34:35], s[8:9], s[18:19]
	s_and_saveexec_b64 s[20:21], s[34:35]
	s_cbranch_execnz .LBB273_198
.LBB273_182:
	s_or_b64 exec, exec, s[20:21]
	s_and_b64 s[34:35], s[10:11], s[18:19]
	s_and_saveexec_b64 s[20:21], s[34:35]
	s_cbranch_execnz .LBB273_202
.LBB273_183:
	s_or_b64 exec, exec, s[20:21]
	s_and_b64 s[34:35], s[12:13], s[18:19]
	s_and_saveexec_b64 s[20:21], s[34:35]
	s_cbranch_execnz .LBB273_206
.LBB273_184:
	s_or_b64 exec, exec, s[20:21]
	s_and_b64 s[34:35], s[14:15], s[18:19]
	s_and_saveexec_b64 s[20:21], s[34:35]
	s_cbranch_execnz .LBB273_210
.LBB273_185:
	s_or_b64 exec, exec, s[20:21]
	s_and_b64 s[20:21], s[16:17], s[18:19]
	s_and_saveexec_b64 s[18:19], s[20:21]
	s_cbranch_execnz .LBB273_214
	s_branch .LBB273_218
.LBB273_186:
	s_and_b64 vcc, exec, s[0:1]
	s_cbranch_vccnz .LBB273_188
; %bb.187:
	v_lshl_add_u64 v[30:31], v[32:33], 1, v[28:29]
	global_load_ushort v30, v[30:31], off
	s_waitcnt vmcnt(0)
	v_mul_f16_e32 v30, v52, v30
	v_cvt_f32_f16_e32 v30, v30
	s_branch .LBB273_189
.LBB273_188:
	v_mov_b32_e32 v30, 0
.LBB273_189:
	v_pk_add_f16 v31, v16, v26
	v_max_f16_e32 v48, v92, v92
	v_pk_add_f16 v50, v17, v27
	v_min_f16_e32 v48, v48, v31
	v_lshrrev_b32_e32 v49, 16, v92
	v_lshrrev_b32_e32 v31, 16, v31
	;; [unrolled: 1-line block ×3, first 2 shown]
	v_min3_f16 v31, v49, v31, v51
	v_min3_f16 v31, v48, v50, v31
	v_cvt_f32_f16_e32 v31, v31
	v_max_f32_e32 v30, v30, v30
	v_min_f32_e32 v30, v30, v31
	v_cvt_f16_f32_e32 v48, v30
	v_lshl_add_u64 v[30:31], v[32:33], 1, v[24:25]
	global_store_short v[30:31], v48, off
	s_or_b64 exec, exec, s[20:21]
	s_and_b64 s[34:35], s[2:3], s[18:19]
	s_and_saveexec_b64 s[20:21], s[34:35]
	s_cbranch_execz .LBB273_180
.LBB273_190:
	s_and_b64 vcc, exec, s[0:1]
	s_cbranch_vccnz .LBB273_192
; %bb.191:
	v_lshl_add_u64 v[30:31], v[34:35], 1, v[28:29]
	global_load_ushort v30, v[30:31], off
	s_waitcnt vmcnt(0)
	v_mul_f16_e32 v30, v52, v30
	v_cvt_f32_f16_e32 v30, v30
	s_branch .LBB273_193
.LBB273_192:
	v_mov_b32_e32 v30, 0
.LBB273_193:
	v_pk_add_f16 v31, v18, v26
	v_max_f16_e32 v48, v91, v91
	v_pk_add_f16 v50, v19, v27
	v_min_f16_e32 v48, v48, v31
	v_lshrrev_b32_e32 v49, 16, v91
	v_lshrrev_b32_e32 v31, 16, v31
	;; [unrolled: 1-line block ×3, first 2 shown]
	v_min3_f16 v31, v49, v31, v51
	v_min3_f16 v31, v48, v50, v31
	v_cvt_f32_f16_e32 v31, v31
	v_max_f32_e32 v30, v30, v30
	v_min_f32_e32 v30, v30, v31
	v_cvt_f16_f32_e32 v48, v30
	v_lshl_add_u64 v[30:31], v[34:35], 1, v[24:25]
	global_store_short v[30:31], v48, off
	s_or_b64 exec, exec, s[20:21]
	s_and_b64 s[34:35], s[6:7], s[18:19]
	s_and_saveexec_b64 s[20:21], s[34:35]
	s_cbranch_execz .LBB273_181
.LBB273_194:
	s_and_b64 vcc, exec, s[0:1]
	s_cbranch_vccnz .LBB273_196
; %bb.195:
	v_lshl_add_u64 v[30:31], v[36:37], 1, v[28:29]
	global_load_ushort v30, v[30:31], off
	s_waitcnt vmcnt(0)
	v_mul_f16_e32 v30, v52, v30
	v_cvt_f32_f16_e32 v30, v30
	s_branch .LBB273_197
.LBB273_196:
	v_mov_b32_e32 v30, 0
.LBB273_197:
	v_pk_add_f16 v31, v12, v26
	v_max_f16_e32 v48, v90, v90
	v_pk_add_f16 v50, v13, v27
	v_min_f16_e32 v48, v48, v31
	v_lshrrev_b32_e32 v49, 16, v90
	v_lshrrev_b32_e32 v31, 16, v31
	v_lshrrev_b32_e32 v51, 16, v50
	v_min3_f16 v31, v49, v31, v51
	v_min3_f16 v31, v48, v50, v31
	v_cvt_f32_f16_e32 v31, v31
	v_max_f32_e32 v30, v30, v30
	v_min_f32_e32 v30, v30, v31
	v_cvt_f16_f32_e32 v48, v30
	v_lshl_add_u64 v[30:31], v[36:37], 1, v[24:25]
	global_store_short v[30:31], v48, off
	s_or_b64 exec, exec, s[20:21]
	s_and_b64 s[34:35], s[8:9], s[18:19]
	s_and_saveexec_b64 s[20:21], s[34:35]
	s_cbranch_execz .LBB273_182
.LBB273_198:
	s_and_b64 vcc, exec, s[0:1]
	s_cbranch_vccnz .LBB273_200
; %bb.199:
	v_lshl_add_u64 v[30:31], v[38:39], 1, v[28:29]
	global_load_ushort v30, v[30:31], off
	s_waitcnt vmcnt(0)
	v_mul_f16_e32 v30, v52, v30
	v_cvt_f32_f16_e32 v30, v30
	s_branch .LBB273_201
.LBB273_200:
	v_mov_b32_e32 v30, 0
.LBB273_201:
	v_pk_add_f16 v31, v14, v26
	v_max_f16_e32 v48, v89, v89
	v_pk_add_f16 v50, v15, v27
	v_min_f16_e32 v48, v48, v31
	v_lshrrev_b32_e32 v49, 16, v89
	v_lshrrev_b32_e32 v31, 16, v31
	;; [unrolled: 1-line block ×3, first 2 shown]
	v_min3_f16 v31, v49, v31, v51
	v_min3_f16 v31, v48, v50, v31
	v_cvt_f32_f16_e32 v31, v31
	v_max_f32_e32 v30, v30, v30
	v_min_f32_e32 v30, v30, v31
	v_cvt_f16_f32_e32 v48, v30
	v_lshl_add_u64 v[30:31], v[38:39], 1, v[24:25]
	global_store_short v[30:31], v48, off
	s_or_b64 exec, exec, s[20:21]
	s_and_b64 s[34:35], s[10:11], s[18:19]
	s_and_saveexec_b64 s[20:21], s[34:35]
	s_cbranch_execz .LBB273_183
.LBB273_202:
	s_and_b64 vcc, exec, s[0:1]
	s_cbranch_vccnz .LBB273_204
; %bb.203:
	v_lshl_add_u64 v[30:31], v[40:41], 1, v[28:29]
	global_load_ushort v30, v[30:31], off
	s_waitcnt vmcnt(0)
	v_mul_f16_e32 v30, v52, v30
	v_cvt_f32_f16_e32 v30, v30
	s_branch .LBB273_205
.LBB273_204:
	v_mov_b32_e32 v30, 0
.LBB273_205:
	v_pk_add_f16 v31, v8, v26
	v_max_f16_e32 v48, v88, v88
	v_pk_add_f16 v50, v9, v27
	v_min_f16_e32 v48, v48, v31
	v_lshrrev_b32_e32 v49, 16, v88
	v_lshrrev_b32_e32 v31, 16, v31
	;; [unrolled: 1-line block ×3, first 2 shown]
	v_min3_f16 v31, v49, v31, v51
	v_min3_f16 v31, v48, v50, v31
	v_cvt_f32_f16_e32 v31, v31
	v_max_f32_e32 v30, v30, v30
	v_min_f32_e32 v30, v30, v31
	v_cvt_f16_f32_e32 v48, v30
	v_lshl_add_u64 v[30:31], v[40:41], 1, v[24:25]
	global_store_short v[30:31], v48, off
	s_or_b64 exec, exec, s[20:21]
	s_and_b64 s[34:35], s[12:13], s[18:19]
	s_and_saveexec_b64 s[20:21], s[34:35]
	s_cbranch_execz .LBB273_184
.LBB273_206:
	s_and_b64 vcc, exec, s[0:1]
	s_cbranch_vccnz .LBB273_208
; %bb.207:
	v_lshl_add_u64 v[30:31], v[42:43], 1, v[28:29]
	global_load_ushort v30, v[30:31], off
	s_waitcnt vmcnt(0)
	v_mul_f16_e32 v30, v52, v30
	v_cvt_f32_f16_e32 v30, v30
	s_branch .LBB273_209
.LBB273_208:
	v_mov_b32_e32 v30, 0
.LBB273_209:
	v_pk_add_f16 v31, v10, v26
	v_max_f16_e32 v48, v87, v87
	v_pk_add_f16 v50, v11, v27
	v_min_f16_e32 v48, v48, v31
	v_lshrrev_b32_e32 v49, 16, v87
	v_lshrrev_b32_e32 v31, 16, v31
	;; [unrolled: 1-line block ×3, first 2 shown]
	v_min3_f16 v31, v49, v31, v51
	v_min3_f16 v31, v48, v50, v31
	v_cvt_f32_f16_e32 v31, v31
	v_max_f32_e32 v30, v30, v30
	v_min_f32_e32 v30, v30, v31
	v_cvt_f16_f32_e32 v48, v30
	v_lshl_add_u64 v[30:31], v[42:43], 1, v[24:25]
	global_store_short v[30:31], v48, off
	s_or_b64 exec, exec, s[20:21]
	s_and_b64 s[34:35], s[14:15], s[18:19]
	s_and_saveexec_b64 s[20:21], s[34:35]
	s_cbranch_execz .LBB273_185
.LBB273_210:
	s_and_b64 vcc, exec, s[0:1]
	s_cbranch_vccnz .LBB273_212
; %bb.211:
	v_lshl_add_u64 v[30:31], v[44:45], 1, v[28:29]
	global_load_ushort v30, v[30:31], off
	s_waitcnt vmcnt(0)
	v_mul_f16_e32 v30, v52, v30
	v_cvt_f32_f16_e32 v30, v30
	s_branch .LBB273_213
.LBB273_212:
	v_mov_b32_e32 v30, 0
.LBB273_213:
	v_pk_add_f16 v31, v0, v26
	v_max_f16_e32 v48, v86, v86
	v_pk_add_f16 v50, v1, v27
	v_min_f16_e32 v48, v48, v31
	v_lshrrev_b32_e32 v49, 16, v86
	v_lshrrev_b32_e32 v31, 16, v31
	;; [unrolled: 1-line block ×3, first 2 shown]
	v_min3_f16 v31, v49, v31, v51
	v_min3_f16 v31, v48, v50, v31
	v_cvt_f32_f16_e32 v31, v31
	v_max_f32_e32 v30, v30, v30
	v_min_f32_e32 v30, v30, v31
	v_cvt_f16_f32_e32 v48, v30
	v_lshl_add_u64 v[30:31], v[44:45], 1, v[24:25]
	global_store_short v[30:31], v48, off
	s_or_b64 exec, exec, s[20:21]
	s_and_b64 s[20:21], s[16:17], s[18:19]
	s_and_saveexec_b64 s[18:19], s[20:21]
	s_cbranch_execz .LBB273_218
.LBB273_214:
	s_and_b64 vcc, exec, s[0:1]
	s_cbranch_vccnz .LBB273_216
; %bb.215:
	v_lshl_add_u64 v[28:29], v[46:47], 1, v[28:29]
	global_load_ushort v28, v[28:29], off
	s_waitcnt vmcnt(0)
	v_mul_f16_e32 v28, v52, v28
	v_cvt_f32_f16_e32 v28, v28
	s_branch .LBB273_217
.LBB273_216:
	v_mov_b32_e32 v28, 0
.LBB273_217:
	v_pk_add_f16 v26, v2, v26
	v_max_f16_e32 v29, v85, v85
	v_pk_add_f16 v27, v3, v27
	v_min_f16_e32 v29, v29, v26
	v_lshrrev_b32_e32 v30, 16, v85
	v_lshrrev_b32_e32 v26, 16, v26
	;; [unrolled: 1-line block ×3, first 2 shown]
	v_min3_f16 v26, v30, v26, v31
	v_min3_f16 v26, v29, v27, v26
	v_cvt_f32_f16_e32 v26, v26
	v_max_f32_e32 v27, v28, v28
	v_lshl_add_u64 v[24:25], v[46:47], 1, v[24:25]
	v_min_f32_e32 v26, v27, v26
	v_cvt_f16_f32_e32 v26, v26
	global_store_short v[24:25], v26, off
.LBB273_218:
	s_or_b64 exec, exec, s[18:19]
	v_add_u32_e32 v28, 0x80, v93
	v_mad_i64_i32 v[24:25], s[20:21], v28, s30, 0
	v_cmp_gt_i32_e64 s[18:19], s25, v28
	v_lshl_add_u64 v[26:27], v[24:25], 1, s[22:23]
	v_mad_i64_i32 v[24:25], s[20:21], v28, s29, 0
	v_lshl_add_u64 v[24:25], v[24:25], 1, s[26:27]
	s_and_b64 s[34:35], s[4:5], s[18:19]
	s_and_saveexec_b64 s[20:21], s[34:35]
	s_cbranch_execnz .LBB273_226
; %bb.219:
	s_or_b64 exec, exec, s[20:21]
	s_and_b64 s[34:35], s[2:3], s[18:19]
	s_and_saveexec_b64 s[20:21], s[34:35]
	s_cbranch_execnz .LBB273_230
.LBB273_220:
	s_or_b64 exec, exec, s[20:21]
	s_and_b64 s[34:35], s[6:7], s[18:19]
	s_and_saveexec_b64 s[20:21], s[34:35]
	s_cbranch_execnz .LBB273_234
.LBB273_221:
	s_or_b64 exec, exec, s[20:21]
	s_and_b64 s[34:35], s[8:9], s[18:19]
	s_and_saveexec_b64 s[20:21], s[34:35]
	s_cbranch_execnz .LBB273_238
.LBB273_222:
	s_or_b64 exec, exec, s[20:21]
	s_and_b64 s[34:35], s[10:11], s[18:19]
	s_and_saveexec_b64 s[20:21], s[34:35]
	s_cbranch_execnz .LBB273_242
.LBB273_223:
	s_or_b64 exec, exec, s[20:21]
	s_and_b64 s[34:35], s[12:13], s[18:19]
	s_and_saveexec_b64 s[20:21], s[34:35]
	s_cbranch_execnz .LBB273_246
.LBB273_224:
	s_or_b64 exec, exec, s[20:21]
	s_and_b64 s[34:35], s[14:15], s[18:19]
	s_and_saveexec_b64 s[20:21], s[34:35]
	s_cbranch_execnz .LBB273_250
.LBB273_225:
	s_or_b64 exec, exec, s[20:21]
	s_and_b64 s[20:21], s[16:17], s[18:19]
	s_and_saveexec_b64 s[18:19], s[20:21]
	s_cbranch_execnz .LBB273_254
	s_branch .LBB273_258
.LBB273_226:
	s_and_b64 vcc, exec, s[0:1]
	s_cbranch_vccnz .LBB273_228
; %bb.227:
	v_lshl_add_u64 v[28:29], v[32:33], 1, v[26:27]
	global_load_ushort v28, v[28:29], off
	s_waitcnt vmcnt(0)
	v_mul_f16_e32 v28, v52, v28
	v_cvt_f32_f16_e32 v28, v28
	s_branch .LBB273_229
.LBB273_228:
	v_mov_b32_e32 v28, 0
.LBB273_229:
	s_waitcnt lgkmcnt(1)
	v_pk_add_f16 v29, v16, v20
	v_max_f16_e32 v30, v84, v84
	v_pk_add_f16 v48, v17, v21
	v_min_f16_e32 v30, v30, v29
	v_lshrrev_b32_e32 v31, 16, v84
	v_lshrrev_b32_e32 v29, 16, v29
	;; [unrolled: 1-line block ×3, first 2 shown]
	v_min3_f16 v29, v31, v29, v49
	v_min3_f16 v29, v30, v48, v29
	v_cvt_f32_f16_e32 v29, v29
	v_max_f32_e32 v28, v28, v28
	v_min_f32_e32 v28, v28, v29
	v_cvt_f16_f32_e32 v30, v28
	v_lshl_add_u64 v[28:29], v[32:33], 1, v[24:25]
	global_store_short v[28:29], v30, off
	s_or_b64 exec, exec, s[20:21]
	s_and_b64 s[34:35], s[2:3], s[18:19]
	s_and_saveexec_b64 s[20:21], s[34:35]
	s_cbranch_execz .LBB273_220
.LBB273_230:
	s_and_b64 vcc, exec, s[0:1]
	s_cbranch_vccnz .LBB273_232
; %bb.231:
	v_lshl_add_u64 v[28:29], v[34:35], 1, v[26:27]
	global_load_ushort v28, v[28:29], off
	s_waitcnt vmcnt(0)
	v_mul_f16_e32 v28, v52, v28
	v_cvt_f32_f16_e32 v28, v28
	s_branch .LBB273_233
.LBB273_232:
	v_mov_b32_e32 v28, 0
.LBB273_233:
	s_waitcnt lgkmcnt(1)
	v_pk_add_f16 v29, v18, v20
	v_max_f16_e32 v30, v83, v83
	v_pk_add_f16 v48, v19, v21
	v_min_f16_e32 v30, v30, v29
	v_lshrrev_b32_e32 v31, 16, v83
	v_lshrrev_b32_e32 v29, 16, v29
	;; [unrolled: 1-line block ×3, first 2 shown]
	v_min3_f16 v29, v31, v29, v49
	v_min3_f16 v29, v30, v48, v29
	v_cvt_f32_f16_e32 v29, v29
	v_max_f32_e32 v28, v28, v28
	v_min_f32_e32 v28, v28, v29
	v_cvt_f16_f32_e32 v30, v28
	v_lshl_add_u64 v[28:29], v[34:35], 1, v[24:25]
	global_store_short v[28:29], v30, off
	s_or_b64 exec, exec, s[20:21]
	s_and_b64 s[34:35], s[6:7], s[18:19]
	s_and_saveexec_b64 s[20:21], s[34:35]
	s_cbranch_execz .LBB273_221
.LBB273_234:
	s_and_b64 vcc, exec, s[0:1]
	s_cbranch_vccnz .LBB273_236
; %bb.235:
	v_lshl_add_u64 v[28:29], v[36:37], 1, v[26:27]
	global_load_ushort v28, v[28:29], off
	s_waitcnt vmcnt(0)
	v_mul_f16_e32 v28, v52, v28
	v_cvt_f32_f16_e32 v28, v28
	s_branch .LBB273_237
.LBB273_236:
	v_mov_b32_e32 v28, 0
.LBB273_237:
	s_waitcnt lgkmcnt(1)
	v_pk_add_f16 v29, v12, v20
	v_max_f16_e32 v30, v82, v82
	v_pk_add_f16 v48, v13, v21
	v_min_f16_e32 v30, v30, v29
	v_lshrrev_b32_e32 v31, 16, v82
	v_lshrrev_b32_e32 v29, 16, v29
	;; [unrolled: 1-line block ×3, first 2 shown]
	v_min3_f16 v29, v31, v29, v49
	v_min3_f16 v29, v30, v48, v29
	v_cvt_f32_f16_e32 v29, v29
	v_max_f32_e32 v28, v28, v28
	v_min_f32_e32 v28, v28, v29
	v_cvt_f16_f32_e32 v30, v28
	v_lshl_add_u64 v[28:29], v[36:37], 1, v[24:25]
	global_store_short v[28:29], v30, off
	s_or_b64 exec, exec, s[20:21]
	s_and_b64 s[34:35], s[8:9], s[18:19]
	s_and_saveexec_b64 s[20:21], s[34:35]
	s_cbranch_execz .LBB273_222
.LBB273_238:
	s_and_b64 vcc, exec, s[0:1]
	s_cbranch_vccnz .LBB273_240
; %bb.239:
	v_lshl_add_u64 v[28:29], v[38:39], 1, v[26:27]
	global_load_ushort v28, v[28:29], off
	s_waitcnt vmcnt(0)
	v_mul_f16_e32 v28, v52, v28
	v_cvt_f32_f16_e32 v28, v28
	s_branch .LBB273_241
.LBB273_240:
	v_mov_b32_e32 v28, 0
.LBB273_241:
	s_waitcnt lgkmcnt(1)
	v_pk_add_f16 v29, v14, v20
	v_max_f16_e32 v30, v81, v81
	v_pk_add_f16 v48, v15, v21
	v_min_f16_e32 v30, v30, v29
	v_lshrrev_b32_e32 v31, 16, v81
	v_lshrrev_b32_e32 v29, 16, v29
	;; [unrolled: 1-line block ×3, first 2 shown]
	v_min3_f16 v29, v31, v29, v49
	v_min3_f16 v29, v30, v48, v29
	v_cvt_f32_f16_e32 v29, v29
	v_max_f32_e32 v28, v28, v28
	v_min_f32_e32 v28, v28, v29
	v_cvt_f16_f32_e32 v30, v28
	v_lshl_add_u64 v[28:29], v[38:39], 1, v[24:25]
	global_store_short v[28:29], v30, off
	s_or_b64 exec, exec, s[20:21]
	s_and_b64 s[34:35], s[10:11], s[18:19]
	s_and_saveexec_b64 s[20:21], s[34:35]
	s_cbranch_execz .LBB273_223
.LBB273_242:
	s_and_b64 vcc, exec, s[0:1]
	s_cbranch_vccnz .LBB273_244
; %bb.243:
	v_lshl_add_u64 v[28:29], v[40:41], 1, v[26:27]
	global_load_ushort v28, v[28:29], off
	s_waitcnt vmcnt(0)
	v_mul_f16_e32 v28, v52, v28
	v_cvt_f32_f16_e32 v28, v28
	s_branch .LBB273_245
.LBB273_244:
	v_mov_b32_e32 v28, 0
.LBB273_245:
	s_waitcnt lgkmcnt(1)
	v_pk_add_f16 v29, v8, v20
	v_max_f16_e32 v30, v80, v80
	v_pk_add_f16 v48, v9, v21
	v_min_f16_e32 v30, v30, v29
	v_lshrrev_b32_e32 v31, 16, v80
	v_lshrrev_b32_e32 v29, 16, v29
	;; [unrolled: 1-line block ×3, first 2 shown]
	v_min3_f16 v29, v31, v29, v49
	v_min3_f16 v29, v30, v48, v29
	v_cvt_f32_f16_e32 v29, v29
	v_max_f32_e32 v28, v28, v28
	v_min_f32_e32 v28, v28, v29
	v_cvt_f16_f32_e32 v30, v28
	v_lshl_add_u64 v[28:29], v[40:41], 1, v[24:25]
	global_store_short v[28:29], v30, off
	s_or_b64 exec, exec, s[20:21]
	s_and_b64 s[34:35], s[12:13], s[18:19]
	s_and_saveexec_b64 s[20:21], s[34:35]
	s_cbranch_execz .LBB273_224
.LBB273_246:
	s_and_b64 vcc, exec, s[0:1]
	s_cbranch_vccnz .LBB273_248
; %bb.247:
	v_lshl_add_u64 v[28:29], v[42:43], 1, v[26:27]
	global_load_ushort v28, v[28:29], off
	s_waitcnt vmcnt(0)
	v_mul_f16_e32 v28, v52, v28
	v_cvt_f32_f16_e32 v28, v28
	s_branch .LBB273_249
.LBB273_248:
	v_mov_b32_e32 v28, 0
.LBB273_249:
	s_waitcnt lgkmcnt(1)
	v_pk_add_f16 v29, v10, v20
	v_max_f16_e32 v30, v79, v79
	v_pk_add_f16 v48, v11, v21
	v_min_f16_e32 v30, v30, v29
	v_lshrrev_b32_e32 v31, 16, v79
	v_lshrrev_b32_e32 v29, 16, v29
	;; [unrolled: 1-line block ×3, first 2 shown]
	v_min3_f16 v29, v31, v29, v49
	v_min3_f16 v29, v30, v48, v29
	v_cvt_f32_f16_e32 v29, v29
	v_max_f32_e32 v28, v28, v28
	v_min_f32_e32 v28, v28, v29
	v_cvt_f16_f32_e32 v30, v28
	v_lshl_add_u64 v[28:29], v[42:43], 1, v[24:25]
	global_store_short v[28:29], v30, off
	s_or_b64 exec, exec, s[20:21]
	s_and_b64 s[34:35], s[14:15], s[18:19]
	s_and_saveexec_b64 s[20:21], s[34:35]
	s_cbranch_execz .LBB273_225
.LBB273_250:
	s_and_b64 vcc, exec, s[0:1]
	s_cbranch_vccnz .LBB273_252
; %bb.251:
	v_lshl_add_u64 v[28:29], v[44:45], 1, v[26:27]
	global_load_ushort v28, v[28:29], off
	s_waitcnt vmcnt(0)
	v_mul_f16_e32 v28, v52, v28
	v_cvt_f32_f16_e32 v28, v28
	s_branch .LBB273_253
.LBB273_252:
	v_mov_b32_e32 v28, 0
.LBB273_253:
	s_waitcnt lgkmcnt(1)
	v_pk_add_f16 v29, v0, v20
	v_max_f16_e32 v30, v78, v78
	v_pk_add_f16 v48, v1, v21
	v_min_f16_e32 v30, v30, v29
	v_lshrrev_b32_e32 v31, 16, v78
	v_lshrrev_b32_e32 v29, 16, v29
	;; [unrolled: 1-line block ×3, first 2 shown]
	v_min3_f16 v29, v31, v29, v49
	v_min3_f16 v29, v30, v48, v29
	v_cvt_f32_f16_e32 v29, v29
	v_max_f32_e32 v28, v28, v28
	v_min_f32_e32 v28, v28, v29
	v_cvt_f16_f32_e32 v30, v28
	v_lshl_add_u64 v[28:29], v[44:45], 1, v[24:25]
	global_store_short v[28:29], v30, off
	s_or_b64 exec, exec, s[20:21]
	s_and_b64 s[20:21], s[16:17], s[18:19]
	s_and_saveexec_b64 s[18:19], s[20:21]
	s_cbranch_execz .LBB273_258
.LBB273_254:
	s_and_b64 vcc, exec, s[0:1]
	s_cbranch_vccnz .LBB273_256
; %bb.255:
	v_lshl_add_u64 v[26:27], v[46:47], 1, v[26:27]
	global_load_ushort v26, v[26:27], off
	s_waitcnt vmcnt(0)
	v_mul_f16_e32 v26, v52, v26
	v_cvt_f32_f16_e32 v26, v26
	s_branch .LBB273_257
.LBB273_256:
	v_mov_b32_e32 v26, 0
.LBB273_257:
	s_waitcnt lgkmcnt(1)
	v_pk_add_f16 v20, v2, v20
	v_max_f16_e32 v27, v77, v77
	v_pk_add_f16 v21, v3, v21
	v_min_f16_e32 v27, v27, v20
	v_lshrrev_b32_e32 v28, 16, v77
	v_lshrrev_b32_e32 v20, 16, v20
	;; [unrolled: 1-line block ×3, first 2 shown]
	v_min3_f16 v20, v28, v20, v29
	v_min3_f16 v20, v27, v21, v20
	v_cvt_f32_f16_e32 v20, v20
	v_max_f32_e32 v21, v26, v26
	v_min_f32_e32 v20, v21, v20
	v_cvt_f16_f32_e32 v26, v20
	v_lshl_add_u64 v[20:21], v[46:47], 1, v[24:25]
	global_store_short v[20:21], v26, off
.LBB273_258:
	s_or_b64 exec, exec, s[18:19]
	v_add_u32_e32 v26, 0xa0, v93
	s_waitcnt lgkmcnt(1)
	v_mad_i64_i32 v[20:21], s[20:21], v26, s30, 0
	v_cmp_gt_i32_e64 s[18:19], s25, v26
	v_lshl_add_u64 v[24:25], v[20:21], 1, s[22:23]
	v_mad_i64_i32 v[20:21], s[20:21], v26, s29, 0
	v_lshl_add_u64 v[20:21], v[20:21], 1, s[26:27]
	s_and_b64 s[34:35], s[4:5], s[18:19]
	s_and_saveexec_b64 s[20:21], s[34:35]
	s_cbranch_execnz .LBB273_266
; %bb.259:
	s_or_b64 exec, exec, s[20:21]
	s_and_b64 s[34:35], s[2:3], s[18:19]
	s_and_saveexec_b64 s[20:21], s[34:35]
	s_cbranch_execnz .LBB273_270
.LBB273_260:
	s_or_b64 exec, exec, s[20:21]
	s_and_b64 s[34:35], s[6:7], s[18:19]
	s_and_saveexec_b64 s[20:21], s[34:35]
	s_cbranch_execnz .LBB273_274
.LBB273_261:
	s_or_b64 exec, exec, s[20:21]
	s_and_b64 s[34:35], s[8:9], s[18:19]
	s_and_saveexec_b64 s[20:21], s[34:35]
	s_cbranch_execnz .LBB273_278
.LBB273_262:
	s_or_b64 exec, exec, s[20:21]
	s_and_b64 s[34:35], s[10:11], s[18:19]
	s_and_saveexec_b64 s[20:21], s[34:35]
	s_cbranch_execnz .LBB273_282
.LBB273_263:
	s_or_b64 exec, exec, s[20:21]
	s_and_b64 s[34:35], s[12:13], s[18:19]
	s_and_saveexec_b64 s[20:21], s[34:35]
	s_cbranch_execnz .LBB273_286
.LBB273_264:
	s_or_b64 exec, exec, s[20:21]
	s_and_b64 s[34:35], s[14:15], s[18:19]
	s_and_saveexec_b64 s[20:21], s[34:35]
	s_cbranch_execnz .LBB273_290
.LBB273_265:
	s_or_b64 exec, exec, s[20:21]
	s_and_b64 s[20:21], s[16:17], s[18:19]
	s_and_saveexec_b64 s[18:19], s[20:21]
	s_cbranch_execnz .LBB273_294
	s_branch .LBB273_298
.LBB273_266:
	s_and_b64 vcc, exec, s[0:1]
	s_cbranch_vccnz .LBB273_268
; %bb.267:
	v_lshl_add_u64 v[26:27], v[32:33], 1, v[24:25]
	global_load_ushort v26, v[26:27], off
	s_waitcnt vmcnt(0)
	v_mul_f16_e32 v26, v52, v26
	v_cvt_f32_f16_e32 v26, v26
	s_branch .LBB273_269
.LBB273_268:
	v_mov_b32_e32 v26, 0
.LBB273_269:
	v_pk_add_f16 v27, v16, v22
	v_max_f16_e32 v28, v76, v76
	v_pk_add_f16 v30, v17, v23
	v_min_f16_e32 v28, v28, v27
	v_lshrrev_b32_e32 v29, 16, v76
	v_lshrrev_b32_e32 v27, 16, v27
	;; [unrolled: 1-line block ×3, first 2 shown]
	v_min3_f16 v27, v29, v27, v31
	v_min3_f16 v27, v28, v30, v27
	v_cvt_f32_f16_e32 v27, v27
	v_max_f32_e32 v26, v26, v26
	v_min_f32_e32 v26, v26, v27
	v_cvt_f16_f32_e32 v28, v26
	v_lshl_add_u64 v[26:27], v[32:33], 1, v[20:21]
	global_store_short v[26:27], v28, off
	s_or_b64 exec, exec, s[20:21]
	s_and_b64 s[34:35], s[2:3], s[18:19]
	s_and_saveexec_b64 s[20:21], s[34:35]
	s_cbranch_execz .LBB273_260
.LBB273_270:
	s_and_b64 vcc, exec, s[0:1]
	s_cbranch_vccnz .LBB273_272
; %bb.271:
	v_lshl_add_u64 v[26:27], v[34:35], 1, v[24:25]
	global_load_ushort v26, v[26:27], off
	s_waitcnt vmcnt(0)
	v_mul_f16_e32 v26, v52, v26
	v_cvt_f32_f16_e32 v26, v26
	s_branch .LBB273_273
.LBB273_272:
	v_mov_b32_e32 v26, 0
.LBB273_273:
	v_pk_add_f16 v27, v18, v22
	v_max_f16_e32 v28, v75, v75
	v_pk_add_f16 v30, v19, v23
	v_min_f16_e32 v28, v28, v27
	v_lshrrev_b32_e32 v29, 16, v75
	v_lshrrev_b32_e32 v27, 16, v27
	;; [unrolled: 1-line block ×3, first 2 shown]
	v_min3_f16 v27, v29, v27, v31
	v_min3_f16 v27, v28, v30, v27
	v_cvt_f32_f16_e32 v27, v27
	v_max_f32_e32 v26, v26, v26
	v_min_f32_e32 v26, v26, v27
	v_cvt_f16_f32_e32 v28, v26
	v_lshl_add_u64 v[26:27], v[34:35], 1, v[20:21]
	global_store_short v[26:27], v28, off
	s_or_b64 exec, exec, s[20:21]
	s_and_b64 s[34:35], s[6:7], s[18:19]
	s_and_saveexec_b64 s[20:21], s[34:35]
	s_cbranch_execz .LBB273_261
.LBB273_274:
	s_and_b64 vcc, exec, s[0:1]
	s_cbranch_vccnz .LBB273_276
; %bb.275:
	v_lshl_add_u64 v[26:27], v[36:37], 1, v[24:25]
	global_load_ushort v26, v[26:27], off
	s_waitcnt vmcnt(0)
	v_mul_f16_e32 v26, v52, v26
	v_cvt_f32_f16_e32 v26, v26
	s_branch .LBB273_277
.LBB273_276:
	v_mov_b32_e32 v26, 0
.LBB273_277:
	v_pk_add_f16 v27, v12, v22
	v_max_f16_e32 v28, v74, v74
	v_pk_add_f16 v30, v13, v23
	v_min_f16_e32 v28, v28, v27
	v_lshrrev_b32_e32 v29, 16, v74
	v_lshrrev_b32_e32 v27, 16, v27
	;; [unrolled: 1-line block ×3, first 2 shown]
	v_min3_f16 v27, v29, v27, v31
	v_min3_f16 v27, v28, v30, v27
	v_cvt_f32_f16_e32 v27, v27
	v_max_f32_e32 v26, v26, v26
	v_min_f32_e32 v26, v26, v27
	v_cvt_f16_f32_e32 v28, v26
	v_lshl_add_u64 v[26:27], v[36:37], 1, v[20:21]
	global_store_short v[26:27], v28, off
	s_or_b64 exec, exec, s[20:21]
	s_and_b64 s[34:35], s[8:9], s[18:19]
	s_and_saveexec_b64 s[20:21], s[34:35]
	s_cbranch_execz .LBB273_262
.LBB273_278:
	s_and_b64 vcc, exec, s[0:1]
	s_cbranch_vccnz .LBB273_280
; %bb.279:
	v_lshl_add_u64 v[26:27], v[38:39], 1, v[24:25]
	global_load_ushort v26, v[26:27], off
	s_waitcnt vmcnt(0)
	v_mul_f16_e32 v26, v52, v26
	v_cvt_f32_f16_e32 v26, v26
	s_branch .LBB273_281
.LBB273_280:
	v_mov_b32_e32 v26, 0
.LBB273_281:
	v_pk_add_f16 v27, v14, v22
	v_max_f16_e32 v28, v73, v73
	v_pk_add_f16 v30, v15, v23
	v_min_f16_e32 v28, v28, v27
	v_lshrrev_b32_e32 v29, 16, v73
	v_lshrrev_b32_e32 v27, 16, v27
	;; [unrolled: 1-line block ×3, first 2 shown]
	v_min3_f16 v27, v29, v27, v31
	v_min3_f16 v27, v28, v30, v27
	v_cvt_f32_f16_e32 v27, v27
	v_max_f32_e32 v26, v26, v26
	v_min_f32_e32 v26, v26, v27
	v_cvt_f16_f32_e32 v28, v26
	v_lshl_add_u64 v[26:27], v[38:39], 1, v[20:21]
	global_store_short v[26:27], v28, off
	s_or_b64 exec, exec, s[20:21]
	s_and_b64 s[34:35], s[10:11], s[18:19]
	s_and_saveexec_b64 s[20:21], s[34:35]
	s_cbranch_execz .LBB273_263
.LBB273_282:
	s_and_b64 vcc, exec, s[0:1]
	s_cbranch_vccnz .LBB273_284
; %bb.283:
	v_lshl_add_u64 v[26:27], v[40:41], 1, v[24:25]
	global_load_ushort v26, v[26:27], off
	s_waitcnt vmcnt(0)
	v_mul_f16_e32 v26, v52, v26
	v_cvt_f32_f16_e32 v26, v26
	s_branch .LBB273_285
.LBB273_284:
	v_mov_b32_e32 v26, 0
.LBB273_285:
	v_pk_add_f16 v27, v8, v22
	v_max_f16_e32 v28, v72, v72
	v_pk_add_f16 v30, v9, v23
	v_min_f16_e32 v28, v28, v27
	v_lshrrev_b32_e32 v29, 16, v72
	v_lshrrev_b32_e32 v27, 16, v27
	;; [unrolled: 1-line block ×3, first 2 shown]
	v_min3_f16 v27, v29, v27, v31
	v_min3_f16 v27, v28, v30, v27
	v_cvt_f32_f16_e32 v27, v27
	v_max_f32_e32 v26, v26, v26
	v_min_f32_e32 v26, v26, v27
	v_cvt_f16_f32_e32 v28, v26
	v_lshl_add_u64 v[26:27], v[40:41], 1, v[20:21]
	global_store_short v[26:27], v28, off
	s_or_b64 exec, exec, s[20:21]
	s_and_b64 s[34:35], s[12:13], s[18:19]
	s_and_saveexec_b64 s[20:21], s[34:35]
	s_cbranch_execz .LBB273_264
.LBB273_286:
	s_and_b64 vcc, exec, s[0:1]
	s_cbranch_vccnz .LBB273_288
; %bb.287:
	v_lshl_add_u64 v[26:27], v[42:43], 1, v[24:25]
	global_load_ushort v26, v[26:27], off
	s_waitcnt vmcnt(0)
	v_mul_f16_e32 v26, v52, v26
	v_cvt_f32_f16_e32 v26, v26
	s_branch .LBB273_289
.LBB273_288:
	v_mov_b32_e32 v26, 0
.LBB273_289:
	v_pk_add_f16 v27, v10, v22
	v_max_f16_e32 v28, v71, v71
	v_pk_add_f16 v30, v11, v23
	v_min_f16_e32 v28, v28, v27
	v_lshrrev_b32_e32 v29, 16, v71
	v_lshrrev_b32_e32 v27, 16, v27
	;; [unrolled: 1-line block ×3, first 2 shown]
	v_min3_f16 v27, v29, v27, v31
	v_min3_f16 v27, v28, v30, v27
	v_cvt_f32_f16_e32 v27, v27
	v_max_f32_e32 v26, v26, v26
	v_min_f32_e32 v26, v26, v27
	v_cvt_f16_f32_e32 v28, v26
	v_lshl_add_u64 v[26:27], v[42:43], 1, v[20:21]
	global_store_short v[26:27], v28, off
	s_or_b64 exec, exec, s[20:21]
	s_and_b64 s[34:35], s[14:15], s[18:19]
	s_and_saveexec_b64 s[20:21], s[34:35]
	s_cbranch_execz .LBB273_265
.LBB273_290:
	s_and_b64 vcc, exec, s[0:1]
	s_cbranch_vccnz .LBB273_292
; %bb.291:
	v_lshl_add_u64 v[26:27], v[44:45], 1, v[24:25]
	global_load_ushort v26, v[26:27], off
	s_waitcnt vmcnt(0)
	v_mul_f16_e32 v26, v52, v26
	v_cvt_f32_f16_e32 v26, v26
	s_branch .LBB273_293
.LBB273_292:
	v_mov_b32_e32 v26, 0
.LBB273_293:
	v_pk_add_f16 v27, v0, v22
	v_max_f16_e32 v28, v70, v70
	v_pk_add_f16 v30, v1, v23
	v_min_f16_e32 v28, v28, v27
	v_lshrrev_b32_e32 v29, 16, v70
	v_lshrrev_b32_e32 v27, 16, v27
	;; [unrolled: 1-line block ×3, first 2 shown]
	v_min3_f16 v27, v29, v27, v31
	v_min3_f16 v27, v28, v30, v27
	v_cvt_f32_f16_e32 v27, v27
	v_max_f32_e32 v26, v26, v26
	v_min_f32_e32 v26, v26, v27
	v_cvt_f16_f32_e32 v28, v26
	v_lshl_add_u64 v[26:27], v[44:45], 1, v[20:21]
	global_store_short v[26:27], v28, off
	s_or_b64 exec, exec, s[20:21]
	s_and_b64 s[20:21], s[16:17], s[18:19]
	s_and_saveexec_b64 s[18:19], s[20:21]
	s_cbranch_execz .LBB273_298
.LBB273_294:
	s_and_b64 vcc, exec, s[0:1]
	s_cbranch_vccnz .LBB273_296
; %bb.295:
	v_lshl_add_u64 v[24:25], v[46:47], 1, v[24:25]
	global_load_ushort v24, v[24:25], off
	s_waitcnt vmcnt(0)
	v_mul_f16_e32 v24, v52, v24
	v_cvt_f32_f16_e32 v24, v24
	s_branch .LBB273_297
.LBB273_296:
	v_mov_b32_e32 v24, 0
.LBB273_297:
	v_pk_add_f16 v22, v2, v22
	v_max_f16_e32 v25, v69, v69
	v_pk_add_f16 v23, v3, v23
	v_min_f16_e32 v25, v25, v22
	v_lshrrev_b32_e32 v26, 16, v69
	v_lshrrev_b32_e32 v22, 16, v22
	v_lshrrev_b32_e32 v27, 16, v23
	v_min3_f16 v22, v26, v22, v27
	v_min3_f16 v22, v25, v23, v22
	v_cvt_f32_f16_e32 v22, v22
	v_max_f32_e32 v23, v24, v24
	v_lshl_add_u64 v[20:21], v[46:47], 1, v[20:21]
	v_min_f32_e32 v22, v23, v22
	v_cvt_f16_f32_e32 v22, v22
	global_store_short v[20:21], v22, off
.LBB273_298:
	s_or_b64 exec, exec, s[18:19]
	v_add_u32_e32 v24, 0xc0, v93
	v_mad_i64_i32 v[20:21], s[20:21], v24, s30, 0
	v_cmp_gt_i32_e64 s[18:19], s25, v24
	v_lshl_add_u64 v[22:23], v[20:21], 1, s[22:23]
	v_mad_i64_i32 v[20:21], s[20:21], v24, s29, 0
	v_lshl_add_u64 v[20:21], v[20:21], 1, s[26:27]
	s_and_b64 s[34:35], s[4:5], s[18:19]
	s_and_saveexec_b64 s[20:21], s[34:35]
	s_cbranch_execnz .LBB273_306
; %bb.299:
	s_or_b64 exec, exec, s[20:21]
	s_and_b64 s[34:35], s[2:3], s[18:19]
	s_and_saveexec_b64 s[20:21], s[34:35]
	s_cbranch_execnz .LBB273_310
.LBB273_300:
	s_or_b64 exec, exec, s[20:21]
	s_and_b64 s[34:35], s[6:7], s[18:19]
	s_and_saveexec_b64 s[20:21], s[34:35]
	s_cbranch_execnz .LBB273_314
.LBB273_301:
	s_or_b64 exec, exec, s[20:21]
	s_and_b64 s[34:35], s[8:9], s[18:19]
	s_and_saveexec_b64 s[20:21], s[34:35]
	s_cbranch_execnz .LBB273_318
.LBB273_302:
	s_or_b64 exec, exec, s[20:21]
	s_and_b64 s[34:35], s[10:11], s[18:19]
	s_and_saveexec_b64 s[20:21], s[34:35]
	s_cbranch_execnz .LBB273_322
.LBB273_303:
	s_or_b64 exec, exec, s[20:21]
	s_and_b64 s[34:35], s[12:13], s[18:19]
	s_and_saveexec_b64 s[20:21], s[34:35]
	s_cbranch_execnz .LBB273_326
.LBB273_304:
	s_or_b64 exec, exec, s[20:21]
	s_and_b64 s[34:35], s[14:15], s[18:19]
	s_and_saveexec_b64 s[20:21], s[34:35]
	s_cbranch_execnz .LBB273_330
.LBB273_305:
	s_or_b64 exec, exec, s[20:21]
	s_and_b64 s[20:21], s[16:17], s[18:19]
	s_and_saveexec_b64 s[18:19], s[20:21]
	s_cbranch_execnz .LBB273_334
	s_branch .LBB273_338
.LBB273_306:
	s_and_b64 vcc, exec, s[0:1]
	s_cbranch_vccnz .LBB273_308
; %bb.307:
	v_lshl_add_u64 v[24:25], v[32:33], 1, v[22:23]
	global_load_ushort v24, v[24:25], off
	s_waitcnt vmcnt(0)
	v_mul_f16_e32 v24, v52, v24
	v_cvt_f32_f16_e32 v24, v24
	s_branch .LBB273_309
.LBB273_308:
	v_mov_b32_e32 v24, 0
.LBB273_309:
	s_waitcnt lgkmcnt(0)
	v_pk_add_f16 v25, v16, v4
	v_max_f16_e32 v26, v68, v68
	v_pk_add_f16 v28, v17, v5
	v_min_f16_e32 v26, v26, v25
	v_lshrrev_b32_e32 v27, 16, v68
	v_lshrrev_b32_e32 v25, 16, v25
	;; [unrolled: 1-line block ×3, first 2 shown]
	v_min3_f16 v25, v27, v25, v29
	v_min3_f16 v25, v26, v28, v25
	v_cvt_f32_f16_e32 v25, v25
	v_max_f32_e32 v24, v24, v24
	v_min_f32_e32 v24, v24, v25
	v_cvt_f16_f32_e32 v26, v24
	v_lshl_add_u64 v[24:25], v[32:33], 1, v[20:21]
	global_store_short v[24:25], v26, off
	s_or_b64 exec, exec, s[20:21]
	s_and_b64 s[34:35], s[2:3], s[18:19]
	s_and_saveexec_b64 s[20:21], s[34:35]
	s_cbranch_execz .LBB273_300
.LBB273_310:
	s_and_b64 vcc, exec, s[0:1]
	s_cbranch_vccnz .LBB273_312
; %bb.311:
	v_lshl_add_u64 v[24:25], v[34:35], 1, v[22:23]
	global_load_ushort v24, v[24:25], off
	s_waitcnt vmcnt(0)
	v_mul_f16_e32 v24, v52, v24
	v_cvt_f32_f16_e32 v24, v24
	s_branch .LBB273_313
.LBB273_312:
	v_mov_b32_e32 v24, 0
.LBB273_313:
	s_waitcnt lgkmcnt(0)
	v_pk_add_f16 v25, v18, v4
	v_max_f16_e32 v26, v67, v67
	v_pk_add_f16 v28, v19, v5
	v_min_f16_e32 v26, v26, v25
	v_lshrrev_b32_e32 v27, 16, v67
	v_lshrrev_b32_e32 v25, 16, v25
	;; [unrolled: 1-line block ×3, first 2 shown]
	v_min3_f16 v25, v27, v25, v29
	v_min3_f16 v25, v26, v28, v25
	v_cvt_f32_f16_e32 v25, v25
	v_max_f32_e32 v24, v24, v24
	v_min_f32_e32 v24, v24, v25
	v_cvt_f16_f32_e32 v26, v24
	v_lshl_add_u64 v[24:25], v[34:35], 1, v[20:21]
	global_store_short v[24:25], v26, off
	s_or_b64 exec, exec, s[20:21]
	s_and_b64 s[34:35], s[6:7], s[18:19]
	s_and_saveexec_b64 s[20:21], s[34:35]
	s_cbranch_execz .LBB273_301
.LBB273_314:
	s_and_b64 vcc, exec, s[0:1]
	s_cbranch_vccnz .LBB273_316
; %bb.315:
	v_lshl_add_u64 v[24:25], v[36:37], 1, v[22:23]
	global_load_ushort v24, v[24:25], off
	s_waitcnt vmcnt(0)
	v_mul_f16_e32 v24, v52, v24
	v_cvt_f32_f16_e32 v24, v24
	s_branch .LBB273_317
.LBB273_316:
	v_mov_b32_e32 v24, 0
.LBB273_317:
	s_waitcnt lgkmcnt(0)
	v_pk_add_f16 v25, v12, v4
	v_max_f16_e32 v26, v66, v66
	v_pk_add_f16 v28, v13, v5
	v_min_f16_e32 v26, v26, v25
	v_lshrrev_b32_e32 v27, 16, v66
	v_lshrrev_b32_e32 v25, 16, v25
	;; [unrolled: 1-line block ×3, first 2 shown]
	v_min3_f16 v25, v27, v25, v29
	v_min3_f16 v25, v26, v28, v25
	v_cvt_f32_f16_e32 v25, v25
	v_max_f32_e32 v24, v24, v24
	v_min_f32_e32 v24, v24, v25
	v_cvt_f16_f32_e32 v26, v24
	v_lshl_add_u64 v[24:25], v[36:37], 1, v[20:21]
	global_store_short v[24:25], v26, off
	s_or_b64 exec, exec, s[20:21]
	s_and_b64 s[34:35], s[8:9], s[18:19]
	s_and_saveexec_b64 s[20:21], s[34:35]
	s_cbranch_execz .LBB273_302
.LBB273_318:
	s_and_b64 vcc, exec, s[0:1]
	s_cbranch_vccnz .LBB273_320
; %bb.319:
	v_lshl_add_u64 v[24:25], v[38:39], 1, v[22:23]
	global_load_ushort v24, v[24:25], off
	s_waitcnt vmcnt(0)
	v_mul_f16_e32 v24, v52, v24
	v_cvt_f32_f16_e32 v24, v24
	s_branch .LBB273_321
.LBB273_320:
	v_mov_b32_e32 v24, 0
.LBB273_321:
	s_waitcnt lgkmcnt(0)
	v_pk_add_f16 v25, v14, v4
	v_max_f16_e32 v26, v65, v65
	v_pk_add_f16 v28, v15, v5
	v_min_f16_e32 v26, v26, v25
	v_lshrrev_b32_e32 v27, 16, v65
	v_lshrrev_b32_e32 v25, 16, v25
	;; [unrolled: 1-line block ×3, first 2 shown]
	v_min3_f16 v25, v27, v25, v29
	v_min3_f16 v25, v26, v28, v25
	v_cvt_f32_f16_e32 v25, v25
	v_max_f32_e32 v24, v24, v24
	v_min_f32_e32 v24, v24, v25
	v_cvt_f16_f32_e32 v26, v24
	v_lshl_add_u64 v[24:25], v[38:39], 1, v[20:21]
	global_store_short v[24:25], v26, off
	s_or_b64 exec, exec, s[20:21]
	s_and_b64 s[34:35], s[10:11], s[18:19]
	s_and_saveexec_b64 s[20:21], s[34:35]
	s_cbranch_execz .LBB273_303
.LBB273_322:
	s_and_b64 vcc, exec, s[0:1]
	s_cbranch_vccnz .LBB273_324
; %bb.323:
	v_lshl_add_u64 v[24:25], v[40:41], 1, v[22:23]
	global_load_ushort v24, v[24:25], off
	s_waitcnt vmcnt(0)
	v_mul_f16_e32 v24, v52, v24
	v_cvt_f32_f16_e32 v24, v24
	s_branch .LBB273_325
.LBB273_324:
	v_mov_b32_e32 v24, 0
.LBB273_325:
	s_waitcnt lgkmcnt(0)
	v_pk_add_f16 v25, v8, v4
	v_max_f16_e32 v26, v64, v64
	v_pk_add_f16 v28, v9, v5
	v_min_f16_e32 v26, v26, v25
	v_lshrrev_b32_e32 v27, 16, v64
	v_lshrrev_b32_e32 v25, 16, v25
	;; [unrolled: 1-line block ×3, first 2 shown]
	v_min3_f16 v25, v27, v25, v29
	v_min3_f16 v25, v26, v28, v25
	v_cvt_f32_f16_e32 v25, v25
	v_max_f32_e32 v24, v24, v24
	v_min_f32_e32 v24, v24, v25
	v_cvt_f16_f32_e32 v26, v24
	v_lshl_add_u64 v[24:25], v[40:41], 1, v[20:21]
	global_store_short v[24:25], v26, off
	s_or_b64 exec, exec, s[20:21]
	s_and_b64 s[34:35], s[12:13], s[18:19]
	s_and_saveexec_b64 s[20:21], s[34:35]
	s_cbranch_execz .LBB273_304
.LBB273_326:
	s_and_b64 vcc, exec, s[0:1]
	s_cbranch_vccnz .LBB273_328
; %bb.327:
	v_lshl_add_u64 v[24:25], v[42:43], 1, v[22:23]
	global_load_ushort v24, v[24:25], off
	s_waitcnt vmcnt(0)
	v_mul_f16_e32 v24, v52, v24
	v_cvt_f32_f16_e32 v24, v24
	s_branch .LBB273_329
.LBB273_328:
	v_mov_b32_e32 v24, 0
.LBB273_329:
	s_waitcnt lgkmcnt(0)
	v_pk_add_f16 v25, v10, v4
	v_max_f16_e32 v26, v63, v63
	v_pk_add_f16 v28, v11, v5
	v_min_f16_e32 v26, v26, v25
	v_lshrrev_b32_e32 v27, 16, v63
	v_lshrrev_b32_e32 v25, 16, v25
	;; [unrolled: 1-line block ×3, first 2 shown]
	v_min3_f16 v25, v27, v25, v29
	v_min3_f16 v25, v26, v28, v25
	v_cvt_f32_f16_e32 v25, v25
	v_max_f32_e32 v24, v24, v24
	v_min_f32_e32 v24, v24, v25
	v_cvt_f16_f32_e32 v26, v24
	v_lshl_add_u64 v[24:25], v[42:43], 1, v[20:21]
	global_store_short v[24:25], v26, off
	s_or_b64 exec, exec, s[20:21]
	s_and_b64 s[34:35], s[14:15], s[18:19]
	s_and_saveexec_b64 s[20:21], s[34:35]
	s_cbranch_execz .LBB273_305
.LBB273_330:
	s_and_b64 vcc, exec, s[0:1]
	s_cbranch_vccnz .LBB273_332
; %bb.331:
	v_lshl_add_u64 v[24:25], v[44:45], 1, v[22:23]
	global_load_ushort v24, v[24:25], off
	s_waitcnt vmcnt(0)
	v_mul_f16_e32 v24, v52, v24
	v_cvt_f32_f16_e32 v24, v24
	s_branch .LBB273_333
.LBB273_332:
	v_mov_b32_e32 v24, 0
.LBB273_333:
	s_waitcnt lgkmcnt(0)
	v_pk_add_f16 v25, v0, v4
	v_max_f16_e32 v26, v62, v62
	v_pk_add_f16 v28, v1, v5
	v_min_f16_e32 v26, v26, v25
	v_lshrrev_b32_e32 v27, 16, v62
	v_lshrrev_b32_e32 v25, 16, v25
	;; [unrolled: 1-line block ×3, first 2 shown]
	v_min3_f16 v25, v27, v25, v29
	v_min3_f16 v25, v26, v28, v25
	v_cvt_f32_f16_e32 v25, v25
	v_max_f32_e32 v24, v24, v24
	v_min_f32_e32 v24, v24, v25
	v_cvt_f16_f32_e32 v26, v24
	v_lshl_add_u64 v[24:25], v[44:45], 1, v[20:21]
	global_store_short v[24:25], v26, off
	s_or_b64 exec, exec, s[20:21]
	s_and_b64 s[20:21], s[16:17], s[18:19]
	s_and_saveexec_b64 s[18:19], s[20:21]
	s_cbranch_execz .LBB273_338
.LBB273_334:
	s_and_b64 vcc, exec, s[0:1]
	s_cbranch_vccnz .LBB273_336
; %bb.335:
	v_lshl_add_u64 v[22:23], v[46:47], 1, v[22:23]
	global_load_ushort v22, v[22:23], off
	s_waitcnt vmcnt(0)
	v_mul_f16_e32 v22, v52, v22
	v_cvt_f32_f16_e32 v22, v22
	s_branch .LBB273_337
.LBB273_336:
	v_mov_b32_e32 v22, 0
.LBB273_337:
	s_waitcnt lgkmcnt(0)
	v_pk_add_f16 v4, v2, v4
	v_max_f16_e32 v23, v61, v61
	v_pk_add_f16 v5, v3, v5
	v_min_f16_e32 v23, v23, v4
	v_lshrrev_b32_e32 v24, 16, v61
	v_lshrrev_b32_e32 v4, 16, v4
	;; [unrolled: 1-line block ×3, first 2 shown]
	v_min3_f16 v4, v24, v4, v25
	v_min3_f16 v4, v23, v5, v4
	v_cvt_f32_f16_e32 v4, v4
	v_max_f32_e32 v5, v22, v22
	v_min_f32_e32 v4, v5, v4
	v_cvt_f16_f32_e32 v22, v4
	v_lshl_add_u64 v[4:5], v[46:47], 1, v[20:21]
	global_store_short v[4:5], v22, off
.LBB273_338:
	s_or_b64 exec, exec, s[18:19]
	v_add_u32_e32 v22, 0xe0, v93
	s_waitcnt lgkmcnt(0)
	v_mad_i64_i32 v[4:5], s[20:21], v22, s30, 0
	v_cmp_gt_i32_e64 s[18:19], s25, v22
	v_lshl_add_u64 v[20:21], v[4:5], 1, s[22:23]
	v_mad_i64_i32 v[4:5], s[20:21], v22, s29, 0
	v_lshl_add_u64 v[4:5], v[4:5], 1, s[26:27]
	s_and_b64 s[20:21], s[4:5], s[18:19]
	s_and_saveexec_b64 s[4:5], s[20:21]
	s_cbranch_execnz .LBB273_347
; %bb.339:
	s_or_b64 exec, exec, s[4:5]
	s_and_b64 s[4:5], s[2:3], s[18:19]
	s_and_saveexec_b64 s[2:3], s[4:5]
	s_cbranch_execnz .LBB273_351
.LBB273_340:
	s_or_b64 exec, exec, s[2:3]
	s_and_b64 s[4:5], s[6:7], s[18:19]
	s_and_saveexec_b64 s[2:3], s[4:5]
	s_cbranch_execnz .LBB273_355
.LBB273_341:
	s_or_b64 exec, exec, s[2:3]
	s_and_b64 s[4:5], s[8:9], s[18:19]
	s_and_saveexec_b64 s[2:3], s[4:5]
	s_cbranch_execnz .LBB273_359
.LBB273_342:
	s_or_b64 exec, exec, s[2:3]
	s_and_b64 s[4:5], s[10:11], s[18:19]
	s_and_saveexec_b64 s[2:3], s[4:5]
	s_cbranch_execnz .LBB273_363
.LBB273_343:
	s_or_b64 exec, exec, s[2:3]
	s_and_b64 s[4:5], s[12:13], s[18:19]
	s_and_saveexec_b64 s[2:3], s[4:5]
	s_cbranch_execnz .LBB273_367
.LBB273_344:
	s_or_b64 exec, exec, s[2:3]
	s_and_b64 s[4:5], s[14:15], s[18:19]
	s_and_saveexec_b64 s[2:3], s[4:5]
	s_cbranch_execnz .LBB273_371
.LBB273_345:
	s_or_b64 exec, exec, s[2:3]
	s_and_b64 s[2:3], s[16:17], s[18:19]
	s_and_saveexec_b64 s[4:5], s[2:3]
	s_cbranch_execnz .LBB273_375
.LBB273_346:
	s_endpgm
.LBB273_347:
	s_and_b64 vcc, exec, s[0:1]
	s_cbranch_vccnz .LBB273_349
; %bb.348:
	v_lshl_add_u64 v[22:23], v[32:33], 1, v[20:21]
	global_load_ushort v22, v[22:23], off
	s_waitcnt vmcnt(0)
	v_mul_f16_e32 v22, v52, v22
	v_cvt_f32_f16_e32 v22, v22
	s_branch .LBB273_350
.LBB273_349:
	v_mov_b32_e32 v22, 0
.LBB273_350:
	v_pk_add_f16 v16, v16, v6
	v_max_f16_e32 v23, v60, v60
	v_pk_add_f16 v17, v17, v7
	v_min_f16_e32 v23, v23, v16
	v_lshrrev_b32_e32 v24, 16, v60
	v_lshrrev_b32_e32 v16, 16, v16
	;; [unrolled: 1-line block ×3, first 2 shown]
	v_min3_f16 v16, v24, v16, v25
	v_min3_f16 v16, v23, v17, v16
	v_cvt_f32_f16_e32 v16, v16
	v_max_f32_e32 v17, v22, v22
	v_min_f32_e32 v16, v17, v16
	v_cvt_f16_f32_e32 v22, v16
	v_lshl_add_u64 v[16:17], v[32:33], 1, v[4:5]
	global_store_short v[16:17], v22, off
	s_or_b64 exec, exec, s[4:5]
	s_and_b64 s[4:5], s[2:3], s[18:19]
	s_and_saveexec_b64 s[2:3], s[4:5]
	s_cbranch_execz .LBB273_340
.LBB273_351:
	s_and_b64 vcc, exec, s[0:1]
	s_cbranch_vccnz .LBB273_353
; %bb.352:
	v_lshl_add_u64 v[16:17], v[34:35], 1, v[20:21]
	global_load_ushort v16, v[16:17], off
	s_waitcnt vmcnt(0)
	v_mul_f16_e32 v16, v52, v16
	v_cvt_f32_f16_e32 v16, v16
	s_branch .LBB273_354
.LBB273_353:
	v_mov_b32_e32 v16, 0
.LBB273_354:
	v_pk_add_f16 v17, v18, v6
	v_max_f16_e32 v18, v59, v59
	v_pk_add_f16 v19, v19, v7
	v_min_f16_e32 v18, v18, v17
	v_lshrrev_b32_e32 v22, 16, v59
	v_lshrrev_b32_e32 v17, 16, v17
	;; [unrolled: 1-line block ×3, first 2 shown]
	v_min3_f16 v17, v22, v17, v23
	v_min3_f16 v17, v18, v19, v17
	v_cvt_f32_f16_e32 v17, v17
	v_max_f32_e32 v16, v16, v16
	v_min_f32_e32 v16, v16, v17
	v_cvt_f16_f32_e32 v18, v16
	v_lshl_add_u64 v[16:17], v[34:35], 1, v[4:5]
	global_store_short v[16:17], v18, off
	s_or_b64 exec, exec, s[2:3]
	s_and_b64 s[4:5], s[6:7], s[18:19]
	s_and_saveexec_b64 s[2:3], s[4:5]
	s_cbranch_execz .LBB273_341
.LBB273_355:
	s_and_b64 vcc, exec, s[0:1]
	s_cbranch_vccnz .LBB273_357
; %bb.356:
	v_lshl_add_u64 v[16:17], v[36:37], 1, v[20:21]
	global_load_ushort v16, v[16:17], off
	s_waitcnt vmcnt(0)
	v_mul_f16_e32 v16, v52, v16
	v_cvt_f32_f16_e32 v16, v16
	s_branch .LBB273_358
.LBB273_357:
	v_mov_b32_e32 v16, 0
.LBB273_358:
	v_pk_add_f16 v12, v12, v6
	v_max_f16_e32 v17, v58, v58
	v_pk_add_f16 v13, v13, v7
	v_min_f16_e32 v17, v17, v12
	v_lshrrev_b32_e32 v18, 16, v58
	v_lshrrev_b32_e32 v12, 16, v12
	;; [unrolled: 1-line block ×3, first 2 shown]
	v_min3_f16 v12, v18, v12, v19
	v_min3_f16 v12, v17, v13, v12
	v_cvt_f32_f16_e32 v12, v12
	v_max_f32_e32 v13, v16, v16
	v_min_f32_e32 v12, v13, v12
	v_cvt_f16_f32_e32 v16, v12
	v_lshl_add_u64 v[12:13], v[36:37], 1, v[4:5]
	global_store_short v[12:13], v16, off
	s_or_b64 exec, exec, s[2:3]
	s_and_b64 s[4:5], s[8:9], s[18:19]
	s_and_saveexec_b64 s[2:3], s[4:5]
	s_cbranch_execz .LBB273_342
.LBB273_359:
	s_and_b64 vcc, exec, s[0:1]
	s_cbranch_vccnz .LBB273_361
; %bb.360:
	v_lshl_add_u64 v[12:13], v[38:39], 1, v[20:21]
	global_load_ushort v12, v[12:13], off
	s_waitcnt vmcnt(0)
	v_mul_f16_e32 v12, v52, v12
	v_cvt_f32_f16_e32 v12, v12
	s_branch .LBB273_362
.LBB273_361:
	v_mov_b32_e32 v12, 0
.LBB273_362:
	v_pk_add_f16 v13, v14, v6
	v_max_f16_e32 v14, v57, v57
	v_pk_add_f16 v15, v15, v7
	v_min_f16_e32 v14, v14, v13
	v_lshrrev_b32_e32 v16, 16, v57
	v_lshrrev_b32_e32 v13, 16, v13
	;; [unrolled: 1-line block ×3, first 2 shown]
	v_min3_f16 v13, v16, v13, v17
	v_min3_f16 v13, v14, v15, v13
	v_cvt_f32_f16_e32 v13, v13
	v_max_f32_e32 v12, v12, v12
	v_min_f32_e32 v12, v12, v13
	v_cvt_f16_f32_e32 v14, v12
	v_lshl_add_u64 v[12:13], v[38:39], 1, v[4:5]
	global_store_short v[12:13], v14, off
	s_or_b64 exec, exec, s[2:3]
	s_and_b64 s[4:5], s[10:11], s[18:19]
	s_and_saveexec_b64 s[2:3], s[4:5]
	s_cbranch_execz .LBB273_343
.LBB273_363:
	s_and_b64 vcc, exec, s[0:1]
	s_cbranch_vccnz .LBB273_365
; %bb.364:
	v_lshl_add_u64 v[12:13], v[40:41], 1, v[20:21]
	global_load_ushort v12, v[12:13], off
	s_waitcnt vmcnt(0)
	v_mul_f16_e32 v12, v52, v12
	v_cvt_f32_f16_e32 v12, v12
	s_branch .LBB273_366
.LBB273_365:
	v_mov_b32_e32 v12, 0
.LBB273_366:
	v_pk_add_f16 v8, v8, v6
	v_max_f16_e32 v13, v55, v55
	v_pk_add_f16 v9, v9, v7
	v_min_f16_e32 v13, v13, v8
	v_lshrrev_b32_e32 v14, 16, v55
	v_lshrrev_b32_e32 v8, 16, v8
	;; [unrolled: 1-line block ×3, first 2 shown]
	v_min3_f16 v8, v14, v8, v15
	v_min3_f16 v8, v13, v9, v8
	v_cvt_f32_f16_e32 v8, v8
	v_max_f32_e32 v9, v12, v12
	v_min_f32_e32 v8, v9, v8
	v_cvt_f16_f32_e32 v12, v8
	v_lshl_add_u64 v[8:9], v[40:41], 1, v[4:5]
	global_store_short v[8:9], v12, off
	s_or_b64 exec, exec, s[2:3]
	s_and_b64 s[4:5], s[12:13], s[18:19]
	s_and_saveexec_b64 s[2:3], s[4:5]
	s_cbranch_execz .LBB273_344
.LBB273_367:
	s_and_b64 vcc, exec, s[0:1]
	s_cbranch_vccnz .LBB273_369
; %bb.368:
	v_lshl_add_u64 v[8:9], v[42:43], 1, v[20:21]
	global_load_ushort v8, v[8:9], off
	s_waitcnt vmcnt(0)
	v_mul_f16_e32 v8, v52, v8
	v_cvt_f32_f16_e32 v8, v8
	s_branch .LBB273_370
.LBB273_369:
	v_mov_b32_e32 v8, 0
.LBB273_370:
	v_pk_add_f16 v9, v10, v6
	v_max_f16_e32 v10, v54, v54
	v_pk_add_f16 v11, v11, v7
	v_min_f16_e32 v10, v10, v9
	v_lshrrev_b32_e32 v12, 16, v54
	v_lshrrev_b32_e32 v9, 16, v9
	;; [unrolled: 1-line block ×3, first 2 shown]
	v_min3_f16 v9, v12, v9, v13
	v_min3_f16 v9, v10, v11, v9
	v_cvt_f32_f16_e32 v9, v9
	v_max_f32_e32 v8, v8, v8
	v_min_f32_e32 v8, v8, v9
	v_cvt_f16_f32_e32 v10, v8
	v_lshl_add_u64 v[8:9], v[42:43], 1, v[4:5]
	global_store_short v[8:9], v10, off
	s_or_b64 exec, exec, s[2:3]
	s_and_b64 s[4:5], s[14:15], s[18:19]
	s_and_saveexec_b64 s[2:3], s[4:5]
	s_cbranch_execz .LBB273_345
.LBB273_371:
	s_and_b64 vcc, exec, s[0:1]
	s_cbranch_vccnz .LBB273_373
; %bb.372:
	v_lshl_add_u64 v[8:9], v[44:45], 1, v[20:21]
	global_load_ushort v8, v[8:9], off
	s_waitcnt vmcnt(0)
	v_mul_f16_e32 v8, v52, v8
	v_cvt_f32_f16_e32 v8, v8
	s_branch .LBB273_374
.LBB273_373:
	v_mov_b32_e32 v8, 0
.LBB273_374:
	v_pk_add_f16 v0, v0, v6
	v_max_f16_e32 v9, v53, v53
	v_pk_add_f16 v1, v1, v7
	v_min_f16_e32 v9, v9, v0
	v_lshrrev_b32_e32 v10, 16, v53
	v_lshrrev_b32_e32 v0, 16, v0
	;; [unrolled: 1-line block ×3, first 2 shown]
	v_min3_f16 v0, v10, v0, v11
	v_min3_f16 v0, v9, v1, v0
	v_cvt_f32_f16_e32 v0, v0
	v_max_f32_e32 v1, v8, v8
	v_min_f32_e32 v0, v1, v0
	v_cvt_f16_f32_e32 v8, v0
	v_lshl_add_u64 v[0:1], v[44:45], 1, v[4:5]
	global_store_short v[0:1], v8, off
	s_or_b64 exec, exec, s[2:3]
	s_and_b64 s[2:3], s[16:17], s[18:19]
	s_and_saveexec_b64 s[4:5], s[2:3]
	s_cbranch_execz .LBB273_346
.LBB273_375:
	s_and_b64 vcc, exec, s[0:1]
	s_cbranch_vccnz .LBB273_377
; %bb.376:
	v_lshl_add_u64 v[0:1], v[46:47], 1, v[20:21]
	global_load_ushort v0, v[0:1], off
	s_waitcnt vmcnt(0)
	v_mul_f16_e32 v0, v52, v0
	v_cvt_f32_f16_e32 v0, v0
	s_branch .LBB273_378
.LBB273_377:
	v_mov_b32_e32 v0, 0
.LBB273_378:
	v_pk_add_f16 v1, v2, v6
	v_max_f16_e32 v2, v56, v56
	v_pk_add_f16 v3, v3, v7
	v_min_f16_e32 v2, v2, v1
	v_lshrrev_b32_e32 v6, 16, v56
	v_lshrrev_b32_e32 v1, 16, v1
	;; [unrolled: 1-line block ×3, first 2 shown]
	v_min3_f16 v1, v6, v1, v7
	v_min3_f16 v1, v2, v3, v1
	v_cvt_f32_f16_e32 v1, v1
	v_max_f32_e32 v0, v0, v0
	v_min_f32_e32 v0, v0, v1
	v_cvt_f16_f32_e32 v2, v0
	v_lshl_add_u64 v[0:1], v[46:47], 1, v[4:5]
	global_store_short v[0:1], v2, off
	s_endpgm
	.section	.rodata,"a",@progbits
	.p2align	6, 0x0
	.amdhsa_kernel _ZN12_GLOBAL__N_120geam_min_plus_kernelIDF16_Dv2_DF16_S1_Li8ELi32ELi64ELi256ELi4ELi64ELi4ELi64ELi4ELc78ELc84ELb0ELb1ELb1EPKDF16_S2_DF16_EEviiiT16_PT17_ilS6_ilS4_S6_ilPT18_ili26rocblas_geam_ex_operation_
		.amdhsa_group_segment_fixed_size 5120
		.amdhsa_private_segment_fixed_size 0
		.amdhsa_kernarg_size 136
		.amdhsa_user_sgpr_count 2
		.amdhsa_user_sgpr_dispatch_ptr 0
		.amdhsa_user_sgpr_queue_ptr 0
		.amdhsa_user_sgpr_kernarg_segment_ptr 1
		.amdhsa_user_sgpr_dispatch_id 0
		.amdhsa_user_sgpr_kernarg_preload_length 0
		.amdhsa_user_sgpr_kernarg_preload_offset 0
		.amdhsa_user_sgpr_private_segment_size 0
		.amdhsa_uses_dynamic_stack 0
		.amdhsa_enable_private_segment 0
		.amdhsa_system_sgpr_workgroup_id_x 1
		.amdhsa_system_sgpr_workgroup_id_y 0
		.amdhsa_system_sgpr_workgroup_id_z 1
		.amdhsa_system_sgpr_workgroup_info 0
		.amdhsa_system_vgpr_workitem_id 1
		.amdhsa_next_free_vgpr 182
		.amdhsa_next_free_sgpr 42
		.amdhsa_accum_offset 184
		.amdhsa_reserve_vcc 1
		.amdhsa_float_round_mode_32 0
		.amdhsa_float_round_mode_16_64 0
		.amdhsa_float_denorm_mode_32 3
		.amdhsa_float_denorm_mode_16_64 3
		.amdhsa_dx10_clamp 1
		.amdhsa_ieee_mode 1
		.amdhsa_fp16_overflow 0
		.amdhsa_tg_split 0
		.amdhsa_exception_fp_ieee_invalid_op 0
		.amdhsa_exception_fp_denorm_src 0
		.amdhsa_exception_fp_ieee_div_zero 0
		.amdhsa_exception_fp_ieee_overflow 0
		.amdhsa_exception_fp_ieee_underflow 0
		.amdhsa_exception_fp_ieee_inexact 0
		.amdhsa_exception_int_div_zero 0
	.end_amdhsa_kernel
	.section	.text._ZN12_GLOBAL__N_120geam_min_plus_kernelIDF16_Dv2_DF16_S1_Li8ELi32ELi64ELi256ELi4ELi64ELi4ELi64ELi4ELc78ELc84ELb0ELb1ELb1EPKDF16_S2_DF16_EEviiiT16_PT17_ilS6_ilS4_S6_ilPT18_ili26rocblas_geam_ex_operation_,"axG",@progbits,_ZN12_GLOBAL__N_120geam_min_plus_kernelIDF16_Dv2_DF16_S1_Li8ELi32ELi64ELi256ELi4ELi64ELi4ELi64ELi4ELc78ELc84ELb0ELb1ELb1EPKDF16_S2_DF16_EEviiiT16_PT17_ilS6_ilS4_S6_ilPT18_ili26rocblas_geam_ex_operation_,comdat
.Lfunc_end273:
	.size	_ZN12_GLOBAL__N_120geam_min_plus_kernelIDF16_Dv2_DF16_S1_Li8ELi32ELi64ELi256ELi4ELi64ELi4ELi64ELi4ELc78ELc84ELb0ELb1ELb1EPKDF16_S2_DF16_EEviiiT16_PT17_ilS6_ilS4_S6_ilPT18_ili26rocblas_geam_ex_operation_, .Lfunc_end273-_ZN12_GLOBAL__N_120geam_min_plus_kernelIDF16_Dv2_DF16_S1_Li8ELi32ELi64ELi256ELi4ELi64ELi4ELi64ELi4ELc78ELc84ELb0ELb1ELb1EPKDF16_S2_DF16_EEviiiT16_PT17_ilS6_ilS4_S6_ilPT18_ili26rocblas_geam_ex_operation_
                                        ; -- End function
	.set _ZN12_GLOBAL__N_120geam_min_plus_kernelIDF16_Dv2_DF16_S1_Li8ELi32ELi64ELi256ELi4ELi64ELi4ELi64ELi4ELc78ELc84ELb0ELb1ELb1EPKDF16_S2_DF16_EEviiiT16_PT17_ilS6_ilS4_S6_ilPT18_ili26rocblas_geam_ex_operation_.num_vgpr, 182
	.set _ZN12_GLOBAL__N_120geam_min_plus_kernelIDF16_Dv2_DF16_S1_Li8ELi32ELi64ELi256ELi4ELi64ELi4ELi64ELi4ELc78ELc84ELb0ELb1ELb1EPKDF16_S2_DF16_EEviiiT16_PT17_ilS6_ilS4_S6_ilPT18_ili26rocblas_geam_ex_operation_.num_agpr, 0
	.set _ZN12_GLOBAL__N_120geam_min_plus_kernelIDF16_Dv2_DF16_S1_Li8ELi32ELi64ELi256ELi4ELi64ELi4ELi64ELi4ELc78ELc84ELb0ELb1ELb1EPKDF16_S2_DF16_EEviiiT16_PT17_ilS6_ilS4_S6_ilPT18_ili26rocblas_geam_ex_operation_.numbered_sgpr, 42
	.set _ZN12_GLOBAL__N_120geam_min_plus_kernelIDF16_Dv2_DF16_S1_Li8ELi32ELi64ELi256ELi4ELi64ELi4ELi64ELi4ELc78ELc84ELb0ELb1ELb1EPKDF16_S2_DF16_EEviiiT16_PT17_ilS6_ilS4_S6_ilPT18_ili26rocblas_geam_ex_operation_.num_named_barrier, 0
	.set _ZN12_GLOBAL__N_120geam_min_plus_kernelIDF16_Dv2_DF16_S1_Li8ELi32ELi64ELi256ELi4ELi64ELi4ELi64ELi4ELc78ELc84ELb0ELb1ELb1EPKDF16_S2_DF16_EEviiiT16_PT17_ilS6_ilS4_S6_ilPT18_ili26rocblas_geam_ex_operation_.private_seg_size, 0
	.set _ZN12_GLOBAL__N_120geam_min_plus_kernelIDF16_Dv2_DF16_S1_Li8ELi32ELi64ELi256ELi4ELi64ELi4ELi64ELi4ELc78ELc84ELb0ELb1ELb1EPKDF16_S2_DF16_EEviiiT16_PT17_ilS6_ilS4_S6_ilPT18_ili26rocblas_geam_ex_operation_.uses_vcc, 1
	.set _ZN12_GLOBAL__N_120geam_min_plus_kernelIDF16_Dv2_DF16_S1_Li8ELi32ELi64ELi256ELi4ELi64ELi4ELi64ELi4ELc78ELc84ELb0ELb1ELb1EPKDF16_S2_DF16_EEviiiT16_PT17_ilS6_ilS4_S6_ilPT18_ili26rocblas_geam_ex_operation_.uses_flat_scratch, 0
	.set _ZN12_GLOBAL__N_120geam_min_plus_kernelIDF16_Dv2_DF16_S1_Li8ELi32ELi64ELi256ELi4ELi64ELi4ELi64ELi4ELc78ELc84ELb0ELb1ELb1EPKDF16_S2_DF16_EEviiiT16_PT17_ilS6_ilS4_S6_ilPT18_ili26rocblas_geam_ex_operation_.has_dyn_sized_stack, 0
	.set _ZN12_GLOBAL__N_120geam_min_plus_kernelIDF16_Dv2_DF16_S1_Li8ELi32ELi64ELi256ELi4ELi64ELi4ELi64ELi4ELc78ELc84ELb0ELb1ELb1EPKDF16_S2_DF16_EEviiiT16_PT17_ilS6_ilS4_S6_ilPT18_ili26rocblas_geam_ex_operation_.has_recursion, 0
	.set _ZN12_GLOBAL__N_120geam_min_plus_kernelIDF16_Dv2_DF16_S1_Li8ELi32ELi64ELi256ELi4ELi64ELi4ELi64ELi4ELc78ELc84ELb0ELb1ELb1EPKDF16_S2_DF16_EEviiiT16_PT17_ilS6_ilS4_S6_ilPT18_ili26rocblas_geam_ex_operation_.has_indirect_call, 0
	.section	.AMDGPU.csdata,"",@progbits
; Kernel info:
; codeLenInByte = 21012
; TotalNumSgprs: 48
; NumVgprs: 182
; NumAgprs: 0
; TotalNumVgprs: 182
; ScratchSize: 0
; MemoryBound: 0
; FloatMode: 240
; IeeeMode: 1
; LDSByteSize: 5120 bytes/workgroup (compile time only)
; SGPRBlocks: 5
; VGPRBlocks: 22
; NumSGPRsForWavesPerEU: 48
; NumVGPRsForWavesPerEU: 182
; AccumOffset: 184
; Occupancy: 2
; WaveLimiterHint : 0
; COMPUTE_PGM_RSRC2:SCRATCH_EN: 0
; COMPUTE_PGM_RSRC2:USER_SGPR: 2
; COMPUTE_PGM_RSRC2:TRAP_HANDLER: 0
; COMPUTE_PGM_RSRC2:TGID_X_EN: 1
; COMPUTE_PGM_RSRC2:TGID_Y_EN: 0
; COMPUTE_PGM_RSRC2:TGID_Z_EN: 1
; COMPUTE_PGM_RSRC2:TIDIG_COMP_CNT: 1
; COMPUTE_PGM_RSRC3_GFX90A:ACCUM_OFFSET: 45
; COMPUTE_PGM_RSRC3_GFX90A:TG_SPLIT: 0
	.section	.text._ZN12_GLOBAL__N_120geam_min_plus_kernelIDF16_Dv2_DF16_S1_Li8ELi32ELi64ELi256ELi4ELi64ELi4ELi64ELi4ELc78ELc84ELb1ELb1ELb1EDF16_KDF16_DF16_EEviiiT16_PT17_ilS5_ilS3_S5_ilPT18_ili26rocblas_geam_ex_operation_,"axG",@progbits,_ZN12_GLOBAL__N_120geam_min_plus_kernelIDF16_Dv2_DF16_S1_Li8ELi32ELi64ELi256ELi4ELi64ELi4ELi64ELi4ELc78ELc84ELb1ELb1ELb1EDF16_KDF16_DF16_EEviiiT16_PT17_ilS5_ilS3_S5_ilPT18_ili26rocblas_geam_ex_operation_,comdat
	.globl	_ZN12_GLOBAL__N_120geam_min_plus_kernelIDF16_Dv2_DF16_S1_Li8ELi32ELi64ELi256ELi4ELi64ELi4ELi64ELi4ELc78ELc84ELb1ELb1ELb1EDF16_KDF16_DF16_EEviiiT16_PT17_ilS5_ilS3_S5_ilPT18_ili26rocblas_geam_ex_operation_ ; -- Begin function _ZN12_GLOBAL__N_120geam_min_plus_kernelIDF16_Dv2_DF16_S1_Li8ELi32ELi64ELi256ELi4ELi64ELi4ELi64ELi4ELc78ELc84ELb1ELb1ELb1EDF16_KDF16_DF16_EEviiiT16_PT17_ilS5_ilS3_S5_ilPT18_ili26rocblas_geam_ex_operation_
	.p2align	8
	.type	_ZN12_GLOBAL__N_120geam_min_plus_kernelIDF16_Dv2_DF16_S1_Li8ELi32ELi64ELi256ELi4ELi64ELi4ELi64ELi4ELc78ELc84ELb1ELb1ELb1EDF16_KDF16_DF16_EEviiiT16_PT17_ilS5_ilS3_S5_ilPT18_ili26rocblas_geam_ex_operation_,@function
_ZN12_GLOBAL__N_120geam_min_plus_kernelIDF16_Dv2_DF16_S1_Li8ELi32ELi64ELi256ELi4ELi64ELi4ELi64ELi4ELc78ELc84ELb1ELb1ELb1EDF16_KDF16_DF16_EEviiiT16_PT17_ilS5_ilS3_S5_ilPT18_ili26rocblas_geam_ex_operation_: ; @_ZN12_GLOBAL__N_120geam_min_plus_kernelIDF16_Dv2_DF16_S1_Li8ELi32ELi64ELi256ELi4ELi64ELi4ELi64ELi4ELc78ELc84ELb1ELb1ELb1EDF16_KDF16_DF16_EEviiiT16_PT17_ilS5_ilS3_S5_ilPT18_ili26rocblas_geam_ex_operation_
; %bb.0:
	s_load_dwordx4 s[20:23], s[0:1], 0x0
	s_load_dwordx4 s[4:7], s[0:1], 0x20
	s_waitcnt lgkmcnt(0)
	v_cmp_eq_f16_e64 s[8:9], s23, 0
	s_and_b64 vcc, exec, s[8:9]
	s_cbranch_vccnz .LBB274_53
; %bb.1:
	s_load_dwordx2 s[10:11], s[0:1], 0x10
	s_mul_i32 s5, s5, s3
	s_mul_hi_u32 s12, s4, s3
	s_add_i32 s5, s12, s5
	s_mul_i32 s4, s4, s3
	s_lshl_b64 s[4:5], s[4:5], 1
	s_waitcnt lgkmcnt(0)
	s_add_u32 s18, s10, s4
	s_addc_u32 s19, s11, s5
	s_andn2_b64 vcc, exec, s[8:9]
	s_mov_b64 s[4:5], -1
	s_cbranch_vccnz .LBB274_3
.LBB274_2:
	s_mov_b64 s[4:5], 0
.LBB274_3:
	s_mov_b64 s[24:25], 0
	s_andn2_b64 vcc, exec, s[4:5]
	s_mov_b64 s[28:29], 0
	s_cbranch_vccnz .LBB274_5
; %bb.4:
	s_load_dwordx2 s[4:5], s[0:1], 0x38
	s_waitcnt lgkmcnt(0)
	s_mul_i32 s5, s5, s3
	s_mul_hi_u32 s8, s4, s3
	s_add_i32 s5, s8, s5
	s_mul_i32 s4, s4, s3
	s_lshl_b64 s[4:5], s[4:5], 1
	s_add_u32 s28, s6, s4
	s_addc_u32 s29, s7, s5
.LBB274_5:
	s_load_dword s33, s[0:1], 0x40
	s_load_dwordx4 s[12:15], s[0:1], 0x58
	s_waitcnt lgkmcnt(0)
	v_cmp_eq_f16_e64 s[4:5], s33, 0
	v_cmp_neq_f16_e64 s[16:17], s33, 0
	s_and_b64 vcc, exec, s[4:5]
	s_cbranch_vccnz .LBB274_7
; %bb.6:
	s_load_dwordx2 s[4:5], s[0:1], 0x48
	s_mul_i32 s6, s13, s3
	s_mul_hi_u32 s7, s12, s3
	s_add_i32 s7, s7, s6
	s_mul_i32 s6, s12, s3
	s_lshl_b64 s[6:7], s[6:7], 1
	s_waitcnt lgkmcnt(0)
	s_add_u32 s24, s4, s6
	s_addc_u32 s25, s5, s7
.LBB274_7:
	s_add_i32 s4, s20, -1
	s_ashr_i32 s5, s4, 31
	s_lshr_b32 s5, s5, 26
	s_add_i32 s4, s4, s5
	s_ashr_i32 s4, s4, 6
	s_add_i32 s5, s4, 1
	v_cvt_f32_u32_e32 v1, s5
	s_not_b32 s4, s4
	s_load_dword s30, s[0:1], 0x18
	v_and_b32_e32 v33, 0x3ff, v0
	v_rcp_iflag_f32_e32 v1, v1
	v_bfe_u32 v48, v0, 10, 10
	v_lshl_add_u32 v0, v48, 3, v33
	s_waitcnt lgkmcnt(0)
	s_ashr_i32 s31, s30, 31
	v_mul_f32_e32 v1, 0x4f7ffffe, v1
	v_cvt_u32_f32_e32 v1, v1
	v_and_b32_e32 v2, 63, v0
	v_lshrrev_b32_e32 v32, 6, v0
	v_cmp_le_i32_e64 s[10:11], s22, v32
	v_readfirstlane_b32 s6, v1
	s_mul_i32 s4, s4, s6
	s_mul_hi_u32 s4, s6, s4
	s_add_i32 s6, s6, s4
	s_mul_hi_u32 s4, s2, s6
	s_mul_i32 s6, s4, s5
	s_sub_i32 s6, s2, s6
	s_add_i32 s7, s4, 1
	s_sub_i32 s8, s6, s5
	s_cmp_ge_u32 s6, s5
	s_cselect_b32 s4, s7, s4
	s_cselect_b32 s6, s8, s6
	s_add_i32 s7, s4, 1
	s_cmp_ge_u32 s6, s5
	s_cselect_b32 s6, s7, s4
	s_mul_i32 s4, s6, s5
	s_sub_i32 s2, s2, s4
	s_lshl_b32 s2, s2, 6
	v_or_b32_e32 v28, s2, v2
	v_cmp_le_i32_e32 vcc, s20, v28
	s_nor_b64 s[8:9], vcc, s[10:11]
	v_mov_b32_e32 v3, 0x7c00
	v_ashrrev_i32_e32 v29, 31, v28
	v_mov_b32_e32 v4, 0x7c00
	s_and_saveexec_b64 s[4:5], s[8:9]
	s_cbranch_execz .LBB274_9
; %bb.8:
	v_mad_i64_i32 v[0:1], s[8:9], s30, v32, 0
	v_lshl_add_u64 v[0:1], v[0:1], 1, s[18:19]
	v_lshl_add_u64 v[0:1], v[28:29], 1, v[0:1]
	global_load_ushort v4, v[0:1], off
.LBB274_9:
	s_or_b64 exec, exec, s[4:5]
	s_load_dword s34, s[0:1], 0x30
	s_lshl_b32 s36, s6, 8
	v_or_b32_e32 v30, s36, v2
	v_cmp_le_i32_e64 s[12:13], s21, v30
	s_nor_b64 s[6:7], s[12:13], s[10:11]
	s_waitcnt lgkmcnt(0)
	v_mad_i64_i32 v[0:1], s[4:5], v32, s34, 0
	v_lshl_add_u64 v[0:1], v[0:1], 1, s[28:29]
	v_ashrrev_i32_e32 v31, 31, v30
	s_and_saveexec_b64 s[4:5], s[6:7]
	s_cbranch_execz .LBB274_11
; %bb.10:
	v_lshl_add_u64 v[6:7], v[30:31], 1, v[0:1]
	global_load_ushort v3, v[6:7], off
.LBB274_11:
	s_or_b64 exec, exec, s[4:5]
	v_or_b32_e32 v5, 64, v30
	v_cmp_le_i32_e64 s[4:5], s21, v5
	s_nor_b64 s[8:9], s[4:5], s[10:11]
	v_mov_b32_e32 v5, 0x7c00
	v_mov_b32_e32 v6, 0x7c00
	s_and_saveexec_b64 s[6:7], s[8:9]
	s_cbranch_execz .LBB274_13
; %bb.12:
	v_lshl_add_u64 v[6:7], v[30:31], 1, v[0:1]
	global_load_ushort v6, v[6:7], off offset:128
.LBB274_13:
	s_or_b64 exec, exec, s[6:7]
	v_or_b32_e32 v7, 0x80, v30
	v_cmp_le_i32_e64 s[6:7], s21, v7
	s_ashr_i32 s35, s34, 31
	s_nor_b64 s[26:27], s[6:7], s[10:11]
	s_and_saveexec_b64 s[8:9], s[26:27]
	s_cbranch_execz .LBB274_15
; %bb.14:
	v_lshl_add_u64 v[8:9], v[30:31], 1, v[0:1]
	global_load_ushort v5, v[8:9], off offset:256
.LBB274_15:
	s_or_b64 exec, exec, s[8:9]
	v_or_b32_e32 v7, 0xc0, v30
	v_cmp_le_i32_e64 s[8:9], s21, v7
	s_nor_b64 s[26:27], s[8:9], s[10:11]
	v_mov_b32_e32 v34, 0x7c00
	v_mov_b32_e32 v7, 0x7c00
	s_and_saveexec_b64 s[10:11], s[26:27]
	s_cbranch_execz .LBB274_17
; %bb.16:
	v_lshl_add_u64 v[0:1], v[30:31], 1, v[0:1]
	global_load_ushort v7, v[0:1], off offset:384
.LBB274_17:
	s_or_b64 exec, exec, s[10:11]
	v_add_u32_e32 v0, 4, v32
	v_cmp_le_i32_e64 s[10:11], s22, v0
	s_nor_b64 s[38:39], vcc, s[10:11]
	s_and_saveexec_b64 s[26:27], s[38:39]
	s_cbranch_execz .LBB274_19
; %bb.18:
	v_mad_u64_u32 v[8:9], s[38:39], s30, v0, 0
	v_mov_b32_e32 v10, v9
	v_mad_u64_u32 v[10:11], s[38:39], s31, v0, v[10:11]
	v_mov_b32_e32 v9, v10
	v_lshl_add_u64 v[8:9], v[8:9], 1, s[18:19]
	v_lshl_add_u64 v[8:9], v[28:29], 1, v[8:9]
	global_load_ushort v34, v[8:9], off
.LBB274_19:
	s_or_b64 exec, exec, s[26:27]
	v_mad_u64_u32 v[8:9], s[26:27], v0, s34, 0
	v_mov_b32_e32 v10, v9
	v_mad_u64_u32 v[0:1], s[26:27], v0, s35, v[10:11]
	v_mov_b32_e32 v9, v0
	v_lshl_add_u64 v[0:1], v[8:9], 1, s[28:29]
	s_nor_b64 s[38:39], s[12:13], s[10:11]
	v_mov_b32_e32 v35, 0x7c00
	v_mov_b32_e32 v36, 0x7c00
	s_and_saveexec_b64 s[26:27], s[38:39]
	s_cbranch_execz .LBB274_21
; %bb.20:
	v_lshl_add_u64 v[8:9], v[30:31], 1, v[0:1]
	global_load_ushort v36, v[8:9], off
.LBB274_21:
	s_or_b64 exec, exec, s[26:27]
	s_nor_b64 s[38:39], s[4:5], s[10:11]
	s_and_saveexec_b64 s[26:27], s[38:39]
	s_cbranch_execz .LBB274_23
; %bb.22:
	v_lshl_add_u64 v[8:9], v[30:31], 1, v[0:1]
	global_load_ushort v35, v[8:9], off offset:128
.LBB274_23:
	s_or_b64 exec, exec, s[26:27]
	s_nor_b64 s[38:39], s[6:7], s[10:11]
	v_mov_b32_e32 v37, 0x7c00
	v_mov_b32_e32 v38, 0x7c00
	s_and_saveexec_b64 s[26:27], s[38:39]
	s_cbranch_execz .LBB274_25
; %bb.24:
	v_lshl_add_u64 v[8:9], v[30:31], 1, v[0:1]
	global_load_ushort v38, v[8:9], off offset:256
.LBB274_25:
	s_or_b64 exec, exec, s[26:27]
	s_nor_b64 s[26:27], s[8:9], s[10:11]
	s_and_saveexec_b64 s[10:11], s[26:27]
	s_cbranch_execz .LBB274_27
; %bb.26:
	v_lshl_add_u64 v[0:1], v[30:31], 1, v[0:1]
	global_load_ushort v37, v[0:1], off offset:384
.LBB274_27:
	s_or_b64 exec, exec, s[10:11]
	v_lshlrev_b32_e32 v0, 3, v2
	v_lshlrev_b32_e32 v50, 3, v33
	v_lshl_add_u32 v51, v32, 1, v0
	v_add_u32_e32 v92, 0x1000, v50
	s_waitcnt vmcnt(0)
	ds_write_b16 v51, v4 offset:4096
	ds_write_b16 v51, v3
	ds_write_b16 v51, v6 offset:512
	ds_write_b16 v51, v5 offset:1024
	;; [unrolled: 1-line block ×3, first 2 shown]
	s_waitcnt lgkmcnt(0)
	s_barrier
	v_lshlrev_b32_e32 v49, 3, v48
	ds_read2_b64 v[16:19], v92 offset1:8
	ds_read2_b64 v[12:15], v92 offset0:16 offset1:24
	ds_read2_b64 v[4:7], v92 offset0:32 offset1:40
	ds_read2_b64 v[40:43], v49 offset1:32
	ds_read2_b64 v[0:3], v92 offset0:48 offset1:56
	ds_read2_b64 v[24:27], v49 offset0:64 offset1:96
	;; [unrolled: 1-line block ×4, first 2 shown]
	s_waitcnt lgkmcnt(4)
	v_pk_add_f16 v39, v16, v40
	s_movk_i32 s10, 0x7c00
	v_pk_add_f16 v44, v18, v40
	v_pk_add_f16 v45, v12, v40
	;; [unrolled: 1-line block ×5, first 2 shown]
	s_waitcnt lgkmcnt(3)
	v_pk_add_f16 v53, v0, v40
	v_pk_add_f16 v40, v2, v40
	v_pk_add_f16 v54, v16, v42
	v_pk_add_f16 v55, v18, v42
	v_pk_add_f16 v56, v12, v42
	v_pk_add_f16 v57, v14, v42
	v_pk_add_f16 v58, v4, v42
	v_pk_add_f16 v59, v6, v42
	v_pk_add_f16 v60, v0, v42
	v_pk_add_f16 v42, v2, v42
	s_waitcnt lgkmcnt(2)
	v_pk_add_f16 v61, v16, v24
	v_pk_add_f16 v62, v18, v24
	v_pk_add_f16 v63, v12, v24
	v_pk_add_f16 v64, v14, v24
	v_pk_add_f16 v65, v4, v24
	v_pk_add_f16 v66, v6, v24
	v_pk_add_f16 v67, v0, v24
	v_pk_add_f16 v24, v2, v24
	v_pk_add_f16 v68, v16, v26
	v_pk_add_f16 v69, v18, v26
	v_pk_add_f16 v70, v12, v26
	v_pk_add_f16 v71, v14, v26
	v_pk_add_f16 v72, v4, v26
	v_pk_add_f16 v73, v6, v26
	v_pk_add_f16 v74, v0, v26
	v_pk_add_f16 v26, v2, v26
	s_waitcnt lgkmcnt(1)
	v_pk_add_f16 v75, v16, v20
	v_pk_add_f16 v76, v18, v20
	v_pk_add_f16 v77, v12, v20
	v_pk_add_f16 v78, v14, v20
	v_pk_add_f16 v79, v4, v20
	v_pk_add_f16 v117, v6, v20
	;; [unrolled: 17-line block ×3, first 2 shown]
	v_pk_add_f16 v132, v0, v8
	v_pk_add_f16 v8, v2, v8
	;; [unrolled: 1-line block ×11, first 2 shown]
	v_pk_min_f16 v10, v39, s10 op_sel_hi:[1,0]
	v_pk_min_f16 v8, v8, s10 op_sel_hi:[1,0]
	v_pk_min_f16 v116, v10, v2
	v_pk_add_f16 v2, v19, v41
	v_pk_min_f16 v10, v44, s10 op_sel_hi:[1,0]
	v_pk_min_f16 v4, v4, s10 op_sel_hi:[1,0]
	v_pk_min_f16 v115, v10, v2
	v_pk_add_f16 v2, v13, v41
	;; [unrolled: 4-line block ×3, first 2 shown]
	v_pk_min_f16 v10, v46, s10 op_sel_hi:[1,0]
	s_cmp_lt_i32 s22, 9
	v_pk_min_f16 v113, v10, v2
	v_pk_add_f16 v2, v5, v41
	v_pk_min_f16 v10, v47, s10 op_sel_hi:[1,0]
	ds_write_b16 v51, v34 offset:4608
	ds_write_b16 v51, v36 offset:2048
	;; [unrolled: 1-line block ×5, first 2 shown]
	v_pk_min_f16 v112, v10, v2
	v_pk_add_f16 v2, v7, v41
	v_pk_min_f16 v10, v52, s10 op_sel_hi:[1,0]
	s_waitcnt lgkmcnt(0)
	v_pk_min_f16 v111, v10, v2
	v_pk_add_f16 v2, v1, v41
	v_pk_min_f16 v10, v53, s10 op_sel_hi:[1,0]
	s_barrier
	v_pk_min_f16 v110, v10, v2
	v_pk_add_f16 v2, v3, v41
	v_pk_min_f16 v10, v40, s10 op_sel_hi:[1,0]
	s_nop 0
	v_pk_min_f16 v109, v10, v2
	v_pk_add_f16 v2, v17, v43
	v_pk_min_f16 v10, v54, s10 op_sel_hi:[1,0]
	s_nop 0
	v_pk_min_f16 v108, v10, v2
	v_pk_add_f16 v2, v19, v43
	v_pk_min_f16 v10, v55, s10 op_sel_hi:[1,0]
	s_nop 0
	v_pk_min_f16 v107, v10, v2
	v_pk_add_f16 v2, v13, v43
	v_pk_min_f16 v10, v56, s10 op_sel_hi:[1,0]
	s_nop 0
	v_pk_min_f16 v106, v10, v2
	v_pk_add_f16 v2, v15, v43
	v_pk_min_f16 v10, v57, s10 op_sel_hi:[1,0]
	s_nop 0
	v_pk_min_f16 v105, v10, v2
	v_pk_add_f16 v2, v5, v43
	v_pk_min_f16 v10, v58, s10 op_sel_hi:[1,0]
	s_nop 0
	v_pk_min_f16 v103, v10, v2
	v_pk_add_f16 v2, v7, v43
	v_pk_min_f16 v10, v59, s10 op_sel_hi:[1,0]
	s_nop 0
	v_pk_min_f16 v101, v10, v2
	v_pk_add_f16 v2, v1, v43
	v_pk_min_f16 v10, v60, s10 op_sel_hi:[1,0]
	s_nop 0
	v_pk_min_f16 v99, v10, v2
	v_pk_add_f16 v2, v3, v43
	v_pk_min_f16 v10, v42, s10 op_sel_hi:[1,0]
	s_nop 0
	v_pk_min_f16 v97, v10, v2
	v_pk_add_f16 v2, v17, v25
	v_pk_min_f16 v10, v61, s10 op_sel_hi:[1,0]
	s_nop 0
	v_pk_min_f16 v96, v10, v2
	v_pk_add_f16 v2, v19, v25
	v_pk_min_f16 v10, v62, s10 op_sel_hi:[1,0]
	s_nop 0
	v_pk_min_f16 v93, v10, v2
	v_pk_add_f16 v2, v13, v25
	v_pk_min_f16 v10, v63, s10 op_sel_hi:[1,0]
	s_nop 0
	v_pk_min_f16 v90, v10, v2
	v_pk_add_f16 v2, v15, v25
	v_pk_min_f16 v10, v64, s10 op_sel_hi:[1,0]
	s_nop 0
	v_pk_min_f16 v88, v10, v2
	v_pk_add_f16 v2, v5, v25
	v_pk_min_f16 v10, v65, s10 op_sel_hi:[1,0]
	s_nop 0
	v_pk_min_f16 v86, v10, v2
	v_pk_add_f16 v2, v7, v25
	v_pk_min_f16 v10, v66, s10 op_sel_hi:[1,0]
	s_nop 0
	v_pk_min_f16 v104, v10, v2
	v_pk_add_f16 v2, v1, v25
	v_pk_min_f16 v10, v67, s10 op_sel_hi:[1,0]
	s_nop 0
	v_pk_min_f16 v102, v10, v2
	v_pk_add_f16 v2, v3, v25
	v_pk_min_f16 v10, v24, s10 op_sel_hi:[1,0]
	s_nop 0
	v_pk_min_f16 v100, v10, v2
	v_pk_add_f16 v2, v17, v27
	v_pk_min_f16 v10, v68, s10 op_sel_hi:[1,0]
	s_nop 0
	v_pk_min_f16 v98, v10, v2
	v_pk_add_f16 v2, v19, v27
	v_pk_min_f16 v10, v69, s10 op_sel_hi:[1,0]
	s_nop 0
	v_pk_min_f16 v95, v10, v2
	v_pk_add_f16 v2, v13, v27
	v_pk_min_f16 v10, v70, s10 op_sel_hi:[1,0]
	s_nop 0
	v_pk_min_f16 v94, v10, v2
	v_pk_add_f16 v2, v15, v27
	v_pk_min_f16 v10, v71, s10 op_sel_hi:[1,0]
	s_nop 0
	v_pk_min_f16 v91, v10, v2
	v_pk_add_f16 v2, v5, v27
	v_pk_min_f16 v10, v72, s10 op_sel_hi:[1,0]
	s_nop 0
	v_pk_min_f16 v89, v10, v2
	v_pk_add_f16 v2, v7, v27
	v_pk_min_f16 v10, v73, s10 op_sel_hi:[1,0]
	s_nop 0
	v_pk_min_f16 v87, v10, v2
	v_pk_add_f16 v2, v1, v27
	v_pk_min_f16 v10, v74, s10 op_sel_hi:[1,0]
	s_nop 0
	v_pk_min_f16 v85, v10, v2
	v_pk_add_f16 v2, v3, v27
	v_pk_min_f16 v10, v26, s10 op_sel_hi:[1,0]
	s_nop 0
	v_pk_min_f16 v84, v10, v2
	v_pk_add_f16 v2, v17, v21
	v_pk_min_f16 v10, v75, s10 op_sel_hi:[1,0]
	s_nop 0
	v_pk_min_f16 v83, v10, v2
	v_pk_add_f16 v2, v19, v21
	v_pk_min_f16 v10, v76, s10 op_sel_hi:[1,0]
	s_nop 0
	v_pk_min_f16 v82, v10, v2
	v_pk_add_f16 v2, v13, v21
	v_pk_min_f16 v10, v77, s10 op_sel_hi:[1,0]
	s_nop 0
	v_pk_min_f16 v81, v10, v2
	v_pk_add_f16 v2, v15, v21
	v_pk_min_f16 v10, v78, s10 op_sel_hi:[1,0]
	s_nop 0
	v_pk_min_f16 v80, v10, v2
	v_pk_add_f16 v2, v5, v21
	v_pk_min_f16 v10, v79, s10 op_sel_hi:[1,0]
	s_nop 0
	v_pk_min_f16 v79, v10, v2
	v_pk_add_f16 v2, v7, v21
	v_pk_min_f16 v10, v117, s10 op_sel_hi:[1,0]
	s_nop 0
	v_pk_min_f16 v78, v10, v2
	v_pk_add_f16 v2, v1, v21
	v_pk_min_f16 v10, v118, s10 op_sel_hi:[1,0]
	s_nop 0
	v_pk_min_f16 v77, v10, v2
	v_pk_add_f16 v2, v3, v21
	v_pk_min_f16 v10, v20, s10 op_sel_hi:[1,0]
	s_nop 0
	v_pk_min_f16 v76, v10, v2
	v_pk_add_f16 v2, v17, v23
	v_pk_min_f16 v10, v119, s10 op_sel_hi:[1,0]
	s_nop 0
	v_pk_min_f16 v75, v10, v2
	v_pk_add_f16 v2, v19, v23
	v_pk_min_f16 v10, v120, s10 op_sel_hi:[1,0]
	s_nop 0
	v_pk_min_f16 v74, v10, v2
	v_pk_add_f16 v2, v13, v23
	v_pk_min_f16 v10, v121, s10 op_sel_hi:[1,0]
	s_nop 0
	v_pk_min_f16 v73, v10, v2
	v_pk_add_f16 v2, v15, v23
	v_pk_min_f16 v10, v122, s10 op_sel_hi:[1,0]
	s_nop 0
	v_pk_min_f16 v72, v10, v2
	v_pk_add_f16 v2, v5, v23
	v_pk_min_f16 v10, v123, s10 op_sel_hi:[1,0]
	s_nop 0
	v_pk_min_f16 v71, v10, v2
	v_pk_add_f16 v2, v7, v23
	v_pk_min_f16 v10, v124, s10 op_sel_hi:[1,0]
	s_nop 0
	v_pk_min_f16 v70, v10, v2
	v_pk_add_f16 v2, v1, v23
	v_pk_min_f16 v10, v125, s10 op_sel_hi:[1,0]
	s_nop 0
	v_pk_min_f16 v68, v10, v2
	v_pk_add_f16 v2, v3, v23
	v_pk_min_f16 v10, v22, s10 op_sel_hi:[1,0]
	s_nop 0
	v_pk_min_f16 v69, v10, v2
	v_pk_add_f16 v2, v17, v9
	v_pk_min_f16 v10, v126, s10 op_sel_hi:[1,0]
	s_nop 0
	v_pk_min_f16 v67, v10, v2
	v_pk_add_f16 v2, v19, v9
	v_pk_min_f16 v10, v127, s10 op_sel_hi:[1,0]
	s_nop 0
	v_pk_min_f16 v66, v10, v2
	v_pk_add_f16 v2, v13, v9
	v_pk_min_f16 v10, v128, s10 op_sel_hi:[1,0]
	s_nop 0
	v_pk_min_f16 v65, v10, v2
	v_pk_add_f16 v2, v15, v9
	v_pk_min_f16 v10, v129, s10 op_sel_hi:[1,0]
	s_nop 0
	v_pk_min_f16 v64, v10, v2
	v_pk_add_f16 v2, v5, v9
	v_pk_min_f16 v10, v130, s10 op_sel_hi:[1,0]
	s_nop 0
	v_pk_min_f16 v63, v10, v2
	v_pk_add_f16 v2, v7, v9
	v_pk_min_f16 v10, v131, s10 op_sel_hi:[1,0]
	s_nop 0
	v_pk_min_f16 v62, v10, v2
	v_pk_add_f16 v2, v1, v9
	v_pk_min_f16 v10, v132, s10 op_sel_hi:[1,0]
	v_pk_add_f16 v1, v1, v11
	v_pk_min_f16 v61, v10, v2
	v_pk_add_f16 v2, v3, v9
	s_nop 0
	v_pk_min_f16 v60, v8, v2
	v_pk_add_f16 v2, v17, v11
	v_pk_min_f16 v8, v16, s10 op_sel_hi:[1,0]
	s_nop 0
	v_pk_min_f16 v59, v8, v2
	v_pk_add_f16 v2, v19, v11
	v_pk_min_f16 v8, v18, s10 op_sel_hi:[1,0]
	;; [unrolled: 4-line block ×4, first 2 shown]
	s_nop 0
	v_pk_min_f16 v56, v8, v2
	v_pk_add_f16 v2, v5, v11
	s_nop 0
	v_pk_min_f16 v54, v4, v2
	v_pk_add_f16 v2, v7, v11
	v_pk_min_f16 v4, v6, s10 op_sel_hi:[1,0]
	s_nop 0
	v_pk_min_f16 v53, v4, v2
	v_pk_min_f16 v2, v133, s10 op_sel_hi:[1,0]
	s_nop 0
	v_pk_min_f16 v52, v2, v1
	v_pk_add_f16 v1, v3, v11
	s_nop 0
	v_pk_min_f16 v55, v0, v1
	s_cbranch_scc1 .LBB274_50
; %bb.28:
	v_mov_b32_e32 v0, 0x1200
	v_lshl_add_u32 v120, v33, 3, v0
	v_add_u32_e32 v0, v49, v33
	v_lshrrev_b32_e32 v2, 6, v0
	v_add_u32_e32 v3, 8, v2
	v_mad_i64_i32 v[0:1], s[10:11], v3, s30, 0
	v_lshlrev_b64 v[36:37], 1, v[0:1]
	v_mad_i64_i32 v[0:1], s[10:11], v3, s34, 0
	v_add_u32_e32 v2, 12, v2
	v_lshl_add_u64 v[40:41], v[0:1], 1, s[28:29]
	v_mad_i64_i32 v[0:1], s[10:11], v2, s34, 0
	v_lshl_add_u64 v[42:43], v[0:1], 1, s[28:29]
	v_mad_i64_i32 v[0:1], s[10:11], v2, s30, 0
	v_or_b32_e32 v117, 0x1000, v51
	v_add_u32_e32 v118, 0x1200, v51
	v_or_b32_e32 v119, 0x800, v51
	s_add_i32 s23, s22, -8
	v_lshl_add_u64 v[34:35], v[28:29], 1, s[18:19]
	v_add_u32_e32 v121, 0x800, v49
	s_lshl_b64 s[18:19], s[30:31], 4
	v_lshlrev_b64 v[38:39], 1, v[30:31]
	s_lshl_b64 s[26:27], s[34:35], 4
	v_lshlrev_b64 v[44:45], 1, v[0:1]
	s_mov_b32 s30, 0
	s_branch .LBB274_30
.LBB274_29:                             ;   in Loop: Header=BB274_30 Depth=1
	s_or_b64 exec, exec, s[10:11]
	v_pk_add_f16 v46, v16, v28
	v_pk_max_f16 v47, v116, v116
	v_pk_max_f16 v115, v115, v115
	v_pk_min_f16 v46, v47, v46
	v_pk_add_f16 v47, v18, v28
	v_pk_max_f16 v114, v114, v114
	v_pk_min_f16 v47, v115, v47
	v_pk_add_f16 v115, v12, v28
	v_pk_max_f16 v113, v113, v113
	v_pk_min_f16 v114, v114, v115
	v_pk_add_f16 v115, v14, v28
	v_pk_max_f16 v112, v112, v112
	v_pk_min_f16 v113, v113, v115
	v_pk_add_f16 v115, v4, v28
	v_pk_max_f16 v111, v111, v111
	v_pk_min_f16 v112, v112, v115
	v_pk_add_f16 v115, v6, v28
	v_pk_max_f16 v109, v109, v109
	v_pk_min_f16 v111, v111, v115
	v_pk_add_f16 v115, v0, v28
	v_pk_add_f16 v28, v2, v28
	v_pk_max_f16 v108, v108, v108
	v_pk_min_f16 v28, v109, v28
	v_pk_add_f16 v109, v16, v30
	v_pk_max_f16 v107, v107, v107
	v_pk_min_f16 v108, v108, v109
	v_pk_add_f16 v109, v18, v30
	v_pk_max_f16 v106, v106, v106
	v_pk_min_f16 v107, v107, v109
	v_pk_add_f16 v109, v12, v30
	v_pk_max_f16 v105, v105, v105
	v_pk_min_f16 v106, v106, v109
	v_pk_add_f16 v109, v14, v30
	v_pk_max_f16 v103, v103, v103
	v_pk_min_f16 v105, v105, v109
	v_pk_add_f16 v109, v4, v30
	v_pk_max_f16 v101, v101, v101
	v_pk_min_f16 v103, v103, v109
	v_pk_add_f16 v109, v6, v30
	v_pk_max_f16 v97, v97, v97
	v_pk_min_f16 v101, v101, v109
	v_pk_add_f16 v109, v0, v30
	v_pk_add_f16 v30, v2, v30
	v_pk_max_f16 v96, v96, v96
	v_pk_min_f16 v30, v97, v30
	v_pk_add_f16 v97, v16, v24
	;; [unrolled: 22-line block ×4, first 2 shown]
	v_pk_max_f16 v82, v82, v82
	v_pk_min_f16 v83, v83, v84
	v_pk_add_f16 v84, v18, v20
	v_pk_max_f16 v81, v81, v81
	v_pk_min_f16 v82, v82, v84
	v_pk_add_f16 v84, v12, v20
	;; [unrolled: 3-line block ×4, first 2 shown]
	v_pk_max_f16 v79, v79, v79
	v_pk_max_f16 v102, v102, v102
	v_pk_min_f16 v85, v85, v100
	v_pk_min_f16 v100, v79, v80
	v_pk_add_f16 v79, v6, v20
	v_pk_max_f16 v78, v78, v78
	v_pk_min_f16 v102, v102, v104
	v_pk_min_f16 v104, v78, v79
	v_pk_add_f16 v78, v0, v20
	v_pk_add_f16 v20, v2, v20
	v_pk_max_f16 v76, v76, v76
	v_pk_max_f16 v110, v110, v110
	v_pk_min_f16 v20, v76, v20
	v_pk_add_f16 v76, v16, v22
	v_pk_max_f16 v75, v75, v75
	v_pk_min_f16 v110, v110, v115
	v_pk_min_f16 v115, v75, v76
	v_pk_add_f16 v75, v18, v22
	v_pk_max_f16 v74, v74, v74
	v_pk_max_f16 v73, v73, v73
	v_pk_min_f16 v116, v74, v75
	v_pk_add_f16 v74, v12, v22
	v_pk_max_f16 v72, v72, v72
	v_pk_min_f16 v127, v73, v74
	v_pk_add_f16 v73, v14, v22
	;; [unrolled: 3-line block ×5, first 2 shown]
	v_pk_add_f16 v22, v2, v22
	v_pk_min_f16 v131, v68, v70
	v_pk_max_f16 v68, v69, v69
	v_pk_max_f16 v67, v67, v67
	v_pk_min_f16 v22, v68, v22
	v_pk_add_f16 v68, v16, v8
	v_pk_max_f16 v66, v66, v66
	v_pk_min_f16 v132, v67, v68
	v_pk_add_f16 v67, v18, v8
	;; [unrolled: 3-line block ×6, first 2 shown]
	v_pk_add_f16 v16, v16, v10
	v_pk_min_f16 v137, v62, v63
	v_pk_add_f16 v62, v0, v8
	v_pk_add_f16 v8, v2, v8
	;; [unrolled: 1-line block ×9, first 2 shown]
	v_pk_max_f16 v10, v55, v55
	v_pk_max_f16 v99, v99, v99
	v_pk_min_f16 v2, v10, v2
	v_pk_add_f16 v10, v17, v29
	v_pk_min_f16 v99, v99, v109
	v_pk_min_f16 v139, v46, v10
	v_pk_add_f16 v10, v19, v29
	v_pk_max_f16 v77, v77, v77
	v_pk_min_f16 v140, v47, v10
	v_pk_add_f16 v10, v13, v29
	v_pk_min_f16 v109, v77, v78
	v_pk_min_f16 v114, v114, v10
	v_pk_add_f16 v10, v15, v29
	;; [unrolled: 6-line block ×11, first 2 shown]
	s_add_i32 s30, s30, 8
	v_pk_min_f16 v143, v97, v10
	v_pk_add_f16 v10, v1, v25
	v_lshl_add_u64 v[34:35], v[34:35], 0, s[18:19]
	v_pk_min_f16 v80, v102, v10
	v_pk_add_f16 v10, v3, v25
	v_pk_max_f16 v80, v80, v80
	v_pk_min_f16 v79, v24, v10
	v_pk_add_f16 v10, v17, v27
	v_pk_max_f16 v79, v79, v79
	v_pk_min_f16 v78, v98, v10
	v_pk_add_f16 v10, v19, v27
	v_pk_max_f16 v78, v78, v78
	v_pk_min_f16 v77, v95, v10
	v_pk_add_f16 v10, v13, v27
	v_pk_max_f16 v77, v77, v77
	v_pk_min_f16 v76, v94, v10
	v_pk_add_f16 v10, v15, v27
	v_pk_max_f16 v76, v76, v76
	v_pk_min_f16 v75, v91, v10
	v_pk_add_f16 v10, v5, v27
	v_pk_max_f16 v75, v75, v75
	v_pk_min_f16 v74, v89, v10
	v_pk_add_f16 v10, v7, v27
	v_pk_max_f16 v74, v74, v74
	v_pk_min_f16 v73, v87, v10
	v_pk_add_f16 v10, v1, v27
	v_pk_max_f16 v73, v73, v73
	v_pk_min_f16 v70, v85, v10
	v_pk_add_f16 v10, v3, v27
	v_pk_max_f16 v70, v70, v70
	v_pk_min_f16 v68, v26, v10
	v_pk_add_f16 v10, v17, v21
	v_pk_max_f16 v68, v68, v68
	v_pk_min_f16 v72, v83, v10
	v_pk_add_f16 v10, v19, v21
	v_lshl_add_u64 v[40:41], v[40:41], 0, s[26:27]
	v_pk_min_f16 v71, v82, v10
	v_pk_add_f16 v10, v13, v21
	s_cmp_ge_i32 s30, s23
	v_pk_min_f16 v69, v81, v10
	v_pk_add_f16 v10, v15, v21
	v_lshl_add_u64 v[42:43], v[42:43], 0, s[26:27]
	v_pk_min_f16 v67, v84, v10
	v_pk_add_f16 v10, v5, v21
	v_pk_max_f16 v67, v67, v67
	v_pk_min_f16 v66, v100, v10
	v_pk_add_f16 v10, v7, v21
	v_pk_max_f16 v66, v66, v66
	;; [unrolled: 3-line block ×6, first 2 shown]
	v_pk_min_f16 v61, v116, v10
	v_pk_add_f16 v10, v13, v23
	s_nop 0
	v_pk_min_f16 v60, v127, v10
	v_pk_add_f16 v10, v15, v23
	s_nop 0
	;; [unrolled: 3-line block ×10, first 2 shown]
	v_pk_min_f16 v28, v135, v10
	v_pk_add_f16 v10, v5, v9
	v_pk_add_f16 v5, v5, v11
	v_pk_min_f16 v27, v136, v10
	v_pk_add_f16 v10, v7, v9
	v_pk_min_f16 v127, v4, v5
	v_pk_min_f16 v26, v137, v10
	v_pk_add_f16 v10, v1, v9
	v_pk_add_f16 v9, v3, v9
	;; [unrolled: 1-line block ×3, first 2 shown]
	v_pk_min_f16 v24, v8, v9
	v_pk_add_f16 v8, v17, v11
	v_pk_add_f16 v4, v7, v11
	v_pk_min_f16 v46, v16, v8
	v_pk_add_f16 v8, v19, v11
	v_pk_min_f16 v129, v0, v1
	v_pk_min_f16 v31, v18, v8
	v_pk_add_f16 v8, v13, v11
	v_pk_add_f16 v0, v3, v11
	v_pk_min_f16 v54, v12, v8
	v_pk_add_f16 v8, v15, v11
	v_pk_min_f16 v25, v138, v10
	v_pk_min_f16 v53, v14, v8
	;; [unrolled: 1-line block ×4, first 2 shown]
	ds_read2_b64 v[12:15], v92 offset1:8
	ds_read2_b64 v[4:7], v92 offset0:16 offset1:24
	ds_read2_b64 v[82:85], v49 offset1:32
	ds_read2_b64 v[8:11], v92 offset0:32 offset1:40
	ds_read2_b64 v[0:3], v92 offset0:48 offset1:56
	;; [unrolled: 1-line block ×4, first 2 shown]
	s_waitcnt lgkmcnt(4)
	v_pk_add_f16 v81, v12, v82
	v_pk_add_f16 v87, v14, v82
	v_pk_min_f16 v81, v109, v81
	v_pk_add_f16 v109, v13, v83
	v_pk_add_f16 v89, v4, v82
	v_pk_min_f16 v116, v81, v109
	v_pk_max_f16 v109, v140, v140
	v_pk_add_f16 v91, v6, v82
	v_pk_min_f16 v87, v109, v87
	v_pk_add_f16 v109, v15, v83
	s_waitcnt lgkmcnt(3)
	v_pk_add_f16 v94, v8, v82
	v_pk_min_f16 v115, v87, v109
	v_pk_max_f16 v109, v114, v114
	v_pk_add_f16 v95, v10, v82
	v_pk_min_f16 v89, v109, v89
	v_pk_add_f16 v109, v5, v83
	s_waitcnt lgkmcnt(2)
	;; [unrolled: 7-line block ×3, first 2 shown]
	v_pk_add_f16 v133, v12, v20
	v_pk_min_f16 v113, v91, v109
	v_pk_max_f16 v109, v112, v112
	v_pk_add_f16 v81, v14, v20
	v_pk_min_f16 v94, v109, v94
	v_pk_add_f16 v109, v9, v83
	v_pk_add_f16 v87, v4, v20
	v_pk_min_f16 v112, v94, v109
	v_pk_max_f16 v109, v111, v111
	v_pk_add_f16 v89, v6, v20
	v_pk_min_f16 v95, v109, v95
	v_pk_add_f16 v109, v11, v83
	v_pk_add_f16 v91, v8, v20
	;; [unrolled: 1-line block ×3, first 2 shown]
	v_pk_min_f16 v111, v95, v109
	v_pk_add_f16 v95, v0, v20
	v_pk_max_f16 v109, v110, v110
	v_pk_add_f16 v134, v2, v20
	v_pk_max_f16 v20, v141, v141
	v_pk_min_f16 v97, v109, v97
	v_pk_add_f16 v109, v1, v83
	v_pk_min_f16 v20, v20, v82
	v_pk_add_f16 v82, v3, v83
	v_pk_add_f16 v98, v12, v84
	v_pk_min_f16 v110, v97, v109
	v_pk_min_f16 v109, v20, v82
	v_pk_max_f16 v20, v108, v108
	v_pk_add_f16 v83, v13, v85
	v_pk_min_f16 v20, v20, v98
	v_pk_add_f16 v100, v14, v84
	v_pk_min_f16 v108, v20, v83
	v_pk_max_f16 v20, v107, v107
	v_pk_add_f16 v97, v15, v85
	v_pk_min_f16 v20, v20, v100
	v_pk_add_f16 v102, v4, v84
	v_pk_min_f16 v107, v20, v97
	v_pk_max_f16 v20, v106, v106
	v_pk_add_f16 v97, v5, v85
	v_pk_min_f16 v20, v20, v102
	v_pk_add_f16 v104, v6, v84
	v_pk_min_f16 v106, v20, v97
	v_pk_max_f16 v20, v105, v105
	v_pk_add_f16 v97, v7, v85
	v_pk_min_f16 v20, v20, v104
	v_pk_add_f16 v130, v8, v84
	v_pk_min_f16 v105, v20, v97
	v_pk_max_f16 v20, v103, v103
	v_pk_add_f16 v97, v9, v85
	v_pk_min_f16 v20, v20, v130
	v_pk_add_f16 v131, v10, v84
	v_pk_min_f16 v103, v20, v97
	v_pk_max_f16 v20, v101, v101
	v_pk_add_f16 v97, v11, v85
	v_pk_min_f16 v20, v20, v131
	v_pk_add_f16 v132, v0, v84
	v_pk_min_f16 v101, v20, v97
	v_pk_max_f16 v20, v99, v99
	v_pk_add_f16 v84, v2, v84
	v_pk_add_f16 v82, v12, v22
	v_pk_add_f16 v83, v14, v22
	v_pk_add_f16 v135, v4, v22
	v_pk_add_f16 v136, v6, v22
	v_pk_add_f16 v137, v8, v22
	v_pk_add_f16 v130, v10, v22
	v_pk_add_f16 v131, v0, v22
	v_pk_min_f16 v20, v20, v132
	v_pk_add_f16 v97, v1, v85
	v_pk_add_f16 v132, v2, v22
	v_pk_max_f16 v22, v142, v142
	v_pk_min_f16 v99, v20, v97
	v_pk_add_f16 v20, v3, v85
	v_pk_min_f16 v22, v22, v84
	v_pk_add_f16 v141, v3, v23
	v_pk_min_f16 v97, v22, v20
	v_pk_max_f16 v22, v96, v96
	v_pk_add_f16 v20, v13, v21
	v_pk_min_f16 v22, v22, v133
	v_pk_min_f16 v68, v68, v132
	;; [unrolled: 1-line block ×3, first 2 shown]
	v_pk_max_f16 v22, v93, v93
	v_pk_add_f16 v20, v15, v21
	v_pk_min_f16 v22, v22, v81
	v_pk_add_f16 v81, v11, v21
	v_pk_min_f16 v93, v22, v20
	v_pk_max_f16 v22, v90, v90
	v_pk_add_f16 v20, v5, v21
	v_pk_min_f16 v22, v22, v87
	v_pk_add_f16 v85, v1, v21
	v_pk_min_f16 v90, v22, v20
	;; [unrolled: 5-line block ×3, first 2 shown]
	v_pk_max_f16 v22, v86, v86
	v_pk_add_f16 v20, v9, v21
	v_pk_min_f16 v22, v22, v91
	v_pk_min_f16 v80, v80, v95
	;; [unrolled: 1-line block ×3, first 2 shown]
	v_pk_max_f16 v20, v143, v143
	v_pk_min_f16 v70, v70, v131
	v_pk_min_f16 v84, v20, v94
	;; [unrolled: 1-line block ×4, first 2 shown]
	s_waitcnt lgkmcnt(0)
	v_pk_add_f16 v81, v12, v16
	v_pk_min_f16 v84, v68, v141
	v_pk_max_f16 v68, v72, v72
	v_pk_min_f16 v85, v70, v140
	v_pk_min_f16 v68, v68, v81
	v_pk_add_f16 v70, v13, v17
	v_pk_add_f16 v142, v14, v16
	v_pk_min_f16 v77, v77, v83
	v_pk_min_f16 v83, v68, v70
	v_pk_max_f16 v68, v71, v71
	v_pk_add_f16 v70, v15, v17
	v_pk_min_f16 v68, v68, v142
	v_pk_add_f16 v80, v4, v16
	v_pk_min_f16 v78, v78, v82
	v_pk_min_f16 v82, v68, v70
	v_pk_max_f16 v68, v69, v69
	v_pk_add_f16 v87, v3, v21
	v_pk_min_f16 v79, v79, v134
	v_pk_add_f16 v134, v6, v16
	v_pk_min_f16 v68, v68, v80
	;; [unrolled: 2-line block ×4, first 2 shown]
	v_pk_min_f16 v67, v67, v134
	v_pk_add_f16 v68, v7, v17
	v_pk_add_f16 v143, v10, v16
	v_pk_min_f16 v80, v67, v68
	v_pk_min_f16 v66, v66, v79
	v_pk_add_f16 v67, v9, v17
	v_pk_add_f16 v89, v13, v23
	;; [unrolled: 1-line block ×4, first 2 shown]
	v_pk_min_f16 v79, v66, v67
	v_pk_min_f16 v65, v65, v143
	v_pk_add_f16 v66, v11, v17
	v_pk_add_f16 v94, v5, v23
	v_pk_min_f16 v98, v78, v89
	v_pk_min_f16 v76, v76, v135
	v_pk_min_f16 v78, v65, v66
	v_pk_add_f16 v65, v1, v17
	v_pk_min_f16 v16, v63, v16
	v_pk_add_f16 v17, v3, v17
	v_pk_add_f16 v145, v12, v18
	v_pk_min_f16 v94, v76, v94
	v_pk_min_f16 v76, v16, v17
	v_pk_max_f16 v16, v62, v62
	v_pk_add_f16 v91, v15, v23
	v_pk_add_f16 v133, v7, v23
	v_pk_min_f16 v75, v75, v136
	v_pk_min_f16 v16, v16, v145
	v_pk_add_f16 v17, v13, v19
	v_pk_min_f16 v95, v77, v91
	v_pk_add_f16 v135, v14, v18
	v_pk_min_f16 v91, v75, v133
	v_pk_min_f16 v75, v16, v17
	v_pk_max_f16 v16, v61, v61
	v_pk_add_f16 v138, v9, v23
	v_pk_min_f16 v74, v74, v137
	v_pk_min_f16 v16, v16, v135
	v_pk_add_f16 v17, v15, v19
	v_pk_add_f16 v146, v4, v18
	v_pk_min_f16 v89, v74, v138
	v_pk_min_f16 v74, v16, v17
	v_pk_max_f16 v16, v60, v60
	v_pk_add_f16 v139, v11, v23
	v_pk_min_f16 v73, v73, v130
	v_pk_min_f16 v16, v16, v146
	v_pk_add_f16 v17, v5, v19
	v_pk_add_f16 v136, v6, v18
	v_pk_min_f16 v87, v73, v139
	v_pk_min_f16 v73, v16, v17
	v_pk_max_f16 v16, v59, v59
	v_pk_add_f16 v17, v7, v19
	v_pk_min_f16 v16, v16, v136
	v_pk_add_f16 v133, v8, v18
	v_pk_min_f16 v72, v16, v17
	v_pk_max_f16 v17, v58, v58
	v_pk_add_f16 v16, v9, v19
	v_pk_min_f16 v17, v17, v133
	v_pk_add_f16 v137, v10, v18
	v_pk_min_f16 v71, v17, v16
	v_pk_max_f16 v17, v57, v57
	ds_read2_b64 v[20:23], v49 offset0:192 offset1:224
	v_pk_add_f16 v16, v11, v19
	v_pk_min_f16 v17, v17, v137
	v_pk_add_f16 v138, v0, v18
	v_pk_min_f16 v70, v17, v16
	v_pk_max_f16 v17, v56, v56
	v_pk_add_f16 v16, v1, v19
	v_pk_min_f16 v17, v17, v138
	v_pk_add_f16 v18, v2, v18
	v_pk_min_f16 v68, v17, v16
	v_pk_max_f16 v17, v29, v29
	v_pk_add_f16 v16, v3, v19
	v_pk_min_f16 v17, v17, v18
	s_waitcnt lgkmcnt(0)
	v_pk_add_f16 v130, v12, v20
	v_pk_min_f16 v69, v17, v16
	v_pk_max_f16 v17, v52, v52
	v_pk_add_f16 v16, v13, v21
	v_pk_min_f16 v17, v17, v130
	v_pk_add_f16 v131, v14, v20
	v_pk_min_f16 v67, v17, v16
	v_pk_max_f16 v17, v47, v47
	v_pk_add_f16 v16, v15, v21
	v_pk_min_f16 v17, v17, v131
	v_pk_add_f16 v139, v4, v20
	v_pk_min_f16 v66, v17, v16
	v_pk_max_f16 v17, v30, v30
	v_pk_min_f16 v64, v64, v144
	v_pk_add_f16 v16, v5, v21
	v_pk_min_f16 v17, v17, v139
	v_pk_add_f16 v132, v6, v20
	v_pk_min_f16 v77, v64, v65
	v_pk_min_f16 v65, v17, v16
	v_pk_max_f16 v17, v28, v28
	v_pk_add_f16 v16, v7, v21
	v_pk_min_f16 v17, v17, v132
	v_pk_add_f16 v140, v8, v20
	v_pk_min_f16 v64, v17, v16
	v_pk_max_f16 v17, v27, v27
	v_pk_add_f16 v16, v9, v21
	v_pk_min_f16 v17, v17, v140
	v_pk_add_f16 v141, v10, v20
	;; [unrolled: 5-line block ×12, first 2 shown]
	v_pk_min_f16 v52, v0, v1
	v_pk_max_f16 v1, v128, v128
	v_pk_add_f16 v0, v3, v23
	v_pk_min_f16 v1, v1, v2
	s_waitcnt vmcnt(0)
	ds_write_b16 v118, v122
	ds_write_b16 v119, v124
	ds_write_b16 v119, v123 offset:512
	ds_write_b16 v119, v126 offset:1024
	;; [unrolled: 1-line block ×3, first 2 shown]
	v_pk_min_f16 v55, v1, v0
	s_waitcnt lgkmcnt(0)
	s_barrier
	s_cbranch_scc1 .LBB274_50
.LBB274_30:                             ; =>This Inner Loop Header: Depth=1
	v_add_u32_e32 v46, s30, v32
	v_add_u32_e32 v0, 8, v46
	v_cmp_le_i32_e64 s[10:11], s22, v0
	s_nor_b64 s[34:35], vcc, s[10:11]
	v_mov_b32_e32 v47, 0x7c00
	v_mov_b32_e32 v123, 0x7c00
	s_and_saveexec_b64 s[28:29], s[34:35]
	s_cbranch_execz .LBB274_32
; %bb.31:                               ;   in Loop: Header=BB274_30 Depth=1
	v_lshl_add_u64 v[0:1], v[34:35], 0, v[36:37]
	global_load_ushort v123, v[0:1], off
.LBB274_32:                             ;   in Loop: Header=BB274_30 Depth=1
	s_or_b64 exec, exec, s[28:29]
	s_nor_b64 s[34:35], s[12:13], s[10:11]
	v_lshl_add_u64 v[0:1], v[40:41], 0, v[38:39]
	s_and_saveexec_b64 s[28:29], s[34:35]
	s_cbranch_execz .LBB274_34
; %bb.33:                               ;   in Loop: Header=BB274_30 Depth=1
	global_load_ushort v47, v[0:1], off
.LBB274_34:                             ;   in Loop: Header=BB274_30 Depth=1
	s_or_b64 exec, exec, s[28:29]
	s_nor_b64 s[34:35], s[4:5], s[10:11]
	v_mov_b32_e32 v124, 0x7c00
	v_mov_b32_e32 v125, 0x7c00
	s_and_saveexec_b64 s[28:29], s[34:35]
	s_cbranch_execz .LBB274_36
; %bb.35:                               ;   in Loop: Header=BB274_30 Depth=1
	global_load_ushort v125, v[0:1], off offset:128
.LBB274_36:                             ;   in Loop: Header=BB274_30 Depth=1
	s_or_b64 exec, exec, s[28:29]
	s_nor_b64 s[34:35], s[6:7], s[10:11]
	s_and_saveexec_b64 s[28:29], s[34:35]
	s_cbranch_execz .LBB274_38
; %bb.37:                               ;   in Loop: Header=BB274_30 Depth=1
	global_load_ushort v124, v[0:1], off offset:256
.LBB274_38:                             ;   in Loop: Header=BB274_30 Depth=1
	s_or_b64 exec, exec, s[28:29]
	s_nor_b64 s[28:29], s[8:9], s[10:11]
	v_mov_b32_e32 v122, 0x7c00
	v_mov_b32_e32 v126, 0x7c00
	s_and_saveexec_b64 s[10:11], s[28:29]
	s_cbranch_execz .LBB274_40
; %bb.39:                               ;   in Loop: Header=BB274_30 Depth=1
	global_load_ushort v126, v[0:1], off offset:384
.LBB274_40:                             ;   in Loop: Header=BB274_30 Depth=1
	s_or_b64 exec, exec, s[10:11]
	ds_read2_b64 v[16:19], v120 offset1:8
	ds_read2_b64 v[12:15], v120 offset0:16 offset1:24
	ds_read2_b64 v[4:7], v120 offset0:32 offset1:40
	;; [unrolled: 1-line block ×3, first 2 shown]
	ds_read2_b64 v[28:31], v121 offset1:32
	ds_read2_b64 v[24:27], v121 offset0:64 offset1:96
	ds_read2_b64 v[20:23], v121 offset0:128 offset1:160
	ds_read2_b64 v[8:11], v121 offset0:192 offset1:224
	v_add_u32_e32 v46, 12, v46
	v_cmp_le_i32_e64 s[10:11], s22, v46
	s_nor_b64 s[34:35], vcc, s[10:11]
	s_waitcnt vmcnt(0)
	ds_write_b16 v117, v123
	ds_write_b16 v51, v47
	ds_write_b16 v51, v125 offset:512
	ds_write_b16 v51, v124 offset:1024
	;; [unrolled: 1-line block ×3, first 2 shown]
	s_waitcnt lgkmcnt(0)
	s_barrier
	s_and_saveexec_b64 s[28:29], s[34:35]
	s_cbranch_execz .LBB274_42
; %bb.41:                               ;   in Loop: Header=BB274_30 Depth=1
	v_lshl_add_u64 v[46:47], v[34:35], 0, v[44:45]
	global_load_ushort v122, v[46:47], off
.LBB274_42:                             ;   in Loop: Header=BB274_30 Depth=1
	s_or_b64 exec, exec, s[28:29]
	s_nor_b64 s[34:35], s[12:13], s[10:11]
	v_mov_b32_e32 v123, 0x7c00
	v_lshl_add_u64 v[46:47], v[42:43], 0, v[38:39]
	v_mov_b32_e32 v124, 0x7c00
	s_and_saveexec_b64 s[28:29], s[34:35]
	s_cbranch_execz .LBB274_44
; %bb.43:                               ;   in Loop: Header=BB274_30 Depth=1
	global_load_ushort v124, v[46:47], off
.LBB274_44:                             ;   in Loop: Header=BB274_30 Depth=1
	s_or_b64 exec, exec, s[28:29]
	s_nor_b64 s[34:35], s[4:5], s[10:11]
	s_and_saveexec_b64 s[28:29], s[34:35]
	s_cbranch_execz .LBB274_46
; %bb.45:                               ;   in Loop: Header=BB274_30 Depth=1
	global_load_ushort v123, v[46:47], off offset:128
.LBB274_46:                             ;   in Loop: Header=BB274_30 Depth=1
	s_or_b64 exec, exec, s[28:29]
	s_nor_b64 s[34:35], s[6:7], s[10:11]
	v_mov_b32_e32 v125, 0x7c00
	v_mov_b32_e32 v126, 0x7c00
	s_and_saveexec_b64 s[28:29], s[34:35]
	s_cbranch_execz .LBB274_48
; %bb.47:                               ;   in Loop: Header=BB274_30 Depth=1
	global_load_ushort v126, v[46:47], off offset:256
.LBB274_48:                             ;   in Loop: Header=BB274_30 Depth=1
	s_or_b64 exec, exec, s[28:29]
	s_nor_b64 s[28:29], s[8:9], s[10:11]
	s_and_saveexec_b64 s[10:11], s[28:29]
	s_cbranch_execz .LBB274_29
; %bb.49:                               ;   in Loop: Header=BB274_30 Depth=1
	global_load_ushort v125, v[46:47], off offset:384
	s_branch .LBB274_29
.LBB274_50:
	s_load_dwordx2 s[4:5], s[0:1], 0x70
	s_load_dword s29, s[0:1], 0x50
	s_load_dword s28, s[0:1], 0x68
	v_add_u32_e32 v0, 0x1000, v50
	v_add_u32_e32 v4, 0x800, v49
	s_waitcnt lgkmcnt(0)
	s_mul_i32 s1, s5, s3
	s_mul_hi_u32 s5, s4, s3
	s_mul_i32 s0, s4, s3
	s_add_i32 s1, s5, s1
	ds_read2_b64 v[16:19], v0 offset0:64 offset1:72
	ds_read2_b64 v[12:15], v0 offset0:80 offset1:88
	;; [unrolled: 1-line block ×4, first 2 shown]
	ds_read2_b64 v[28:31], v4 offset1:32
	ds_read2_b64 v[24:27], v4 offset0:64 offset1:96
	ds_read2_b64 v[20:23], v4 offset0:128 offset1:160
	;; [unrolled: 1-line block ×3, first 2 shown]
	s_lshl_b64 s[0:1], s[0:1], 1
	s_add_u32 s22, s14, s0
	v_add_u32_e32 v92, s36, v48
	s_addc_u32 s23, s15, s1
	v_mad_i64_i32 v[34:35], s[0:1], v92, s29, 0
	v_add_u32_e32 v32, s2, v33
	v_lshl_add_u64 v[50:51], v[34:35], 1, s[24:25]
	v_mad_i64_i32 v[34:35], s[0:1], v92, s28, 0
	v_cmp_gt_i32_e64 s[2:3], s20, v32
	v_cmp_gt_i32_e64 s[18:19], s21, v92
	v_lshl_add_u64 v[48:49], v[34:35], 1, s[22:23]
	v_cndmask_b32_e64 v34, 0, 1, s[16:17]
	v_ashrrev_i32_e32 v33, 31, v32
	s_and_b64 s[6:7], s[2:3], s[18:19]
	v_cmp_ne_u32_e64 s[0:1], 1, v34
	s_and_saveexec_b64 s[4:5], s[6:7]
	s_cbranch_execz .LBB274_56
; %bb.51:
	s_and_b64 vcc, exec, s[0:1]
	s_cbranch_vccnz .LBB274_54
; %bb.52:
	v_lshl_add_u64 v[34:35], v[32:33], 1, v[50:51]
	global_load_ushort v34, v[34:35], off
	s_waitcnt vmcnt(0)
	v_mul_f16_e32 v34, s33, v34
	v_cvt_f32_f16_e32 v34, v34
	s_branch .LBB274_55
.LBB274_53:
	s_mov_b64 s[18:19], 0
	s_andn2_b64 vcc, exec, s[8:9]
	s_mov_b64 s[4:5], -1
	s_cbranch_vccz .LBB274_2
	s_branch .LBB274_3
.LBB274_54:
	v_mov_b32_e32 v34, 0
.LBB274_55:
	s_waitcnt lgkmcnt(3)
	v_pk_add_f16 v35, v16, v28
	v_max_f16_e32 v36, v116, v116
	v_pk_add_f16 v38, v17, v29
	v_min_f16_e32 v36, v36, v35
	v_lshrrev_b32_e32 v37, 16, v116
	v_lshrrev_b32_e32 v35, 16, v35
	;; [unrolled: 1-line block ×3, first 2 shown]
	v_min3_f16 v35, v37, v35, v39
	v_min3_f16 v35, v36, v38, v35
	v_cvt_f32_f16_e32 v35, v35
	v_max_f32_e32 v34, v34, v34
	v_min_f32_e32 v34, v34, v35
	v_cvt_f16_f32_e32 v36, v34
	v_lshl_add_u64 v[34:35], v[32:33], 1, v[48:49]
	global_store_short v[34:35], v36, off
.LBB274_56:
	s_or_b64 exec, exec, s[4:5]
	v_add_u32_e32 v34, 8, v32
	v_cmp_gt_i32_e64 s[4:5], s20, v34
	v_ashrrev_i32_e32 v35, 31, v34
	s_and_b64 s[8:9], s[4:5], s[18:19]
	s_and_saveexec_b64 s[6:7], s[8:9]
	s_cbranch_execz .LBB274_61
; %bb.57:
	s_and_b64 vcc, exec, s[0:1]
	s_cbranch_vccnz .LBB274_59
; %bb.58:
	v_lshl_add_u64 v[36:37], v[34:35], 1, v[50:51]
	global_load_ushort v36, v[36:37], off
	s_waitcnt vmcnt(0)
	v_mul_f16_e32 v36, s33, v36
	v_cvt_f32_f16_e32 v36, v36
	s_branch .LBB274_60
.LBB274_59:
	v_mov_b32_e32 v36, 0
.LBB274_60:
	s_waitcnt lgkmcnt(3)
	v_pk_add_f16 v37, v18, v28
	v_max_f16_e32 v38, v115, v115
	v_pk_add_f16 v40, v19, v29
	v_min_f16_e32 v38, v38, v37
	v_lshrrev_b32_e32 v39, 16, v115
	v_lshrrev_b32_e32 v37, 16, v37
	v_lshrrev_b32_e32 v41, 16, v40
	v_min3_f16 v37, v39, v37, v41
	v_min3_f16 v37, v38, v40, v37
	v_cvt_f32_f16_e32 v37, v37
	v_max_f32_e32 v36, v36, v36
	v_min_f32_e32 v36, v36, v37
	v_cvt_f16_f32_e32 v38, v36
	v_lshl_add_u64 v[36:37], v[34:35], 1, v[48:49]
	global_store_short v[36:37], v38, off
.LBB274_61:
	s_or_b64 exec, exec, s[6:7]
	v_add_u32_e32 v36, 16, v32
	v_cmp_gt_i32_e64 s[6:7], s20, v36
	v_ashrrev_i32_e32 v37, 31, v36
	s_and_b64 s[10:11], s[6:7], s[18:19]
	s_and_saveexec_b64 s[8:9], s[10:11]
	s_cbranch_execz .LBB274_66
; %bb.62:
	s_and_b64 vcc, exec, s[0:1]
	s_cbranch_vccnz .LBB274_64
; %bb.63:
	v_lshl_add_u64 v[38:39], v[36:37], 1, v[50:51]
	global_load_ushort v38, v[38:39], off
	s_waitcnt vmcnt(0)
	v_mul_f16_e32 v38, s33, v38
	v_cvt_f32_f16_e32 v38, v38
	s_branch .LBB274_65
.LBB274_64:
	v_mov_b32_e32 v38, 0
.LBB274_65:
	s_waitcnt lgkmcnt(3)
	v_pk_add_f16 v39, v12, v28
	v_max_f16_e32 v40, v114, v114
	v_pk_add_f16 v42, v13, v29
	v_min_f16_e32 v40, v40, v39
	v_lshrrev_b32_e32 v41, 16, v114
	v_lshrrev_b32_e32 v39, 16, v39
	v_lshrrev_b32_e32 v43, 16, v42
	v_min3_f16 v39, v41, v39, v43
	v_min3_f16 v39, v40, v42, v39
	v_cvt_f32_f16_e32 v39, v39
	v_max_f32_e32 v38, v38, v38
	v_min_f32_e32 v38, v38, v39
	v_cvt_f16_f32_e32 v40, v38
	v_lshl_add_u64 v[38:39], v[36:37], 1, v[48:49]
	global_store_short v[38:39], v40, off
.LBB274_66:
	;; [unrolled: 37-line block ×4, first 2 shown]
	s_or_b64 exec, exec, s[12:13]
	v_add_u32_e32 v42, 40, v32
	v_cmp_gt_i32_e64 s[12:13], s20, v42
	v_ashrrev_i32_e32 v43, 31, v42
	s_and_b64 s[16:17], s[12:13], s[18:19]
	s_and_saveexec_b64 s[14:15], s[16:17]
	s_cbranch_execz .LBB274_81
; %bb.77:
	s_and_b64 vcc, exec, s[0:1]
	s_cbranch_vccnz .LBB274_79
; %bb.78:
	v_lshl_add_u64 v[44:45], v[42:43], 1, v[50:51]
	global_load_ushort v44, v[44:45], off
	s_waitcnt vmcnt(0)
	v_mul_f16_e32 v44, s33, v44
	v_cvt_f32_f16_e32 v44, v44
	s_branch .LBB274_80
.LBB274_79:
	v_mov_b32_e32 v44, 0
.LBB274_80:
	s_waitcnt lgkmcnt(3)
	v_pk_add_f16 v45, v10, v28
	v_max_f16_e32 v46, v111, v111
	v_lshrrev_b32_e32 v47, 16, v111
	v_pk_add_f16 v111, v11, v29
	v_min_f16_e32 v46, v46, v45
	v_lshrrev_b32_e32 v45, 16, v45
	v_lshrrev_b32_e32 v112, 16, v111
	v_min3_f16 v45, v47, v45, v112
	v_min3_f16 v45, v46, v111, v45
	v_cvt_f32_f16_e32 v45, v45
	v_max_f32_e32 v44, v44, v44
	v_min_f32_e32 v44, v44, v45
	v_cvt_f16_f32_e32 v46, v44
	v_lshl_add_u64 v[44:45], v[42:43], 1, v[48:49]
	global_store_short v[44:45], v46, off
.LBB274_81:
	s_or_b64 exec, exec, s[14:15]
	v_add_u32_e32 v44, 48, v32
	v_cmp_gt_i32_e64 s[14:15], s20, v44
	v_ashrrev_i32_e32 v45, 31, v44
	s_and_b64 s[26:27], s[14:15], s[18:19]
	s_and_saveexec_b64 s[16:17], s[26:27]
	s_cbranch_execz .LBB274_86
; %bb.82:
	s_and_b64 vcc, exec, s[0:1]
	s_cbranch_vccnz .LBB274_84
; %bb.83:
	v_lshl_add_u64 v[46:47], v[44:45], 1, v[50:51]
	global_load_ushort v46, v[46:47], off
	s_waitcnt vmcnt(0)
	v_mul_f16_e32 v46, s33, v46
	v_cvt_f32_f16_e32 v46, v46
	s_branch .LBB274_85
.LBB274_84:
	v_mov_b32_e32 v46, 0
.LBB274_85:
	s_waitcnt lgkmcnt(3)
	v_pk_add_f16 v47, v0, v28
	v_max_f16_e32 v111, v110, v110
	v_pk_add_f16 v112, v1, v29
	v_min_f16_e32 v111, v111, v47
	v_lshrrev_b32_e32 v110, 16, v110
	v_lshrrev_b32_e32 v47, 16, v47
	;; [unrolled: 1-line block ×3, first 2 shown]
	v_min3_f16 v47, v110, v47, v113
	v_min3_f16 v47, v111, v112, v47
	v_cvt_f32_f16_e32 v47, v47
	v_max_f32_e32 v46, v46, v46
	v_min_f32_e32 v46, v46, v47
	v_cvt_f16_f32_e32 v110, v46
	v_lshl_add_u64 v[46:47], v[44:45], 1, v[48:49]
	global_store_short v[46:47], v110, off
.LBB274_86:
	s_or_b64 exec, exec, s[16:17]
	v_add_u32_e32 v46, 56, v32
	v_cmp_gt_i32_e64 s[16:17], s20, v46
	v_ashrrev_i32_e32 v47, 31, v46
	s_and_b64 s[26:27], s[16:17], s[18:19]
	s_and_saveexec_b64 s[18:19], s[26:27]
	s_cbranch_execz .LBB274_91
; %bb.87:
	s_and_b64 vcc, exec, s[0:1]
	s_cbranch_vccnz .LBB274_89
; %bb.88:
	v_lshl_add_u64 v[50:51], v[46:47], 1, v[50:51]
	global_load_ushort v50, v[50:51], off
	s_waitcnt vmcnt(0)
	v_mul_f16_e32 v50, s33, v50
	v_cvt_f32_f16_e32 v50, v50
	s_branch .LBB274_90
.LBB274_89:
	v_mov_b32_e32 v50, 0
.LBB274_90:
	s_waitcnt lgkmcnt(3)
	v_pk_add_f16 v28, v2, v28
	v_max_f16_e32 v51, v109, v109
	v_pk_add_f16 v29, v3, v29
	v_min_f16_e32 v51, v51, v28
	v_lshrrev_b32_e32 v109, 16, v109
	v_lshrrev_b32_e32 v28, 16, v28
	;; [unrolled: 1-line block ×3, first 2 shown]
	v_min3_f16 v28, v109, v28, v110
	v_min3_f16 v28, v51, v29, v28
	v_cvt_f32_f16_e32 v28, v28
	v_max_f32_e32 v29, v50, v50
	v_min_f32_e32 v28, v29, v28
	v_cvt_f16_f32_e32 v50, v28
	v_lshl_add_u64 v[28:29], v[46:47], 1, v[48:49]
	global_store_short v[28:29], v50, off
.LBB274_91:
	s_or_b64 exec, exec, s[18:19]
	v_add_u32_e32 v50, 32, v92
	s_waitcnt lgkmcnt(3)
	v_mad_i64_i32 v[28:29], s[26:27], v50, s29, 0
	v_cmp_gt_i32_e64 s[18:19], s21, v50
	v_lshl_add_u64 v[48:49], v[28:29], 1, s[24:25]
	v_mad_i64_i32 v[28:29], s[26:27], v50, s28, 0
	v_lshl_add_u64 v[28:29], v[28:29], 1, s[22:23]
	s_and_b64 s[30:31], s[2:3], s[18:19]
	s_and_saveexec_b64 s[26:27], s[30:31]
	s_cbranch_execnz .LBB274_99
; %bb.92:
	s_or_b64 exec, exec, s[26:27]
	s_and_b64 s[30:31], s[4:5], s[18:19]
	s_and_saveexec_b64 s[26:27], s[30:31]
	s_cbranch_execnz .LBB274_103
.LBB274_93:
	s_or_b64 exec, exec, s[26:27]
	s_and_b64 s[30:31], s[6:7], s[18:19]
	s_and_saveexec_b64 s[26:27], s[30:31]
	s_cbranch_execnz .LBB274_107
.LBB274_94:
	s_or_b64 exec, exec, s[26:27]
	s_and_b64 s[30:31], s[8:9], s[18:19]
	s_and_saveexec_b64 s[26:27], s[30:31]
	s_cbranch_execnz .LBB274_111
.LBB274_95:
	s_or_b64 exec, exec, s[26:27]
	s_and_b64 s[30:31], s[10:11], s[18:19]
	s_and_saveexec_b64 s[26:27], s[30:31]
	s_cbranch_execnz .LBB274_115
.LBB274_96:
	s_or_b64 exec, exec, s[26:27]
	s_and_b64 s[30:31], s[12:13], s[18:19]
	s_and_saveexec_b64 s[26:27], s[30:31]
	s_cbranch_execnz .LBB274_119
.LBB274_97:
	s_or_b64 exec, exec, s[26:27]
	s_and_b64 s[30:31], s[14:15], s[18:19]
	s_and_saveexec_b64 s[26:27], s[30:31]
	s_cbranch_execnz .LBB274_123
.LBB274_98:
	s_or_b64 exec, exec, s[26:27]
	s_and_b64 s[26:27], s[16:17], s[18:19]
	s_and_saveexec_b64 s[18:19], s[26:27]
	s_cbranch_execnz .LBB274_127
	s_branch .LBB274_131
.LBB274_99:
	s_and_b64 vcc, exec, s[0:1]
	s_cbranch_vccnz .LBB274_101
; %bb.100:
	v_lshl_add_u64 v[50:51], v[32:33], 1, v[48:49]
	global_load_ushort v50, v[50:51], off
	s_waitcnt vmcnt(0)
	v_mul_f16_e32 v50, s33, v50
	v_cvt_f32_f16_e32 v50, v50
	s_branch .LBB274_102
.LBB274_101:
	v_mov_b32_e32 v50, 0
.LBB274_102:
	v_pk_add_f16 v51, v16, v30
	v_max_f16_e32 v109, v108, v108
	v_pk_add_f16 v110, v17, v31
	v_min_f16_e32 v109, v109, v51
	v_lshrrev_b32_e32 v108, 16, v108
	v_lshrrev_b32_e32 v51, 16, v51
	;; [unrolled: 1-line block ×3, first 2 shown]
	v_min3_f16 v51, v108, v51, v111
	v_min3_f16 v51, v109, v110, v51
	v_cvt_f32_f16_e32 v51, v51
	v_max_f32_e32 v50, v50, v50
	v_min_f32_e32 v50, v50, v51
	v_cvt_f16_f32_e32 v108, v50
	v_lshl_add_u64 v[50:51], v[32:33], 1, v[28:29]
	global_store_short v[50:51], v108, off
	s_or_b64 exec, exec, s[26:27]
	s_and_b64 s[30:31], s[4:5], s[18:19]
	s_and_saveexec_b64 s[26:27], s[30:31]
	s_cbranch_execz .LBB274_93
.LBB274_103:
	s_and_b64 vcc, exec, s[0:1]
	s_cbranch_vccnz .LBB274_105
; %bb.104:
	v_lshl_add_u64 v[50:51], v[34:35], 1, v[48:49]
	global_load_ushort v50, v[50:51], off
	s_waitcnt vmcnt(0)
	v_mul_f16_e32 v50, s33, v50
	v_cvt_f32_f16_e32 v50, v50
	s_branch .LBB274_106
.LBB274_105:
	v_mov_b32_e32 v50, 0
.LBB274_106:
	v_pk_add_f16 v51, v18, v30
	v_max_f16_e32 v108, v107, v107
	v_pk_add_f16 v109, v19, v31
	v_min_f16_e32 v108, v108, v51
	v_lshrrev_b32_e32 v107, 16, v107
	v_lshrrev_b32_e32 v51, 16, v51
	;; [unrolled: 1-line block ×3, first 2 shown]
	v_min3_f16 v51, v107, v51, v110
	v_min3_f16 v51, v108, v109, v51
	v_cvt_f32_f16_e32 v51, v51
	v_max_f32_e32 v50, v50, v50
	v_min_f32_e32 v50, v50, v51
	v_cvt_f16_f32_e32 v107, v50
	v_lshl_add_u64 v[50:51], v[34:35], 1, v[28:29]
	global_store_short v[50:51], v107, off
	s_or_b64 exec, exec, s[26:27]
	s_and_b64 s[30:31], s[6:7], s[18:19]
	s_and_saveexec_b64 s[26:27], s[30:31]
	s_cbranch_execz .LBB274_94
.LBB274_107:
	s_and_b64 vcc, exec, s[0:1]
	s_cbranch_vccnz .LBB274_109
; %bb.108:
	v_lshl_add_u64 v[50:51], v[36:37], 1, v[48:49]
	global_load_ushort v50, v[50:51], off
	s_waitcnt vmcnt(0)
	v_mul_f16_e32 v50, s33, v50
	v_cvt_f32_f16_e32 v50, v50
	s_branch .LBB274_110
.LBB274_109:
	v_mov_b32_e32 v50, 0
.LBB274_110:
	v_pk_add_f16 v51, v12, v30
	v_max_f16_e32 v107, v106, v106
	v_pk_add_f16 v108, v13, v31
	v_min_f16_e32 v107, v107, v51
	v_lshrrev_b32_e32 v106, 16, v106
	v_lshrrev_b32_e32 v51, 16, v51
	v_lshrrev_b32_e32 v109, 16, v108
	v_min3_f16 v51, v106, v51, v109
	v_min3_f16 v51, v107, v108, v51
	v_cvt_f32_f16_e32 v51, v51
	v_max_f32_e32 v50, v50, v50
	v_min_f32_e32 v50, v50, v51
	v_cvt_f16_f32_e32 v106, v50
	v_lshl_add_u64 v[50:51], v[36:37], 1, v[28:29]
	global_store_short v[50:51], v106, off
	s_or_b64 exec, exec, s[26:27]
	s_and_b64 s[30:31], s[8:9], s[18:19]
	s_and_saveexec_b64 s[26:27], s[30:31]
	s_cbranch_execz .LBB274_95
.LBB274_111:
	s_and_b64 vcc, exec, s[0:1]
	s_cbranch_vccnz .LBB274_113
; %bb.112:
	v_lshl_add_u64 v[50:51], v[38:39], 1, v[48:49]
	global_load_ushort v50, v[50:51], off
	s_waitcnt vmcnt(0)
	v_mul_f16_e32 v50, s33, v50
	v_cvt_f32_f16_e32 v50, v50
	s_branch .LBB274_114
.LBB274_113:
	v_mov_b32_e32 v50, 0
.LBB274_114:
	v_pk_add_f16 v51, v14, v30
	v_max_f16_e32 v106, v105, v105
	v_pk_add_f16 v107, v15, v31
	v_min_f16_e32 v106, v106, v51
	v_lshrrev_b32_e32 v105, 16, v105
	v_lshrrev_b32_e32 v51, 16, v51
	;; [unrolled: 1-line block ×3, first 2 shown]
	v_min3_f16 v51, v105, v51, v108
	v_min3_f16 v51, v106, v107, v51
	v_cvt_f32_f16_e32 v51, v51
	v_max_f32_e32 v50, v50, v50
	v_min_f32_e32 v50, v50, v51
	v_cvt_f16_f32_e32 v105, v50
	v_lshl_add_u64 v[50:51], v[38:39], 1, v[28:29]
	global_store_short v[50:51], v105, off
	s_or_b64 exec, exec, s[26:27]
	s_and_b64 s[30:31], s[10:11], s[18:19]
	s_and_saveexec_b64 s[26:27], s[30:31]
	s_cbranch_execz .LBB274_96
.LBB274_115:
	s_and_b64 vcc, exec, s[0:1]
	s_cbranch_vccnz .LBB274_117
; %bb.116:
	v_lshl_add_u64 v[50:51], v[40:41], 1, v[48:49]
	global_load_ushort v50, v[50:51], off
	s_waitcnt vmcnt(0)
	v_mul_f16_e32 v50, s33, v50
	v_cvt_f32_f16_e32 v50, v50
	s_branch .LBB274_118
.LBB274_117:
	v_mov_b32_e32 v50, 0
.LBB274_118:
	v_pk_add_f16 v51, v8, v30
	v_max_f16_e32 v105, v103, v103
	v_pk_add_f16 v106, v9, v31
	v_min_f16_e32 v105, v105, v51
	v_lshrrev_b32_e32 v103, 16, v103
	v_lshrrev_b32_e32 v51, 16, v51
	;; [unrolled: 1-line block ×3, first 2 shown]
	v_min3_f16 v51, v103, v51, v107
	v_min3_f16 v51, v105, v106, v51
	v_cvt_f32_f16_e32 v51, v51
	v_max_f32_e32 v50, v50, v50
	v_min_f32_e32 v50, v50, v51
	v_cvt_f16_f32_e32 v103, v50
	v_lshl_add_u64 v[50:51], v[40:41], 1, v[28:29]
	global_store_short v[50:51], v103, off
	s_or_b64 exec, exec, s[26:27]
	s_and_b64 s[30:31], s[12:13], s[18:19]
	s_and_saveexec_b64 s[26:27], s[30:31]
	s_cbranch_execz .LBB274_97
.LBB274_119:
	s_and_b64 vcc, exec, s[0:1]
	s_cbranch_vccnz .LBB274_121
; %bb.120:
	v_lshl_add_u64 v[50:51], v[42:43], 1, v[48:49]
	global_load_ushort v50, v[50:51], off
	s_waitcnt vmcnt(0)
	v_mul_f16_e32 v50, s33, v50
	v_cvt_f32_f16_e32 v50, v50
	s_branch .LBB274_122
.LBB274_121:
	v_mov_b32_e32 v50, 0
.LBB274_122:
	v_pk_add_f16 v51, v10, v30
	v_max_f16_e32 v103, v101, v101
	v_pk_add_f16 v105, v11, v31
	v_min_f16_e32 v103, v103, v51
	v_lshrrev_b32_e32 v101, 16, v101
	v_lshrrev_b32_e32 v51, 16, v51
	;; [unrolled: 1-line block ×3, first 2 shown]
	v_min3_f16 v51, v101, v51, v106
	v_min3_f16 v51, v103, v105, v51
	v_cvt_f32_f16_e32 v51, v51
	v_max_f32_e32 v50, v50, v50
	v_min_f32_e32 v50, v50, v51
	v_cvt_f16_f32_e32 v101, v50
	v_lshl_add_u64 v[50:51], v[42:43], 1, v[28:29]
	global_store_short v[50:51], v101, off
	s_or_b64 exec, exec, s[26:27]
	s_and_b64 s[30:31], s[14:15], s[18:19]
	s_and_saveexec_b64 s[26:27], s[30:31]
	s_cbranch_execz .LBB274_98
.LBB274_123:
	s_and_b64 vcc, exec, s[0:1]
	s_cbranch_vccnz .LBB274_125
; %bb.124:
	v_lshl_add_u64 v[50:51], v[44:45], 1, v[48:49]
	global_load_ushort v50, v[50:51], off
	s_waitcnt vmcnt(0)
	v_mul_f16_e32 v50, s33, v50
	v_cvt_f32_f16_e32 v50, v50
	s_branch .LBB274_126
.LBB274_125:
	v_mov_b32_e32 v50, 0
.LBB274_126:
	v_pk_add_f16 v51, v0, v30
	v_max_f16_e32 v101, v99, v99
	v_pk_add_f16 v103, v1, v31
	v_min_f16_e32 v101, v101, v51
	v_lshrrev_b32_e32 v99, 16, v99
	v_lshrrev_b32_e32 v51, 16, v51
	;; [unrolled: 1-line block ×3, first 2 shown]
	v_min3_f16 v51, v99, v51, v105
	v_min3_f16 v51, v101, v103, v51
	v_cvt_f32_f16_e32 v51, v51
	v_max_f32_e32 v50, v50, v50
	v_min_f32_e32 v50, v50, v51
	v_cvt_f16_f32_e32 v99, v50
	v_lshl_add_u64 v[50:51], v[44:45], 1, v[28:29]
	global_store_short v[50:51], v99, off
	s_or_b64 exec, exec, s[26:27]
	s_and_b64 s[26:27], s[16:17], s[18:19]
	s_and_saveexec_b64 s[18:19], s[26:27]
	s_cbranch_execz .LBB274_131
.LBB274_127:
	s_and_b64 vcc, exec, s[0:1]
	s_cbranch_vccnz .LBB274_129
; %bb.128:
	v_lshl_add_u64 v[48:49], v[46:47], 1, v[48:49]
	global_load_ushort v48, v[48:49], off
	s_waitcnt vmcnt(0)
	v_mul_f16_e32 v48, s33, v48
	v_cvt_f32_f16_e32 v48, v48
	s_branch .LBB274_130
.LBB274_129:
	v_mov_b32_e32 v48, 0
.LBB274_130:
	v_pk_add_f16 v30, v2, v30
	v_max_f16_e32 v49, v97, v97
	v_pk_add_f16 v31, v3, v31
	v_min_f16_e32 v49, v49, v30
	v_lshrrev_b32_e32 v50, 16, v97
	v_lshrrev_b32_e32 v30, 16, v30
	;; [unrolled: 1-line block ×3, first 2 shown]
	v_min3_f16 v30, v50, v30, v51
	v_min3_f16 v30, v49, v31, v30
	v_cvt_f32_f16_e32 v30, v30
	v_max_f32_e32 v31, v48, v48
	v_lshl_add_u64 v[28:29], v[46:47], 1, v[28:29]
	v_min_f32_e32 v30, v31, v30
	v_cvt_f16_f32_e32 v30, v30
	global_store_short v[28:29], v30, off
.LBB274_131:
	s_or_b64 exec, exec, s[18:19]
	v_add_u32_e32 v48, 64, v92
	v_mad_i64_i32 v[28:29], s[26:27], v48, s29, 0
	v_cmp_gt_i32_e64 s[18:19], s21, v48
	v_lshl_add_u64 v[30:31], v[28:29], 1, s[24:25]
	v_mad_i64_i32 v[28:29], s[26:27], v48, s28, 0
	v_lshl_add_u64 v[28:29], v[28:29], 1, s[22:23]
	s_and_b64 s[30:31], s[2:3], s[18:19]
	s_and_saveexec_b64 s[26:27], s[30:31]
	s_cbranch_execnz .LBB274_139
; %bb.132:
	s_or_b64 exec, exec, s[26:27]
	s_and_b64 s[30:31], s[4:5], s[18:19]
	s_and_saveexec_b64 s[26:27], s[30:31]
	s_cbranch_execnz .LBB274_143
.LBB274_133:
	s_or_b64 exec, exec, s[26:27]
	s_and_b64 s[30:31], s[6:7], s[18:19]
	s_and_saveexec_b64 s[26:27], s[30:31]
	s_cbranch_execnz .LBB274_147
.LBB274_134:
	s_or_b64 exec, exec, s[26:27]
	s_and_b64 s[30:31], s[8:9], s[18:19]
	s_and_saveexec_b64 s[26:27], s[30:31]
	s_cbranch_execnz .LBB274_151
.LBB274_135:
	s_or_b64 exec, exec, s[26:27]
	s_and_b64 s[30:31], s[10:11], s[18:19]
	s_and_saveexec_b64 s[26:27], s[30:31]
	s_cbranch_execnz .LBB274_155
.LBB274_136:
	s_or_b64 exec, exec, s[26:27]
	s_and_b64 s[30:31], s[12:13], s[18:19]
	s_and_saveexec_b64 s[26:27], s[30:31]
	s_cbranch_execnz .LBB274_159
.LBB274_137:
	s_or_b64 exec, exec, s[26:27]
	s_and_b64 s[30:31], s[14:15], s[18:19]
	s_and_saveexec_b64 s[26:27], s[30:31]
	s_cbranch_execnz .LBB274_163
.LBB274_138:
	s_or_b64 exec, exec, s[26:27]
	s_and_b64 s[26:27], s[16:17], s[18:19]
	s_and_saveexec_b64 s[18:19], s[26:27]
	s_cbranch_execnz .LBB274_167
	s_branch .LBB274_171
.LBB274_139:
	s_and_b64 vcc, exec, s[0:1]
	s_cbranch_vccnz .LBB274_141
; %bb.140:
	v_lshl_add_u64 v[48:49], v[32:33], 1, v[30:31]
	global_load_ushort v48, v[48:49], off
	s_waitcnt vmcnt(0)
	v_mul_f16_e32 v48, s33, v48
	v_cvt_f32_f16_e32 v48, v48
	s_branch .LBB274_142
.LBB274_141:
	v_mov_b32_e32 v48, 0
.LBB274_142:
	s_waitcnt lgkmcnt(2)
	v_pk_add_f16 v49, v16, v24
	v_max_f16_e32 v50, v96, v96
	v_lshrrev_b32_e32 v51, 16, v96
	v_pk_add_f16 v96, v17, v25
	v_min_f16_e32 v50, v50, v49
	v_lshrrev_b32_e32 v49, 16, v49
	v_lshrrev_b32_e32 v97, 16, v96
	v_min3_f16 v49, v51, v49, v97
	v_min3_f16 v49, v50, v96, v49
	v_cvt_f32_f16_e32 v49, v49
	v_max_f32_e32 v48, v48, v48
	v_min_f32_e32 v48, v48, v49
	v_cvt_f16_f32_e32 v50, v48
	v_lshl_add_u64 v[48:49], v[32:33], 1, v[28:29]
	global_store_short v[48:49], v50, off
	s_or_b64 exec, exec, s[26:27]
	s_and_b64 s[30:31], s[4:5], s[18:19]
	s_and_saveexec_b64 s[26:27], s[30:31]
	s_cbranch_execz .LBB274_133
.LBB274_143:
	s_and_b64 vcc, exec, s[0:1]
	s_cbranch_vccnz .LBB274_145
; %bb.144:
	v_lshl_add_u64 v[48:49], v[34:35], 1, v[30:31]
	global_load_ushort v48, v[48:49], off
	s_waitcnt vmcnt(0)
	v_mul_f16_e32 v48, s33, v48
	v_cvt_f32_f16_e32 v48, v48
	s_branch .LBB274_146
.LBB274_145:
	v_mov_b32_e32 v48, 0
.LBB274_146:
	s_waitcnt lgkmcnt(2)
	v_pk_add_f16 v49, v18, v24
	v_max_f16_e32 v50, v93, v93
	v_lshrrev_b32_e32 v51, 16, v93
	v_pk_add_f16 v93, v19, v25
	v_min_f16_e32 v50, v50, v49
	v_lshrrev_b32_e32 v49, 16, v49
	v_lshrrev_b32_e32 v96, 16, v93
	v_min3_f16 v49, v51, v49, v96
	v_min3_f16 v49, v50, v93, v49
	v_cvt_f32_f16_e32 v49, v49
	v_max_f32_e32 v48, v48, v48
	v_min_f32_e32 v48, v48, v49
	v_cvt_f16_f32_e32 v50, v48
	v_lshl_add_u64 v[48:49], v[34:35], 1, v[28:29]
	global_store_short v[48:49], v50, off
	s_or_b64 exec, exec, s[26:27]
	s_and_b64 s[30:31], s[6:7], s[18:19]
	s_and_saveexec_b64 s[26:27], s[30:31]
	s_cbranch_execz .LBB274_134
.LBB274_147:
	s_and_b64 vcc, exec, s[0:1]
	s_cbranch_vccnz .LBB274_149
; %bb.148:
	v_lshl_add_u64 v[48:49], v[36:37], 1, v[30:31]
	global_load_ushort v48, v[48:49], off
	s_waitcnt vmcnt(0)
	v_mul_f16_e32 v48, s33, v48
	v_cvt_f32_f16_e32 v48, v48
	s_branch .LBB274_150
.LBB274_149:
	v_mov_b32_e32 v48, 0
.LBB274_150:
	s_waitcnt lgkmcnt(2)
	v_pk_add_f16 v49, v12, v24
	v_max_f16_e32 v50, v90, v90
	v_lshrrev_b32_e32 v51, 16, v90
	v_pk_add_f16 v90, v13, v25
	v_min_f16_e32 v50, v50, v49
	v_lshrrev_b32_e32 v49, 16, v49
	v_lshrrev_b32_e32 v93, 16, v90
	v_min3_f16 v49, v51, v49, v93
	v_min3_f16 v49, v50, v90, v49
	v_cvt_f32_f16_e32 v49, v49
	v_max_f32_e32 v48, v48, v48
	v_min_f32_e32 v48, v48, v49
	v_cvt_f16_f32_e32 v50, v48
	v_lshl_add_u64 v[48:49], v[36:37], 1, v[28:29]
	global_store_short v[48:49], v50, off
	s_or_b64 exec, exec, s[26:27]
	s_and_b64 s[30:31], s[8:9], s[18:19]
	s_and_saveexec_b64 s[26:27], s[30:31]
	s_cbranch_execz .LBB274_135
.LBB274_151:
	s_and_b64 vcc, exec, s[0:1]
	s_cbranch_vccnz .LBB274_153
; %bb.152:
	v_lshl_add_u64 v[48:49], v[38:39], 1, v[30:31]
	global_load_ushort v48, v[48:49], off
	s_waitcnt vmcnt(0)
	v_mul_f16_e32 v48, s33, v48
	v_cvt_f32_f16_e32 v48, v48
	s_branch .LBB274_154
.LBB274_153:
	v_mov_b32_e32 v48, 0
.LBB274_154:
	s_waitcnt lgkmcnt(2)
	v_pk_add_f16 v49, v14, v24
	v_max_f16_e32 v50, v88, v88
	v_lshrrev_b32_e32 v51, 16, v88
	v_pk_add_f16 v88, v15, v25
	v_min_f16_e32 v50, v50, v49
	v_lshrrev_b32_e32 v49, 16, v49
	v_lshrrev_b32_e32 v90, 16, v88
	v_min3_f16 v49, v51, v49, v90
	v_min3_f16 v49, v50, v88, v49
	v_cvt_f32_f16_e32 v49, v49
	v_max_f32_e32 v48, v48, v48
	v_min_f32_e32 v48, v48, v49
	v_cvt_f16_f32_e32 v50, v48
	v_lshl_add_u64 v[48:49], v[38:39], 1, v[28:29]
	global_store_short v[48:49], v50, off
	s_or_b64 exec, exec, s[26:27]
	s_and_b64 s[30:31], s[10:11], s[18:19]
	s_and_saveexec_b64 s[26:27], s[30:31]
	s_cbranch_execz .LBB274_136
.LBB274_155:
	s_and_b64 vcc, exec, s[0:1]
	s_cbranch_vccnz .LBB274_157
; %bb.156:
	v_lshl_add_u64 v[48:49], v[40:41], 1, v[30:31]
	global_load_ushort v48, v[48:49], off
	s_waitcnt vmcnt(0)
	v_mul_f16_e32 v48, s33, v48
	v_cvt_f32_f16_e32 v48, v48
	s_branch .LBB274_158
.LBB274_157:
	v_mov_b32_e32 v48, 0
.LBB274_158:
	s_waitcnt lgkmcnt(2)
	v_pk_add_f16 v49, v8, v24
	v_max_f16_e32 v50, v86, v86
	v_lshrrev_b32_e32 v51, 16, v86
	v_pk_add_f16 v86, v9, v25
	v_min_f16_e32 v50, v50, v49
	v_lshrrev_b32_e32 v49, 16, v49
	v_lshrrev_b32_e32 v88, 16, v86
	v_min3_f16 v49, v51, v49, v88
	v_min3_f16 v49, v50, v86, v49
	v_cvt_f32_f16_e32 v49, v49
	v_max_f32_e32 v48, v48, v48
	v_min_f32_e32 v48, v48, v49
	v_cvt_f16_f32_e32 v50, v48
	v_lshl_add_u64 v[48:49], v[40:41], 1, v[28:29]
	global_store_short v[48:49], v50, off
	s_or_b64 exec, exec, s[26:27]
	s_and_b64 s[30:31], s[12:13], s[18:19]
	s_and_saveexec_b64 s[26:27], s[30:31]
	s_cbranch_execz .LBB274_137
.LBB274_159:
	s_and_b64 vcc, exec, s[0:1]
	s_cbranch_vccnz .LBB274_161
; %bb.160:
	v_lshl_add_u64 v[48:49], v[42:43], 1, v[30:31]
	global_load_ushort v48, v[48:49], off
	s_waitcnt vmcnt(0)
	v_mul_f16_e32 v48, s33, v48
	v_cvt_f32_f16_e32 v48, v48
	s_branch .LBB274_162
.LBB274_161:
	v_mov_b32_e32 v48, 0
.LBB274_162:
	s_waitcnt lgkmcnt(2)
	v_pk_add_f16 v49, v10, v24
	v_max_f16_e32 v50, v104, v104
	v_pk_add_f16 v86, v11, v25
	v_min_f16_e32 v50, v50, v49
	v_lshrrev_b32_e32 v51, 16, v104
	v_lshrrev_b32_e32 v49, 16, v49
	;; [unrolled: 1-line block ×3, first 2 shown]
	v_min3_f16 v49, v51, v49, v88
	v_min3_f16 v49, v50, v86, v49
	v_cvt_f32_f16_e32 v49, v49
	v_max_f32_e32 v48, v48, v48
	v_min_f32_e32 v48, v48, v49
	v_cvt_f16_f32_e32 v50, v48
	v_lshl_add_u64 v[48:49], v[42:43], 1, v[28:29]
	global_store_short v[48:49], v50, off
	s_or_b64 exec, exec, s[26:27]
	s_and_b64 s[30:31], s[14:15], s[18:19]
	s_and_saveexec_b64 s[26:27], s[30:31]
	s_cbranch_execz .LBB274_138
.LBB274_163:
	s_and_b64 vcc, exec, s[0:1]
	s_cbranch_vccnz .LBB274_165
; %bb.164:
	v_lshl_add_u64 v[48:49], v[44:45], 1, v[30:31]
	global_load_ushort v48, v[48:49], off
	s_waitcnt vmcnt(0)
	v_mul_f16_e32 v48, s33, v48
	v_cvt_f32_f16_e32 v48, v48
	s_branch .LBB274_166
.LBB274_165:
	v_mov_b32_e32 v48, 0
.LBB274_166:
	s_waitcnt lgkmcnt(2)
	v_pk_add_f16 v49, v0, v24
	v_max_f16_e32 v50, v102, v102
	v_pk_add_f16 v86, v1, v25
	v_min_f16_e32 v50, v50, v49
	v_lshrrev_b32_e32 v51, 16, v102
	v_lshrrev_b32_e32 v49, 16, v49
	;; [unrolled: 1-line block ×3, first 2 shown]
	v_min3_f16 v49, v51, v49, v88
	v_min3_f16 v49, v50, v86, v49
	v_cvt_f32_f16_e32 v49, v49
	v_max_f32_e32 v48, v48, v48
	v_min_f32_e32 v48, v48, v49
	v_cvt_f16_f32_e32 v50, v48
	v_lshl_add_u64 v[48:49], v[44:45], 1, v[28:29]
	global_store_short v[48:49], v50, off
	s_or_b64 exec, exec, s[26:27]
	s_and_b64 s[26:27], s[16:17], s[18:19]
	s_and_saveexec_b64 s[18:19], s[26:27]
	s_cbranch_execz .LBB274_171
.LBB274_167:
	s_and_b64 vcc, exec, s[0:1]
	s_cbranch_vccnz .LBB274_169
; %bb.168:
	v_lshl_add_u64 v[30:31], v[46:47], 1, v[30:31]
	global_load_ushort v30, v[30:31], off
	s_waitcnt vmcnt(0)
	v_mul_f16_e32 v30, s33, v30
	v_cvt_f32_f16_e32 v30, v30
	s_branch .LBB274_170
.LBB274_169:
	v_mov_b32_e32 v30, 0
.LBB274_170:
	s_waitcnt lgkmcnt(2)
	v_pk_add_f16 v24, v2, v24
	v_max_f16_e32 v31, v100, v100
	v_pk_add_f16 v25, v3, v25
	v_min_f16_e32 v31, v31, v24
	v_lshrrev_b32_e32 v48, 16, v100
	v_lshrrev_b32_e32 v24, 16, v24
	;; [unrolled: 1-line block ×3, first 2 shown]
	v_min3_f16 v24, v48, v24, v49
	v_min3_f16 v24, v31, v25, v24
	v_cvt_f32_f16_e32 v24, v24
	v_max_f32_e32 v25, v30, v30
	v_min_f32_e32 v24, v25, v24
	v_cvt_f16_f32_e32 v30, v24
	v_lshl_add_u64 v[24:25], v[46:47], 1, v[28:29]
	global_store_short v[24:25], v30, off
.LBB274_171:
	s_or_b64 exec, exec, s[18:19]
	v_add_u32_e32 v30, 0x60, v92
	s_waitcnt lgkmcnt(2)
	v_mad_i64_i32 v[24:25], s[26:27], v30, s29, 0
	v_cmp_gt_i32_e64 s[18:19], s21, v30
	v_lshl_add_u64 v[28:29], v[24:25], 1, s[24:25]
	v_mad_i64_i32 v[24:25], s[26:27], v30, s28, 0
	v_lshl_add_u64 v[24:25], v[24:25], 1, s[22:23]
	s_and_b64 s[30:31], s[2:3], s[18:19]
	s_and_saveexec_b64 s[26:27], s[30:31]
	s_cbranch_execnz .LBB274_179
; %bb.172:
	s_or_b64 exec, exec, s[26:27]
	s_and_b64 s[30:31], s[4:5], s[18:19]
	s_and_saveexec_b64 s[26:27], s[30:31]
	s_cbranch_execnz .LBB274_183
.LBB274_173:
	s_or_b64 exec, exec, s[26:27]
	s_and_b64 s[30:31], s[6:7], s[18:19]
	s_and_saveexec_b64 s[26:27], s[30:31]
	s_cbranch_execnz .LBB274_187
.LBB274_174:
	s_or_b64 exec, exec, s[26:27]
	s_and_b64 s[30:31], s[8:9], s[18:19]
	s_and_saveexec_b64 s[26:27], s[30:31]
	s_cbranch_execnz .LBB274_191
.LBB274_175:
	s_or_b64 exec, exec, s[26:27]
	s_and_b64 s[30:31], s[10:11], s[18:19]
	s_and_saveexec_b64 s[26:27], s[30:31]
	s_cbranch_execnz .LBB274_195
.LBB274_176:
	s_or_b64 exec, exec, s[26:27]
	s_and_b64 s[30:31], s[12:13], s[18:19]
	s_and_saveexec_b64 s[26:27], s[30:31]
	s_cbranch_execnz .LBB274_199
.LBB274_177:
	s_or_b64 exec, exec, s[26:27]
	s_and_b64 s[30:31], s[14:15], s[18:19]
	s_and_saveexec_b64 s[26:27], s[30:31]
	s_cbranch_execnz .LBB274_203
.LBB274_178:
	s_or_b64 exec, exec, s[26:27]
	s_and_b64 s[26:27], s[16:17], s[18:19]
	s_and_saveexec_b64 s[18:19], s[26:27]
	s_cbranch_execnz .LBB274_207
	s_branch .LBB274_211
.LBB274_179:
	s_and_b64 vcc, exec, s[0:1]
	s_cbranch_vccnz .LBB274_181
; %bb.180:
	v_lshl_add_u64 v[30:31], v[32:33], 1, v[28:29]
	global_load_ushort v30, v[30:31], off
	s_waitcnt vmcnt(0)
	v_mul_f16_e32 v30, s33, v30
	v_cvt_f32_f16_e32 v30, v30
	s_branch .LBB274_182
.LBB274_181:
	v_mov_b32_e32 v30, 0
.LBB274_182:
	v_pk_add_f16 v31, v16, v26
	v_max_f16_e32 v48, v98, v98
	v_pk_add_f16 v50, v17, v27
	v_min_f16_e32 v48, v48, v31
	v_lshrrev_b32_e32 v49, 16, v98
	v_lshrrev_b32_e32 v31, 16, v31
	;; [unrolled: 1-line block ×3, first 2 shown]
	v_min3_f16 v31, v49, v31, v51
	v_min3_f16 v31, v48, v50, v31
	v_cvt_f32_f16_e32 v31, v31
	v_max_f32_e32 v30, v30, v30
	v_min_f32_e32 v30, v30, v31
	v_cvt_f16_f32_e32 v48, v30
	v_lshl_add_u64 v[30:31], v[32:33], 1, v[24:25]
	global_store_short v[30:31], v48, off
	s_or_b64 exec, exec, s[26:27]
	s_and_b64 s[30:31], s[4:5], s[18:19]
	s_and_saveexec_b64 s[26:27], s[30:31]
	s_cbranch_execz .LBB274_173
.LBB274_183:
	s_and_b64 vcc, exec, s[0:1]
	s_cbranch_vccnz .LBB274_185
; %bb.184:
	v_lshl_add_u64 v[30:31], v[34:35], 1, v[28:29]
	global_load_ushort v30, v[30:31], off
	s_waitcnt vmcnt(0)
	v_mul_f16_e32 v30, s33, v30
	v_cvt_f32_f16_e32 v30, v30
	s_branch .LBB274_186
.LBB274_185:
	v_mov_b32_e32 v30, 0
.LBB274_186:
	v_pk_add_f16 v31, v18, v26
	v_max_f16_e32 v48, v95, v95
	v_pk_add_f16 v50, v19, v27
	v_min_f16_e32 v48, v48, v31
	v_lshrrev_b32_e32 v49, 16, v95
	v_lshrrev_b32_e32 v31, 16, v31
	;; [unrolled: 1-line block ×3, first 2 shown]
	v_min3_f16 v31, v49, v31, v51
	v_min3_f16 v31, v48, v50, v31
	v_cvt_f32_f16_e32 v31, v31
	v_max_f32_e32 v30, v30, v30
	v_min_f32_e32 v30, v30, v31
	v_cvt_f16_f32_e32 v48, v30
	v_lshl_add_u64 v[30:31], v[34:35], 1, v[24:25]
	global_store_short v[30:31], v48, off
	s_or_b64 exec, exec, s[26:27]
	s_and_b64 s[30:31], s[6:7], s[18:19]
	s_and_saveexec_b64 s[26:27], s[30:31]
	s_cbranch_execz .LBB274_174
.LBB274_187:
	s_and_b64 vcc, exec, s[0:1]
	s_cbranch_vccnz .LBB274_189
; %bb.188:
	v_lshl_add_u64 v[30:31], v[36:37], 1, v[28:29]
	global_load_ushort v30, v[30:31], off
	s_waitcnt vmcnt(0)
	v_mul_f16_e32 v30, s33, v30
	v_cvt_f32_f16_e32 v30, v30
	s_branch .LBB274_190
.LBB274_189:
	v_mov_b32_e32 v30, 0
.LBB274_190:
	v_pk_add_f16 v31, v12, v26
	v_max_f16_e32 v48, v94, v94
	v_pk_add_f16 v50, v13, v27
	v_min_f16_e32 v48, v48, v31
	v_lshrrev_b32_e32 v49, 16, v94
	v_lshrrev_b32_e32 v31, 16, v31
	;; [unrolled: 1-line block ×3, first 2 shown]
	v_min3_f16 v31, v49, v31, v51
	v_min3_f16 v31, v48, v50, v31
	v_cvt_f32_f16_e32 v31, v31
	v_max_f32_e32 v30, v30, v30
	v_min_f32_e32 v30, v30, v31
	v_cvt_f16_f32_e32 v48, v30
	v_lshl_add_u64 v[30:31], v[36:37], 1, v[24:25]
	global_store_short v[30:31], v48, off
	s_or_b64 exec, exec, s[26:27]
	s_and_b64 s[30:31], s[8:9], s[18:19]
	s_and_saveexec_b64 s[26:27], s[30:31]
	s_cbranch_execz .LBB274_175
.LBB274_191:
	s_and_b64 vcc, exec, s[0:1]
	s_cbranch_vccnz .LBB274_193
; %bb.192:
	v_lshl_add_u64 v[30:31], v[38:39], 1, v[28:29]
	global_load_ushort v30, v[30:31], off
	s_waitcnt vmcnt(0)
	v_mul_f16_e32 v30, s33, v30
	v_cvt_f32_f16_e32 v30, v30
	s_branch .LBB274_194
.LBB274_193:
	v_mov_b32_e32 v30, 0
.LBB274_194:
	v_pk_add_f16 v31, v14, v26
	v_max_f16_e32 v48, v91, v91
	v_pk_add_f16 v50, v15, v27
	v_min_f16_e32 v48, v48, v31
	v_lshrrev_b32_e32 v49, 16, v91
	v_lshrrev_b32_e32 v31, 16, v31
	;; [unrolled: 1-line block ×3, first 2 shown]
	v_min3_f16 v31, v49, v31, v51
	v_min3_f16 v31, v48, v50, v31
	v_cvt_f32_f16_e32 v31, v31
	v_max_f32_e32 v30, v30, v30
	v_min_f32_e32 v30, v30, v31
	v_cvt_f16_f32_e32 v48, v30
	v_lshl_add_u64 v[30:31], v[38:39], 1, v[24:25]
	global_store_short v[30:31], v48, off
	s_or_b64 exec, exec, s[26:27]
	s_and_b64 s[30:31], s[10:11], s[18:19]
	s_and_saveexec_b64 s[26:27], s[30:31]
	s_cbranch_execz .LBB274_176
.LBB274_195:
	s_and_b64 vcc, exec, s[0:1]
	s_cbranch_vccnz .LBB274_197
; %bb.196:
	v_lshl_add_u64 v[30:31], v[40:41], 1, v[28:29]
	global_load_ushort v30, v[30:31], off
	s_waitcnt vmcnt(0)
	v_mul_f16_e32 v30, s33, v30
	v_cvt_f32_f16_e32 v30, v30
	s_branch .LBB274_198
.LBB274_197:
	v_mov_b32_e32 v30, 0
.LBB274_198:
	v_pk_add_f16 v31, v8, v26
	v_max_f16_e32 v48, v89, v89
	v_pk_add_f16 v50, v9, v27
	v_min_f16_e32 v48, v48, v31
	v_lshrrev_b32_e32 v49, 16, v89
	v_lshrrev_b32_e32 v31, 16, v31
	v_lshrrev_b32_e32 v51, 16, v50
	v_min3_f16 v31, v49, v31, v51
	v_min3_f16 v31, v48, v50, v31
	v_cvt_f32_f16_e32 v31, v31
	v_max_f32_e32 v30, v30, v30
	v_min_f32_e32 v30, v30, v31
	v_cvt_f16_f32_e32 v48, v30
	v_lshl_add_u64 v[30:31], v[40:41], 1, v[24:25]
	global_store_short v[30:31], v48, off
	s_or_b64 exec, exec, s[26:27]
	s_and_b64 s[30:31], s[12:13], s[18:19]
	s_and_saveexec_b64 s[26:27], s[30:31]
	s_cbranch_execz .LBB274_177
.LBB274_199:
	s_and_b64 vcc, exec, s[0:1]
	s_cbranch_vccnz .LBB274_201
; %bb.200:
	v_lshl_add_u64 v[30:31], v[42:43], 1, v[28:29]
	global_load_ushort v30, v[30:31], off
	s_waitcnt vmcnt(0)
	v_mul_f16_e32 v30, s33, v30
	v_cvt_f32_f16_e32 v30, v30
	s_branch .LBB274_202
.LBB274_201:
	v_mov_b32_e32 v30, 0
.LBB274_202:
	v_pk_add_f16 v31, v10, v26
	v_max_f16_e32 v48, v87, v87
	v_pk_add_f16 v50, v11, v27
	v_min_f16_e32 v48, v48, v31
	v_lshrrev_b32_e32 v49, 16, v87
	v_lshrrev_b32_e32 v31, 16, v31
	;; [unrolled: 1-line block ×3, first 2 shown]
	v_min3_f16 v31, v49, v31, v51
	v_min3_f16 v31, v48, v50, v31
	v_cvt_f32_f16_e32 v31, v31
	v_max_f32_e32 v30, v30, v30
	v_min_f32_e32 v30, v30, v31
	v_cvt_f16_f32_e32 v48, v30
	v_lshl_add_u64 v[30:31], v[42:43], 1, v[24:25]
	global_store_short v[30:31], v48, off
	s_or_b64 exec, exec, s[26:27]
	s_and_b64 s[30:31], s[14:15], s[18:19]
	s_and_saveexec_b64 s[26:27], s[30:31]
	s_cbranch_execz .LBB274_178
.LBB274_203:
	s_and_b64 vcc, exec, s[0:1]
	s_cbranch_vccnz .LBB274_205
; %bb.204:
	v_lshl_add_u64 v[30:31], v[44:45], 1, v[28:29]
	global_load_ushort v30, v[30:31], off
	s_waitcnt vmcnt(0)
	v_mul_f16_e32 v30, s33, v30
	v_cvt_f32_f16_e32 v30, v30
	s_branch .LBB274_206
.LBB274_205:
	v_mov_b32_e32 v30, 0
.LBB274_206:
	v_pk_add_f16 v31, v0, v26
	v_max_f16_e32 v48, v85, v85
	v_pk_add_f16 v50, v1, v27
	v_min_f16_e32 v48, v48, v31
	v_lshrrev_b32_e32 v49, 16, v85
	v_lshrrev_b32_e32 v31, 16, v31
	;; [unrolled: 1-line block ×3, first 2 shown]
	v_min3_f16 v31, v49, v31, v51
	v_min3_f16 v31, v48, v50, v31
	v_cvt_f32_f16_e32 v31, v31
	v_max_f32_e32 v30, v30, v30
	v_min_f32_e32 v30, v30, v31
	v_cvt_f16_f32_e32 v48, v30
	v_lshl_add_u64 v[30:31], v[44:45], 1, v[24:25]
	global_store_short v[30:31], v48, off
	s_or_b64 exec, exec, s[26:27]
	s_and_b64 s[26:27], s[16:17], s[18:19]
	s_and_saveexec_b64 s[18:19], s[26:27]
	s_cbranch_execz .LBB274_211
.LBB274_207:
	s_and_b64 vcc, exec, s[0:1]
	s_cbranch_vccnz .LBB274_209
; %bb.208:
	v_lshl_add_u64 v[28:29], v[46:47], 1, v[28:29]
	global_load_ushort v28, v[28:29], off
	s_waitcnt vmcnt(0)
	v_mul_f16_e32 v28, s33, v28
	v_cvt_f32_f16_e32 v28, v28
	s_branch .LBB274_210
.LBB274_209:
	v_mov_b32_e32 v28, 0
.LBB274_210:
	v_pk_add_f16 v26, v2, v26
	v_max_f16_e32 v29, v84, v84
	v_pk_add_f16 v27, v3, v27
	v_min_f16_e32 v29, v29, v26
	v_lshrrev_b32_e32 v30, 16, v84
	v_lshrrev_b32_e32 v26, 16, v26
	;; [unrolled: 1-line block ×3, first 2 shown]
	v_min3_f16 v26, v30, v26, v31
	v_min3_f16 v26, v29, v27, v26
	v_cvt_f32_f16_e32 v26, v26
	v_max_f32_e32 v27, v28, v28
	v_lshl_add_u64 v[24:25], v[46:47], 1, v[24:25]
	v_min_f32_e32 v26, v27, v26
	v_cvt_f16_f32_e32 v26, v26
	global_store_short v[24:25], v26, off
.LBB274_211:
	s_or_b64 exec, exec, s[18:19]
	v_add_u32_e32 v28, 0x80, v92
	v_mad_i64_i32 v[24:25], s[26:27], v28, s29, 0
	v_cmp_gt_i32_e64 s[18:19], s21, v28
	v_lshl_add_u64 v[26:27], v[24:25], 1, s[24:25]
	v_mad_i64_i32 v[24:25], s[26:27], v28, s28, 0
	v_lshl_add_u64 v[24:25], v[24:25], 1, s[22:23]
	s_and_b64 s[30:31], s[2:3], s[18:19]
	s_and_saveexec_b64 s[26:27], s[30:31]
	s_cbranch_execnz .LBB274_219
; %bb.212:
	s_or_b64 exec, exec, s[26:27]
	s_and_b64 s[30:31], s[4:5], s[18:19]
	s_and_saveexec_b64 s[26:27], s[30:31]
	s_cbranch_execnz .LBB274_223
.LBB274_213:
	s_or_b64 exec, exec, s[26:27]
	s_and_b64 s[30:31], s[6:7], s[18:19]
	s_and_saveexec_b64 s[26:27], s[30:31]
	s_cbranch_execnz .LBB274_227
.LBB274_214:
	s_or_b64 exec, exec, s[26:27]
	s_and_b64 s[30:31], s[8:9], s[18:19]
	s_and_saveexec_b64 s[26:27], s[30:31]
	s_cbranch_execnz .LBB274_231
.LBB274_215:
	s_or_b64 exec, exec, s[26:27]
	s_and_b64 s[30:31], s[10:11], s[18:19]
	s_and_saveexec_b64 s[26:27], s[30:31]
	s_cbranch_execnz .LBB274_235
.LBB274_216:
	s_or_b64 exec, exec, s[26:27]
	s_and_b64 s[30:31], s[12:13], s[18:19]
	s_and_saveexec_b64 s[26:27], s[30:31]
	s_cbranch_execnz .LBB274_239
.LBB274_217:
	s_or_b64 exec, exec, s[26:27]
	s_and_b64 s[30:31], s[14:15], s[18:19]
	s_and_saveexec_b64 s[26:27], s[30:31]
	s_cbranch_execnz .LBB274_243
.LBB274_218:
	s_or_b64 exec, exec, s[26:27]
	s_and_b64 s[26:27], s[16:17], s[18:19]
	s_and_saveexec_b64 s[18:19], s[26:27]
	s_cbranch_execnz .LBB274_247
	s_branch .LBB274_251
.LBB274_219:
	s_and_b64 vcc, exec, s[0:1]
	s_cbranch_vccnz .LBB274_221
; %bb.220:
	v_lshl_add_u64 v[28:29], v[32:33], 1, v[26:27]
	global_load_ushort v28, v[28:29], off
	s_waitcnt vmcnt(0)
	v_mul_f16_e32 v28, s33, v28
	v_cvt_f32_f16_e32 v28, v28
	s_branch .LBB274_222
.LBB274_221:
	v_mov_b32_e32 v28, 0
.LBB274_222:
	s_waitcnt lgkmcnt(1)
	v_pk_add_f16 v29, v16, v20
	v_max_f16_e32 v30, v83, v83
	v_pk_add_f16 v48, v17, v21
	v_min_f16_e32 v30, v30, v29
	v_lshrrev_b32_e32 v31, 16, v83
	v_lshrrev_b32_e32 v29, 16, v29
	;; [unrolled: 1-line block ×3, first 2 shown]
	v_min3_f16 v29, v31, v29, v49
	v_min3_f16 v29, v30, v48, v29
	v_cvt_f32_f16_e32 v29, v29
	v_max_f32_e32 v28, v28, v28
	v_min_f32_e32 v28, v28, v29
	v_cvt_f16_f32_e32 v30, v28
	v_lshl_add_u64 v[28:29], v[32:33], 1, v[24:25]
	global_store_short v[28:29], v30, off
	s_or_b64 exec, exec, s[26:27]
	s_and_b64 s[30:31], s[4:5], s[18:19]
	s_and_saveexec_b64 s[26:27], s[30:31]
	s_cbranch_execz .LBB274_213
.LBB274_223:
	s_and_b64 vcc, exec, s[0:1]
	s_cbranch_vccnz .LBB274_225
; %bb.224:
	v_lshl_add_u64 v[28:29], v[34:35], 1, v[26:27]
	global_load_ushort v28, v[28:29], off
	s_waitcnt vmcnt(0)
	v_mul_f16_e32 v28, s33, v28
	v_cvt_f32_f16_e32 v28, v28
	s_branch .LBB274_226
.LBB274_225:
	v_mov_b32_e32 v28, 0
.LBB274_226:
	s_waitcnt lgkmcnt(1)
	v_pk_add_f16 v29, v18, v20
	v_max_f16_e32 v30, v82, v82
	v_pk_add_f16 v48, v19, v21
	v_min_f16_e32 v30, v30, v29
	v_lshrrev_b32_e32 v31, 16, v82
	v_lshrrev_b32_e32 v29, 16, v29
	;; [unrolled: 1-line block ×3, first 2 shown]
	v_min3_f16 v29, v31, v29, v49
	v_min3_f16 v29, v30, v48, v29
	v_cvt_f32_f16_e32 v29, v29
	v_max_f32_e32 v28, v28, v28
	v_min_f32_e32 v28, v28, v29
	v_cvt_f16_f32_e32 v30, v28
	v_lshl_add_u64 v[28:29], v[34:35], 1, v[24:25]
	global_store_short v[28:29], v30, off
	s_or_b64 exec, exec, s[26:27]
	s_and_b64 s[30:31], s[6:7], s[18:19]
	s_and_saveexec_b64 s[26:27], s[30:31]
	s_cbranch_execz .LBB274_214
.LBB274_227:
	s_and_b64 vcc, exec, s[0:1]
	s_cbranch_vccnz .LBB274_229
; %bb.228:
	v_lshl_add_u64 v[28:29], v[36:37], 1, v[26:27]
	global_load_ushort v28, v[28:29], off
	s_waitcnt vmcnt(0)
	v_mul_f16_e32 v28, s33, v28
	v_cvt_f32_f16_e32 v28, v28
	s_branch .LBB274_230
.LBB274_229:
	v_mov_b32_e32 v28, 0
.LBB274_230:
	s_waitcnt lgkmcnt(1)
	v_pk_add_f16 v29, v12, v20
	v_max_f16_e32 v30, v81, v81
	v_pk_add_f16 v48, v13, v21
	v_min_f16_e32 v30, v30, v29
	v_lshrrev_b32_e32 v31, 16, v81
	v_lshrrev_b32_e32 v29, 16, v29
	;; [unrolled: 1-line block ×3, first 2 shown]
	v_min3_f16 v29, v31, v29, v49
	v_min3_f16 v29, v30, v48, v29
	v_cvt_f32_f16_e32 v29, v29
	v_max_f32_e32 v28, v28, v28
	v_min_f32_e32 v28, v28, v29
	v_cvt_f16_f32_e32 v30, v28
	v_lshl_add_u64 v[28:29], v[36:37], 1, v[24:25]
	global_store_short v[28:29], v30, off
	s_or_b64 exec, exec, s[26:27]
	s_and_b64 s[30:31], s[8:9], s[18:19]
	s_and_saveexec_b64 s[26:27], s[30:31]
	s_cbranch_execz .LBB274_215
.LBB274_231:
	s_and_b64 vcc, exec, s[0:1]
	s_cbranch_vccnz .LBB274_233
; %bb.232:
	v_lshl_add_u64 v[28:29], v[38:39], 1, v[26:27]
	global_load_ushort v28, v[28:29], off
	s_waitcnt vmcnt(0)
	v_mul_f16_e32 v28, s33, v28
	v_cvt_f32_f16_e32 v28, v28
	s_branch .LBB274_234
.LBB274_233:
	v_mov_b32_e32 v28, 0
.LBB274_234:
	s_waitcnt lgkmcnt(1)
	v_pk_add_f16 v29, v14, v20
	v_max_f16_e32 v30, v80, v80
	v_pk_add_f16 v48, v15, v21
	v_min_f16_e32 v30, v30, v29
	v_lshrrev_b32_e32 v31, 16, v80
	v_lshrrev_b32_e32 v29, 16, v29
	;; [unrolled: 1-line block ×3, first 2 shown]
	v_min3_f16 v29, v31, v29, v49
	v_min3_f16 v29, v30, v48, v29
	v_cvt_f32_f16_e32 v29, v29
	v_max_f32_e32 v28, v28, v28
	v_min_f32_e32 v28, v28, v29
	v_cvt_f16_f32_e32 v30, v28
	v_lshl_add_u64 v[28:29], v[38:39], 1, v[24:25]
	global_store_short v[28:29], v30, off
	s_or_b64 exec, exec, s[26:27]
	s_and_b64 s[30:31], s[10:11], s[18:19]
	s_and_saveexec_b64 s[26:27], s[30:31]
	s_cbranch_execz .LBB274_216
.LBB274_235:
	s_and_b64 vcc, exec, s[0:1]
	s_cbranch_vccnz .LBB274_237
; %bb.236:
	v_lshl_add_u64 v[28:29], v[40:41], 1, v[26:27]
	global_load_ushort v28, v[28:29], off
	s_waitcnt vmcnt(0)
	v_mul_f16_e32 v28, s33, v28
	v_cvt_f32_f16_e32 v28, v28
	s_branch .LBB274_238
.LBB274_237:
	v_mov_b32_e32 v28, 0
.LBB274_238:
	s_waitcnt lgkmcnt(1)
	v_pk_add_f16 v29, v8, v20
	v_max_f16_e32 v30, v79, v79
	v_pk_add_f16 v48, v9, v21
	v_min_f16_e32 v30, v30, v29
	v_lshrrev_b32_e32 v31, 16, v79
	v_lshrrev_b32_e32 v29, 16, v29
	;; [unrolled: 1-line block ×3, first 2 shown]
	v_min3_f16 v29, v31, v29, v49
	v_min3_f16 v29, v30, v48, v29
	v_cvt_f32_f16_e32 v29, v29
	v_max_f32_e32 v28, v28, v28
	v_min_f32_e32 v28, v28, v29
	v_cvt_f16_f32_e32 v30, v28
	v_lshl_add_u64 v[28:29], v[40:41], 1, v[24:25]
	global_store_short v[28:29], v30, off
	s_or_b64 exec, exec, s[26:27]
	s_and_b64 s[30:31], s[12:13], s[18:19]
	s_and_saveexec_b64 s[26:27], s[30:31]
	s_cbranch_execz .LBB274_217
.LBB274_239:
	s_and_b64 vcc, exec, s[0:1]
	s_cbranch_vccnz .LBB274_241
; %bb.240:
	v_lshl_add_u64 v[28:29], v[42:43], 1, v[26:27]
	global_load_ushort v28, v[28:29], off
	s_waitcnt vmcnt(0)
	v_mul_f16_e32 v28, s33, v28
	v_cvt_f32_f16_e32 v28, v28
	s_branch .LBB274_242
.LBB274_241:
	v_mov_b32_e32 v28, 0
.LBB274_242:
	s_waitcnt lgkmcnt(1)
	v_pk_add_f16 v29, v10, v20
	v_max_f16_e32 v30, v78, v78
	v_pk_add_f16 v48, v11, v21
	v_min_f16_e32 v30, v30, v29
	v_lshrrev_b32_e32 v31, 16, v78
	v_lshrrev_b32_e32 v29, 16, v29
	;; [unrolled: 1-line block ×3, first 2 shown]
	v_min3_f16 v29, v31, v29, v49
	v_min3_f16 v29, v30, v48, v29
	v_cvt_f32_f16_e32 v29, v29
	v_max_f32_e32 v28, v28, v28
	v_min_f32_e32 v28, v28, v29
	v_cvt_f16_f32_e32 v30, v28
	v_lshl_add_u64 v[28:29], v[42:43], 1, v[24:25]
	global_store_short v[28:29], v30, off
	s_or_b64 exec, exec, s[26:27]
	s_and_b64 s[30:31], s[14:15], s[18:19]
	s_and_saveexec_b64 s[26:27], s[30:31]
	s_cbranch_execz .LBB274_218
.LBB274_243:
	s_and_b64 vcc, exec, s[0:1]
	s_cbranch_vccnz .LBB274_245
; %bb.244:
	v_lshl_add_u64 v[28:29], v[44:45], 1, v[26:27]
	global_load_ushort v28, v[28:29], off
	s_waitcnt vmcnt(0)
	v_mul_f16_e32 v28, s33, v28
	v_cvt_f32_f16_e32 v28, v28
	s_branch .LBB274_246
.LBB274_245:
	v_mov_b32_e32 v28, 0
.LBB274_246:
	s_waitcnt lgkmcnt(1)
	v_pk_add_f16 v29, v0, v20
	v_max_f16_e32 v30, v77, v77
	v_pk_add_f16 v48, v1, v21
	v_min_f16_e32 v30, v30, v29
	v_lshrrev_b32_e32 v31, 16, v77
	v_lshrrev_b32_e32 v29, 16, v29
	;; [unrolled: 1-line block ×3, first 2 shown]
	v_min3_f16 v29, v31, v29, v49
	v_min3_f16 v29, v30, v48, v29
	v_cvt_f32_f16_e32 v29, v29
	v_max_f32_e32 v28, v28, v28
	v_min_f32_e32 v28, v28, v29
	v_cvt_f16_f32_e32 v30, v28
	v_lshl_add_u64 v[28:29], v[44:45], 1, v[24:25]
	global_store_short v[28:29], v30, off
	s_or_b64 exec, exec, s[26:27]
	s_and_b64 s[26:27], s[16:17], s[18:19]
	s_and_saveexec_b64 s[18:19], s[26:27]
	s_cbranch_execz .LBB274_251
.LBB274_247:
	s_and_b64 vcc, exec, s[0:1]
	s_cbranch_vccnz .LBB274_249
; %bb.248:
	v_lshl_add_u64 v[26:27], v[46:47], 1, v[26:27]
	global_load_ushort v26, v[26:27], off
	s_waitcnt vmcnt(0)
	v_mul_f16_e32 v26, s33, v26
	v_cvt_f32_f16_e32 v26, v26
	s_branch .LBB274_250
.LBB274_249:
	v_mov_b32_e32 v26, 0
.LBB274_250:
	s_waitcnt lgkmcnt(1)
	v_pk_add_f16 v20, v2, v20
	v_max_f16_e32 v27, v76, v76
	v_pk_add_f16 v21, v3, v21
	v_min_f16_e32 v27, v27, v20
	v_lshrrev_b32_e32 v28, 16, v76
	v_lshrrev_b32_e32 v20, 16, v20
	;; [unrolled: 1-line block ×3, first 2 shown]
	v_min3_f16 v20, v28, v20, v29
	v_min3_f16 v20, v27, v21, v20
	v_cvt_f32_f16_e32 v20, v20
	v_max_f32_e32 v21, v26, v26
	v_min_f32_e32 v20, v21, v20
	v_cvt_f16_f32_e32 v26, v20
	v_lshl_add_u64 v[20:21], v[46:47], 1, v[24:25]
	global_store_short v[20:21], v26, off
.LBB274_251:
	s_or_b64 exec, exec, s[18:19]
	v_add_u32_e32 v26, 0xa0, v92
	s_waitcnt lgkmcnt(1)
	v_mad_i64_i32 v[20:21], s[26:27], v26, s29, 0
	v_cmp_gt_i32_e64 s[18:19], s21, v26
	v_lshl_add_u64 v[24:25], v[20:21], 1, s[24:25]
	v_mad_i64_i32 v[20:21], s[26:27], v26, s28, 0
	v_lshl_add_u64 v[20:21], v[20:21], 1, s[22:23]
	s_and_b64 s[30:31], s[2:3], s[18:19]
	s_and_saveexec_b64 s[26:27], s[30:31]
	s_cbranch_execnz .LBB274_259
; %bb.252:
	s_or_b64 exec, exec, s[26:27]
	s_and_b64 s[30:31], s[4:5], s[18:19]
	s_and_saveexec_b64 s[26:27], s[30:31]
	s_cbranch_execnz .LBB274_263
.LBB274_253:
	s_or_b64 exec, exec, s[26:27]
	s_and_b64 s[30:31], s[6:7], s[18:19]
	s_and_saveexec_b64 s[26:27], s[30:31]
	s_cbranch_execnz .LBB274_267
.LBB274_254:
	s_or_b64 exec, exec, s[26:27]
	s_and_b64 s[30:31], s[8:9], s[18:19]
	s_and_saveexec_b64 s[26:27], s[30:31]
	s_cbranch_execnz .LBB274_271
.LBB274_255:
	s_or_b64 exec, exec, s[26:27]
	s_and_b64 s[30:31], s[10:11], s[18:19]
	s_and_saveexec_b64 s[26:27], s[30:31]
	s_cbranch_execnz .LBB274_275
.LBB274_256:
	s_or_b64 exec, exec, s[26:27]
	s_and_b64 s[30:31], s[12:13], s[18:19]
	s_and_saveexec_b64 s[26:27], s[30:31]
	s_cbranch_execnz .LBB274_279
.LBB274_257:
	s_or_b64 exec, exec, s[26:27]
	s_and_b64 s[30:31], s[14:15], s[18:19]
	s_and_saveexec_b64 s[26:27], s[30:31]
	s_cbranch_execnz .LBB274_283
.LBB274_258:
	s_or_b64 exec, exec, s[26:27]
	s_and_b64 s[26:27], s[16:17], s[18:19]
	s_and_saveexec_b64 s[18:19], s[26:27]
	s_cbranch_execnz .LBB274_287
	s_branch .LBB274_291
.LBB274_259:
	s_and_b64 vcc, exec, s[0:1]
	s_cbranch_vccnz .LBB274_261
; %bb.260:
	v_lshl_add_u64 v[26:27], v[32:33], 1, v[24:25]
	global_load_ushort v26, v[26:27], off
	s_waitcnt vmcnt(0)
	v_mul_f16_e32 v26, s33, v26
	v_cvt_f32_f16_e32 v26, v26
	s_branch .LBB274_262
.LBB274_261:
	v_mov_b32_e32 v26, 0
.LBB274_262:
	v_pk_add_f16 v27, v16, v22
	v_max_f16_e32 v28, v75, v75
	v_pk_add_f16 v30, v17, v23
	v_min_f16_e32 v28, v28, v27
	v_lshrrev_b32_e32 v29, 16, v75
	v_lshrrev_b32_e32 v27, 16, v27
	;; [unrolled: 1-line block ×3, first 2 shown]
	v_min3_f16 v27, v29, v27, v31
	v_min3_f16 v27, v28, v30, v27
	v_cvt_f32_f16_e32 v27, v27
	v_max_f32_e32 v26, v26, v26
	v_min_f32_e32 v26, v26, v27
	v_cvt_f16_f32_e32 v28, v26
	v_lshl_add_u64 v[26:27], v[32:33], 1, v[20:21]
	global_store_short v[26:27], v28, off
	s_or_b64 exec, exec, s[26:27]
	s_and_b64 s[30:31], s[4:5], s[18:19]
	s_and_saveexec_b64 s[26:27], s[30:31]
	s_cbranch_execz .LBB274_253
.LBB274_263:
	s_and_b64 vcc, exec, s[0:1]
	s_cbranch_vccnz .LBB274_265
; %bb.264:
	v_lshl_add_u64 v[26:27], v[34:35], 1, v[24:25]
	global_load_ushort v26, v[26:27], off
	s_waitcnt vmcnt(0)
	v_mul_f16_e32 v26, s33, v26
	v_cvt_f32_f16_e32 v26, v26
	s_branch .LBB274_266
.LBB274_265:
	v_mov_b32_e32 v26, 0
.LBB274_266:
	v_pk_add_f16 v27, v18, v22
	v_max_f16_e32 v28, v74, v74
	v_pk_add_f16 v30, v19, v23
	v_min_f16_e32 v28, v28, v27
	v_lshrrev_b32_e32 v29, 16, v74
	v_lshrrev_b32_e32 v27, 16, v27
	;; [unrolled: 1-line block ×3, first 2 shown]
	v_min3_f16 v27, v29, v27, v31
	v_min3_f16 v27, v28, v30, v27
	v_cvt_f32_f16_e32 v27, v27
	v_max_f32_e32 v26, v26, v26
	v_min_f32_e32 v26, v26, v27
	v_cvt_f16_f32_e32 v28, v26
	v_lshl_add_u64 v[26:27], v[34:35], 1, v[20:21]
	global_store_short v[26:27], v28, off
	s_or_b64 exec, exec, s[26:27]
	s_and_b64 s[30:31], s[6:7], s[18:19]
	s_and_saveexec_b64 s[26:27], s[30:31]
	s_cbranch_execz .LBB274_254
.LBB274_267:
	s_and_b64 vcc, exec, s[0:1]
	s_cbranch_vccnz .LBB274_269
; %bb.268:
	v_lshl_add_u64 v[26:27], v[36:37], 1, v[24:25]
	global_load_ushort v26, v[26:27], off
	s_waitcnt vmcnt(0)
	v_mul_f16_e32 v26, s33, v26
	v_cvt_f32_f16_e32 v26, v26
	s_branch .LBB274_270
.LBB274_269:
	v_mov_b32_e32 v26, 0
.LBB274_270:
	v_pk_add_f16 v27, v12, v22
	v_max_f16_e32 v28, v73, v73
	v_pk_add_f16 v30, v13, v23
	v_min_f16_e32 v28, v28, v27
	v_lshrrev_b32_e32 v29, 16, v73
	v_lshrrev_b32_e32 v27, 16, v27
	v_lshrrev_b32_e32 v31, 16, v30
	v_min3_f16 v27, v29, v27, v31
	v_min3_f16 v27, v28, v30, v27
	v_cvt_f32_f16_e32 v27, v27
	v_max_f32_e32 v26, v26, v26
	v_min_f32_e32 v26, v26, v27
	v_cvt_f16_f32_e32 v28, v26
	v_lshl_add_u64 v[26:27], v[36:37], 1, v[20:21]
	global_store_short v[26:27], v28, off
	s_or_b64 exec, exec, s[26:27]
	s_and_b64 s[30:31], s[8:9], s[18:19]
	s_and_saveexec_b64 s[26:27], s[30:31]
	s_cbranch_execz .LBB274_255
.LBB274_271:
	s_and_b64 vcc, exec, s[0:1]
	s_cbranch_vccnz .LBB274_273
; %bb.272:
	v_lshl_add_u64 v[26:27], v[38:39], 1, v[24:25]
	global_load_ushort v26, v[26:27], off
	s_waitcnt vmcnt(0)
	v_mul_f16_e32 v26, s33, v26
	v_cvt_f32_f16_e32 v26, v26
	s_branch .LBB274_274
.LBB274_273:
	v_mov_b32_e32 v26, 0
.LBB274_274:
	v_pk_add_f16 v27, v14, v22
	v_max_f16_e32 v28, v72, v72
	v_pk_add_f16 v30, v15, v23
	v_min_f16_e32 v28, v28, v27
	v_lshrrev_b32_e32 v29, 16, v72
	v_lshrrev_b32_e32 v27, 16, v27
	;; [unrolled: 1-line block ×3, first 2 shown]
	v_min3_f16 v27, v29, v27, v31
	v_min3_f16 v27, v28, v30, v27
	v_cvt_f32_f16_e32 v27, v27
	v_max_f32_e32 v26, v26, v26
	v_min_f32_e32 v26, v26, v27
	v_cvt_f16_f32_e32 v28, v26
	v_lshl_add_u64 v[26:27], v[38:39], 1, v[20:21]
	global_store_short v[26:27], v28, off
	s_or_b64 exec, exec, s[26:27]
	s_and_b64 s[30:31], s[10:11], s[18:19]
	s_and_saveexec_b64 s[26:27], s[30:31]
	s_cbranch_execz .LBB274_256
.LBB274_275:
	s_and_b64 vcc, exec, s[0:1]
	s_cbranch_vccnz .LBB274_277
; %bb.276:
	v_lshl_add_u64 v[26:27], v[40:41], 1, v[24:25]
	global_load_ushort v26, v[26:27], off
	s_waitcnt vmcnt(0)
	v_mul_f16_e32 v26, s33, v26
	v_cvt_f32_f16_e32 v26, v26
	s_branch .LBB274_278
.LBB274_277:
	v_mov_b32_e32 v26, 0
.LBB274_278:
	v_pk_add_f16 v27, v8, v22
	v_max_f16_e32 v28, v71, v71
	v_pk_add_f16 v30, v9, v23
	v_min_f16_e32 v28, v28, v27
	v_lshrrev_b32_e32 v29, 16, v71
	v_lshrrev_b32_e32 v27, 16, v27
	;; [unrolled: 1-line block ×3, first 2 shown]
	v_min3_f16 v27, v29, v27, v31
	v_min3_f16 v27, v28, v30, v27
	v_cvt_f32_f16_e32 v27, v27
	v_max_f32_e32 v26, v26, v26
	v_min_f32_e32 v26, v26, v27
	v_cvt_f16_f32_e32 v28, v26
	v_lshl_add_u64 v[26:27], v[40:41], 1, v[20:21]
	global_store_short v[26:27], v28, off
	s_or_b64 exec, exec, s[26:27]
	s_and_b64 s[30:31], s[12:13], s[18:19]
	s_and_saveexec_b64 s[26:27], s[30:31]
	s_cbranch_execz .LBB274_257
.LBB274_279:
	s_and_b64 vcc, exec, s[0:1]
	s_cbranch_vccnz .LBB274_281
; %bb.280:
	v_lshl_add_u64 v[26:27], v[42:43], 1, v[24:25]
	global_load_ushort v26, v[26:27], off
	s_waitcnt vmcnt(0)
	v_mul_f16_e32 v26, s33, v26
	v_cvt_f32_f16_e32 v26, v26
	s_branch .LBB274_282
.LBB274_281:
	v_mov_b32_e32 v26, 0
.LBB274_282:
	v_pk_add_f16 v27, v10, v22
	v_max_f16_e32 v28, v70, v70
	v_pk_add_f16 v30, v11, v23
	v_min_f16_e32 v28, v28, v27
	v_lshrrev_b32_e32 v29, 16, v70
	v_lshrrev_b32_e32 v27, 16, v27
	;; [unrolled: 1-line block ×3, first 2 shown]
	v_min3_f16 v27, v29, v27, v31
	v_min3_f16 v27, v28, v30, v27
	v_cvt_f32_f16_e32 v27, v27
	v_max_f32_e32 v26, v26, v26
	v_min_f32_e32 v26, v26, v27
	v_cvt_f16_f32_e32 v28, v26
	v_lshl_add_u64 v[26:27], v[42:43], 1, v[20:21]
	global_store_short v[26:27], v28, off
	s_or_b64 exec, exec, s[26:27]
	s_and_b64 s[30:31], s[14:15], s[18:19]
	s_and_saveexec_b64 s[26:27], s[30:31]
	s_cbranch_execz .LBB274_258
.LBB274_283:
	s_and_b64 vcc, exec, s[0:1]
	s_cbranch_vccnz .LBB274_285
; %bb.284:
	v_lshl_add_u64 v[26:27], v[44:45], 1, v[24:25]
	global_load_ushort v26, v[26:27], off
	s_waitcnt vmcnt(0)
	v_mul_f16_e32 v26, s33, v26
	v_cvt_f32_f16_e32 v26, v26
	s_branch .LBB274_286
.LBB274_285:
	v_mov_b32_e32 v26, 0
.LBB274_286:
	v_pk_add_f16 v27, v0, v22
	v_max_f16_e32 v28, v68, v68
	v_pk_add_f16 v30, v1, v23
	v_min_f16_e32 v28, v28, v27
	v_lshrrev_b32_e32 v29, 16, v68
	v_lshrrev_b32_e32 v27, 16, v27
	;; [unrolled: 1-line block ×3, first 2 shown]
	v_min3_f16 v27, v29, v27, v31
	v_min3_f16 v27, v28, v30, v27
	v_cvt_f32_f16_e32 v27, v27
	v_max_f32_e32 v26, v26, v26
	v_min_f32_e32 v26, v26, v27
	v_cvt_f16_f32_e32 v28, v26
	v_lshl_add_u64 v[26:27], v[44:45], 1, v[20:21]
	global_store_short v[26:27], v28, off
	s_or_b64 exec, exec, s[26:27]
	s_and_b64 s[26:27], s[16:17], s[18:19]
	s_and_saveexec_b64 s[18:19], s[26:27]
	s_cbranch_execz .LBB274_291
.LBB274_287:
	s_and_b64 vcc, exec, s[0:1]
	s_cbranch_vccnz .LBB274_289
; %bb.288:
	v_lshl_add_u64 v[24:25], v[46:47], 1, v[24:25]
	global_load_ushort v24, v[24:25], off
	s_waitcnt vmcnt(0)
	v_mul_f16_e32 v24, s33, v24
	v_cvt_f32_f16_e32 v24, v24
	s_branch .LBB274_290
.LBB274_289:
	v_mov_b32_e32 v24, 0
.LBB274_290:
	v_pk_add_f16 v22, v2, v22
	v_max_f16_e32 v25, v69, v69
	v_pk_add_f16 v23, v3, v23
	v_min_f16_e32 v25, v25, v22
	v_lshrrev_b32_e32 v26, 16, v69
	v_lshrrev_b32_e32 v22, 16, v22
	;; [unrolled: 1-line block ×3, first 2 shown]
	v_min3_f16 v22, v26, v22, v27
	v_min3_f16 v22, v25, v23, v22
	v_cvt_f32_f16_e32 v22, v22
	v_max_f32_e32 v23, v24, v24
	v_lshl_add_u64 v[20:21], v[46:47], 1, v[20:21]
	v_min_f32_e32 v22, v23, v22
	v_cvt_f16_f32_e32 v22, v22
	global_store_short v[20:21], v22, off
.LBB274_291:
	s_or_b64 exec, exec, s[18:19]
	v_add_u32_e32 v24, 0xc0, v92
	v_mad_i64_i32 v[20:21], s[26:27], v24, s29, 0
	v_cmp_gt_i32_e64 s[18:19], s21, v24
	v_lshl_add_u64 v[22:23], v[20:21], 1, s[24:25]
	v_mad_i64_i32 v[20:21], s[26:27], v24, s28, 0
	v_lshl_add_u64 v[20:21], v[20:21], 1, s[22:23]
	s_and_b64 s[30:31], s[2:3], s[18:19]
	s_and_saveexec_b64 s[26:27], s[30:31]
	s_cbranch_execnz .LBB274_299
; %bb.292:
	s_or_b64 exec, exec, s[26:27]
	s_and_b64 s[30:31], s[4:5], s[18:19]
	s_and_saveexec_b64 s[26:27], s[30:31]
	s_cbranch_execnz .LBB274_303
.LBB274_293:
	s_or_b64 exec, exec, s[26:27]
	s_and_b64 s[30:31], s[6:7], s[18:19]
	s_and_saveexec_b64 s[26:27], s[30:31]
	s_cbranch_execnz .LBB274_307
.LBB274_294:
	s_or_b64 exec, exec, s[26:27]
	s_and_b64 s[30:31], s[8:9], s[18:19]
	s_and_saveexec_b64 s[26:27], s[30:31]
	s_cbranch_execnz .LBB274_311
.LBB274_295:
	s_or_b64 exec, exec, s[26:27]
	s_and_b64 s[30:31], s[10:11], s[18:19]
	s_and_saveexec_b64 s[26:27], s[30:31]
	s_cbranch_execnz .LBB274_315
.LBB274_296:
	s_or_b64 exec, exec, s[26:27]
	s_and_b64 s[30:31], s[12:13], s[18:19]
	s_and_saveexec_b64 s[26:27], s[30:31]
	s_cbranch_execnz .LBB274_319
.LBB274_297:
	s_or_b64 exec, exec, s[26:27]
	s_and_b64 s[30:31], s[14:15], s[18:19]
	s_and_saveexec_b64 s[26:27], s[30:31]
	s_cbranch_execnz .LBB274_323
.LBB274_298:
	s_or_b64 exec, exec, s[26:27]
	s_and_b64 s[26:27], s[16:17], s[18:19]
	s_and_saveexec_b64 s[18:19], s[26:27]
	s_cbranch_execnz .LBB274_327
	s_branch .LBB274_331
.LBB274_299:
	s_and_b64 vcc, exec, s[0:1]
	s_cbranch_vccnz .LBB274_301
; %bb.300:
	v_lshl_add_u64 v[24:25], v[32:33], 1, v[22:23]
	global_load_ushort v24, v[24:25], off
	s_waitcnt vmcnt(0)
	v_mul_f16_e32 v24, s33, v24
	v_cvt_f32_f16_e32 v24, v24
	s_branch .LBB274_302
.LBB274_301:
	v_mov_b32_e32 v24, 0
.LBB274_302:
	s_waitcnt lgkmcnt(0)
	v_pk_add_f16 v25, v16, v4
	v_max_f16_e32 v26, v67, v67
	v_pk_add_f16 v28, v17, v5
	v_min_f16_e32 v26, v26, v25
	v_lshrrev_b32_e32 v27, 16, v67
	v_lshrrev_b32_e32 v25, 16, v25
	;; [unrolled: 1-line block ×3, first 2 shown]
	v_min3_f16 v25, v27, v25, v29
	v_min3_f16 v25, v26, v28, v25
	v_cvt_f32_f16_e32 v25, v25
	v_max_f32_e32 v24, v24, v24
	v_min_f32_e32 v24, v24, v25
	v_cvt_f16_f32_e32 v26, v24
	v_lshl_add_u64 v[24:25], v[32:33], 1, v[20:21]
	global_store_short v[24:25], v26, off
	s_or_b64 exec, exec, s[26:27]
	s_and_b64 s[30:31], s[4:5], s[18:19]
	s_and_saveexec_b64 s[26:27], s[30:31]
	s_cbranch_execz .LBB274_293
.LBB274_303:
	s_and_b64 vcc, exec, s[0:1]
	s_cbranch_vccnz .LBB274_305
; %bb.304:
	v_lshl_add_u64 v[24:25], v[34:35], 1, v[22:23]
	global_load_ushort v24, v[24:25], off
	s_waitcnt vmcnt(0)
	v_mul_f16_e32 v24, s33, v24
	v_cvt_f32_f16_e32 v24, v24
	s_branch .LBB274_306
.LBB274_305:
	v_mov_b32_e32 v24, 0
.LBB274_306:
	s_waitcnt lgkmcnt(0)
	v_pk_add_f16 v25, v18, v4
	v_max_f16_e32 v26, v66, v66
	v_pk_add_f16 v28, v19, v5
	v_min_f16_e32 v26, v26, v25
	v_lshrrev_b32_e32 v27, 16, v66
	v_lshrrev_b32_e32 v25, 16, v25
	;; [unrolled: 1-line block ×3, first 2 shown]
	v_min3_f16 v25, v27, v25, v29
	v_min3_f16 v25, v26, v28, v25
	v_cvt_f32_f16_e32 v25, v25
	v_max_f32_e32 v24, v24, v24
	v_min_f32_e32 v24, v24, v25
	v_cvt_f16_f32_e32 v26, v24
	v_lshl_add_u64 v[24:25], v[34:35], 1, v[20:21]
	global_store_short v[24:25], v26, off
	s_or_b64 exec, exec, s[26:27]
	s_and_b64 s[30:31], s[6:7], s[18:19]
	s_and_saveexec_b64 s[26:27], s[30:31]
	s_cbranch_execz .LBB274_294
.LBB274_307:
	s_and_b64 vcc, exec, s[0:1]
	s_cbranch_vccnz .LBB274_309
; %bb.308:
	v_lshl_add_u64 v[24:25], v[36:37], 1, v[22:23]
	global_load_ushort v24, v[24:25], off
	s_waitcnt vmcnt(0)
	v_mul_f16_e32 v24, s33, v24
	v_cvt_f32_f16_e32 v24, v24
	s_branch .LBB274_310
.LBB274_309:
	v_mov_b32_e32 v24, 0
.LBB274_310:
	s_waitcnt lgkmcnt(0)
	v_pk_add_f16 v25, v12, v4
	v_max_f16_e32 v26, v65, v65
	v_pk_add_f16 v28, v13, v5
	v_min_f16_e32 v26, v26, v25
	v_lshrrev_b32_e32 v27, 16, v65
	v_lshrrev_b32_e32 v25, 16, v25
	v_lshrrev_b32_e32 v29, 16, v28
	v_min3_f16 v25, v27, v25, v29
	v_min3_f16 v25, v26, v28, v25
	v_cvt_f32_f16_e32 v25, v25
	v_max_f32_e32 v24, v24, v24
	v_min_f32_e32 v24, v24, v25
	v_cvt_f16_f32_e32 v26, v24
	v_lshl_add_u64 v[24:25], v[36:37], 1, v[20:21]
	global_store_short v[24:25], v26, off
	s_or_b64 exec, exec, s[26:27]
	s_and_b64 s[30:31], s[8:9], s[18:19]
	s_and_saveexec_b64 s[26:27], s[30:31]
	s_cbranch_execz .LBB274_295
.LBB274_311:
	s_and_b64 vcc, exec, s[0:1]
	s_cbranch_vccnz .LBB274_313
; %bb.312:
	v_lshl_add_u64 v[24:25], v[38:39], 1, v[22:23]
	global_load_ushort v24, v[24:25], off
	s_waitcnt vmcnt(0)
	v_mul_f16_e32 v24, s33, v24
	v_cvt_f32_f16_e32 v24, v24
	s_branch .LBB274_314
.LBB274_313:
	v_mov_b32_e32 v24, 0
.LBB274_314:
	s_waitcnt lgkmcnt(0)
	v_pk_add_f16 v25, v14, v4
	v_max_f16_e32 v26, v64, v64
	v_pk_add_f16 v28, v15, v5
	v_min_f16_e32 v26, v26, v25
	v_lshrrev_b32_e32 v27, 16, v64
	v_lshrrev_b32_e32 v25, 16, v25
	;; [unrolled: 1-line block ×3, first 2 shown]
	v_min3_f16 v25, v27, v25, v29
	v_min3_f16 v25, v26, v28, v25
	v_cvt_f32_f16_e32 v25, v25
	v_max_f32_e32 v24, v24, v24
	v_min_f32_e32 v24, v24, v25
	v_cvt_f16_f32_e32 v26, v24
	v_lshl_add_u64 v[24:25], v[38:39], 1, v[20:21]
	global_store_short v[24:25], v26, off
	s_or_b64 exec, exec, s[26:27]
	s_and_b64 s[30:31], s[10:11], s[18:19]
	s_and_saveexec_b64 s[26:27], s[30:31]
	s_cbranch_execz .LBB274_296
.LBB274_315:
	s_and_b64 vcc, exec, s[0:1]
	s_cbranch_vccnz .LBB274_317
; %bb.316:
	v_lshl_add_u64 v[24:25], v[40:41], 1, v[22:23]
	global_load_ushort v24, v[24:25], off
	s_waitcnt vmcnt(0)
	v_mul_f16_e32 v24, s33, v24
	v_cvt_f32_f16_e32 v24, v24
	s_branch .LBB274_318
.LBB274_317:
	v_mov_b32_e32 v24, 0
.LBB274_318:
	s_waitcnt lgkmcnt(0)
	v_pk_add_f16 v25, v8, v4
	v_max_f16_e32 v26, v63, v63
	v_pk_add_f16 v28, v9, v5
	v_min_f16_e32 v26, v26, v25
	v_lshrrev_b32_e32 v27, 16, v63
	v_lshrrev_b32_e32 v25, 16, v25
	v_lshrrev_b32_e32 v29, 16, v28
	v_min3_f16 v25, v27, v25, v29
	v_min3_f16 v25, v26, v28, v25
	v_cvt_f32_f16_e32 v25, v25
	v_max_f32_e32 v24, v24, v24
	v_min_f32_e32 v24, v24, v25
	v_cvt_f16_f32_e32 v26, v24
	v_lshl_add_u64 v[24:25], v[40:41], 1, v[20:21]
	global_store_short v[24:25], v26, off
	s_or_b64 exec, exec, s[26:27]
	s_and_b64 s[30:31], s[12:13], s[18:19]
	s_and_saveexec_b64 s[26:27], s[30:31]
	s_cbranch_execz .LBB274_297
.LBB274_319:
	s_and_b64 vcc, exec, s[0:1]
	s_cbranch_vccnz .LBB274_321
; %bb.320:
	v_lshl_add_u64 v[24:25], v[42:43], 1, v[22:23]
	global_load_ushort v24, v[24:25], off
	s_waitcnt vmcnt(0)
	v_mul_f16_e32 v24, s33, v24
	v_cvt_f32_f16_e32 v24, v24
	s_branch .LBB274_322
.LBB274_321:
	v_mov_b32_e32 v24, 0
.LBB274_322:
	s_waitcnt lgkmcnt(0)
	v_pk_add_f16 v25, v10, v4
	v_max_f16_e32 v26, v62, v62
	v_pk_add_f16 v28, v11, v5
	v_min_f16_e32 v26, v26, v25
	v_lshrrev_b32_e32 v27, 16, v62
	v_lshrrev_b32_e32 v25, 16, v25
	;; [unrolled: 1-line block ×3, first 2 shown]
	v_min3_f16 v25, v27, v25, v29
	v_min3_f16 v25, v26, v28, v25
	v_cvt_f32_f16_e32 v25, v25
	v_max_f32_e32 v24, v24, v24
	v_min_f32_e32 v24, v24, v25
	v_cvt_f16_f32_e32 v26, v24
	v_lshl_add_u64 v[24:25], v[42:43], 1, v[20:21]
	global_store_short v[24:25], v26, off
	s_or_b64 exec, exec, s[26:27]
	s_and_b64 s[30:31], s[14:15], s[18:19]
	s_and_saveexec_b64 s[26:27], s[30:31]
	s_cbranch_execz .LBB274_298
.LBB274_323:
	s_and_b64 vcc, exec, s[0:1]
	s_cbranch_vccnz .LBB274_325
; %bb.324:
	v_lshl_add_u64 v[24:25], v[44:45], 1, v[22:23]
	global_load_ushort v24, v[24:25], off
	s_waitcnt vmcnt(0)
	v_mul_f16_e32 v24, s33, v24
	v_cvt_f32_f16_e32 v24, v24
	s_branch .LBB274_326
.LBB274_325:
	v_mov_b32_e32 v24, 0
.LBB274_326:
	s_waitcnt lgkmcnt(0)
	v_pk_add_f16 v25, v0, v4
	v_max_f16_e32 v26, v61, v61
	v_pk_add_f16 v28, v1, v5
	v_min_f16_e32 v26, v26, v25
	v_lshrrev_b32_e32 v27, 16, v61
	v_lshrrev_b32_e32 v25, 16, v25
	;; [unrolled: 1-line block ×3, first 2 shown]
	v_min3_f16 v25, v27, v25, v29
	v_min3_f16 v25, v26, v28, v25
	v_cvt_f32_f16_e32 v25, v25
	v_max_f32_e32 v24, v24, v24
	v_min_f32_e32 v24, v24, v25
	v_cvt_f16_f32_e32 v26, v24
	v_lshl_add_u64 v[24:25], v[44:45], 1, v[20:21]
	global_store_short v[24:25], v26, off
	s_or_b64 exec, exec, s[26:27]
	s_and_b64 s[26:27], s[16:17], s[18:19]
	s_and_saveexec_b64 s[18:19], s[26:27]
	s_cbranch_execz .LBB274_331
.LBB274_327:
	s_and_b64 vcc, exec, s[0:1]
	s_cbranch_vccnz .LBB274_329
; %bb.328:
	v_lshl_add_u64 v[22:23], v[46:47], 1, v[22:23]
	global_load_ushort v22, v[22:23], off
	s_waitcnt vmcnt(0)
	v_mul_f16_e32 v22, s33, v22
	v_cvt_f32_f16_e32 v22, v22
	s_branch .LBB274_330
.LBB274_329:
	v_mov_b32_e32 v22, 0
.LBB274_330:
	s_waitcnt lgkmcnt(0)
	v_pk_add_f16 v4, v2, v4
	v_max_f16_e32 v23, v60, v60
	v_pk_add_f16 v5, v3, v5
	v_min_f16_e32 v23, v23, v4
	v_lshrrev_b32_e32 v24, 16, v60
	v_lshrrev_b32_e32 v4, 16, v4
	;; [unrolled: 1-line block ×3, first 2 shown]
	v_min3_f16 v4, v24, v4, v25
	v_min3_f16 v4, v23, v5, v4
	v_cvt_f32_f16_e32 v4, v4
	v_max_f32_e32 v5, v22, v22
	v_min_f32_e32 v4, v5, v4
	v_cvt_f16_f32_e32 v22, v4
	v_lshl_add_u64 v[4:5], v[46:47], 1, v[20:21]
	global_store_short v[4:5], v22, off
.LBB274_331:
	s_or_b64 exec, exec, s[18:19]
	v_add_u32_e32 v22, 0xe0, v92
	v_cmp_gt_i32_e64 s[18:19], s21, v22
	s_waitcnt lgkmcnt(0)
	v_mad_i64_i32 v[4:5], s[20:21], v22, s29, 0
	v_lshl_add_u64 v[20:21], v[4:5], 1, s[24:25]
	v_mad_i64_i32 v[4:5], s[20:21], v22, s28, 0
	v_lshl_add_u64 v[4:5], v[4:5], 1, s[22:23]
	s_and_b64 s[20:21], s[2:3], s[18:19]
	s_and_saveexec_b64 s[2:3], s[20:21]
	s_cbranch_execnz .LBB274_340
; %bb.332:
	s_or_b64 exec, exec, s[2:3]
	s_and_b64 s[4:5], s[4:5], s[18:19]
	s_and_saveexec_b64 s[2:3], s[4:5]
	s_cbranch_execnz .LBB274_344
.LBB274_333:
	s_or_b64 exec, exec, s[2:3]
	s_and_b64 s[4:5], s[6:7], s[18:19]
	s_and_saveexec_b64 s[2:3], s[4:5]
	s_cbranch_execnz .LBB274_348
.LBB274_334:
	s_or_b64 exec, exec, s[2:3]
	s_and_b64 s[4:5], s[8:9], s[18:19]
	s_and_saveexec_b64 s[2:3], s[4:5]
	s_cbranch_execnz .LBB274_352
.LBB274_335:
	s_or_b64 exec, exec, s[2:3]
	s_and_b64 s[4:5], s[10:11], s[18:19]
	s_and_saveexec_b64 s[2:3], s[4:5]
	s_cbranch_execnz .LBB274_356
.LBB274_336:
	s_or_b64 exec, exec, s[2:3]
	s_and_b64 s[4:5], s[12:13], s[18:19]
	s_and_saveexec_b64 s[2:3], s[4:5]
	s_cbranch_execnz .LBB274_360
.LBB274_337:
	s_or_b64 exec, exec, s[2:3]
	s_and_b64 s[4:5], s[14:15], s[18:19]
	s_and_saveexec_b64 s[2:3], s[4:5]
	s_cbranch_execnz .LBB274_364
.LBB274_338:
	s_or_b64 exec, exec, s[2:3]
	s_and_b64 s[2:3], s[16:17], s[18:19]
	s_and_saveexec_b64 s[4:5], s[2:3]
	s_cbranch_execnz .LBB274_368
.LBB274_339:
	s_endpgm
.LBB274_340:
	s_and_b64 vcc, exec, s[0:1]
	s_cbranch_vccnz .LBB274_342
; %bb.341:
	v_lshl_add_u64 v[22:23], v[32:33], 1, v[20:21]
	global_load_ushort v22, v[22:23], off
	s_waitcnt vmcnt(0)
	v_mul_f16_e32 v22, s33, v22
	v_cvt_f32_f16_e32 v22, v22
	s_branch .LBB274_343
.LBB274_342:
	v_mov_b32_e32 v22, 0
.LBB274_343:
	v_pk_add_f16 v16, v16, v6
	v_max_f16_e32 v23, v59, v59
	v_pk_add_f16 v17, v17, v7
	v_min_f16_e32 v23, v23, v16
	v_lshrrev_b32_e32 v24, 16, v59
	v_lshrrev_b32_e32 v16, 16, v16
	;; [unrolled: 1-line block ×3, first 2 shown]
	v_min3_f16 v16, v24, v16, v25
	v_min3_f16 v16, v23, v17, v16
	v_cvt_f32_f16_e32 v16, v16
	v_max_f32_e32 v17, v22, v22
	v_min_f32_e32 v16, v17, v16
	v_cvt_f16_f32_e32 v22, v16
	v_lshl_add_u64 v[16:17], v[32:33], 1, v[4:5]
	global_store_short v[16:17], v22, off
	s_or_b64 exec, exec, s[2:3]
	s_and_b64 s[4:5], s[4:5], s[18:19]
	s_and_saveexec_b64 s[2:3], s[4:5]
	s_cbranch_execz .LBB274_333
.LBB274_344:
	s_and_b64 vcc, exec, s[0:1]
	s_cbranch_vccnz .LBB274_346
; %bb.345:
	v_lshl_add_u64 v[16:17], v[34:35], 1, v[20:21]
	global_load_ushort v16, v[16:17], off
	s_waitcnt vmcnt(0)
	v_mul_f16_e32 v16, s33, v16
	v_cvt_f32_f16_e32 v16, v16
	s_branch .LBB274_347
.LBB274_346:
	v_mov_b32_e32 v16, 0
.LBB274_347:
	v_pk_add_f16 v17, v18, v6
	v_max_f16_e32 v18, v58, v58
	v_pk_add_f16 v19, v19, v7
	v_min_f16_e32 v18, v18, v17
	v_lshrrev_b32_e32 v22, 16, v58
	v_lshrrev_b32_e32 v17, 16, v17
	;; [unrolled: 1-line block ×3, first 2 shown]
	v_min3_f16 v17, v22, v17, v23
	v_min3_f16 v17, v18, v19, v17
	v_cvt_f32_f16_e32 v17, v17
	v_max_f32_e32 v16, v16, v16
	v_min_f32_e32 v16, v16, v17
	v_cvt_f16_f32_e32 v18, v16
	v_lshl_add_u64 v[16:17], v[34:35], 1, v[4:5]
	global_store_short v[16:17], v18, off
	s_or_b64 exec, exec, s[2:3]
	s_and_b64 s[4:5], s[6:7], s[18:19]
	s_and_saveexec_b64 s[2:3], s[4:5]
	s_cbranch_execz .LBB274_334
.LBB274_348:
	s_and_b64 vcc, exec, s[0:1]
	s_cbranch_vccnz .LBB274_350
; %bb.349:
	v_lshl_add_u64 v[16:17], v[36:37], 1, v[20:21]
	global_load_ushort v16, v[16:17], off
	s_waitcnt vmcnt(0)
	v_mul_f16_e32 v16, s33, v16
	v_cvt_f32_f16_e32 v16, v16
	s_branch .LBB274_351
.LBB274_350:
	v_mov_b32_e32 v16, 0
.LBB274_351:
	v_pk_add_f16 v12, v12, v6
	v_max_f16_e32 v17, v57, v57
	v_pk_add_f16 v13, v13, v7
	v_min_f16_e32 v17, v17, v12
	v_lshrrev_b32_e32 v18, 16, v57
	v_lshrrev_b32_e32 v12, 16, v12
	;; [unrolled: 1-line block ×3, first 2 shown]
	v_min3_f16 v12, v18, v12, v19
	v_min3_f16 v12, v17, v13, v12
	v_cvt_f32_f16_e32 v12, v12
	v_max_f32_e32 v13, v16, v16
	v_min_f32_e32 v12, v13, v12
	v_cvt_f16_f32_e32 v16, v12
	v_lshl_add_u64 v[12:13], v[36:37], 1, v[4:5]
	global_store_short v[12:13], v16, off
	s_or_b64 exec, exec, s[2:3]
	s_and_b64 s[4:5], s[8:9], s[18:19]
	s_and_saveexec_b64 s[2:3], s[4:5]
	s_cbranch_execz .LBB274_335
.LBB274_352:
	s_and_b64 vcc, exec, s[0:1]
	s_cbranch_vccnz .LBB274_354
; %bb.353:
	v_lshl_add_u64 v[12:13], v[38:39], 1, v[20:21]
	global_load_ushort v12, v[12:13], off
	s_waitcnt vmcnt(0)
	v_mul_f16_e32 v12, s33, v12
	v_cvt_f32_f16_e32 v12, v12
	s_branch .LBB274_355
.LBB274_354:
	v_mov_b32_e32 v12, 0
.LBB274_355:
	v_pk_add_f16 v13, v14, v6
	v_max_f16_e32 v14, v56, v56
	v_pk_add_f16 v15, v15, v7
	v_min_f16_e32 v14, v14, v13
	v_lshrrev_b32_e32 v16, 16, v56
	v_lshrrev_b32_e32 v13, 16, v13
	v_lshrrev_b32_e32 v17, 16, v15
	v_min3_f16 v13, v16, v13, v17
	v_min3_f16 v13, v14, v15, v13
	v_cvt_f32_f16_e32 v13, v13
	v_max_f32_e32 v12, v12, v12
	v_min_f32_e32 v12, v12, v13
	v_cvt_f16_f32_e32 v14, v12
	v_lshl_add_u64 v[12:13], v[38:39], 1, v[4:5]
	global_store_short v[12:13], v14, off
	s_or_b64 exec, exec, s[2:3]
	s_and_b64 s[4:5], s[10:11], s[18:19]
	s_and_saveexec_b64 s[2:3], s[4:5]
	s_cbranch_execz .LBB274_336
.LBB274_356:
	s_and_b64 vcc, exec, s[0:1]
	s_cbranch_vccnz .LBB274_358
; %bb.357:
	v_lshl_add_u64 v[12:13], v[40:41], 1, v[20:21]
	global_load_ushort v12, v[12:13], off
	s_waitcnt vmcnt(0)
	v_mul_f16_e32 v12, s33, v12
	v_cvt_f32_f16_e32 v12, v12
	s_branch .LBB274_359
.LBB274_358:
	v_mov_b32_e32 v12, 0
.LBB274_359:
	v_pk_add_f16 v8, v8, v6
	v_max_f16_e32 v13, v54, v54
	v_pk_add_f16 v9, v9, v7
	v_min_f16_e32 v13, v13, v8
	v_lshrrev_b32_e32 v14, 16, v54
	v_lshrrev_b32_e32 v8, 16, v8
	;; [unrolled: 1-line block ×3, first 2 shown]
	v_min3_f16 v8, v14, v8, v15
	v_min3_f16 v8, v13, v9, v8
	v_cvt_f32_f16_e32 v8, v8
	v_max_f32_e32 v9, v12, v12
	v_min_f32_e32 v8, v9, v8
	v_cvt_f16_f32_e32 v12, v8
	v_lshl_add_u64 v[8:9], v[40:41], 1, v[4:5]
	global_store_short v[8:9], v12, off
	s_or_b64 exec, exec, s[2:3]
	s_and_b64 s[4:5], s[12:13], s[18:19]
	s_and_saveexec_b64 s[2:3], s[4:5]
	s_cbranch_execz .LBB274_337
.LBB274_360:
	s_and_b64 vcc, exec, s[0:1]
	s_cbranch_vccnz .LBB274_362
; %bb.361:
	v_lshl_add_u64 v[8:9], v[42:43], 1, v[20:21]
	global_load_ushort v8, v[8:9], off
	s_waitcnt vmcnt(0)
	v_mul_f16_e32 v8, s33, v8
	v_cvt_f32_f16_e32 v8, v8
	s_branch .LBB274_363
.LBB274_362:
	v_mov_b32_e32 v8, 0
.LBB274_363:
	v_pk_add_f16 v9, v10, v6
	v_max_f16_e32 v10, v53, v53
	v_pk_add_f16 v11, v11, v7
	v_min_f16_e32 v10, v10, v9
	v_lshrrev_b32_e32 v12, 16, v53
	v_lshrrev_b32_e32 v9, 16, v9
	;; [unrolled: 1-line block ×3, first 2 shown]
	v_min3_f16 v9, v12, v9, v13
	v_min3_f16 v9, v10, v11, v9
	v_cvt_f32_f16_e32 v9, v9
	v_max_f32_e32 v8, v8, v8
	v_min_f32_e32 v8, v8, v9
	v_cvt_f16_f32_e32 v10, v8
	v_lshl_add_u64 v[8:9], v[42:43], 1, v[4:5]
	global_store_short v[8:9], v10, off
	s_or_b64 exec, exec, s[2:3]
	s_and_b64 s[4:5], s[14:15], s[18:19]
	s_and_saveexec_b64 s[2:3], s[4:5]
	s_cbranch_execz .LBB274_338
.LBB274_364:
	s_and_b64 vcc, exec, s[0:1]
	s_cbranch_vccnz .LBB274_366
; %bb.365:
	v_lshl_add_u64 v[8:9], v[44:45], 1, v[20:21]
	global_load_ushort v8, v[8:9], off
	s_waitcnt vmcnt(0)
	v_mul_f16_e32 v8, s33, v8
	v_cvt_f32_f16_e32 v8, v8
	s_branch .LBB274_367
.LBB274_366:
	v_mov_b32_e32 v8, 0
.LBB274_367:
	v_pk_add_f16 v0, v0, v6
	v_max_f16_e32 v9, v52, v52
	v_pk_add_f16 v1, v1, v7
	v_min_f16_e32 v9, v9, v0
	v_lshrrev_b32_e32 v10, 16, v52
	v_lshrrev_b32_e32 v0, 16, v0
	;; [unrolled: 1-line block ×3, first 2 shown]
	v_min3_f16 v0, v10, v0, v11
	v_min3_f16 v0, v9, v1, v0
	v_cvt_f32_f16_e32 v0, v0
	v_max_f32_e32 v1, v8, v8
	v_min_f32_e32 v0, v1, v0
	v_cvt_f16_f32_e32 v8, v0
	v_lshl_add_u64 v[0:1], v[44:45], 1, v[4:5]
	global_store_short v[0:1], v8, off
	s_or_b64 exec, exec, s[2:3]
	s_and_b64 s[2:3], s[16:17], s[18:19]
	s_and_saveexec_b64 s[4:5], s[2:3]
	s_cbranch_execz .LBB274_339
.LBB274_368:
	s_and_b64 vcc, exec, s[0:1]
	s_cbranch_vccnz .LBB274_370
; %bb.369:
	v_lshl_add_u64 v[0:1], v[46:47], 1, v[20:21]
	global_load_ushort v0, v[0:1], off
	s_waitcnt vmcnt(0)
	v_mul_f16_e32 v0, s33, v0
	v_cvt_f32_f16_e32 v0, v0
	s_branch .LBB274_371
.LBB274_370:
	v_mov_b32_e32 v0, 0
.LBB274_371:
	v_pk_add_f16 v1, v2, v6
	v_max_f16_e32 v2, v55, v55
	v_pk_add_f16 v3, v3, v7
	v_min_f16_e32 v2, v2, v1
	v_lshrrev_b32_e32 v6, 16, v55
	v_lshrrev_b32_e32 v1, 16, v1
	;; [unrolled: 1-line block ×3, first 2 shown]
	v_min3_f16 v1, v6, v1, v7
	v_min3_f16 v1, v2, v3, v1
	v_cvt_f32_f16_e32 v1, v1
	v_max_f32_e32 v0, v0, v0
	v_min_f32_e32 v0, v0, v1
	v_cvt_f16_f32_e32 v2, v0
	v_lshl_add_u64 v[0:1], v[46:47], 1, v[4:5]
	global_store_short v[0:1], v2, off
	s_endpgm
	.section	.rodata,"a",@progbits
	.p2align	6, 0x0
	.amdhsa_kernel _ZN12_GLOBAL__N_120geam_min_plus_kernelIDF16_Dv2_DF16_S1_Li8ELi32ELi64ELi256ELi4ELi64ELi4ELi64ELi4ELc78ELc84ELb1ELb1ELb1EDF16_KDF16_DF16_EEviiiT16_PT17_ilS5_ilS3_S5_ilPT18_ili26rocblas_geam_ex_operation_
		.amdhsa_group_segment_fixed_size 5120
		.amdhsa_private_segment_fixed_size 0
		.amdhsa_kernarg_size 128
		.amdhsa_user_sgpr_count 2
		.amdhsa_user_sgpr_dispatch_ptr 0
		.amdhsa_user_sgpr_queue_ptr 0
		.amdhsa_user_sgpr_kernarg_segment_ptr 1
		.amdhsa_user_sgpr_dispatch_id 0
		.amdhsa_user_sgpr_kernarg_preload_length 0
		.amdhsa_user_sgpr_kernarg_preload_offset 0
		.amdhsa_user_sgpr_private_segment_size 0
		.amdhsa_uses_dynamic_stack 0
		.amdhsa_enable_private_segment 0
		.amdhsa_system_sgpr_workgroup_id_x 1
		.amdhsa_system_sgpr_workgroup_id_y 0
		.amdhsa_system_sgpr_workgroup_id_z 1
		.amdhsa_system_sgpr_workgroup_info 0
		.amdhsa_system_vgpr_workitem_id 1
		.amdhsa_next_free_vgpr 147
		.amdhsa_next_free_sgpr 40
		.amdhsa_accum_offset 148
		.amdhsa_reserve_vcc 1
		.amdhsa_float_round_mode_32 0
		.amdhsa_float_round_mode_16_64 0
		.amdhsa_float_denorm_mode_32 3
		.amdhsa_float_denorm_mode_16_64 3
		.amdhsa_dx10_clamp 1
		.amdhsa_ieee_mode 1
		.amdhsa_fp16_overflow 0
		.amdhsa_tg_split 0
		.amdhsa_exception_fp_ieee_invalid_op 0
		.amdhsa_exception_fp_denorm_src 0
		.amdhsa_exception_fp_ieee_div_zero 0
		.amdhsa_exception_fp_ieee_overflow 0
		.amdhsa_exception_fp_ieee_underflow 0
		.amdhsa_exception_fp_ieee_inexact 0
		.amdhsa_exception_int_div_zero 0
	.end_amdhsa_kernel
	.section	.text._ZN12_GLOBAL__N_120geam_min_plus_kernelIDF16_Dv2_DF16_S1_Li8ELi32ELi64ELi256ELi4ELi64ELi4ELi64ELi4ELc78ELc84ELb1ELb1ELb1EDF16_KDF16_DF16_EEviiiT16_PT17_ilS5_ilS3_S5_ilPT18_ili26rocblas_geam_ex_operation_,"axG",@progbits,_ZN12_GLOBAL__N_120geam_min_plus_kernelIDF16_Dv2_DF16_S1_Li8ELi32ELi64ELi256ELi4ELi64ELi4ELi64ELi4ELc78ELc84ELb1ELb1ELb1EDF16_KDF16_DF16_EEviiiT16_PT17_ilS5_ilS3_S5_ilPT18_ili26rocblas_geam_ex_operation_,comdat
.Lfunc_end274:
	.size	_ZN12_GLOBAL__N_120geam_min_plus_kernelIDF16_Dv2_DF16_S1_Li8ELi32ELi64ELi256ELi4ELi64ELi4ELi64ELi4ELc78ELc84ELb1ELb1ELb1EDF16_KDF16_DF16_EEviiiT16_PT17_ilS5_ilS3_S5_ilPT18_ili26rocblas_geam_ex_operation_, .Lfunc_end274-_ZN12_GLOBAL__N_120geam_min_plus_kernelIDF16_Dv2_DF16_S1_Li8ELi32ELi64ELi256ELi4ELi64ELi4ELi64ELi4ELc78ELc84ELb1ELb1ELb1EDF16_KDF16_DF16_EEviiiT16_PT17_ilS5_ilS3_S5_ilPT18_ili26rocblas_geam_ex_operation_
                                        ; -- End function
	.set _ZN12_GLOBAL__N_120geam_min_plus_kernelIDF16_Dv2_DF16_S1_Li8ELi32ELi64ELi256ELi4ELi64ELi4ELi64ELi4ELc78ELc84ELb1ELb1ELb1EDF16_KDF16_DF16_EEviiiT16_PT17_ilS5_ilS3_S5_ilPT18_ili26rocblas_geam_ex_operation_.num_vgpr, 147
	.set _ZN12_GLOBAL__N_120geam_min_plus_kernelIDF16_Dv2_DF16_S1_Li8ELi32ELi64ELi256ELi4ELi64ELi4ELi64ELi4ELc78ELc84ELb1ELb1ELb1EDF16_KDF16_DF16_EEviiiT16_PT17_ilS5_ilS3_S5_ilPT18_ili26rocblas_geam_ex_operation_.num_agpr, 0
	.set _ZN12_GLOBAL__N_120geam_min_plus_kernelIDF16_Dv2_DF16_S1_Li8ELi32ELi64ELi256ELi4ELi64ELi4ELi64ELi4ELc78ELc84ELb1ELb1ELb1EDF16_KDF16_DF16_EEviiiT16_PT17_ilS5_ilS3_S5_ilPT18_ili26rocblas_geam_ex_operation_.numbered_sgpr, 40
	.set _ZN12_GLOBAL__N_120geam_min_plus_kernelIDF16_Dv2_DF16_S1_Li8ELi32ELi64ELi256ELi4ELi64ELi4ELi64ELi4ELc78ELc84ELb1ELb1ELb1EDF16_KDF16_DF16_EEviiiT16_PT17_ilS5_ilS3_S5_ilPT18_ili26rocblas_geam_ex_operation_.num_named_barrier, 0
	.set _ZN12_GLOBAL__N_120geam_min_plus_kernelIDF16_Dv2_DF16_S1_Li8ELi32ELi64ELi256ELi4ELi64ELi4ELi64ELi4ELc78ELc84ELb1ELb1ELb1EDF16_KDF16_DF16_EEviiiT16_PT17_ilS5_ilS3_S5_ilPT18_ili26rocblas_geam_ex_operation_.private_seg_size, 0
	.set _ZN12_GLOBAL__N_120geam_min_plus_kernelIDF16_Dv2_DF16_S1_Li8ELi32ELi64ELi256ELi4ELi64ELi4ELi64ELi4ELc78ELc84ELb1ELb1ELb1EDF16_KDF16_DF16_EEviiiT16_PT17_ilS5_ilS3_S5_ilPT18_ili26rocblas_geam_ex_operation_.uses_vcc, 1
	.set _ZN12_GLOBAL__N_120geam_min_plus_kernelIDF16_Dv2_DF16_S1_Li8ELi32ELi64ELi256ELi4ELi64ELi4ELi64ELi4ELc78ELc84ELb1ELb1ELb1EDF16_KDF16_DF16_EEviiiT16_PT17_ilS5_ilS3_S5_ilPT18_ili26rocblas_geam_ex_operation_.uses_flat_scratch, 0
	.set _ZN12_GLOBAL__N_120geam_min_plus_kernelIDF16_Dv2_DF16_S1_Li8ELi32ELi64ELi256ELi4ELi64ELi4ELi64ELi4ELc78ELc84ELb1ELb1ELb1EDF16_KDF16_DF16_EEviiiT16_PT17_ilS5_ilS3_S5_ilPT18_ili26rocblas_geam_ex_operation_.has_dyn_sized_stack, 0
	.set _ZN12_GLOBAL__N_120geam_min_plus_kernelIDF16_Dv2_DF16_S1_Li8ELi32ELi64ELi256ELi4ELi64ELi4ELi64ELi4ELc78ELc84ELb1ELb1ELb1EDF16_KDF16_DF16_EEviiiT16_PT17_ilS5_ilS3_S5_ilPT18_ili26rocblas_geam_ex_operation_.has_recursion, 0
	.set _ZN12_GLOBAL__N_120geam_min_plus_kernelIDF16_Dv2_DF16_S1_Li8ELi32ELi64ELi256ELi4ELi64ELi4ELi64ELi4ELc78ELc84ELb1ELb1ELb1EDF16_KDF16_DF16_EEviiiT16_PT17_ilS5_ilS3_S5_ilPT18_ili26rocblas_geam_ex_operation_.has_indirect_call, 0
	.section	.AMDGPU.csdata,"",@progbits
; Kernel info:
; codeLenInByte = 20348
; TotalNumSgprs: 46
; NumVgprs: 147
; NumAgprs: 0
; TotalNumVgprs: 147
; ScratchSize: 0
; MemoryBound: 0
; FloatMode: 240
; IeeeMode: 1
; LDSByteSize: 5120 bytes/workgroup (compile time only)
; SGPRBlocks: 5
; VGPRBlocks: 18
; NumSGPRsForWavesPerEU: 46
; NumVGPRsForWavesPerEU: 147
; AccumOffset: 148
; Occupancy: 3
; WaveLimiterHint : 0
; COMPUTE_PGM_RSRC2:SCRATCH_EN: 0
; COMPUTE_PGM_RSRC2:USER_SGPR: 2
; COMPUTE_PGM_RSRC2:TRAP_HANDLER: 0
; COMPUTE_PGM_RSRC2:TGID_X_EN: 1
; COMPUTE_PGM_RSRC2:TGID_Y_EN: 0
; COMPUTE_PGM_RSRC2:TGID_Z_EN: 1
; COMPUTE_PGM_RSRC2:TIDIG_COMP_CNT: 1
; COMPUTE_PGM_RSRC3_GFX90A:ACCUM_OFFSET: 36
; COMPUTE_PGM_RSRC3_GFX90A:TG_SPLIT: 0
	.section	.text._ZN12_GLOBAL__N_120geam_min_plus_kernelIDF16_Dv2_DF16_S1_Li8ELi32ELi64ELi256ELi4ELi64ELi4ELi64ELi4ELc78ELc84ELb0ELb1ELb1EDF16_KDF16_DF16_EEviiiT16_PT17_ilS5_ilS3_S5_ilPT18_ili26rocblas_geam_ex_operation_,"axG",@progbits,_ZN12_GLOBAL__N_120geam_min_plus_kernelIDF16_Dv2_DF16_S1_Li8ELi32ELi64ELi256ELi4ELi64ELi4ELi64ELi4ELc78ELc84ELb0ELb1ELb1EDF16_KDF16_DF16_EEviiiT16_PT17_ilS5_ilS3_S5_ilPT18_ili26rocblas_geam_ex_operation_,comdat
	.globl	_ZN12_GLOBAL__N_120geam_min_plus_kernelIDF16_Dv2_DF16_S1_Li8ELi32ELi64ELi256ELi4ELi64ELi4ELi64ELi4ELc78ELc84ELb0ELb1ELb1EDF16_KDF16_DF16_EEviiiT16_PT17_ilS5_ilS3_S5_ilPT18_ili26rocblas_geam_ex_operation_ ; -- Begin function _ZN12_GLOBAL__N_120geam_min_plus_kernelIDF16_Dv2_DF16_S1_Li8ELi32ELi64ELi256ELi4ELi64ELi4ELi64ELi4ELc78ELc84ELb0ELb1ELb1EDF16_KDF16_DF16_EEviiiT16_PT17_ilS5_ilS3_S5_ilPT18_ili26rocblas_geam_ex_operation_
	.p2align	8
	.type	_ZN12_GLOBAL__N_120geam_min_plus_kernelIDF16_Dv2_DF16_S1_Li8ELi32ELi64ELi256ELi4ELi64ELi4ELi64ELi4ELc78ELc84ELb0ELb1ELb1EDF16_KDF16_DF16_EEviiiT16_PT17_ilS5_ilS3_S5_ilPT18_ili26rocblas_geam_ex_operation_,@function
_ZN12_GLOBAL__N_120geam_min_plus_kernelIDF16_Dv2_DF16_S1_Li8ELi32ELi64ELi256ELi4ELi64ELi4ELi64ELi4ELc78ELc84ELb0ELb1ELb1EDF16_KDF16_DF16_EEviiiT16_PT17_ilS5_ilS3_S5_ilPT18_ili26rocblas_geam_ex_operation_: ; @_ZN12_GLOBAL__N_120geam_min_plus_kernelIDF16_Dv2_DF16_S1_Li8ELi32ELi64ELi256ELi4ELi64ELi4ELi64ELi4ELc78ELc84ELb0ELb1ELb1EDF16_KDF16_DF16_EEviiiT16_PT17_ilS5_ilS3_S5_ilPT18_ili26rocblas_geam_ex_operation_
; %bb.0:
	s_load_dwordx4 s[20:23], s[0:1], 0x0
	s_load_dwordx4 s[4:7], s[0:1], 0x20
	s_waitcnt lgkmcnt(0)
	v_cmp_eq_f16_e64 s[8:9], s23, 0
	s_and_b64 vcc, exec, s[8:9]
	s_cbranch_vccnz .LBB275_61
; %bb.1:
	s_load_dwordx2 s[10:11], s[0:1], 0x10
	s_mul_i32 s5, s5, s3
	s_mul_hi_u32 s12, s4, s3
	s_add_i32 s5, s12, s5
	s_mul_i32 s4, s4, s3
	s_lshl_b64 s[4:5], s[4:5], 1
	s_waitcnt lgkmcnt(0)
	s_add_u32 s30, s10, s4
	s_addc_u32 s31, s11, s5
	s_andn2_b64 vcc, exec, s[8:9]
	s_mov_b64 s[4:5], -1
	s_cbranch_vccnz .LBB275_3
.LBB275_2:
	s_mov_b64 s[4:5], 0
.LBB275_3:
	s_mov_b64 s[24:25], 0
	s_andn2_b64 vcc, exec, s[4:5]
	s_mov_b64 s[28:29], 0
	s_cbranch_vccnz .LBB275_5
; %bb.4:
	s_load_dwordx2 s[4:5], s[0:1], 0x38
	s_waitcnt lgkmcnt(0)
	s_mul_i32 s5, s5, s3
	s_mul_hi_u32 s8, s4, s3
	s_add_i32 s5, s8, s5
	s_mul_i32 s4, s4, s3
	s_lshl_b64 s[4:5], s[4:5], 1
	s_add_u32 s28, s6, s4
	s_addc_u32 s29, s7, s5
.LBB275_5:
	s_load_dword s33, s[0:1], 0x40
	s_load_dwordx4 s[16:19], s[0:1], 0x58
	s_waitcnt lgkmcnt(0)
	v_cmp_eq_f16_e64 s[4:5], s33, 0
	v_cmp_neq_f16_e64 s[26:27], s33, 0
	s_and_b64 vcc, exec, s[4:5]
	s_cbranch_vccnz .LBB275_7
; %bb.6:
	s_load_dwordx2 s[4:5], s[0:1], 0x48
	s_mul_i32 s6, s17, s3
	s_mul_hi_u32 s7, s16, s3
	s_add_i32 s7, s7, s6
	s_mul_i32 s6, s16, s3
	s_lshl_b64 s[6:7], s[6:7], 1
	s_waitcnt lgkmcnt(0)
	s_add_u32 s24, s4, s6
	s_addc_u32 s25, s5, s7
.LBB275_7:
	s_add_i32 s4, s20, -1
	s_ashr_i32 s5, s4, 31
	s_lshr_b32 s5, s5, 26
	s_add_i32 s4, s4, s5
	s_ashr_i32 s4, s4, 6
	s_add_i32 s5, s4, 1
	v_cvt_f32_u32_e32 v1, s5
	s_not_b32 s4, s4
	s_load_dword s34, s[0:1], 0x18
	v_and_b32_e32 v48, 0x3ff, v0
	v_rcp_iflag_f32_e32 v1, v1
	v_bfe_u32 v49, v0, 10, 10
	v_lshl_add_u32 v0, v49, 3, v48
	s_waitcnt lgkmcnt(0)
	s_ashr_i32 s35, s34, 31
	v_mul_f32_e32 v1, 0x4f7ffffe, v1
	v_cvt_u32_f32_e32 v1, v1
	v_and_b32_e32 v2, 63, v0
	v_lshrrev_b32_e32 v50, 6, v0
	v_cmp_le_i32_e64 s[10:11], s22, v50
	v_readfirstlane_b32 s6, v1
	s_mul_i32 s4, s4, s6
	s_mul_hi_u32 s4, s6, s4
	s_add_i32 s6, s6, s4
	s_mul_hi_u32 s4, s2, s6
	s_mul_i32 s6, s4, s5
	s_sub_i32 s6, s2, s6
	s_add_i32 s7, s4, 1
	s_sub_i32 s8, s6, s5
	s_cmp_ge_u32 s6, s5
	s_cselect_b32 s4, s7, s4
	s_cselect_b32 s6, s8, s6
	s_add_i32 s7, s4, 1
	s_cmp_ge_u32 s6, s5
	s_cselect_b32 s8, s7, s4
	s_mul_i32 s4, s8, s5
	s_sub_i32 s2, s2, s4
	s_lshl_b32 s2, s2, 6
	v_or_b32_e32 v28, s2, v2
	v_cmp_le_i32_e32 vcc, s20, v28
	s_or_b64 s[4:5], vcc, s[10:11]
	v_cmp_eq_f16_e64 s[16:17], s23, 0
	s_nor_b64 s[6:7], s[16:17], s[4:5]
	v_ashrrev_i32_e32 v29, 31, v28
                                        ; implicit-def: $vgpr3
                                        ; implicit-def: $sgpr9
	s_and_saveexec_b64 s[12:13], s[6:7]
	s_xor_b64 s[6:7], exec, s[12:13]
	s_cbranch_execz .LBB275_9
; %bb.8:
	s_add_i32 s9, s22, -1
	v_min_u32_e32 v0, s9, v50
	v_mad_i64_i32 v[0:1], s[12:13], s34, v0, 0
	v_lshl_add_u64 v[0:1], v[0:1], 1, s[30:31]
	v_lshl_add_u64 v[0:1], v[28:29], 1, v[0:1]
	global_load_ushort v0, v[0:1], off
	s_waitcnt vmcnt(0)
	v_mul_f16_e32 v3, s23, v0
.LBB275_9:
	s_or_saveexec_b64 s[6:7], s[6:7]
	v_mov_b32_e32 v0, s9
	s_xor_b64 exec, exec, s[6:7]
; %bb.10:
	v_mov_b32_e32 v0, 0x7c00
	v_cndmask_b32_e64 v3, 0, v0, s[4:5]
	s_add_i32 s4, s22, -1
	v_mov_b32_e32 v0, s4
; %bb.11:
	s_or_b64 exec, exec, s[6:7]
	s_load_dword s39, s[0:1], 0x30
	s_lshl_b32 s38, s8, 8
	v_min_i32_e32 v0, v50, v0
	v_or_b32_e32 v32, s38, v2
	v_cmp_le_i32_e64 s[14:15], s21, v32
	s_waitcnt lgkmcnt(0)
	v_mad_i64_i32 v[0:1], s[4:5], v0, s39, 0
	v_mov_b32_e32 v5, 0x7c00
	s_or_b64 s[4:5], s[14:15], s[10:11]
	v_lshl_add_u64 v[0:1], v[0:1], 1, s[28:29]
	v_cndmask_b32_e64 v4, 0, v5, s[4:5]
	s_nor_b64 s[6:7], s[16:17], s[4:5]
	v_ashrrev_i32_e32 v33, 31, v32
	s_and_saveexec_b64 s[4:5], s[6:7]
	s_cbranch_execz .LBB275_13
; %bb.12:
	v_lshl_add_u64 v[6:7], v[32:33], 1, v[0:1]
	global_load_ushort v4, v[6:7], off
	s_waitcnt vmcnt(0)
	v_mul_f16_e32 v4, s23, v4
.LBB275_13:
	s_or_b64 exec, exec, s[4:5]
	v_or_b32_e32 v6, 64, v32
	s_add_i32 s12, s21, -1
	v_cmp_le_i32_e64 s[4:5], s21, v6
	v_min_i32_e32 v34, s12, v6
	s_or_b64 s[6:7], s[4:5], s[10:11]
	v_cndmask_b32_e64 v5, 0, v5, s[6:7]
	s_nor_b64 s[8:9], s[6:7], s[16:17]
	v_ashrrev_i32_e32 v35, 31, v34
	s_and_saveexec_b64 s[6:7], s[8:9]
	s_cbranch_execz .LBB275_15
; %bb.14:
	v_lshl_add_u64 v[6:7], v[34:35], 1, v[0:1]
	global_load_ushort v5, v[6:7], off
	s_waitcnt vmcnt(0)
	v_mul_f16_e32 v5, s23, v5
.LBB275_15:
	s_or_b64 exec, exec, s[6:7]
	v_or_b32_e32 v6, 0x80, v32
	v_cmp_le_i32_e64 s[6:7], s21, v6
	v_min_i32_e32 v36, s12, v6
	v_mov_b32_e32 v7, 0x7c00
	s_or_b64 s[8:9], s[6:7], s[10:11]
	v_cndmask_b32_e64 v6, 0, v7, s[8:9]
	s_nor_b64 s[36:37], s[8:9], s[16:17]
	v_ashrrev_i32_e32 v37, 31, v36
	s_and_saveexec_b64 s[8:9], s[36:37]
	s_cbranch_execz .LBB275_17
; %bb.16:
	v_lshl_add_u64 v[8:9], v[36:37], 1, v[0:1]
	global_load_ushort v6, v[8:9], off
	s_waitcnt vmcnt(0)
	v_mul_f16_e32 v6, s23, v6
.LBB275_17:
	s_or_b64 exec, exec, s[8:9]
	v_or_b32_e32 v8, 0xc0, v32
	v_cmp_le_i32_e64 s[8:9], s21, v8
	v_min_i32_e32 v38, s12, v8
	s_or_b64 s[10:11], s[8:9], s[10:11]
	v_cndmask_b32_e64 v7, 0, v7, s[10:11]
	s_nor_b64 s[12:13], s[10:11], s[16:17]
	v_ashrrev_i32_e32 v39, 31, v38
	s_and_saveexec_b64 s[10:11], s[12:13]
	s_cbranch_execz .LBB275_19
; %bb.18:
	v_lshl_add_u64 v[0:1], v[38:39], 1, v[0:1]
	global_load_ushort v0, v[0:1], off
	s_waitcnt vmcnt(0)
	v_mul_f16_e32 v7, s23, v0
.LBB275_19:
	s_or_b64 exec, exec, s[10:11]
	v_add_u32_e32 v0, 4, v50
	v_cmp_le_i32_e64 s[10:11], s22, v0
	s_or_b64 s[12:13], vcc, s[10:11]
	s_nor_b64 s[36:37], s[16:17], s[12:13]
                                        ; implicit-def: $vgpr30
                                        ; implicit-def: $sgpr40
	s_and_saveexec_b64 s[42:43], s[36:37]
	s_xor_b64 s[36:37], exec, s[42:43]
	s_cbranch_execz .LBB275_21
; %bb.20:
	s_add_i32 s40, s22, -1
	v_min_u32_e32 v1, s40, v0
	v_mad_u64_u32 v[8:9], s[42:43], s34, v1, 0
	v_mov_b32_e32 v10, v9
	v_mad_u64_u32 v[10:11], s[42:43], s35, v1, v[10:11]
	v_mov_b32_e32 v9, v10
	v_lshl_add_u64 v[8:9], v[8:9], 1, s[30:31]
	v_lshl_add_u64 v[8:9], v[28:29], 1, v[8:9]
	global_load_ushort v1, v[8:9], off
	s_waitcnt vmcnt(0)
	v_mul_f16_e32 v30, s23, v1
.LBB275_21:
	s_or_saveexec_b64 s[36:37], s[36:37]
	v_mov_b32_e32 v1, s40
	s_xor_b64 exec, exec, s[36:37]
; %bb.22:
	v_mov_b32_e32 v1, 0x7c00
	v_cndmask_b32_e64 v30, 0, v1, s[12:13]
	s_add_i32 s12, s22, -1
	v_mov_b32_e32 v1, s12
; %bb.23:
	s_or_b64 exec, exec, s[36:37]
	v_min_i32_e32 v0, v0, v1
	v_mad_i64_i32 v[0:1], s[12:13], v0, s39, 0
	v_mov_b32_e32 v8, 0x7c00
	s_or_b64 s[12:13], s[14:15], s[10:11]
	v_lshl_add_u64 v[0:1], v[0:1], 1, s[28:29]
	v_cndmask_b32_e64 v31, 0, v8, s[12:13]
	s_nor_b64 s[36:37], s[16:17], s[12:13]
	s_and_saveexec_b64 s[12:13], s[36:37]
	s_cbranch_execz .LBB275_25
; %bb.24:
	v_lshl_add_u64 v[10:11], v[32:33], 1, v[0:1]
	global_load_ushort v9, v[10:11], off
	s_waitcnt vmcnt(0)
	v_mul_f16_e32 v31, s23, v9
.LBB275_25:
	s_or_b64 exec, exec, s[12:13]
	s_or_b64 s[12:13], s[4:5], s[10:11]
	v_cndmask_b32_e64 v40, 0, v8, s[12:13]
	s_nor_b64 s[36:37], s[12:13], s[16:17]
	s_and_saveexec_b64 s[12:13], s[36:37]
	s_cbranch_execz .LBB275_27
; %bb.26:
	v_lshl_add_u64 v[8:9], v[34:35], 1, v[0:1]
	global_load_ushort v8, v[8:9], off
	s_waitcnt vmcnt(0)
	v_mul_f16_e32 v40, s23, v8
.LBB275_27:
	s_or_b64 exec, exec, s[12:13]
	v_mov_b32_e32 v8, 0x7c00
	s_or_b64 s[12:13], s[6:7], s[10:11]
	v_cndmask_b32_e64 v41, 0, v8, s[12:13]
	s_nor_b64 s[36:37], s[12:13], s[16:17]
	s_and_saveexec_b64 s[12:13], s[36:37]
	s_cbranch_execz .LBB275_29
; %bb.28:
	v_lshl_add_u64 v[10:11], v[36:37], 1, v[0:1]
	global_load_ushort v9, v[10:11], off
	s_waitcnt vmcnt(0)
	v_mul_f16_e32 v41, s23, v9
.LBB275_29:
	s_or_b64 exec, exec, s[12:13]
	s_or_b64 s[10:11], s[8:9], s[10:11]
	v_cndmask_b32_e64 v42, 0, v8, s[10:11]
	s_nor_b64 s[36:37], s[10:11], s[16:17]
	s_movk_i32 s12, 0x7c00
	s_and_saveexec_b64 s[10:11], s[36:37]
	s_cbranch_execz .LBB275_31
; %bb.30:
	v_lshl_add_u64 v[0:1], v[38:39], 1, v[0:1]
	global_load_ushort v0, v[0:1], off
	s_waitcnt vmcnt(0)
	v_mul_f16_e32 v42, s23, v0
.LBB275_31:
	s_or_b64 exec, exec, s[10:11]
	v_lshlrev_b32_e32 v0, 3, v2
	v_lshlrev_b32_e32 v92, 3, v48
	v_lshl_add_u32 v109, v50, 1, v0
	v_add_u32_e32 v110, 0x1000, v92
	ds_write_b16 v109, v3 offset:4096
	ds_write_b16 v109, v4
	ds_write_b16 v109, v5 offset:512
	ds_write_b16 v109, v6 offset:1024
	;; [unrolled: 1-line block ×3, first 2 shown]
	s_waitcnt lgkmcnt(0)
	s_barrier
	v_lshlrev_b32_e32 v51, 3, v49
	ds_read2_b64 v[16:19], v110 offset1:8
	ds_read2_b64 v[12:15], v110 offset0:16 offset1:24
	ds_read2_b64 v[4:7], v110 offset0:32 offset1:40
	ds_read2_b64 v[44:47], v51 offset1:32
	ds_read2_b64 v[0:3], v110 offset0:48 offset1:56
	ds_read2_b64 v[24:27], v51 offset0:64 offset1:96
	;; [unrolled: 1-line block ×4, first 2 shown]
	s_waitcnt lgkmcnt(4)
	v_pk_add_f16 v43, v16, v44
	v_pk_add_f16 v52, v18, v44
	;; [unrolled: 1-line block ×6, first 2 shown]
	s_waitcnt lgkmcnt(3)
	v_pk_add_f16 v57, v0, v44
	v_pk_add_f16 v44, v2, v44
	v_pk_add_f16 v58, v16, v46
	v_pk_add_f16 v59, v18, v46
	v_pk_add_f16 v60, v12, v46
	v_pk_add_f16 v61, v14, v46
	v_pk_add_f16 v62, v4, v46
	v_pk_add_f16 v63, v6, v46
	v_pk_add_f16 v64, v0, v46
	v_pk_add_f16 v46, v2, v46
	s_waitcnt lgkmcnt(2)
	v_pk_add_f16 v65, v16, v24
	v_pk_add_f16 v66, v18, v24
	v_pk_add_f16 v67, v12, v24
	v_pk_add_f16 v68, v14, v24
	v_pk_add_f16 v69, v4, v24
	v_pk_add_f16 v70, v6, v24
	v_pk_add_f16 v71, v0, v24
	v_pk_add_f16 v24, v2, v24
	v_pk_add_f16 v72, v16, v26
	v_pk_add_f16 v73, v18, v26
	v_pk_add_f16 v74, v12, v26
	v_pk_add_f16 v75, v14, v26
	v_pk_add_f16 v76, v4, v26
	v_pk_add_f16 v77, v6, v26
	v_pk_add_f16 v78, v0, v26
	v_pk_add_f16 v26, v2, v26
	s_waitcnt lgkmcnt(1)
	v_pk_add_f16 v79, v16, v20
	v_pk_add_f16 v80, v18, v20
	v_pk_add_f16 v81, v12, v20
	v_pk_add_f16 v119, v14, v20
	v_pk_add_f16 v120, v4, v20
	v_pk_add_f16 v121, v6, v20
	;; [unrolled: 17-line block ×3, first 2 shown]
	v_pk_add_f16 v136, v0, v8
	v_pk_add_f16 v8, v2, v8
	;; [unrolled: 1-line block ×11, first 2 shown]
	v_pk_min_f16 v10, v43, s12 op_sel_hi:[1,0]
	v_pk_min_f16 v8, v8, s12 op_sel_hi:[1,0]
	v_pk_min_f16 v118, v10, v2
	v_pk_add_f16 v2, v19, v45
	v_pk_min_f16 v10, v52, s12 op_sel_hi:[1,0]
	v_pk_min_f16 v4, v4, s12 op_sel_hi:[1,0]
	v_pk_min_f16 v117, v10, v2
	v_pk_add_f16 v2, v13, v45
	;; [unrolled: 4-line block ×3, first 2 shown]
	v_pk_min_f16 v10, v54, s12 op_sel_hi:[1,0]
	s_cmp_lt_i32 s22, 9
	v_pk_min_f16 v115, v10, v2
	v_pk_add_f16 v2, v5, v45
	v_pk_min_f16 v10, v55, s12 op_sel_hi:[1,0]
	ds_write_b16 v109, v30 offset:4608
	ds_write_b16 v109, v31 offset:2048
	;; [unrolled: 1-line block ×5, first 2 shown]
	v_pk_min_f16 v114, v10, v2
	v_pk_add_f16 v2, v7, v45
	v_pk_min_f16 v10, v56, s12 op_sel_hi:[1,0]
	s_waitcnt lgkmcnt(0)
	v_pk_min_f16 v113, v10, v2
	v_pk_add_f16 v2, v1, v45
	v_pk_min_f16 v10, v57, s12 op_sel_hi:[1,0]
	s_barrier
	v_pk_min_f16 v112, v10, v2
	v_pk_add_f16 v2, v3, v45
	v_pk_min_f16 v10, v44, s12 op_sel_hi:[1,0]
	s_nop 0
	v_pk_min_f16 v111, v10, v2
	v_pk_add_f16 v2, v17, v47
	v_pk_min_f16 v10, v58, s12 op_sel_hi:[1,0]
	s_nop 0
	;; [unrolled: 4-line block ×47, first 2 shown]
	v_pk_min_f16 v62, v10, v2
	v_pk_add_f16 v2, v1, v9
	v_pk_min_f16 v10, v136, s12 op_sel_hi:[1,0]
	v_pk_add_f16 v1, v1, v11
	v_pk_min_f16 v61, v10, v2
	v_pk_add_f16 v2, v3, v9
	s_nop 0
	v_pk_min_f16 v60, v8, v2
	v_pk_add_f16 v2, v17, v11
	v_pk_min_f16 v8, v16, s12 op_sel_hi:[1,0]
	s_nop 0
	v_pk_min_f16 v59, v8, v2
	v_pk_add_f16 v2, v19, v11
	v_pk_min_f16 v8, v18, s12 op_sel_hi:[1,0]
	;; [unrolled: 4-line block ×4, first 2 shown]
	s_nop 0
	v_pk_min_f16 v56, v8, v2
	v_pk_add_f16 v2, v5, v11
	s_nop 0
	v_pk_min_f16 v54, v4, v2
	v_pk_add_f16 v2, v7, v11
	v_pk_min_f16 v4, v6, s12 op_sel_hi:[1,0]
	s_nop 0
	v_pk_min_f16 v53, v4, v2
	v_pk_min_f16 v2, v137, s12 op_sel_hi:[1,0]
	s_nop 0
	v_pk_min_f16 v52, v2, v1
	v_pk_add_f16 v1, v3, v11
	s_nop 0
	v_pk_min_f16 v55, v0, v1
	s_cbranch_scc1 .LBB275_58
; %bb.32:
	v_mov_b32_e32 v0, 0x1200
	v_lshl_add_u32 v122, v48, 3, v0
	v_add_u32_e32 v0, v51, v48
	v_lshrrev_b32_e32 v2, 6, v0
	v_add_u32_e32 v0, 12, v2
	v_mad_i64_i32 v[0:1], s[10:11], v0, s34, 0
	v_lshlrev_b64 v[42:43], 1, v[0:1]
	v_add_u32_e32 v0, 8, v2
	v_mad_i64_i32 v[0:1], s[10:11], v0, s34, 0
	v_or_b32_e32 v119, 0x1000, v109
	v_add_u32_e32 v120, 0x1200, v109
	v_or_b32_e32 v121, 0x800, v109
	s_add_i32 s36, s22, -8
	v_lshl_add_u64 v[40:41], v[28:29], 1, s[30:31]
	v_add_u32_e32 v123, 0x800, v51
	s_add_i32 s37, s22, -1
	s_lshl_b64 s[30:31], s[34:35], 4
	v_lshlrev_b64 v[44:45], 1, v[0:1]
	s_mov_b32 s40, 0
	v_mov_b32_e32 v124, 0x7c00
	s_branch .LBB275_34
.LBB275_33:                             ;   in Loop: Header=BB275_34 Depth=1
	s_or_b64 exec, exec, s[10:11]
	v_pk_add_f16 v46, v12, v28
	v_pk_max_f16 v47, v118, v118
	v_pk_max_f16 v117, v117, v117
	v_pk_min_f16 v46, v47, v46
	v_pk_add_f16 v47, v14, v28
	v_pk_max_f16 v116, v116, v116
	v_pk_min_f16 v47, v117, v47
	v_pk_add_f16 v117, v8, v28
	v_pk_max_f16 v115, v115, v115
	v_pk_min_f16 v116, v116, v117
	v_pk_add_f16 v117, v10, v28
	v_pk_max_f16 v114, v114, v114
	v_pk_min_f16 v115, v115, v117
	v_pk_add_f16 v117, v4, v28
	v_pk_max_f16 v113, v113, v113
	v_pk_min_f16 v114, v114, v117
	v_pk_add_f16 v117, v6, v28
	v_pk_max_f16 v111, v111, v111
	v_pk_min_f16 v113, v113, v117
	v_pk_add_f16 v117, v0, v28
	v_pk_add_f16 v28, v2, v28
	v_pk_max_f16 v108, v108, v108
	v_pk_min_f16 v28, v111, v28
	v_pk_add_f16 v111, v12, v30
	v_pk_max_f16 v107, v107, v107
	v_pk_min_f16 v108, v108, v111
	v_pk_add_f16 v111, v14, v30
	v_pk_max_f16 v106, v106, v106
	v_pk_min_f16 v107, v107, v111
	v_pk_add_f16 v111, v8, v30
	v_pk_max_f16 v105, v105, v105
	v_pk_min_f16 v106, v106, v111
	v_pk_add_f16 v111, v10, v30
	v_pk_max_f16 v104, v104, v104
	v_pk_min_f16 v105, v105, v111
	v_pk_add_f16 v111, v4, v30
	v_pk_max_f16 v103, v103, v103
	v_pk_min_f16 v104, v104, v111
	v_pk_add_f16 v111, v6, v30
	v_pk_max_f16 v101, v101, v101
	v_pk_min_f16 v103, v103, v111
	v_pk_add_f16 v111, v0, v30
	v_pk_add_f16 v30, v2, v30
	v_pk_max_f16 v100, v100, v100
	v_pk_min_f16 v30, v101, v30
	v_pk_add_f16 v101, v12, v24
	;; [unrolled: 22-line block ×6, first 2 shown]
	v_pk_max_f16 v66, v66, v66
	v_pk_min_f16 v67, v67, v68
	v_pk_add_f16 v68, v14, v16
	v_pk_max_f16 v65, v65, v65
	v_pk_min_f16 v66, v66, v68
	v_pk_add_f16 v68, v8, v16
	;; [unrolled: 3-line block ×5, first 2 shown]
	v_pk_add_f16 v12, v12, v18
	v_pk_min_f16 v62, v62, v68
	v_pk_add_f16 v68, v0, v16
	v_pk_add_f16 v16, v2, v16
	;; [unrolled: 1-line block ×9, first 2 shown]
	v_pk_max_f16 v18, v55, v55
	v_pk_max_f16 v52, v52, v52
	v_pk_min_f16 v2, v18, v2
	v_pk_add_f16 v18, v13, v29
	v_pk_max_f16 v53, v53, v53
	v_pk_min_f16 v46, v46, v18
	v_pk_add_f16 v18, v15, v29
	v_pk_min_f16 v0, v52, v0
	v_pk_min_f16 v47, v47, v18
	v_pk_add_f16 v18, v9, v29
	v_pk_max_f16 v54, v54, v54
	v_pk_min_f16 v52, v116, v18
	v_pk_add_f16 v18, v11, v29
	v_pk_min_f16 v6, v53, v6
	v_pk_min_f16 v53, v115, v18
	v_pk_add_f16 v18, v5, v29
	v_pk_max_f16 v112, v112, v112
	v_pk_min_f16 v4, v54, v4
	v_pk_min_f16 v54, v114, v18
	v_pk_add_f16 v18, v7, v29
	v_pk_min_f16 v112, v112, v117
	v_pk_max_f16 v56, v56, v56
	v_pk_min_f16 v55, v113, v18
	v_pk_add_f16 v18, v1, v29
	v_pk_max_f16 v57, v57, v57
	v_pk_min_f16 v10, v56, v10
	v_pk_min_f16 v56, v112, v18
	v_pk_add_f16 v18, v3, v29
	v_pk_max_f16 v58, v58, v58
	v_pk_min_f16 v8, v57, v8
	;; [unrolled: 4-line block ×6, first 2 shown]
	v_pk_min_f16 v68, v105, v18
	v_pk_add_f16 v18, v5, v31
	v_pk_max_f16 v102, v102, v102
	v_pk_max_f16 v77, v77, v77
	v_pk_min_f16 v69, v69, v76
	v_pk_min_f16 v76, v104, v18
	v_pk_add_f16 v18, v7, v31
	v_pk_min_f16 v102, v102, v111
	v_pk_max_f16 v85, v85, v85
	v_pk_min_f16 v77, v77, v84
	v_pk_min_f16 v84, v103, v18
	v_pk_add_f16 v18, v1, v31
	v_pk_max_f16 v94, v94, v94
	v_pk_min_f16 v85, v85, v93
	v_pk_min_f16 v93, v102, v18
	v_pk_add_f16 v18, v3, v31
	v_pk_min_f16 v94, v94, v101
	v_pk_min_f16 v101, v30, v18
	v_pk_add_f16 v18, v13, v25
	v_pk_max_f16 v46, v46, v46
	v_pk_min_f16 v100, v100, v18
	v_pk_add_f16 v18, v15, v25
	v_pk_max_f16 v47, v47, v47
	v_pk_min_f16 v99, v99, v18
	v_pk_add_f16 v18, v9, v25
	v_pk_max_f16 v52, v52, v52
	v_pk_min_f16 v98, v98, v18
	v_pk_add_f16 v18, v11, v25
	v_pk_max_f16 v53, v53, v53
	v_pk_min_f16 v97, v97, v18
	v_pk_add_f16 v18, v5, v25
	v_pk_max_f16 v54, v54, v54
	v_pk_min_f16 v96, v96, v18
	v_pk_add_f16 v18, v7, v25
	v_pk_max_f16 v55, v55, v55
	v_pk_min_f16 v95, v95, v18
	v_pk_add_f16 v18, v1, v25
	s_add_i32 s40, s40, 8
	v_pk_min_f16 v94, v94, v18
	v_pk_add_f16 v18, v3, v25
	s_cmp_ge_i32 s40, s36
	v_pk_min_f16 v130, v24, v18
	v_pk_add_f16 v18, v13, v27
	v_lshl_add_u64 v[40:41], v[40:41], 0, s[30:31]
	v_pk_min_f16 v91, v91, v18
	v_pk_add_f16 v18, v15, v27
	s_nop 0
	v_pk_min_f16 v90, v90, v18
	v_pk_add_f16 v18, v9, v27
	s_nop 0
	;; [unrolled: 3-line block ×23, first 2 shown]
	v_pk_min_f16 v133, v22, v18
	v_pk_add_f16 v18, v13, v17
	v_pk_add_f16 v13, v13, v19
	v_pk_min_f16 v67, v67, v18
	v_pk_add_f16 v18, v15, v17
	v_pk_min_f16 v135, v12, v13
	v_pk_min_f16 v66, v66, v18
	v_pk_add_f16 v18, v9, v17
	v_pk_add_f16 v9, v9, v19
	v_pk_min_f16 v65, v65, v18
	v_pk_add_f16 v18, v11, v17
	v_pk_add_f16 v12, v15, v19
	;; [unrolled: 3-line block ×3, first 2 shown]
	v_pk_min_f16 v63, v63, v18
	v_pk_add_f16 v18, v7, v17
	v_pk_min_f16 v137, v8, v9
	v_pk_min_f16 v62, v62, v18
	v_pk_add_f16 v18, v1, v17
	v_pk_add_f16 v1, v1, v19
	;; [unrolled: 1-line block ×4, first 2 shown]
	v_pk_min_f16 v139, v4, v5
	v_pk_add_f16 v4, v7, v19
	v_pk_min_f16 v141, v0, v1
	v_pk_add_f16 v0, v3, v19
	v_pk_min_f16 v61, v61, v18
	v_pk_min_f16 v134, v16, v17
	;; [unrolled: 1-line block ×6, first 2 shown]
	ds_read2_b64 v[16:19], v110 offset1:8
	ds_read2_b64 v[8:11], v110 offset0:16 offset1:24
	ds_read2_b64 v[4:7], v110 offset0:32 offset1:40
	ds_read2_b64 v[24:27], v51 offset1:32
	ds_read2_b64 v[0:3], v110 offset0:48 offset1:56
	ds_read2_b64 v[28:31], v51 offset0:64 offset1:96
	;; [unrolled: 1-line block ×4, first 2 shown]
	s_waitcnt lgkmcnt(4)
	v_pk_add_f16 v102, v16, v24
	v_pk_add_f16 v103, v18, v24
	v_pk_min_f16 v46, v46, v102
	v_pk_add_f16 v102, v17, v25
	v_pk_add_f16 v104, v8, v24
	v_pk_min_f16 v118, v46, v102
	v_pk_min_f16 v47, v47, v103
	v_pk_add_f16 v102, v19, v25
	v_pk_add_f16 v105, v10, v24
	v_pk_min_f16 v117, v47, v102
	;; [unrolled: 4-line block ×4, first 2 shown]
	v_pk_min_f16 v54, v54, v106
	v_pk_add_f16 v102, v5, v25
	v_pk_min_f16 v55, v55, v107
	v_pk_min_f16 v114, v54, v102
	v_pk_add_f16 v102, v7, v25
	s_waitcnt lgkmcnt(3)
	v_pk_add_f16 v108, v0, v24
	v_pk_min_f16 v113, v55, v102
	v_pk_max_f16 v55, v56, v56
	v_pk_add_f16 v56, v1, v25
	v_pk_min_f16 v55, v55, v108
	v_pk_add_f16 v24, v2, v24
	v_pk_min_f16 v112, v55, v56
	v_pk_max_f16 v55, v57, v57
	v_pk_add_f16 v25, v3, v25
	v_pk_min_f16 v24, v55, v24
	;; [unrolled: 5-line block ×7, first 2 shown]
	v_pk_add_f16 v148, v6, v26
	v_pk_min_f16 v104, v24, v25
	v_pk_max_f16 v24, v84, v84
	v_pk_add_f16 v149, v0, v26
	v_pk_add_f16 v26, v2, v26
	s_waitcnt lgkmcnt(2)
	v_pk_add_f16 v150, v16, v28
	v_pk_add_f16 v151, v18, v28
	v_pk_add_f16 v152, v8, v28
	v_pk_add_f16 v153, v10, v28
	v_pk_add_f16 v154, v4, v28
	v_pk_add_f16 v155, v6, v28
	v_pk_add_f16 v156, v0, v28
	v_pk_add_f16 v28, v2, v28
	v_pk_add_f16 v157, v16, v30
	v_pk_add_f16 v158, v18, v30
	v_pk_add_f16 v159, v8, v30
	v_pk_add_f16 v160, v10, v30
	v_pk_add_f16 v161, v4, v30
	v_pk_add_f16 v162, v6, v30
	v_pk_add_f16 v163, v0, v30
	v_pk_add_f16 v30, v2, v30
	s_waitcnt lgkmcnt(1)
	v_pk_add_f16 v164, v16, v20
	v_pk_add_f16 v165, v18, v20
	v_pk_add_f16 v166, v8, v20
	v_pk_add_f16 v167, v10, v20
	v_pk_add_f16 v168, v4, v20
	v_pk_add_f16 v169, v6, v20
	v_pk_add_f16 v170, v0, v20
	v_pk_add_f16 v20, v2, v20
	v_pk_add_f16 v171, v16, v22
	v_pk_add_f16 v172, v18, v22
	v_pk_add_f16 v173, v8, v22
	v_pk_add_f16 v174, v10, v22
	v_pk_add_f16 v175, v4, v22
	v_pk_add_f16 v176, v6, v22
	v_pk_add_f16 v177, v0, v22
	v_pk_add_f16 v22, v2, v22
	s_waitcnt lgkmcnt(0)
	v_pk_add_f16 v178, v16, v12
	v_pk_add_f16 v179, v18, v12
	v_pk_add_f16 v46, v8, v12
	v_pk_add_f16 v47, v10, v12
	v_pk_add_f16 v52, v4, v12
	v_pk_add_f16 v53, v6, v12
	v_pk_add_f16 v54, v0, v12
	v_pk_add_f16 v12, v2, v12
	v_pk_add_f16 v16, v16, v14
	v_pk_add_f16 v18, v18, v14
	v_pk_add_f16 v8, v8, v14
	v_pk_add_f16 v10, v10, v14
	v_pk_add_f16 v4, v4, v14
	v_pk_add_f16 v6, v6, v14
	v_pk_add_f16 v0, v0, v14
	v_pk_min_f16 v24, v24, v148
	v_pk_add_f16 v25, v7, v27
	v_pk_add_f16 v2, v2, v14
	v_pk_max_f16 v14, v93, v93
	v_pk_min_f16 v103, v24, v25
	v_pk_min_f16 v14, v14, v149
	v_pk_add_f16 v24, v1, v27
	ds_write_b16 v120, v125
	ds_write_b16 v121, v126
	ds_write_b16 v121, v127 offset:512
	ds_write_b16 v121, v128 offset:1024
	;; [unrolled: 1-line block ×3, first 2 shown]
	v_pk_min_f16 v102, v14, v24
	v_pk_max_f16 v24, v101, v101
	v_pk_add_f16 v14, v3, v27
	v_pk_min_f16 v24, v24, v26
	s_waitcnt lgkmcnt(0)
	v_pk_min_f16 v101, v24, v14
	v_pk_max_f16 v24, v100, v100
	v_pk_add_f16 v14, v17, v29
	v_pk_min_f16 v24, v24, v150
	s_barrier
	v_pk_min_f16 v100, v24, v14
	v_pk_max_f16 v24, v99, v99
	v_pk_add_f16 v14, v19, v29
	v_pk_min_f16 v24, v24, v151
	s_nop 0
	v_pk_min_f16 v99, v24, v14
	v_pk_max_f16 v24, v98, v98
	v_pk_add_f16 v14, v9, v29
	v_pk_min_f16 v24, v24, v152
	s_nop 0
	;; [unrolled: 5-line block ×22, first 2 shown]
	v_pk_min_f16 v77, v24, v14
	v_pk_add_f16 v14, v3, v21
	v_pk_max_f16 v21, v132, v132
	s_nop 0
	v_pk_min_f16 v20, v21, v20
	s_nop 0
	v_pk_min_f16 v76, v20, v14
	v_pk_max_f16 v20, v75, v75
	v_pk_add_f16 v14, v17, v23
	v_pk_min_f16 v20, v20, v171
	s_nop 0
	v_pk_min_f16 v75, v20, v14
	v_pk_max_f16 v20, v74, v74
	v_pk_add_f16 v14, v19, v23
	;; [unrolled: 5-line block ×11, first 2 shown]
	v_pk_min_f16 v20, v20, v46
	v_pk_add_f16 v9, v9, v15
	v_pk_min_f16 v65, v20, v14
	v_pk_max_f16 v20, v64, v64
	v_pk_add_f16 v14, v11, v13
	v_pk_min_f16 v20, v20, v47
	s_nop 0
	v_pk_min_f16 v64, v20, v14
	v_pk_max_f16 v20, v63, v63
	v_pk_add_f16 v14, v5, v13
	v_pk_min_f16 v20, v20, v52
	v_pk_add_f16 v5, v5, v15
	v_pk_min_f16 v63, v20, v14
	v_pk_max_f16 v20, v62, v62
	v_pk_add_f16 v14, v7, v13
	v_pk_min_f16 v20, v20, v53
	s_nop 0
	v_pk_min_f16 v62, v20, v14
	v_pk_max_f16 v20, v61, v61
	v_pk_add_f16 v14, v1, v13
	;; [unrolled: 10-line block ×3, first 2 shown]
	v_pk_min_f16 v13, v13, v16
	s_nop 0
	v_pk_min_f16 v59, v13, v12
	v_pk_max_f16 v13, v136, v136
	v_pk_add_f16 v12, v19, v15
	v_pk_min_f16 v13, v13, v18
	s_nop 0
	v_pk_min_f16 v58, v13, v12
	v_pk_max_f16 v12, v137, v137
	s_nop 0
	v_pk_min_f16 v8, v12, v8
	s_nop 0
	v_pk_min_f16 v57, v8, v9
	v_pk_max_f16 v9, v138, v138
	v_pk_add_f16 v8, v11, v15
	v_pk_min_f16 v9, v9, v10
	s_nop 0
	v_pk_min_f16 v56, v9, v8
	v_pk_max_f16 v8, v139, v139
	s_nop 0
	;; [unrolled: 10-line block ×3, first 2 shown]
	v_pk_min_f16 v0, v4, v0
	s_nop 0
	v_pk_min_f16 v52, v0, v1
	v_pk_max_f16 v1, v142, v142
	v_pk_add_f16 v0, v3, v15
	v_pk_min_f16 v1, v1, v2
	s_nop 0
	v_pk_min_f16 v55, v1, v0
	s_cbranch_scc1 .LBB275_58
.LBB275_34:                             ; =>This Inner Loop Header: Depth=1
	v_add_u32_e32 v46, s40, v50
	v_add_u32_e32 v0, 8, v46
	v_cmp_le_i32_e64 s[10:11], s22, v0
	s_or_b64 s[12:13], vcc, s[10:11]
	s_nor_b64 s[34:35], s[16:17], s[12:13]
                                        ; implicit-def: $vgpr47
	s_and_saveexec_b64 s[42:43], s[34:35]
	s_xor_b64 s[34:35], exec, s[42:43]
	s_cbranch_execz .LBB275_36
; %bb.35:                               ;   in Loop: Header=BB275_34 Depth=1
	v_lshl_add_u64 v[2:3], v[40:41], 0, v[44:45]
	global_load_ushort v1, v[2:3], off
	s_waitcnt vmcnt(0)
	v_mul_f16_e32 v47, s23, v1
.LBB275_36:                             ;   in Loop: Header=BB275_34 Depth=1
	s_andn2_saveexec_b64 s[34:35], s[34:35]
; %bb.37:                               ;   in Loop: Header=BB275_34 Depth=1
	v_cndmask_b32_e64 v47, 0, v124, s[12:13]
; %bb.38:                               ;   in Loop: Header=BB275_34 Depth=1
	s_or_b64 exec, exec, s[34:35]
	v_min_i32_e32 v0, s37, v0
	v_mad_i64_i32 v[0:1], s[12:13], v0, s39, 0
	s_or_b64 s[12:13], s[14:15], s[10:11]
	v_lshl_add_u64 v[0:1], v[0:1], 1, s[28:29]
	v_cndmask_b32_e64 v125, 0, v124, s[12:13]
	s_nor_b64 s[34:35], s[16:17], s[12:13]
	s_and_saveexec_b64 s[12:13], s[34:35]
	s_cbranch_execz .LBB275_40
; %bb.39:                               ;   in Loop: Header=BB275_34 Depth=1
	v_lshl_add_u64 v[2:3], v[32:33], 1, v[0:1]
	global_load_ushort v2, v[2:3], off
	s_waitcnt vmcnt(0)
	v_mul_f16_e32 v125, s23, v2
.LBB275_40:                             ;   in Loop: Header=BB275_34 Depth=1
	s_or_b64 exec, exec, s[12:13]
	s_or_b64 s[12:13], s[4:5], s[10:11]
	v_cndmask_b32_e64 v126, 0, v124, s[12:13]
	s_nor_b64 s[34:35], s[12:13], s[16:17]
	s_and_saveexec_b64 s[12:13], s[34:35]
	s_cbranch_execz .LBB275_42
; %bb.41:                               ;   in Loop: Header=BB275_34 Depth=1
	v_lshl_add_u64 v[2:3], v[34:35], 1, v[0:1]
	global_load_ushort v2, v[2:3], off
	s_waitcnt vmcnt(0)
	v_mul_f16_e32 v126, s23, v2
.LBB275_42:                             ;   in Loop: Header=BB275_34 Depth=1
	s_or_b64 exec, exec, s[12:13]
	s_or_b64 s[12:13], s[6:7], s[10:11]
	v_cndmask_b32_e64 v127, 0, v124, s[12:13]
	s_nor_b64 s[34:35], s[12:13], s[16:17]
	s_and_saveexec_b64 s[12:13], s[34:35]
	s_cbranch_execz .LBB275_44
; %bb.43:                               ;   in Loop: Header=BB275_34 Depth=1
	v_lshl_add_u64 v[2:3], v[36:37], 1, v[0:1]
	global_load_ushort v2, v[2:3], off
	s_waitcnt vmcnt(0)
	v_mul_f16_e32 v127, s23, v2
.LBB275_44:                             ;   in Loop: Header=BB275_34 Depth=1
	s_or_b64 exec, exec, s[12:13]
	s_or_b64 s[10:11], s[8:9], s[10:11]
	v_cndmask_b32_e64 v128, 0, v124, s[10:11]
	s_nor_b64 s[12:13], s[10:11], s[16:17]
	s_and_saveexec_b64 s[10:11], s[12:13]
	s_cbranch_execz .LBB275_46
; %bb.45:                               ;   in Loop: Header=BB275_34 Depth=1
	v_lshl_add_u64 v[0:1], v[38:39], 1, v[0:1]
	global_load_ushort v0, v[0:1], off
	s_waitcnt vmcnt(0)
	v_mul_f16_e32 v128, s23, v0
.LBB275_46:                             ;   in Loop: Header=BB275_34 Depth=1
	s_or_b64 exec, exec, s[10:11]
	ds_read2_b64 v[12:15], v122 offset1:8
	ds_read2_b64 v[8:11], v122 offset0:16 offset1:24
	ds_read2_b64 v[4:7], v122 offset0:32 offset1:40
	;; [unrolled: 1-line block ×3, first 2 shown]
	ds_read2_b64 v[28:31], v123 offset1:32
	ds_read2_b64 v[24:27], v123 offset0:64 offset1:96
	ds_read2_b64 v[20:23], v123 offset0:128 offset1:160
	;; [unrolled: 1-line block ×3, first 2 shown]
	v_add_u32_e32 v46, 12, v46
	v_cmp_le_i32_e64 s[10:11], s22, v46
	s_or_b64 s[12:13], vcc, s[10:11]
	s_nor_b64 s[34:35], s[16:17], s[12:13]
	ds_write_b16 v119, v47
	ds_write_b16 v109, v125
	ds_write_b16 v109, v126 offset:512
	ds_write_b16 v109, v127 offset:1024
	;; [unrolled: 1-line block ×3, first 2 shown]
	s_waitcnt lgkmcnt(0)
	s_barrier
                                        ; implicit-def: $vgpr125
	s_and_saveexec_b64 s[42:43], s[34:35]
	s_xor_b64 s[34:35], exec, s[42:43]
	s_cbranch_execz .LBB275_48
; %bb.47:                               ;   in Loop: Header=BB275_34 Depth=1
	v_lshl_add_u64 v[126:127], v[40:41], 0, v[42:43]
	global_load_ushort v47, v[126:127], off
	s_waitcnt vmcnt(0)
	v_mul_f16_e32 v125, s23, v47
.LBB275_48:                             ;   in Loop: Header=BB275_34 Depth=1
	s_andn2_saveexec_b64 s[34:35], s[34:35]
; %bb.49:                               ;   in Loop: Header=BB275_34 Depth=1
	v_cndmask_b32_e64 v125, 0, v124, s[12:13]
; %bb.50:                               ;   in Loop: Header=BB275_34 Depth=1
	s_or_b64 exec, exec, s[34:35]
	v_min_i32_e32 v46, s37, v46
	v_mad_i64_i32 v[46:47], s[12:13], v46, s39, 0
	s_or_b64 s[12:13], s[14:15], s[10:11]
	v_lshl_add_u64 v[46:47], v[46:47], 1, s[28:29]
	v_cndmask_b32_e64 v126, 0, v124, s[12:13]
	s_nor_b64 s[34:35], s[16:17], s[12:13]
	s_and_saveexec_b64 s[12:13], s[34:35]
	s_cbranch_execz .LBB275_52
; %bb.51:                               ;   in Loop: Header=BB275_34 Depth=1
	v_lshl_add_u64 v[126:127], v[32:33], 1, v[46:47]
	global_load_ushort v126, v[126:127], off
	s_waitcnt vmcnt(0)
	v_mul_f16_e32 v126, s23, v126
.LBB275_52:                             ;   in Loop: Header=BB275_34 Depth=1
	s_or_b64 exec, exec, s[12:13]
	s_or_b64 s[12:13], s[4:5], s[10:11]
	v_cndmask_b32_e64 v127, 0, v124, s[12:13]
	s_nor_b64 s[34:35], s[12:13], s[16:17]
	s_and_saveexec_b64 s[12:13], s[34:35]
	s_cbranch_execz .LBB275_54
; %bb.53:                               ;   in Loop: Header=BB275_34 Depth=1
	v_lshl_add_u64 v[128:129], v[34:35], 1, v[46:47]
	global_load_ushort v127, v[128:129], off
	s_waitcnt vmcnt(0)
	v_mul_f16_e32 v127, s23, v127
.LBB275_54:                             ;   in Loop: Header=BB275_34 Depth=1
	s_or_b64 exec, exec, s[12:13]
	s_or_b64 s[12:13], s[6:7], s[10:11]
	;; [unrolled: 12-line block ×3, first 2 shown]
	v_cndmask_b32_e64 v129, 0, v124, s[10:11]
	s_nor_b64 s[12:13], s[10:11], s[16:17]
	s_and_saveexec_b64 s[10:11], s[12:13]
	s_cbranch_execz .LBB275_33
; %bb.57:                               ;   in Loop: Header=BB275_34 Depth=1
	v_lshl_add_u64 v[46:47], v[38:39], 1, v[46:47]
	global_load_ushort v46, v[46:47], off
	s_waitcnt vmcnt(0)
	v_mul_f16_e32 v129, s23, v46
	s_branch .LBB275_33
.LBB275_58:
	s_load_dwordx2 s[4:5], s[0:1], 0x70
	s_load_dword s29, s[0:1], 0x50
	s_load_dword s28, s[0:1], 0x68
	v_add_u32_e32 v0, 0x1000, v92
	v_add_u32_e32 v4, 0x800, v51
	s_waitcnt lgkmcnt(0)
	s_mul_i32 s1, s5, s3
	s_mul_hi_u32 s5, s4, s3
	s_mul_i32 s0, s4, s3
	s_add_i32 s1, s5, s1
	ds_read2_b64 v[16:19], v0 offset0:64 offset1:72
	ds_read2_b64 v[12:15], v0 offset0:80 offset1:88
	;; [unrolled: 1-line block ×4, first 2 shown]
	ds_read2_b64 v[28:31], v4 offset1:32
	ds_read2_b64 v[24:27], v4 offset0:64 offset1:96
	ds_read2_b64 v[20:23], v4 offset0:128 offset1:160
	;; [unrolled: 1-line block ×3, first 2 shown]
	s_lshl_b64 s[0:1], s[0:1], 1
	s_add_u32 s22, s18, s0
	v_add_u32_e32 v92, s38, v49
	s_addc_u32 s23, s19, s1
	v_mad_i64_i32 v[34:35], s[0:1], v92, s29, 0
	v_add_u32_e32 v32, s2, v48
	v_lshl_add_u64 v[50:51], v[34:35], 1, s[24:25]
	v_mad_i64_i32 v[34:35], s[0:1], v92, s28, 0
	v_cmp_gt_i32_e64 s[2:3], s20, v32
	v_cmp_gt_i32_e64 s[18:19], s21, v92
	v_lshl_add_u64 v[48:49], v[34:35], 1, s[22:23]
	v_cndmask_b32_e64 v34, 0, 1, s[26:27]
	v_ashrrev_i32_e32 v33, 31, v32
	s_and_b64 s[6:7], s[2:3], s[18:19]
	v_cmp_ne_u32_e64 s[0:1], 1, v34
	s_and_saveexec_b64 s[4:5], s[6:7]
	s_cbranch_execz .LBB275_64
; %bb.59:
	s_and_b64 vcc, exec, s[0:1]
	s_cbranch_vccnz .LBB275_62
; %bb.60:
	v_lshl_add_u64 v[34:35], v[32:33], 1, v[50:51]
	global_load_ushort v34, v[34:35], off
	s_waitcnt vmcnt(0)
	v_mul_f16_e32 v34, s33, v34
	v_cvt_f32_f16_e32 v34, v34
	s_branch .LBB275_63
.LBB275_61:
	s_mov_b64 s[30:31], 0
	s_andn2_b64 vcc, exec, s[8:9]
	s_mov_b64 s[4:5], -1
	s_cbranch_vccz .LBB275_2
	s_branch .LBB275_3
.LBB275_62:
	v_mov_b32_e32 v34, 0
.LBB275_63:
	s_waitcnt lgkmcnt(3)
	v_pk_add_f16 v35, v16, v28
	v_max_f16_e32 v36, v118, v118
	v_pk_add_f16 v38, v17, v29
	v_min_f16_e32 v36, v36, v35
	v_lshrrev_b32_e32 v37, 16, v118
	v_lshrrev_b32_e32 v35, 16, v35
	;; [unrolled: 1-line block ×3, first 2 shown]
	v_min3_f16 v35, v37, v35, v39
	v_min3_f16 v35, v36, v38, v35
	v_cvt_f32_f16_e32 v35, v35
	v_max_f32_e32 v34, v34, v34
	v_min_f32_e32 v34, v34, v35
	v_cvt_f16_f32_e32 v36, v34
	v_lshl_add_u64 v[34:35], v[32:33], 1, v[48:49]
	global_store_short v[34:35], v36, off
.LBB275_64:
	s_or_b64 exec, exec, s[4:5]
	v_add_u32_e32 v34, 8, v32
	v_cmp_gt_i32_e64 s[4:5], s20, v34
	v_ashrrev_i32_e32 v35, 31, v34
	s_and_b64 s[8:9], s[4:5], s[18:19]
	s_and_saveexec_b64 s[6:7], s[8:9]
	s_cbranch_execz .LBB275_69
; %bb.65:
	s_and_b64 vcc, exec, s[0:1]
	s_cbranch_vccnz .LBB275_67
; %bb.66:
	v_lshl_add_u64 v[36:37], v[34:35], 1, v[50:51]
	global_load_ushort v36, v[36:37], off
	s_waitcnt vmcnt(0)
	v_mul_f16_e32 v36, s33, v36
	v_cvt_f32_f16_e32 v36, v36
	s_branch .LBB275_68
.LBB275_67:
	v_mov_b32_e32 v36, 0
.LBB275_68:
	s_waitcnt lgkmcnt(3)
	v_pk_add_f16 v37, v18, v28
	v_max_f16_e32 v38, v117, v117
	v_pk_add_f16 v40, v19, v29
	v_min_f16_e32 v38, v38, v37
	v_lshrrev_b32_e32 v39, 16, v117
	v_lshrrev_b32_e32 v37, 16, v37
	v_lshrrev_b32_e32 v41, 16, v40
	v_min3_f16 v37, v39, v37, v41
	v_min3_f16 v37, v38, v40, v37
	v_cvt_f32_f16_e32 v37, v37
	v_max_f32_e32 v36, v36, v36
	v_min_f32_e32 v36, v36, v37
	v_cvt_f16_f32_e32 v38, v36
	v_lshl_add_u64 v[36:37], v[34:35], 1, v[48:49]
	global_store_short v[36:37], v38, off
.LBB275_69:
	s_or_b64 exec, exec, s[6:7]
	v_add_u32_e32 v36, 16, v32
	v_cmp_gt_i32_e64 s[6:7], s20, v36
	v_ashrrev_i32_e32 v37, 31, v36
	s_and_b64 s[10:11], s[6:7], s[18:19]
	s_and_saveexec_b64 s[8:9], s[10:11]
	s_cbranch_execz .LBB275_74
; %bb.70:
	s_and_b64 vcc, exec, s[0:1]
	s_cbranch_vccnz .LBB275_72
; %bb.71:
	v_lshl_add_u64 v[38:39], v[36:37], 1, v[50:51]
	global_load_ushort v38, v[38:39], off
	s_waitcnt vmcnt(0)
	v_mul_f16_e32 v38, s33, v38
	v_cvt_f32_f16_e32 v38, v38
	s_branch .LBB275_73
.LBB275_72:
	v_mov_b32_e32 v38, 0
.LBB275_73:
	s_waitcnt lgkmcnt(3)
	v_pk_add_f16 v39, v12, v28
	v_max_f16_e32 v40, v116, v116
	v_pk_add_f16 v42, v13, v29
	v_min_f16_e32 v40, v40, v39
	v_lshrrev_b32_e32 v41, 16, v116
	v_lshrrev_b32_e32 v39, 16, v39
	v_lshrrev_b32_e32 v43, 16, v42
	v_min3_f16 v39, v41, v39, v43
	v_min3_f16 v39, v40, v42, v39
	v_cvt_f32_f16_e32 v39, v39
	v_max_f32_e32 v38, v38, v38
	v_min_f32_e32 v38, v38, v39
	v_cvt_f16_f32_e32 v40, v38
	v_lshl_add_u64 v[38:39], v[36:37], 1, v[48:49]
	global_store_short v[38:39], v40, off
.LBB275_74:
	;; [unrolled: 37-line block ×5, first 2 shown]
	s_or_b64 exec, exec, s[14:15]
	v_add_u32_e32 v44, 48, v32
	v_cmp_gt_i32_e64 s[14:15], s20, v44
	v_ashrrev_i32_e32 v45, 31, v44
	s_and_b64 s[26:27], s[14:15], s[18:19]
	s_and_saveexec_b64 s[16:17], s[26:27]
	s_cbranch_execz .LBB275_94
; %bb.90:
	s_and_b64 vcc, exec, s[0:1]
	s_cbranch_vccnz .LBB275_92
; %bb.91:
	v_lshl_add_u64 v[46:47], v[44:45], 1, v[50:51]
	global_load_ushort v46, v[46:47], off
	s_waitcnt vmcnt(0)
	v_mul_f16_e32 v46, s33, v46
	v_cvt_f32_f16_e32 v46, v46
	s_branch .LBB275_93
.LBB275_92:
	v_mov_b32_e32 v46, 0
.LBB275_93:
	s_waitcnt lgkmcnt(3)
	v_pk_add_f16 v47, v0, v28
	v_max_f16_e32 v109, v112, v112
	v_lshrrev_b32_e32 v110, 16, v112
	v_pk_add_f16 v112, v1, v29
	v_min_f16_e32 v109, v109, v47
	v_lshrrev_b32_e32 v47, 16, v47
	v_lshrrev_b32_e32 v113, 16, v112
	v_min3_f16 v47, v110, v47, v113
	v_min3_f16 v47, v109, v112, v47
	v_cvt_f32_f16_e32 v47, v47
	v_max_f32_e32 v46, v46, v46
	v_min_f32_e32 v46, v46, v47
	v_cvt_f16_f32_e32 v109, v46
	v_lshl_add_u64 v[46:47], v[44:45], 1, v[48:49]
	global_store_short v[46:47], v109, off
.LBB275_94:
	s_or_b64 exec, exec, s[16:17]
	v_add_u32_e32 v46, 56, v32
	v_cmp_gt_i32_e64 s[16:17], s20, v46
	v_ashrrev_i32_e32 v47, 31, v46
	s_and_b64 s[26:27], s[16:17], s[18:19]
	s_and_saveexec_b64 s[18:19], s[26:27]
	s_cbranch_execz .LBB275_99
; %bb.95:
	s_and_b64 vcc, exec, s[0:1]
	s_cbranch_vccnz .LBB275_97
; %bb.96:
	v_lshl_add_u64 v[50:51], v[46:47], 1, v[50:51]
	global_load_ushort v50, v[50:51], off
	s_waitcnt vmcnt(0)
	v_mul_f16_e32 v50, s33, v50
	v_cvt_f32_f16_e32 v50, v50
	s_branch .LBB275_98
.LBB275_97:
	v_mov_b32_e32 v50, 0
.LBB275_98:
	s_waitcnt lgkmcnt(3)
	v_pk_add_f16 v28, v2, v28
	v_max_f16_e32 v51, v111, v111
	v_pk_add_f16 v29, v3, v29
	v_min_f16_e32 v51, v51, v28
	v_lshrrev_b32_e32 v109, 16, v111
	v_lshrrev_b32_e32 v28, 16, v28
	;; [unrolled: 1-line block ×3, first 2 shown]
	v_min3_f16 v28, v109, v28, v110
	v_min3_f16 v28, v51, v29, v28
	v_cvt_f32_f16_e32 v28, v28
	v_max_f32_e32 v29, v50, v50
	v_min_f32_e32 v28, v29, v28
	v_cvt_f16_f32_e32 v50, v28
	v_lshl_add_u64 v[28:29], v[46:47], 1, v[48:49]
	global_store_short v[28:29], v50, off
.LBB275_99:
	s_or_b64 exec, exec, s[18:19]
	v_add_u32_e32 v50, 32, v92
	s_waitcnt lgkmcnt(3)
	v_mad_i64_i32 v[28:29], s[26:27], v50, s29, 0
	v_cmp_gt_i32_e64 s[18:19], s21, v50
	v_lshl_add_u64 v[48:49], v[28:29], 1, s[24:25]
	v_mad_i64_i32 v[28:29], s[26:27], v50, s28, 0
	v_lshl_add_u64 v[28:29], v[28:29], 1, s[22:23]
	s_and_b64 s[30:31], s[2:3], s[18:19]
	s_and_saveexec_b64 s[26:27], s[30:31]
	s_cbranch_execnz .LBB275_107
; %bb.100:
	s_or_b64 exec, exec, s[26:27]
	s_and_b64 s[30:31], s[4:5], s[18:19]
	s_and_saveexec_b64 s[26:27], s[30:31]
	s_cbranch_execnz .LBB275_111
.LBB275_101:
	s_or_b64 exec, exec, s[26:27]
	s_and_b64 s[30:31], s[6:7], s[18:19]
	s_and_saveexec_b64 s[26:27], s[30:31]
	s_cbranch_execnz .LBB275_115
.LBB275_102:
	s_or_b64 exec, exec, s[26:27]
	s_and_b64 s[30:31], s[8:9], s[18:19]
	s_and_saveexec_b64 s[26:27], s[30:31]
	s_cbranch_execnz .LBB275_119
.LBB275_103:
	s_or_b64 exec, exec, s[26:27]
	s_and_b64 s[30:31], s[10:11], s[18:19]
	s_and_saveexec_b64 s[26:27], s[30:31]
	s_cbranch_execnz .LBB275_123
.LBB275_104:
	s_or_b64 exec, exec, s[26:27]
	s_and_b64 s[30:31], s[12:13], s[18:19]
	s_and_saveexec_b64 s[26:27], s[30:31]
	s_cbranch_execnz .LBB275_127
.LBB275_105:
	s_or_b64 exec, exec, s[26:27]
	s_and_b64 s[30:31], s[14:15], s[18:19]
	s_and_saveexec_b64 s[26:27], s[30:31]
	s_cbranch_execnz .LBB275_131
.LBB275_106:
	s_or_b64 exec, exec, s[26:27]
	s_and_b64 s[26:27], s[16:17], s[18:19]
	s_and_saveexec_b64 s[18:19], s[26:27]
	s_cbranch_execnz .LBB275_135
	s_branch .LBB275_139
.LBB275_107:
	s_and_b64 vcc, exec, s[0:1]
	s_cbranch_vccnz .LBB275_109
; %bb.108:
	v_lshl_add_u64 v[50:51], v[32:33], 1, v[48:49]
	global_load_ushort v50, v[50:51], off
	s_waitcnt vmcnt(0)
	v_mul_f16_e32 v50, s33, v50
	v_cvt_f32_f16_e32 v50, v50
	s_branch .LBB275_110
.LBB275_109:
	v_mov_b32_e32 v50, 0
.LBB275_110:
	v_pk_add_f16 v51, v16, v30
	v_max_f16_e32 v109, v108, v108
	v_pk_add_f16 v110, v17, v31
	v_min_f16_e32 v109, v109, v51
	v_lshrrev_b32_e32 v108, 16, v108
	v_lshrrev_b32_e32 v51, 16, v51
	;; [unrolled: 1-line block ×3, first 2 shown]
	v_min3_f16 v51, v108, v51, v111
	v_min3_f16 v51, v109, v110, v51
	v_cvt_f32_f16_e32 v51, v51
	v_max_f32_e32 v50, v50, v50
	v_min_f32_e32 v50, v50, v51
	v_cvt_f16_f32_e32 v108, v50
	v_lshl_add_u64 v[50:51], v[32:33], 1, v[28:29]
	global_store_short v[50:51], v108, off
	s_or_b64 exec, exec, s[26:27]
	s_and_b64 s[30:31], s[4:5], s[18:19]
	s_and_saveexec_b64 s[26:27], s[30:31]
	s_cbranch_execz .LBB275_101
.LBB275_111:
	s_and_b64 vcc, exec, s[0:1]
	s_cbranch_vccnz .LBB275_113
; %bb.112:
	v_lshl_add_u64 v[50:51], v[34:35], 1, v[48:49]
	global_load_ushort v50, v[50:51], off
	s_waitcnt vmcnt(0)
	v_mul_f16_e32 v50, s33, v50
	v_cvt_f32_f16_e32 v50, v50
	s_branch .LBB275_114
.LBB275_113:
	v_mov_b32_e32 v50, 0
.LBB275_114:
	v_pk_add_f16 v51, v18, v30
	v_max_f16_e32 v108, v107, v107
	v_pk_add_f16 v109, v19, v31
	v_min_f16_e32 v108, v108, v51
	v_lshrrev_b32_e32 v107, 16, v107
	v_lshrrev_b32_e32 v51, 16, v51
	;; [unrolled: 1-line block ×3, first 2 shown]
	v_min3_f16 v51, v107, v51, v110
	v_min3_f16 v51, v108, v109, v51
	v_cvt_f32_f16_e32 v51, v51
	v_max_f32_e32 v50, v50, v50
	v_min_f32_e32 v50, v50, v51
	v_cvt_f16_f32_e32 v107, v50
	v_lshl_add_u64 v[50:51], v[34:35], 1, v[28:29]
	global_store_short v[50:51], v107, off
	s_or_b64 exec, exec, s[26:27]
	s_and_b64 s[30:31], s[6:7], s[18:19]
	s_and_saveexec_b64 s[26:27], s[30:31]
	s_cbranch_execz .LBB275_102
.LBB275_115:
	s_and_b64 vcc, exec, s[0:1]
	s_cbranch_vccnz .LBB275_117
; %bb.116:
	v_lshl_add_u64 v[50:51], v[36:37], 1, v[48:49]
	global_load_ushort v50, v[50:51], off
	s_waitcnt vmcnt(0)
	v_mul_f16_e32 v50, s33, v50
	v_cvt_f32_f16_e32 v50, v50
	s_branch .LBB275_118
.LBB275_117:
	v_mov_b32_e32 v50, 0
.LBB275_118:
	v_pk_add_f16 v51, v12, v30
	v_max_f16_e32 v107, v106, v106
	v_pk_add_f16 v108, v13, v31
	v_min_f16_e32 v107, v107, v51
	v_lshrrev_b32_e32 v106, 16, v106
	v_lshrrev_b32_e32 v51, 16, v51
	v_lshrrev_b32_e32 v109, 16, v108
	v_min3_f16 v51, v106, v51, v109
	v_min3_f16 v51, v107, v108, v51
	v_cvt_f32_f16_e32 v51, v51
	v_max_f32_e32 v50, v50, v50
	v_min_f32_e32 v50, v50, v51
	v_cvt_f16_f32_e32 v106, v50
	v_lshl_add_u64 v[50:51], v[36:37], 1, v[28:29]
	global_store_short v[50:51], v106, off
	s_or_b64 exec, exec, s[26:27]
	s_and_b64 s[30:31], s[8:9], s[18:19]
	s_and_saveexec_b64 s[26:27], s[30:31]
	s_cbranch_execz .LBB275_103
.LBB275_119:
	s_and_b64 vcc, exec, s[0:1]
	s_cbranch_vccnz .LBB275_121
; %bb.120:
	v_lshl_add_u64 v[50:51], v[38:39], 1, v[48:49]
	global_load_ushort v50, v[50:51], off
	s_waitcnt vmcnt(0)
	v_mul_f16_e32 v50, s33, v50
	v_cvt_f32_f16_e32 v50, v50
	s_branch .LBB275_122
.LBB275_121:
	v_mov_b32_e32 v50, 0
.LBB275_122:
	v_pk_add_f16 v51, v14, v30
	v_max_f16_e32 v106, v105, v105
	v_pk_add_f16 v107, v15, v31
	v_min_f16_e32 v106, v106, v51
	v_lshrrev_b32_e32 v105, 16, v105
	v_lshrrev_b32_e32 v51, 16, v51
	;; [unrolled: 1-line block ×3, first 2 shown]
	v_min3_f16 v51, v105, v51, v108
	v_min3_f16 v51, v106, v107, v51
	v_cvt_f32_f16_e32 v51, v51
	v_max_f32_e32 v50, v50, v50
	v_min_f32_e32 v50, v50, v51
	v_cvt_f16_f32_e32 v105, v50
	v_lshl_add_u64 v[50:51], v[38:39], 1, v[28:29]
	global_store_short v[50:51], v105, off
	s_or_b64 exec, exec, s[26:27]
	s_and_b64 s[30:31], s[10:11], s[18:19]
	s_and_saveexec_b64 s[26:27], s[30:31]
	s_cbranch_execz .LBB275_104
.LBB275_123:
	s_and_b64 vcc, exec, s[0:1]
	s_cbranch_vccnz .LBB275_125
; %bb.124:
	v_lshl_add_u64 v[50:51], v[40:41], 1, v[48:49]
	global_load_ushort v50, v[50:51], off
	s_waitcnt vmcnt(0)
	v_mul_f16_e32 v50, s33, v50
	v_cvt_f32_f16_e32 v50, v50
	s_branch .LBB275_126
.LBB275_125:
	v_mov_b32_e32 v50, 0
.LBB275_126:
	v_pk_add_f16 v51, v8, v30
	v_max_f16_e32 v105, v104, v104
	v_pk_add_f16 v106, v9, v31
	v_min_f16_e32 v105, v105, v51
	v_lshrrev_b32_e32 v104, 16, v104
	v_lshrrev_b32_e32 v51, 16, v51
	;; [unrolled: 1-line block ×3, first 2 shown]
	v_min3_f16 v51, v104, v51, v107
	v_min3_f16 v51, v105, v106, v51
	v_cvt_f32_f16_e32 v51, v51
	v_max_f32_e32 v50, v50, v50
	v_min_f32_e32 v50, v50, v51
	v_cvt_f16_f32_e32 v104, v50
	v_lshl_add_u64 v[50:51], v[40:41], 1, v[28:29]
	global_store_short v[50:51], v104, off
	s_or_b64 exec, exec, s[26:27]
	s_and_b64 s[30:31], s[12:13], s[18:19]
	s_and_saveexec_b64 s[26:27], s[30:31]
	s_cbranch_execz .LBB275_105
.LBB275_127:
	s_and_b64 vcc, exec, s[0:1]
	s_cbranch_vccnz .LBB275_129
; %bb.128:
	v_lshl_add_u64 v[50:51], v[42:43], 1, v[48:49]
	global_load_ushort v50, v[50:51], off
	s_waitcnt vmcnt(0)
	v_mul_f16_e32 v50, s33, v50
	v_cvt_f32_f16_e32 v50, v50
	s_branch .LBB275_130
.LBB275_129:
	v_mov_b32_e32 v50, 0
.LBB275_130:
	v_pk_add_f16 v51, v10, v30
	v_max_f16_e32 v104, v103, v103
	v_pk_add_f16 v105, v11, v31
	v_min_f16_e32 v104, v104, v51
	v_lshrrev_b32_e32 v103, 16, v103
	v_lshrrev_b32_e32 v51, 16, v51
	;; [unrolled: 1-line block ×3, first 2 shown]
	v_min3_f16 v51, v103, v51, v106
	v_min3_f16 v51, v104, v105, v51
	v_cvt_f32_f16_e32 v51, v51
	v_max_f32_e32 v50, v50, v50
	v_min_f32_e32 v50, v50, v51
	v_cvt_f16_f32_e32 v103, v50
	v_lshl_add_u64 v[50:51], v[42:43], 1, v[28:29]
	global_store_short v[50:51], v103, off
	s_or_b64 exec, exec, s[26:27]
	s_and_b64 s[30:31], s[14:15], s[18:19]
	s_and_saveexec_b64 s[26:27], s[30:31]
	s_cbranch_execz .LBB275_106
.LBB275_131:
	s_and_b64 vcc, exec, s[0:1]
	s_cbranch_vccnz .LBB275_133
; %bb.132:
	v_lshl_add_u64 v[50:51], v[44:45], 1, v[48:49]
	global_load_ushort v50, v[50:51], off
	s_waitcnt vmcnt(0)
	v_mul_f16_e32 v50, s33, v50
	v_cvt_f32_f16_e32 v50, v50
	s_branch .LBB275_134
.LBB275_133:
	v_mov_b32_e32 v50, 0
.LBB275_134:
	v_pk_add_f16 v51, v0, v30
	v_max_f16_e32 v103, v102, v102
	v_pk_add_f16 v104, v1, v31
	v_min_f16_e32 v103, v103, v51
	v_lshrrev_b32_e32 v102, 16, v102
	v_lshrrev_b32_e32 v51, 16, v51
	;; [unrolled: 1-line block ×3, first 2 shown]
	v_min3_f16 v51, v102, v51, v105
	v_min3_f16 v51, v103, v104, v51
	v_cvt_f32_f16_e32 v51, v51
	v_max_f32_e32 v50, v50, v50
	v_min_f32_e32 v50, v50, v51
	v_cvt_f16_f32_e32 v102, v50
	v_lshl_add_u64 v[50:51], v[44:45], 1, v[28:29]
	global_store_short v[50:51], v102, off
	s_or_b64 exec, exec, s[26:27]
	s_and_b64 s[26:27], s[16:17], s[18:19]
	s_and_saveexec_b64 s[18:19], s[26:27]
	s_cbranch_execz .LBB275_139
.LBB275_135:
	s_and_b64 vcc, exec, s[0:1]
	s_cbranch_vccnz .LBB275_137
; %bb.136:
	v_lshl_add_u64 v[48:49], v[46:47], 1, v[48:49]
	global_load_ushort v48, v[48:49], off
	s_waitcnt vmcnt(0)
	v_mul_f16_e32 v48, s33, v48
	v_cvt_f32_f16_e32 v48, v48
	s_branch .LBB275_138
.LBB275_137:
	v_mov_b32_e32 v48, 0
.LBB275_138:
	v_pk_add_f16 v30, v2, v30
	v_max_f16_e32 v49, v101, v101
	v_pk_add_f16 v31, v3, v31
	v_min_f16_e32 v49, v49, v30
	v_lshrrev_b32_e32 v50, 16, v101
	v_lshrrev_b32_e32 v30, 16, v30
	;; [unrolled: 1-line block ×3, first 2 shown]
	v_min3_f16 v30, v50, v30, v51
	v_min3_f16 v30, v49, v31, v30
	v_cvt_f32_f16_e32 v30, v30
	v_max_f32_e32 v31, v48, v48
	v_lshl_add_u64 v[28:29], v[46:47], 1, v[28:29]
	v_min_f32_e32 v30, v31, v30
	v_cvt_f16_f32_e32 v30, v30
	global_store_short v[28:29], v30, off
.LBB275_139:
	s_or_b64 exec, exec, s[18:19]
	v_add_u32_e32 v48, 64, v92
	v_mad_i64_i32 v[28:29], s[26:27], v48, s29, 0
	v_cmp_gt_i32_e64 s[18:19], s21, v48
	v_lshl_add_u64 v[30:31], v[28:29], 1, s[24:25]
	v_mad_i64_i32 v[28:29], s[26:27], v48, s28, 0
	v_lshl_add_u64 v[28:29], v[28:29], 1, s[22:23]
	s_and_b64 s[30:31], s[2:3], s[18:19]
	s_and_saveexec_b64 s[26:27], s[30:31]
	s_cbranch_execnz .LBB275_147
; %bb.140:
	s_or_b64 exec, exec, s[26:27]
	s_and_b64 s[30:31], s[4:5], s[18:19]
	s_and_saveexec_b64 s[26:27], s[30:31]
	s_cbranch_execnz .LBB275_151
.LBB275_141:
	s_or_b64 exec, exec, s[26:27]
	s_and_b64 s[30:31], s[6:7], s[18:19]
	s_and_saveexec_b64 s[26:27], s[30:31]
	s_cbranch_execnz .LBB275_155
.LBB275_142:
	s_or_b64 exec, exec, s[26:27]
	s_and_b64 s[30:31], s[8:9], s[18:19]
	s_and_saveexec_b64 s[26:27], s[30:31]
	s_cbranch_execnz .LBB275_159
.LBB275_143:
	s_or_b64 exec, exec, s[26:27]
	s_and_b64 s[30:31], s[10:11], s[18:19]
	s_and_saveexec_b64 s[26:27], s[30:31]
	s_cbranch_execnz .LBB275_163
.LBB275_144:
	s_or_b64 exec, exec, s[26:27]
	s_and_b64 s[30:31], s[12:13], s[18:19]
	s_and_saveexec_b64 s[26:27], s[30:31]
	s_cbranch_execnz .LBB275_167
.LBB275_145:
	s_or_b64 exec, exec, s[26:27]
	s_and_b64 s[30:31], s[14:15], s[18:19]
	s_and_saveexec_b64 s[26:27], s[30:31]
	s_cbranch_execnz .LBB275_171
.LBB275_146:
	s_or_b64 exec, exec, s[26:27]
	s_and_b64 s[26:27], s[16:17], s[18:19]
	s_and_saveexec_b64 s[18:19], s[26:27]
	s_cbranch_execnz .LBB275_175
	s_branch .LBB275_179
.LBB275_147:
	s_and_b64 vcc, exec, s[0:1]
	s_cbranch_vccnz .LBB275_149
; %bb.148:
	v_lshl_add_u64 v[48:49], v[32:33], 1, v[30:31]
	global_load_ushort v48, v[48:49], off
	s_waitcnt vmcnt(0)
	v_mul_f16_e32 v48, s33, v48
	v_cvt_f32_f16_e32 v48, v48
	s_branch .LBB275_150
.LBB275_149:
	v_mov_b32_e32 v48, 0
.LBB275_150:
	s_waitcnt lgkmcnt(2)
	v_pk_add_f16 v49, v16, v24
	v_max_f16_e32 v50, v100, v100
	v_lshrrev_b32_e32 v51, 16, v100
	v_pk_add_f16 v100, v17, v25
	v_min_f16_e32 v50, v50, v49
	v_lshrrev_b32_e32 v49, 16, v49
	v_lshrrev_b32_e32 v101, 16, v100
	v_min3_f16 v49, v51, v49, v101
	v_min3_f16 v49, v50, v100, v49
	v_cvt_f32_f16_e32 v49, v49
	v_max_f32_e32 v48, v48, v48
	v_min_f32_e32 v48, v48, v49
	v_cvt_f16_f32_e32 v50, v48
	v_lshl_add_u64 v[48:49], v[32:33], 1, v[28:29]
	global_store_short v[48:49], v50, off
	s_or_b64 exec, exec, s[26:27]
	s_and_b64 s[30:31], s[4:5], s[18:19]
	s_and_saveexec_b64 s[26:27], s[30:31]
	s_cbranch_execz .LBB275_141
.LBB275_151:
	s_and_b64 vcc, exec, s[0:1]
	s_cbranch_vccnz .LBB275_153
; %bb.152:
	v_lshl_add_u64 v[48:49], v[34:35], 1, v[30:31]
	global_load_ushort v48, v[48:49], off
	s_waitcnt vmcnt(0)
	v_mul_f16_e32 v48, s33, v48
	v_cvt_f32_f16_e32 v48, v48
	s_branch .LBB275_154
.LBB275_153:
	v_mov_b32_e32 v48, 0
.LBB275_154:
	s_waitcnt lgkmcnt(2)
	v_pk_add_f16 v49, v18, v24
	v_max_f16_e32 v50, v99, v99
	v_lshrrev_b32_e32 v51, 16, v99
	v_pk_add_f16 v99, v19, v25
	v_min_f16_e32 v50, v50, v49
	v_lshrrev_b32_e32 v49, 16, v49
	v_lshrrev_b32_e32 v100, 16, v99
	v_min3_f16 v49, v51, v49, v100
	v_min3_f16 v49, v50, v99, v49
	v_cvt_f32_f16_e32 v49, v49
	v_max_f32_e32 v48, v48, v48
	v_min_f32_e32 v48, v48, v49
	v_cvt_f16_f32_e32 v50, v48
	v_lshl_add_u64 v[48:49], v[34:35], 1, v[28:29]
	global_store_short v[48:49], v50, off
	s_or_b64 exec, exec, s[26:27]
	s_and_b64 s[30:31], s[6:7], s[18:19]
	s_and_saveexec_b64 s[26:27], s[30:31]
	s_cbranch_execz .LBB275_142
.LBB275_155:
	s_and_b64 vcc, exec, s[0:1]
	s_cbranch_vccnz .LBB275_157
; %bb.156:
	v_lshl_add_u64 v[48:49], v[36:37], 1, v[30:31]
	global_load_ushort v48, v[48:49], off
	s_waitcnt vmcnt(0)
	v_mul_f16_e32 v48, s33, v48
	v_cvt_f32_f16_e32 v48, v48
	s_branch .LBB275_158
.LBB275_157:
	v_mov_b32_e32 v48, 0
.LBB275_158:
	s_waitcnt lgkmcnt(2)
	v_pk_add_f16 v49, v12, v24
	v_max_f16_e32 v50, v98, v98
	v_lshrrev_b32_e32 v51, 16, v98
	v_pk_add_f16 v98, v13, v25
	v_min_f16_e32 v50, v50, v49
	v_lshrrev_b32_e32 v49, 16, v49
	v_lshrrev_b32_e32 v99, 16, v98
	v_min3_f16 v49, v51, v49, v99
	v_min3_f16 v49, v50, v98, v49
	v_cvt_f32_f16_e32 v49, v49
	v_max_f32_e32 v48, v48, v48
	v_min_f32_e32 v48, v48, v49
	v_cvt_f16_f32_e32 v50, v48
	v_lshl_add_u64 v[48:49], v[36:37], 1, v[28:29]
	global_store_short v[48:49], v50, off
	s_or_b64 exec, exec, s[26:27]
	s_and_b64 s[30:31], s[8:9], s[18:19]
	s_and_saveexec_b64 s[26:27], s[30:31]
	s_cbranch_execz .LBB275_143
.LBB275_159:
	s_and_b64 vcc, exec, s[0:1]
	s_cbranch_vccnz .LBB275_161
; %bb.160:
	v_lshl_add_u64 v[48:49], v[38:39], 1, v[30:31]
	global_load_ushort v48, v[48:49], off
	s_waitcnt vmcnt(0)
	v_mul_f16_e32 v48, s33, v48
	v_cvt_f32_f16_e32 v48, v48
	s_branch .LBB275_162
.LBB275_161:
	v_mov_b32_e32 v48, 0
.LBB275_162:
	s_waitcnt lgkmcnt(2)
	v_pk_add_f16 v49, v14, v24
	v_max_f16_e32 v50, v97, v97
	v_lshrrev_b32_e32 v51, 16, v97
	v_pk_add_f16 v97, v15, v25
	v_min_f16_e32 v50, v50, v49
	v_lshrrev_b32_e32 v49, 16, v49
	v_lshrrev_b32_e32 v98, 16, v97
	v_min3_f16 v49, v51, v49, v98
	v_min3_f16 v49, v50, v97, v49
	v_cvt_f32_f16_e32 v49, v49
	v_max_f32_e32 v48, v48, v48
	v_min_f32_e32 v48, v48, v49
	v_cvt_f16_f32_e32 v50, v48
	v_lshl_add_u64 v[48:49], v[38:39], 1, v[28:29]
	global_store_short v[48:49], v50, off
	s_or_b64 exec, exec, s[26:27]
	s_and_b64 s[30:31], s[10:11], s[18:19]
	s_and_saveexec_b64 s[26:27], s[30:31]
	s_cbranch_execz .LBB275_144
.LBB275_163:
	s_and_b64 vcc, exec, s[0:1]
	s_cbranch_vccnz .LBB275_165
; %bb.164:
	v_lshl_add_u64 v[48:49], v[40:41], 1, v[30:31]
	global_load_ushort v48, v[48:49], off
	s_waitcnt vmcnt(0)
	v_mul_f16_e32 v48, s33, v48
	v_cvt_f32_f16_e32 v48, v48
	s_branch .LBB275_166
.LBB275_165:
	v_mov_b32_e32 v48, 0
.LBB275_166:
	s_waitcnt lgkmcnt(2)
	v_pk_add_f16 v49, v8, v24
	v_max_f16_e32 v50, v96, v96
	v_lshrrev_b32_e32 v51, 16, v96
	v_pk_add_f16 v96, v9, v25
	v_min_f16_e32 v50, v50, v49
	v_lshrrev_b32_e32 v49, 16, v49
	v_lshrrev_b32_e32 v97, 16, v96
	v_min3_f16 v49, v51, v49, v97
	v_min3_f16 v49, v50, v96, v49
	v_cvt_f32_f16_e32 v49, v49
	v_max_f32_e32 v48, v48, v48
	v_min_f32_e32 v48, v48, v49
	v_cvt_f16_f32_e32 v50, v48
	v_lshl_add_u64 v[48:49], v[40:41], 1, v[28:29]
	global_store_short v[48:49], v50, off
	s_or_b64 exec, exec, s[26:27]
	s_and_b64 s[30:31], s[12:13], s[18:19]
	s_and_saveexec_b64 s[26:27], s[30:31]
	s_cbranch_execz .LBB275_145
.LBB275_167:
	s_and_b64 vcc, exec, s[0:1]
	s_cbranch_vccnz .LBB275_169
; %bb.168:
	v_lshl_add_u64 v[48:49], v[42:43], 1, v[30:31]
	global_load_ushort v48, v[48:49], off
	s_waitcnt vmcnt(0)
	v_mul_f16_e32 v48, s33, v48
	v_cvt_f32_f16_e32 v48, v48
	s_branch .LBB275_170
.LBB275_169:
	v_mov_b32_e32 v48, 0
.LBB275_170:
	s_waitcnt lgkmcnt(2)
	v_pk_add_f16 v49, v10, v24
	v_max_f16_e32 v50, v95, v95
	v_lshrrev_b32_e32 v51, 16, v95
	v_pk_add_f16 v95, v11, v25
	v_min_f16_e32 v50, v50, v49
	v_lshrrev_b32_e32 v49, 16, v49
	v_lshrrev_b32_e32 v96, 16, v95
	v_min3_f16 v49, v51, v49, v96
	v_min3_f16 v49, v50, v95, v49
	v_cvt_f32_f16_e32 v49, v49
	v_max_f32_e32 v48, v48, v48
	v_min_f32_e32 v48, v48, v49
	v_cvt_f16_f32_e32 v50, v48
	v_lshl_add_u64 v[48:49], v[42:43], 1, v[28:29]
	global_store_short v[48:49], v50, off
	s_or_b64 exec, exec, s[26:27]
	s_and_b64 s[30:31], s[14:15], s[18:19]
	s_and_saveexec_b64 s[26:27], s[30:31]
	s_cbranch_execz .LBB275_146
.LBB275_171:
	s_and_b64 vcc, exec, s[0:1]
	s_cbranch_vccnz .LBB275_173
; %bb.172:
	v_lshl_add_u64 v[48:49], v[44:45], 1, v[30:31]
	global_load_ushort v48, v[48:49], off
	s_waitcnt vmcnt(0)
	v_mul_f16_e32 v48, s33, v48
	v_cvt_f32_f16_e32 v48, v48
	s_branch .LBB275_174
.LBB275_173:
	v_mov_b32_e32 v48, 0
.LBB275_174:
	s_waitcnt lgkmcnt(2)
	v_pk_add_f16 v49, v0, v24
	v_max_f16_e32 v50, v94, v94
	v_lshrrev_b32_e32 v51, 16, v94
	v_pk_add_f16 v94, v1, v25
	v_min_f16_e32 v50, v50, v49
	v_lshrrev_b32_e32 v49, 16, v49
	v_lshrrev_b32_e32 v95, 16, v94
	v_min3_f16 v49, v51, v49, v95
	v_min3_f16 v49, v50, v94, v49
	v_cvt_f32_f16_e32 v49, v49
	v_max_f32_e32 v48, v48, v48
	v_min_f32_e32 v48, v48, v49
	v_cvt_f16_f32_e32 v50, v48
	v_lshl_add_u64 v[48:49], v[44:45], 1, v[28:29]
	global_store_short v[48:49], v50, off
	s_or_b64 exec, exec, s[26:27]
	s_and_b64 s[26:27], s[16:17], s[18:19]
	s_and_saveexec_b64 s[18:19], s[26:27]
	s_cbranch_execz .LBB275_179
.LBB275_175:
	s_and_b64 vcc, exec, s[0:1]
	s_cbranch_vccnz .LBB275_177
; %bb.176:
	v_lshl_add_u64 v[30:31], v[46:47], 1, v[30:31]
	global_load_ushort v30, v[30:31], off
	s_waitcnt vmcnt(0)
	v_mul_f16_e32 v30, s33, v30
	v_cvt_f32_f16_e32 v30, v30
	s_branch .LBB275_178
.LBB275_177:
	v_mov_b32_e32 v30, 0
.LBB275_178:
	s_waitcnt lgkmcnt(2)
	v_pk_add_f16 v24, v2, v24
	v_max_f16_e32 v31, v93, v93
	v_pk_add_f16 v25, v3, v25
	v_min_f16_e32 v31, v31, v24
	v_lshrrev_b32_e32 v48, 16, v93
	v_lshrrev_b32_e32 v24, 16, v24
	;; [unrolled: 1-line block ×3, first 2 shown]
	v_min3_f16 v24, v48, v24, v49
	v_min3_f16 v24, v31, v25, v24
	v_cvt_f32_f16_e32 v24, v24
	v_max_f32_e32 v25, v30, v30
	v_min_f32_e32 v24, v25, v24
	v_cvt_f16_f32_e32 v30, v24
	v_lshl_add_u64 v[24:25], v[46:47], 1, v[28:29]
	global_store_short v[24:25], v30, off
.LBB275_179:
	s_or_b64 exec, exec, s[18:19]
	v_add_u32_e32 v30, 0x60, v92
	s_waitcnt lgkmcnt(2)
	v_mad_i64_i32 v[24:25], s[26:27], v30, s29, 0
	v_cmp_gt_i32_e64 s[18:19], s21, v30
	v_lshl_add_u64 v[28:29], v[24:25], 1, s[24:25]
	v_mad_i64_i32 v[24:25], s[26:27], v30, s28, 0
	v_lshl_add_u64 v[24:25], v[24:25], 1, s[22:23]
	s_and_b64 s[30:31], s[2:3], s[18:19]
	s_and_saveexec_b64 s[26:27], s[30:31]
	s_cbranch_execnz .LBB275_187
; %bb.180:
	s_or_b64 exec, exec, s[26:27]
	s_and_b64 s[30:31], s[4:5], s[18:19]
	s_and_saveexec_b64 s[26:27], s[30:31]
	s_cbranch_execnz .LBB275_191
.LBB275_181:
	s_or_b64 exec, exec, s[26:27]
	s_and_b64 s[30:31], s[6:7], s[18:19]
	s_and_saveexec_b64 s[26:27], s[30:31]
	s_cbranch_execnz .LBB275_195
.LBB275_182:
	s_or_b64 exec, exec, s[26:27]
	s_and_b64 s[30:31], s[8:9], s[18:19]
	s_and_saveexec_b64 s[26:27], s[30:31]
	s_cbranch_execnz .LBB275_199
.LBB275_183:
	s_or_b64 exec, exec, s[26:27]
	s_and_b64 s[30:31], s[10:11], s[18:19]
	s_and_saveexec_b64 s[26:27], s[30:31]
	s_cbranch_execnz .LBB275_203
.LBB275_184:
	s_or_b64 exec, exec, s[26:27]
	s_and_b64 s[30:31], s[12:13], s[18:19]
	s_and_saveexec_b64 s[26:27], s[30:31]
	s_cbranch_execnz .LBB275_207
.LBB275_185:
	s_or_b64 exec, exec, s[26:27]
	s_and_b64 s[30:31], s[14:15], s[18:19]
	s_and_saveexec_b64 s[26:27], s[30:31]
	s_cbranch_execnz .LBB275_211
.LBB275_186:
	s_or_b64 exec, exec, s[26:27]
	s_and_b64 s[26:27], s[16:17], s[18:19]
	s_and_saveexec_b64 s[18:19], s[26:27]
	s_cbranch_execnz .LBB275_215
	s_branch .LBB275_219
.LBB275_187:
	s_and_b64 vcc, exec, s[0:1]
	s_cbranch_vccnz .LBB275_189
; %bb.188:
	v_lshl_add_u64 v[30:31], v[32:33], 1, v[28:29]
	global_load_ushort v30, v[30:31], off
	s_waitcnt vmcnt(0)
	v_mul_f16_e32 v30, s33, v30
	v_cvt_f32_f16_e32 v30, v30
	s_branch .LBB275_190
.LBB275_189:
	v_mov_b32_e32 v30, 0
.LBB275_190:
	v_pk_add_f16 v31, v16, v26
	v_max_f16_e32 v48, v91, v91
	v_pk_add_f16 v50, v17, v27
	v_min_f16_e32 v48, v48, v31
	v_lshrrev_b32_e32 v49, 16, v91
	v_lshrrev_b32_e32 v31, 16, v31
	;; [unrolled: 1-line block ×3, first 2 shown]
	v_min3_f16 v31, v49, v31, v51
	v_min3_f16 v31, v48, v50, v31
	v_cvt_f32_f16_e32 v31, v31
	v_max_f32_e32 v30, v30, v30
	v_min_f32_e32 v30, v30, v31
	v_cvt_f16_f32_e32 v48, v30
	v_lshl_add_u64 v[30:31], v[32:33], 1, v[24:25]
	global_store_short v[30:31], v48, off
	s_or_b64 exec, exec, s[26:27]
	s_and_b64 s[30:31], s[4:5], s[18:19]
	s_and_saveexec_b64 s[26:27], s[30:31]
	s_cbranch_execz .LBB275_181
.LBB275_191:
	s_and_b64 vcc, exec, s[0:1]
	s_cbranch_vccnz .LBB275_193
; %bb.192:
	v_lshl_add_u64 v[30:31], v[34:35], 1, v[28:29]
	global_load_ushort v30, v[30:31], off
	s_waitcnt vmcnt(0)
	v_mul_f16_e32 v30, s33, v30
	v_cvt_f32_f16_e32 v30, v30
	s_branch .LBB275_194
.LBB275_193:
	v_mov_b32_e32 v30, 0
.LBB275_194:
	v_pk_add_f16 v31, v18, v26
	v_max_f16_e32 v48, v90, v90
	v_pk_add_f16 v50, v19, v27
	v_min_f16_e32 v48, v48, v31
	v_lshrrev_b32_e32 v49, 16, v90
	v_lshrrev_b32_e32 v31, 16, v31
	;; [unrolled: 1-line block ×3, first 2 shown]
	v_min3_f16 v31, v49, v31, v51
	v_min3_f16 v31, v48, v50, v31
	v_cvt_f32_f16_e32 v31, v31
	v_max_f32_e32 v30, v30, v30
	v_min_f32_e32 v30, v30, v31
	v_cvt_f16_f32_e32 v48, v30
	v_lshl_add_u64 v[30:31], v[34:35], 1, v[24:25]
	global_store_short v[30:31], v48, off
	s_or_b64 exec, exec, s[26:27]
	s_and_b64 s[30:31], s[6:7], s[18:19]
	s_and_saveexec_b64 s[26:27], s[30:31]
	s_cbranch_execz .LBB275_182
.LBB275_195:
	s_and_b64 vcc, exec, s[0:1]
	s_cbranch_vccnz .LBB275_197
; %bb.196:
	v_lshl_add_u64 v[30:31], v[36:37], 1, v[28:29]
	global_load_ushort v30, v[30:31], off
	s_waitcnt vmcnt(0)
	v_mul_f16_e32 v30, s33, v30
	v_cvt_f32_f16_e32 v30, v30
	s_branch .LBB275_198
.LBB275_197:
	v_mov_b32_e32 v30, 0
.LBB275_198:
	v_pk_add_f16 v31, v12, v26
	v_max_f16_e32 v48, v89, v89
	v_pk_add_f16 v50, v13, v27
	v_min_f16_e32 v48, v48, v31
	v_lshrrev_b32_e32 v49, 16, v89
	v_lshrrev_b32_e32 v31, 16, v31
	;; [unrolled: 1-line block ×3, first 2 shown]
	v_min3_f16 v31, v49, v31, v51
	v_min3_f16 v31, v48, v50, v31
	v_cvt_f32_f16_e32 v31, v31
	v_max_f32_e32 v30, v30, v30
	v_min_f32_e32 v30, v30, v31
	v_cvt_f16_f32_e32 v48, v30
	v_lshl_add_u64 v[30:31], v[36:37], 1, v[24:25]
	global_store_short v[30:31], v48, off
	s_or_b64 exec, exec, s[26:27]
	s_and_b64 s[30:31], s[8:9], s[18:19]
	s_and_saveexec_b64 s[26:27], s[30:31]
	s_cbranch_execz .LBB275_183
.LBB275_199:
	s_and_b64 vcc, exec, s[0:1]
	s_cbranch_vccnz .LBB275_201
; %bb.200:
	v_lshl_add_u64 v[30:31], v[38:39], 1, v[28:29]
	global_load_ushort v30, v[30:31], off
	s_waitcnt vmcnt(0)
	v_mul_f16_e32 v30, s33, v30
	v_cvt_f32_f16_e32 v30, v30
	s_branch .LBB275_202
.LBB275_201:
	v_mov_b32_e32 v30, 0
.LBB275_202:
	v_pk_add_f16 v31, v14, v26
	v_max_f16_e32 v48, v88, v88
	v_pk_add_f16 v50, v15, v27
	v_min_f16_e32 v48, v48, v31
	v_lshrrev_b32_e32 v49, 16, v88
	v_lshrrev_b32_e32 v31, 16, v31
	;; [unrolled: 1-line block ×3, first 2 shown]
	v_min3_f16 v31, v49, v31, v51
	v_min3_f16 v31, v48, v50, v31
	v_cvt_f32_f16_e32 v31, v31
	v_max_f32_e32 v30, v30, v30
	v_min_f32_e32 v30, v30, v31
	v_cvt_f16_f32_e32 v48, v30
	v_lshl_add_u64 v[30:31], v[38:39], 1, v[24:25]
	global_store_short v[30:31], v48, off
	s_or_b64 exec, exec, s[26:27]
	s_and_b64 s[30:31], s[10:11], s[18:19]
	s_and_saveexec_b64 s[26:27], s[30:31]
	s_cbranch_execz .LBB275_184
.LBB275_203:
	s_and_b64 vcc, exec, s[0:1]
	s_cbranch_vccnz .LBB275_205
; %bb.204:
	v_lshl_add_u64 v[30:31], v[40:41], 1, v[28:29]
	global_load_ushort v30, v[30:31], off
	s_waitcnt vmcnt(0)
	v_mul_f16_e32 v30, s33, v30
	v_cvt_f32_f16_e32 v30, v30
	s_branch .LBB275_206
.LBB275_205:
	v_mov_b32_e32 v30, 0
.LBB275_206:
	v_pk_add_f16 v31, v8, v26
	v_max_f16_e32 v48, v87, v87
	v_pk_add_f16 v50, v9, v27
	v_min_f16_e32 v48, v48, v31
	v_lshrrev_b32_e32 v49, 16, v87
	v_lshrrev_b32_e32 v31, 16, v31
	;; [unrolled: 1-line block ×3, first 2 shown]
	v_min3_f16 v31, v49, v31, v51
	v_min3_f16 v31, v48, v50, v31
	v_cvt_f32_f16_e32 v31, v31
	v_max_f32_e32 v30, v30, v30
	v_min_f32_e32 v30, v30, v31
	v_cvt_f16_f32_e32 v48, v30
	v_lshl_add_u64 v[30:31], v[40:41], 1, v[24:25]
	global_store_short v[30:31], v48, off
	s_or_b64 exec, exec, s[26:27]
	s_and_b64 s[30:31], s[12:13], s[18:19]
	s_and_saveexec_b64 s[26:27], s[30:31]
	s_cbranch_execz .LBB275_185
.LBB275_207:
	s_and_b64 vcc, exec, s[0:1]
	s_cbranch_vccnz .LBB275_209
; %bb.208:
	v_lshl_add_u64 v[30:31], v[42:43], 1, v[28:29]
	global_load_ushort v30, v[30:31], off
	s_waitcnt vmcnt(0)
	v_mul_f16_e32 v30, s33, v30
	v_cvt_f32_f16_e32 v30, v30
	s_branch .LBB275_210
.LBB275_209:
	v_mov_b32_e32 v30, 0
.LBB275_210:
	v_pk_add_f16 v31, v10, v26
	v_max_f16_e32 v48, v86, v86
	v_pk_add_f16 v50, v11, v27
	v_min_f16_e32 v48, v48, v31
	v_lshrrev_b32_e32 v49, 16, v86
	v_lshrrev_b32_e32 v31, 16, v31
	;; [unrolled: 1-line block ×3, first 2 shown]
	v_min3_f16 v31, v49, v31, v51
	v_min3_f16 v31, v48, v50, v31
	v_cvt_f32_f16_e32 v31, v31
	v_max_f32_e32 v30, v30, v30
	v_min_f32_e32 v30, v30, v31
	v_cvt_f16_f32_e32 v48, v30
	v_lshl_add_u64 v[30:31], v[42:43], 1, v[24:25]
	global_store_short v[30:31], v48, off
	s_or_b64 exec, exec, s[26:27]
	s_and_b64 s[30:31], s[14:15], s[18:19]
	s_and_saveexec_b64 s[26:27], s[30:31]
	s_cbranch_execz .LBB275_186
.LBB275_211:
	s_and_b64 vcc, exec, s[0:1]
	s_cbranch_vccnz .LBB275_213
; %bb.212:
	v_lshl_add_u64 v[30:31], v[44:45], 1, v[28:29]
	global_load_ushort v30, v[30:31], off
	s_waitcnt vmcnt(0)
	v_mul_f16_e32 v30, s33, v30
	v_cvt_f32_f16_e32 v30, v30
	s_branch .LBB275_214
.LBB275_213:
	v_mov_b32_e32 v30, 0
.LBB275_214:
	v_pk_add_f16 v31, v0, v26
	v_max_f16_e32 v48, v85, v85
	v_pk_add_f16 v50, v1, v27
	v_min_f16_e32 v48, v48, v31
	v_lshrrev_b32_e32 v49, 16, v85
	v_lshrrev_b32_e32 v31, 16, v31
	;; [unrolled: 1-line block ×3, first 2 shown]
	v_min3_f16 v31, v49, v31, v51
	v_min3_f16 v31, v48, v50, v31
	v_cvt_f32_f16_e32 v31, v31
	v_max_f32_e32 v30, v30, v30
	v_min_f32_e32 v30, v30, v31
	v_cvt_f16_f32_e32 v48, v30
	v_lshl_add_u64 v[30:31], v[44:45], 1, v[24:25]
	global_store_short v[30:31], v48, off
	s_or_b64 exec, exec, s[26:27]
	s_and_b64 s[26:27], s[16:17], s[18:19]
	s_and_saveexec_b64 s[18:19], s[26:27]
	s_cbranch_execz .LBB275_219
.LBB275_215:
	s_and_b64 vcc, exec, s[0:1]
	s_cbranch_vccnz .LBB275_217
; %bb.216:
	v_lshl_add_u64 v[28:29], v[46:47], 1, v[28:29]
	global_load_ushort v28, v[28:29], off
	s_waitcnt vmcnt(0)
	v_mul_f16_e32 v28, s33, v28
	v_cvt_f32_f16_e32 v28, v28
	s_branch .LBB275_218
.LBB275_217:
	v_mov_b32_e32 v28, 0
.LBB275_218:
	v_pk_add_f16 v26, v2, v26
	v_max_f16_e32 v29, v84, v84
	v_pk_add_f16 v27, v3, v27
	v_min_f16_e32 v29, v29, v26
	v_lshrrev_b32_e32 v30, 16, v84
	v_lshrrev_b32_e32 v26, 16, v26
	;; [unrolled: 1-line block ×3, first 2 shown]
	v_min3_f16 v26, v30, v26, v31
	v_min3_f16 v26, v29, v27, v26
	v_cvt_f32_f16_e32 v26, v26
	v_max_f32_e32 v27, v28, v28
	v_lshl_add_u64 v[24:25], v[46:47], 1, v[24:25]
	v_min_f32_e32 v26, v27, v26
	v_cvt_f16_f32_e32 v26, v26
	global_store_short v[24:25], v26, off
.LBB275_219:
	s_or_b64 exec, exec, s[18:19]
	v_add_u32_e32 v28, 0x80, v92
	v_mad_i64_i32 v[24:25], s[26:27], v28, s29, 0
	v_cmp_gt_i32_e64 s[18:19], s21, v28
	v_lshl_add_u64 v[26:27], v[24:25], 1, s[24:25]
	v_mad_i64_i32 v[24:25], s[26:27], v28, s28, 0
	v_lshl_add_u64 v[24:25], v[24:25], 1, s[22:23]
	s_and_b64 s[30:31], s[2:3], s[18:19]
	s_and_saveexec_b64 s[26:27], s[30:31]
	s_cbranch_execnz .LBB275_227
; %bb.220:
	s_or_b64 exec, exec, s[26:27]
	s_and_b64 s[30:31], s[4:5], s[18:19]
	s_and_saveexec_b64 s[26:27], s[30:31]
	s_cbranch_execnz .LBB275_231
.LBB275_221:
	s_or_b64 exec, exec, s[26:27]
	s_and_b64 s[30:31], s[6:7], s[18:19]
	s_and_saveexec_b64 s[26:27], s[30:31]
	s_cbranch_execnz .LBB275_235
.LBB275_222:
	s_or_b64 exec, exec, s[26:27]
	s_and_b64 s[30:31], s[8:9], s[18:19]
	s_and_saveexec_b64 s[26:27], s[30:31]
	s_cbranch_execnz .LBB275_239
.LBB275_223:
	s_or_b64 exec, exec, s[26:27]
	s_and_b64 s[30:31], s[10:11], s[18:19]
	s_and_saveexec_b64 s[26:27], s[30:31]
	s_cbranch_execnz .LBB275_243
.LBB275_224:
	s_or_b64 exec, exec, s[26:27]
	s_and_b64 s[30:31], s[12:13], s[18:19]
	s_and_saveexec_b64 s[26:27], s[30:31]
	s_cbranch_execnz .LBB275_247
.LBB275_225:
	s_or_b64 exec, exec, s[26:27]
	s_and_b64 s[30:31], s[14:15], s[18:19]
	s_and_saveexec_b64 s[26:27], s[30:31]
	s_cbranch_execnz .LBB275_251
.LBB275_226:
	s_or_b64 exec, exec, s[26:27]
	s_and_b64 s[26:27], s[16:17], s[18:19]
	s_and_saveexec_b64 s[18:19], s[26:27]
	s_cbranch_execnz .LBB275_255
	s_branch .LBB275_259
.LBB275_227:
	s_and_b64 vcc, exec, s[0:1]
	s_cbranch_vccnz .LBB275_229
; %bb.228:
	v_lshl_add_u64 v[28:29], v[32:33], 1, v[26:27]
	global_load_ushort v28, v[28:29], off
	s_waitcnt vmcnt(0)
	v_mul_f16_e32 v28, s33, v28
	v_cvt_f32_f16_e32 v28, v28
	s_branch .LBB275_230
.LBB275_229:
	v_mov_b32_e32 v28, 0
.LBB275_230:
	s_waitcnt lgkmcnt(1)
	v_pk_add_f16 v29, v16, v20
	v_max_f16_e32 v30, v83, v83
	v_pk_add_f16 v48, v17, v21
	v_min_f16_e32 v30, v30, v29
	v_lshrrev_b32_e32 v31, 16, v83
	v_lshrrev_b32_e32 v29, 16, v29
	;; [unrolled: 1-line block ×3, first 2 shown]
	v_min3_f16 v29, v31, v29, v49
	v_min3_f16 v29, v30, v48, v29
	v_cvt_f32_f16_e32 v29, v29
	v_max_f32_e32 v28, v28, v28
	v_min_f32_e32 v28, v28, v29
	v_cvt_f16_f32_e32 v30, v28
	v_lshl_add_u64 v[28:29], v[32:33], 1, v[24:25]
	global_store_short v[28:29], v30, off
	s_or_b64 exec, exec, s[26:27]
	s_and_b64 s[30:31], s[4:5], s[18:19]
	s_and_saveexec_b64 s[26:27], s[30:31]
	s_cbranch_execz .LBB275_221
.LBB275_231:
	s_and_b64 vcc, exec, s[0:1]
	s_cbranch_vccnz .LBB275_233
; %bb.232:
	v_lshl_add_u64 v[28:29], v[34:35], 1, v[26:27]
	global_load_ushort v28, v[28:29], off
	s_waitcnt vmcnt(0)
	v_mul_f16_e32 v28, s33, v28
	v_cvt_f32_f16_e32 v28, v28
	s_branch .LBB275_234
.LBB275_233:
	v_mov_b32_e32 v28, 0
.LBB275_234:
	s_waitcnt lgkmcnt(1)
	v_pk_add_f16 v29, v18, v20
	v_max_f16_e32 v30, v82, v82
	v_pk_add_f16 v48, v19, v21
	v_min_f16_e32 v30, v30, v29
	v_lshrrev_b32_e32 v31, 16, v82
	v_lshrrev_b32_e32 v29, 16, v29
	;; [unrolled: 1-line block ×3, first 2 shown]
	v_min3_f16 v29, v31, v29, v49
	v_min3_f16 v29, v30, v48, v29
	v_cvt_f32_f16_e32 v29, v29
	v_max_f32_e32 v28, v28, v28
	v_min_f32_e32 v28, v28, v29
	v_cvt_f16_f32_e32 v30, v28
	v_lshl_add_u64 v[28:29], v[34:35], 1, v[24:25]
	global_store_short v[28:29], v30, off
	s_or_b64 exec, exec, s[26:27]
	s_and_b64 s[30:31], s[6:7], s[18:19]
	s_and_saveexec_b64 s[26:27], s[30:31]
	s_cbranch_execz .LBB275_222
.LBB275_235:
	s_and_b64 vcc, exec, s[0:1]
	s_cbranch_vccnz .LBB275_237
; %bb.236:
	v_lshl_add_u64 v[28:29], v[36:37], 1, v[26:27]
	global_load_ushort v28, v[28:29], off
	s_waitcnt vmcnt(0)
	v_mul_f16_e32 v28, s33, v28
	v_cvt_f32_f16_e32 v28, v28
	s_branch .LBB275_238
.LBB275_237:
	v_mov_b32_e32 v28, 0
.LBB275_238:
	s_waitcnt lgkmcnt(1)
	v_pk_add_f16 v29, v12, v20
	v_max_f16_e32 v30, v81, v81
	v_pk_add_f16 v48, v13, v21
	v_min_f16_e32 v30, v30, v29
	v_lshrrev_b32_e32 v31, 16, v81
	v_lshrrev_b32_e32 v29, 16, v29
	;; [unrolled: 1-line block ×3, first 2 shown]
	v_min3_f16 v29, v31, v29, v49
	v_min3_f16 v29, v30, v48, v29
	v_cvt_f32_f16_e32 v29, v29
	v_max_f32_e32 v28, v28, v28
	v_min_f32_e32 v28, v28, v29
	v_cvt_f16_f32_e32 v30, v28
	v_lshl_add_u64 v[28:29], v[36:37], 1, v[24:25]
	global_store_short v[28:29], v30, off
	s_or_b64 exec, exec, s[26:27]
	s_and_b64 s[30:31], s[8:9], s[18:19]
	s_and_saveexec_b64 s[26:27], s[30:31]
	s_cbranch_execz .LBB275_223
.LBB275_239:
	s_and_b64 vcc, exec, s[0:1]
	s_cbranch_vccnz .LBB275_241
; %bb.240:
	v_lshl_add_u64 v[28:29], v[38:39], 1, v[26:27]
	global_load_ushort v28, v[28:29], off
	s_waitcnt vmcnt(0)
	v_mul_f16_e32 v28, s33, v28
	v_cvt_f32_f16_e32 v28, v28
	s_branch .LBB275_242
.LBB275_241:
	v_mov_b32_e32 v28, 0
.LBB275_242:
	s_waitcnt lgkmcnt(1)
	v_pk_add_f16 v29, v14, v20
	v_max_f16_e32 v30, v80, v80
	v_pk_add_f16 v48, v15, v21
	v_min_f16_e32 v30, v30, v29
	v_lshrrev_b32_e32 v31, 16, v80
	v_lshrrev_b32_e32 v29, 16, v29
	;; [unrolled: 1-line block ×3, first 2 shown]
	v_min3_f16 v29, v31, v29, v49
	v_min3_f16 v29, v30, v48, v29
	v_cvt_f32_f16_e32 v29, v29
	v_max_f32_e32 v28, v28, v28
	v_min_f32_e32 v28, v28, v29
	v_cvt_f16_f32_e32 v30, v28
	v_lshl_add_u64 v[28:29], v[38:39], 1, v[24:25]
	global_store_short v[28:29], v30, off
	s_or_b64 exec, exec, s[26:27]
	s_and_b64 s[30:31], s[10:11], s[18:19]
	s_and_saveexec_b64 s[26:27], s[30:31]
	s_cbranch_execz .LBB275_224
.LBB275_243:
	s_and_b64 vcc, exec, s[0:1]
	s_cbranch_vccnz .LBB275_245
; %bb.244:
	v_lshl_add_u64 v[28:29], v[40:41], 1, v[26:27]
	global_load_ushort v28, v[28:29], off
	s_waitcnt vmcnt(0)
	v_mul_f16_e32 v28, s33, v28
	v_cvt_f32_f16_e32 v28, v28
	s_branch .LBB275_246
.LBB275_245:
	v_mov_b32_e32 v28, 0
.LBB275_246:
	s_waitcnt lgkmcnt(1)
	v_pk_add_f16 v29, v8, v20
	v_max_f16_e32 v30, v79, v79
	v_pk_add_f16 v48, v9, v21
	v_min_f16_e32 v30, v30, v29
	v_lshrrev_b32_e32 v31, 16, v79
	v_lshrrev_b32_e32 v29, 16, v29
	;; [unrolled: 1-line block ×3, first 2 shown]
	v_min3_f16 v29, v31, v29, v49
	v_min3_f16 v29, v30, v48, v29
	v_cvt_f32_f16_e32 v29, v29
	v_max_f32_e32 v28, v28, v28
	v_min_f32_e32 v28, v28, v29
	v_cvt_f16_f32_e32 v30, v28
	v_lshl_add_u64 v[28:29], v[40:41], 1, v[24:25]
	global_store_short v[28:29], v30, off
	s_or_b64 exec, exec, s[26:27]
	s_and_b64 s[30:31], s[12:13], s[18:19]
	s_and_saveexec_b64 s[26:27], s[30:31]
	s_cbranch_execz .LBB275_225
.LBB275_247:
	s_and_b64 vcc, exec, s[0:1]
	s_cbranch_vccnz .LBB275_249
; %bb.248:
	v_lshl_add_u64 v[28:29], v[42:43], 1, v[26:27]
	global_load_ushort v28, v[28:29], off
	s_waitcnt vmcnt(0)
	v_mul_f16_e32 v28, s33, v28
	v_cvt_f32_f16_e32 v28, v28
	s_branch .LBB275_250
.LBB275_249:
	v_mov_b32_e32 v28, 0
.LBB275_250:
	s_waitcnt lgkmcnt(1)
	v_pk_add_f16 v29, v10, v20
	v_max_f16_e32 v30, v78, v78
	v_pk_add_f16 v48, v11, v21
	v_min_f16_e32 v30, v30, v29
	v_lshrrev_b32_e32 v31, 16, v78
	v_lshrrev_b32_e32 v29, 16, v29
	;; [unrolled: 1-line block ×3, first 2 shown]
	v_min3_f16 v29, v31, v29, v49
	v_min3_f16 v29, v30, v48, v29
	v_cvt_f32_f16_e32 v29, v29
	v_max_f32_e32 v28, v28, v28
	v_min_f32_e32 v28, v28, v29
	v_cvt_f16_f32_e32 v30, v28
	v_lshl_add_u64 v[28:29], v[42:43], 1, v[24:25]
	global_store_short v[28:29], v30, off
	s_or_b64 exec, exec, s[26:27]
	s_and_b64 s[30:31], s[14:15], s[18:19]
	s_and_saveexec_b64 s[26:27], s[30:31]
	s_cbranch_execz .LBB275_226
.LBB275_251:
	s_and_b64 vcc, exec, s[0:1]
	s_cbranch_vccnz .LBB275_253
; %bb.252:
	v_lshl_add_u64 v[28:29], v[44:45], 1, v[26:27]
	global_load_ushort v28, v[28:29], off
	s_waitcnt vmcnt(0)
	v_mul_f16_e32 v28, s33, v28
	v_cvt_f32_f16_e32 v28, v28
	s_branch .LBB275_254
.LBB275_253:
	v_mov_b32_e32 v28, 0
.LBB275_254:
	s_waitcnt lgkmcnt(1)
	v_pk_add_f16 v29, v0, v20
	v_max_f16_e32 v30, v77, v77
	v_pk_add_f16 v48, v1, v21
	v_min_f16_e32 v30, v30, v29
	v_lshrrev_b32_e32 v31, 16, v77
	v_lshrrev_b32_e32 v29, 16, v29
	;; [unrolled: 1-line block ×3, first 2 shown]
	v_min3_f16 v29, v31, v29, v49
	v_min3_f16 v29, v30, v48, v29
	v_cvt_f32_f16_e32 v29, v29
	v_max_f32_e32 v28, v28, v28
	v_min_f32_e32 v28, v28, v29
	v_cvt_f16_f32_e32 v30, v28
	v_lshl_add_u64 v[28:29], v[44:45], 1, v[24:25]
	global_store_short v[28:29], v30, off
	s_or_b64 exec, exec, s[26:27]
	s_and_b64 s[26:27], s[16:17], s[18:19]
	s_and_saveexec_b64 s[18:19], s[26:27]
	s_cbranch_execz .LBB275_259
.LBB275_255:
	s_and_b64 vcc, exec, s[0:1]
	s_cbranch_vccnz .LBB275_257
; %bb.256:
	v_lshl_add_u64 v[26:27], v[46:47], 1, v[26:27]
	global_load_ushort v26, v[26:27], off
	s_waitcnt vmcnt(0)
	v_mul_f16_e32 v26, s33, v26
	v_cvt_f32_f16_e32 v26, v26
	s_branch .LBB275_258
.LBB275_257:
	v_mov_b32_e32 v26, 0
.LBB275_258:
	s_waitcnt lgkmcnt(1)
	v_pk_add_f16 v20, v2, v20
	v_max_f16_e32 v27, v76, v76
	v_pk_add_f16 v21, v3, v21
	v_min_f16_e32 v27, v27, v20
	v_lshrrev_b32_e32 v28, 16, v76
	v_lshrrev_b32_e32 v20, 16, v20
	v_lshrrev_b32_e32 v29, 16, v21
	v_min3_f16 v20, v28, v20, v29
	v_min3_f16 v20, v27, v21, v20
	v_cvt_f32_f16_e32 v20, v20
	v_max_f32_e32 v21, v26, v26
	v_min_f32_e32 v20, v21, v20
	v_cvt_f16_f32_e32 v26, v20
	v_lshl_add_u64 v[20:21], v[46:47], 1, v[24:25]
	global_store_short v[20:21], v26, off
.LBB275_259:
	s_or_b64 exec, exec, s[18:19]
	v_add_u32_e32 v26, 0xa0, v92
	s_waitcnt lgkmcnt(1)
	v_mad_i64_i32 v[20:21], s[26:27], v26, s29, 0
	v_cmp_gt_i32_e64 s[18:19], s21, v26
	v_lshl_add_u64 v[24:25], v[20:21], 1, s[24:25]
	v_mad_i64_i32 v[20:21], s[26:27], v26, s28, 0
	v_lshl_add_u64 v[20:21], v[20:21], 1, s[22:23]
	s_and_b64 s[30:31], s[2:3], s[18:19]
	s_and_saveexec_b64 s[26:27], s[30:31]
	s_cbranch_execnz .LBB275_267
; %bb.260:
	s_or_b64 exec, exec, s[26:27]
	s_and_b64 s[30:31], s[4:5], s[18:19]
	s_and_saveexec_b64 s[26:27], s[30:31]
	s_cbranch_execnz .LBB275_271
.LBB275_261:
	s_or_b64 exec, exec, s[26:27]
	s_and_b64 s[30:31], s[6:7], s[18:19]
	s_and_saveexec_b64 s[26:27], s[30:31]
	s_cbranch_execnz .LBB275_275
.LBB275_262:
	s_or_b64 exec, exec, s[26:27]
	s_and_b64 s[30:31], s[8:9], s[18:19]
	s_and_saveexec_b64 s[26:27], s[30:31]
	s_cbranch_execnz .LBB275_279
.LBB275_263:
	s_or_b64 exec, exec, s[26:27]
	s_and_b64 s[30:31], s[10:11], s[18:19]
	s_and_saveexec_b64 s[26:27], s[30:31]
	s_cbranch_execnz .LBB275_283
.LBB275_264:
	s_or_b64 exec, exec, s[26:27]
	s_and_b64 s[30:31], s[12:13], s[18:19]
	s_and_saveexec_b64 s[26:27], s[30:31]
	s_cbranch_execnz .LBB275_287
.LBB275_265:
	s_or_b64 exec, exec, s[26:27]
	s_and_b64 s[30:31], s[14:15], s[18:19]
	s_and_saveexec_b64 s[26:27], s[30:31]
	s_cbranch_execnz .LBB275_291
.LBB275_266:
	s_or_b64 exec, exec, s[26:27]
	s_and_b64 s[26:27], s[16:17], s[18:19]
	s_and_saveexec_b64 s[18:19], s[26:27]
	s_cbranch_execnz .LBB275_295
	s_branch .LBB275_299
.LBB275_267:
	s_and_b64 vcc, exec, s[0:1]
	s_cbranch_vccnz .LBB275_269
; %bb.268:
	v_lshl_add_u64 v[26:27], v[32:33], 1, v[24:25]
	global_load_ushort v26, v[26:27], off
	s_waitcnt vmcnt(0)
	v_mul_f16_e32 v26, s33, v26
	v_cvt_f32_f16_e32 v26, v26
	s_branch .LBB275_270
.LBB275_269:
	v_mov_b32_e32 v26, 0
.LBB275_270:
	v_pk_add_f16 v27, v16, v22
	v_max_f16_e32 v28, v75, v75
	v_pk_add_f16 v30, v17, v23
	v_min_f16_e32 v28, v28, v27
	v_lshrrev_b32_e32 v29, 16, v75
	v_lshrrev_b32_e32 v27, 16, v27
	v_lshrrev_b32_e32 v31, 16, v30
	v_min3_f16 v27, v29, v27, v31
	v_min3_f16 v27, v28, v30, v27
	v_cvt_f32_f16_e32 v27, v27
	v_max_f32_e32 v26, v26, v26
	v_min_f32_e32 v26, v26, v27
	v_cvt_f16_f32_e32 v28, v26
	v_lshl_add_u64 v[26:27], v[32:33], 1, v[20:21]
	global_store_short v[26:27], v28, off
	s_or_b64 exec, exec, s[26:27]
	s_and_b64 s[30:31], s[4:5], s[18:19]
	s_and_saveexec_b64 s[26:27], s[30:31]
	s_cbranch_execz .LBB275_261
.LBB275_271:
	s_and_b64 vcc, exec, s[0:1]
	s_cbranch_vccnz .LBB275_273
; %bb.272:
	v_lshl_add_u64 v[26:27], v[34:35], 1, v[24:25]
	global_load_ushort v26, v[26:27], off
	s_waitcnt vmcnt(0)
	v_mul_f16_e32 v26, s33, v26
	v_cvt_f32_f16_e32 v26, v26
	s_branch .LBB275_274
.LBB275_273:
	v_mov_b32_e32 v26, 0
.LBB275_274:
	v_pk_add_f16 v27, v18, v22
	v_max_f16_e32 v28, v74, v74
	v_pk_add_f16 v30, v19, v23
	v_min_f16_e32 v28, v28, v27
	v_lshrrev_b32_e32 v29, 16, v74
	v_lshrrev_b32_e32 v27, 16, v27
	;; [unrolled: 1-line block ×3, first 2 shown]
	v_min3_f16 v27, v29, v27, v31
	v_min3_f16 v27, v28, v30, v27
	v_cvt_f32_f16_e32 v27, v27
	v_max_f32_e32 v26, v26, v26
	v_min_f32_e32 v26, v26, v27
	v_cvt_f16_f32_e32 v28, v26
	v_lshl_add_u64 v[26:27], v[34:35], 1, v[20:21]
	global_store_short v[26:27], v28, off
	s_or_b64 exec, exec, s[26:27]
	s_and_b64 s[30:31], s[6:7], s[18:19]
	s_and_saveexec_b64 s[26:27], s[30:31]
	s_cbranch_execz .LBB275_262
.LBB275_275:
	s_and_b64 vcc, exec, s[0:1]
	s_cbranch_vccnz .LBB275_277
; %bb.276:
	v_lshl_add_u64 v[26:27], v[36:37], 1, v[24:25]
	global_load_ushort v26, v[26:27], off
	s_waitcnt vmcnt(0)
	v_mul_f16_e32 v26, s33, v26
	v_cvt_f32_f16_e32 v26, v26
	s_branch .LBB275_278
.LBB275_277:
	v_mov_b32_e32 v26, 0
.LBB275_278:
	v_pk_add_f16 v27, v12, v22
	v_max_f16_e32 v28, v73, v73
	v_pk_add_f16 v30, v13, v23
	v_min_f16_e32 v28, v28, v27
	v_lshrrev_b32_e32 v29, 16, v73
	v_lshrrev_b32_e32 v27, 16, v27
	;; [unrolled: 1-line block ×3, first 2 shown]
	v_min3_f16 v27, v29, v27, v31
	v_min3_f16 v27, v28, v30, v27
	v_cvt_f32_f16_e32 v27, v27
	v_max_f32_e32 v26, v26, v26
	v_min_f32_e32 v26, v26, v27
	v_cvt_f16_f32_e32 v28, v26
	v_lshl_add_u64 v[26:27], v[36:37], 1, v[20:21]
	global_store_short v[26:27], v28, off
	s_or_b64 exec, exec, s[26:27]
	s_and_b64 s[30:31], s[8:9], s[18:19]
	s_and_saveexec_b64 s[26:27], s[30:31]
	s_cbranch_execz .LBB275_263
.LBB275_279:
	s_and_b64 vcc, exec, s[0:1]
	s_cbranch_vccnz .LBB275_281
; %bb.280:
	v_lshl_add_u64 v[26:27], v[38:39], 1, v[24:25]
	global_load_ushort v26, v[26:27], off
	s_waitcnt vmcnt(0)
	v_mul_f16_e32 v26, s33, v26
	v_cvt_f32_f16_e32 v26, v26
	s_branch .LBB275_282
.LBB275_281:
	v_mov_b32_e32 v26, 0
.LBB275_282:
	v_pk_add_f16 v27, v14, v22
	v_max_f16_e32 v28, v72, v72
	v_pk_add_f16 v30, v15, v23
	v_min_f16_e32 v28, v28, v27
	v_lshrrev_b32_e32 v29, 16, v72
	v_lshrrev_b32_e32 v27, 16, v27
	;; [unrolled: 1-line block ×3, first 2 shown]
	v_min3_f16 v27, v29, v27, v31
	v_min3_f16 v27, v28, v30, v27
	v_cvt_f32_f16_e32 v27, v27
	v_max_f32_e32 v26, v26, v26
	v_min_f32_e32 v26, v26, v27
	v_cvt_f16_f32_e32 v28, v26
	v_lshl_add_u64 v[26:27], v[38:39], 1, v[20:21]
	global_store_short v[26:27], v28, off
	s_or_b64 exec, exec, s[26:27]
	s_and_b64 s[30:31], s[10:11], s[18:19]
	s_and_saveexec_b64 s[26:27], s[30:31]
	s_cbranch_execz .LBB275_264
.LBB275_283:
	s_and_b64 vcc, exec, s[0:1]
	s_cbranch_vccnz .LBB275_285
; %bb.284:
	v_lshl_add_u64 v[26:27], v[40:41], 1, v[24:25]
	global_load_ushort v26, v[26:27], off
	s_waitcnt vmcnt(0)
	v_mul_f16_e32 v26, s33, v26
	v_cvt_f32_f16_e32 v26, v26
	s_branch .LBB275_286
.LBB275_285:
	v_mov_b32_e32 v26, 0
.LBB275_286:
	v_pk_add_f16 v27, v8, v22
	v_max_f16_e32 v28, v71, v71
	v_pk_add_f16 v30, v9, v23
	v_min_f16_e32 v28, v28, v27
	v_lshrrev_b32_e32 v29, 16, v71
	v_lshrrev_b32_e32 v27, 16, v27
	;; [unrolled: 1-line block ×3, first 2 shown]
	v_min3_f16 v27, v29, v27, v31
	v_min3_f16 v27, v28, v30, v27
	v_cvt_f32_f16_e32 v27, v27
	v_max_f32_e32 v26, v26, v26
	v_min_f32_e32 v26, v26, v27
	v_cvt_f16_f32_e32 v28, v26
	v_lshl_add_u64 v[26:27], v[40:41], 1, v[20:21]
	global_store_short v[26:27], v28, off
	s_or_b64 exec, exec, s[26:27]
	s_and_b64 s[30:31], s[12:13], s[18:19]
	s_and_saveexec_b64 s[26:27], s[30:31]
	s_cbranch_execz .LBB275_265
.LBB275_287:
	s_and_b64 vcc, exec, s[0:1]
	s_cbranch_vccnz .LBB275_289
; %bb.288:
	v_lshl_add_u64 v[26:27], v[42:43], 1, v[24:25]
	global_load_ushort v26, v[26:27], off
	s_waitcnt vmcnt(0)
	v_mul_f16_e32 v26, s33, v26
	v_cvt_f32_f16_e32 v26, v26
	s_branch .LBB275_290
.LBB275_289:
	v_mov_b32_e32 v26, 0
.LBB275_290:
	v_pk_add_f16 v27, v10, v22
	v_max_f16_e32 v28, v70, v70
	v_pk_add_f16 v30, v11, v23
	v_min_f16_e32 v28, v28, v27
	v_lshrrev_b32_e32 v29, 16, v70
	v_lshrrev_b32_e32 v27, 16, v27
	;; [unrolled: 1-line block ×3, first 2 shown]
	v_min3_f16 v27, v29, v27, v31
	v_min3_f16 v27, v28, v30, v27
	v_cvt_f32_f16_e32 v27, v27
	v_max_f32_e32 v26, v26, v26
	v_min_f32_e32 v26, v26, v27
	v_cvt_f16_f32_e32 v28, v26
	v_lshl_add_u64 v[26:27], v[42:43], 1, v[20:21]
	global_store_short v[26:27], v28, off
	s_or_b64 exec, exec, s[26:27]
	s_and_b64 s[30:31], s[14:15], s[18:19]
	s_and_saveexec_b64 s[26:27], s[30:31]
	s_cbranch_execz .LBB275_266
.LBB275_291:
	s_and_b64 vcc, exec, s[0:1]
	s_cbranch_vccnz .LBB275_293
; %bb.292:
	v_lshl_add_u64 v[26:27], v[44:45], 1, v[24:25]
	global_load_ushort v26, v[26:27], off
	s_waitcnt vmcnt(0)
	v_mul_f16_e32 v26, s33, v26
	v_cvt_f32_f16_e32 v26, v26
	s_branch .LBB275_294
.LBB275_293:
	v_mov_b32_e32 v26, 0
.LBB275_294:
	v_pk_add_f16 v27, v0, v22
	v_max_f16_e32 v28, v69, v69
	v_pk_add_f16 v30, v1, v23
	v_min_f16_e32 v28, v28, v27
	v_lshrrev_b32_e32 v29, 16, v69
	v_lshrrev_b32_e32 v27, 16, v27
	;; [unrolled: 1-line block ×3, first 2 shown]
	v_min3_f16 v27, v29, v27, v31
	v_min3_f16 v27, v28, v30, v27
	v_cvt_f32_f16_e32 v27, v27
	v_max_f32_e32 v26, v26, v26
	v_min_f32_e32 v26, v26, v27
	v_cvt_f16_f32_e32 v28, v26
	v_lshl_add_u64 v[26:27], v[44:45], 1, v[20:21]
	global_store_short v[26:27], v28, off
	s_or_b64 exec, exec, s[26:27]
	s_and_b64 s[26:27], s[16:17], s[18:19]
	s_and_saveexec_b64 s[18:19], s[26:27]
	s_cbranch_execz .LBB275_299
.LBB275_295:
	s_and_b64 vcc, exec, s[0:1]
	s_cbranch_vccnz .LBB275_297
; %bb.296:
	v_lshl_add_u64 v[24:25], v[46:47], 1, v[24:25]
	global_load_ushort v24, v[24:25], off
	s_waitcnt vmcnt(0)
	v_mul_f16_e32 v24, s33, v24
	v_cvt_f32_f16_e32 v24, v24
	s_branch .LBB275_298
.LBB275_297:
	v_mov_b32_e32 v24, 0
.LBB275_298:
	v_pk_add_f16 v22, v2, v22
	v_max_f16_e32 v25, v68, v68
	v_pk_add_f16 v23, v3, v23
	v_min_f16_e32 v25, v25, v22
	v_lshrrev_b32_e32 v26, 16, v68
	v_lshrrev_b32_e32 v22, 16, v22
	;; [unrolled: 1-line block ×3, first 2 shown]
	v_min3_f16 v22, v26, v22, v27
	v_min3_f16 v22, v25, v23, v22
	v_cvt_f32_f16_e32 v22, v22
	v_max_f32_e32 v23, v24, v24
	v_lshl_add_u64 v[20:21], v[46:47], 1, v[20:21]
	v_min_f32_e32 v22, v23, v22
	v_cvt_f16_f32_e32 v22, v22
	global_store_short v[20:21], v22, off
.LBB275_299:
	s_or_b64 exec, exec, s[18:19]
	v_add_u32_e32 v24, 0xc0, v92
	v_mad_i64_i32 v[20:21], s[26:27], v24, s29, 0
	v_cmp_gt_i32_e64 s[18:19], s21, v24
	v_lshl_add_u64 v[22:23], v[20:21], 1, s[24:25]
	v_mad_i64_i32 v[20:21], s[26:27], v24, s28, 0
	v_lshl_add_u64 v[20:21], v[20:21], 1, s[22:23]
	s_and_b64 s[30:31], s[2:3], s[18:19]
	s_and_saveexec_b64 s[26:27], s[30:31]
	s_cbranch_execnz .LBB275_307
; %bb.300:
	s_or_b64 exec, exec, s[26:27]
	s_and_b64 s[30:31], s[4:5], s[18:19]
	s_and_saveexec_b64 s[26:27], s[30:31]
	s_cbranch_execnz .LBB275_311
.LBB275_301:
	s_or_b64 exec, exec, s[26:27]
	s_and_b64 s[30:31], s[6:7], s[18:19]
	s_and_saveexec_b64 s[26:27], s[30:31]
	s_cbranch_execnz .LBB275_315
.LBB275_302:
	s_or_b64 exec, exec, s[26:27]
	s_and_b64 s[30:31], s[8:9], s[18:19]
	s_and_saveexec_b64 s[26:27], s[30:31]
	s_cbranch_execnz .LBB275_319
.LBB275_303:
	s_or_b64 exec, exec, s[26:27]
	s_and_b64 s[30:31], s[10:11], s[18:19]
	s_and_saveexec_b64 s[26:27], s[30:31]
	s_cbranch_execnz .LBB275_323
.LBB275_304:
	s_or_b64 exec, exec, s[26:27]
	s_and_b64 s[30:31], s[12:13], s[18:19]
	s_and_saveexec_b64 s[26:27], s[30:31]
	s_cbranch_execnz .LBB275_327
.LBB275_305:
	s_or_b64 exec, exec, s[26:27]
	s_and_b64 s[30:31], s[14:15], s[18:19]
	s_and_saveexec_b64 s[26:27], s[30:31]
	s_cbranch_execnz .LBB275_331
.LBB275_306:
	s_or_b64 exec, exec, s[26:27]
	s_and_b64 s[26:27], s[16:17], s[18:19]
	s_and_saveexec_b64 s[18:19], s[26:27]
	s_cbranch_execnz .LBB275_335
	s_branch .LBB275_339
.LBB275_307:
	s_and_b64 vcc, exec, s[0:1]
	s_cbranch_vccnz .LBB275_309
; %bb.308:
	v_lshl_add_u64 v[24:25], v[32:33], 1, v[22:23]
	global_load_ushort v24, v[24:25], off
	s_waitcnt vmcnt(0)
	v_mul_f16_e32 v24, s33, v24
	v_cvt_f32_f16_e32 v24, v24
	s_branch .LBB275_310
.LBB275_309:
	v_mov_b32_e32 v24, 0
.LBB275_310:
	s_waitcnt lgkmcnt(0)
	v_pk_add_f16 v25, v16, v4
	v_max_f16_e32 v26, v67, v67
	v_pk_add_f16 v28, v17, v5
	v_min_f16_e32 v26, v26, v25
	v_lshrrev_b32_e32 v27, 16, v67
	v_lshrrev_b32_e32 v25, 16, v25
	;; [unrolled: 1-line block ×3, first 2 shown]
	v_min3_f16 v25, v27, v25, v29
	v_min3_f16 v25, v26, v28, v25
	v_cvt_f32_f16_e32 v25, v25
	v_max_f32_e32 v24, v24, v24
	v_min_f32_e32 v24, v24, v25
	v_cvt_f16_f32_e32 v26, v24
	v_lshl_add_u64 v[24:25], v[32:33], 1, v[20:21]
	global_store_short v[24:25], v26, off
	s_or_b64 exec, exec, s[26:27]
	s_and_b64 s[30:31], s[4:5], s[18:19]
	s_and_saveexec_b64 s[26:27], s[30:31]
	s_cbranch_execz .LBB275_301
.LBB275_311:
	s_and_b64 vcc, exec, s[0:1]
	s_cbranch_vccnz .LBB275_313
; %bb.312:
	v_lshl_add_u64 v[24:25], v[34:35], 1, v[22:23]
	global_load_ushort v24, v[24:25], off
	s_waitcnt vmcnt(0)
	v_mul_f16_e32 v24, s33, v24
	v_cvt_f32_f16_e32 v24, v24
	s_branch .LBB275_314
.LBB275_313:
	v_mov_b32_e32 v24, 0
.LBB275_314:
	s_waitcnt lgkmcnt(0)
	v_pk_add_f16 v25, v18, v4
	v_max_f16_e32 v26, v66, v66
	v_pk_add_f16 v28, v19, v5
	v_min_f16_e32 v26, v26, v25
	v_lshrrev_b32_e32 v27, 16, v66
	v_lshrrev_b32_e32 v25, 16, v25
	;; [unrolled: 1-line block ×3, first 2 shown]
	v_min3_f16 v25, v27, v25, v29
	v_min3_f16 v25, v26, v28, v25
	v_cvt_f32_f16_e32 v25, v25
	v_max_f32_e32 v24, v24, v24
	v_min_f32_e32 v24, v24, v25
	v_cvt_f16_f32_e32 v26, v24
	v_lshl_add_u64 v[24:25], v[34:35], 1, v[20:21]
	global_store_short v[24:25], v26, off
	s_or_b64 exec, exec, s[26:27]
	s_and_b64 s[30:31], s[6:7], s[18:19]
	s_and_saveexec_b64 s[26:27], s[30:31]
	s_cbranch_execz .LBB275_302
.LBB275_315:
	s_and_b64 vcc, exec, s[0:1]
	s_cbranch_vccnz .LBB275_317
; %bb.316:
	v_lshl_add_u64 v[24:25], v[36:37], 1, v[22:23]
	global_load_ushort v24, v[24:25], off
	s_waitcnt vmcnt(0)
	v_mul_f16_e32 v24, s33, v24
	v_cvt_f32_f16_e32 v24, v24
	s_branch .LBB275_318
.LBB275_317:
	v_mov_b32_e32 v24, 0
.LBB275_318:
	s_waitcnt lgkmcnt(0)
	v_pk_add_f16 v25, v12, v4
	v_max_f16_e32 v26, v65, v65
	v_pk_add_f16 v28, v13, v5
	v_min_f16_e32 v26, v26, v25
	v_lshrrev_b32_e32 v27, 16, v65
	v_lshrrev_b32_e32 v25, 16, v25
	v_lshrrev_b32_e32 v29, 16, v28
	v_min3_f16 v25, v27, v25, v29
	v_min3_f16 v25, v26, v28, v25
	v_cvt_f32_f16_e32 v25, v25
	v_max_f32_e32 v24, v24, v24
	v_min_f32_e32 v24, v24, v25
	v_cvt_f16_f32_e32 v26, v24
	v_lshl_add_u64 v[24:25], v[36:37], 1, v[20:21]
	global_store_short v[24:25], v26, off
	s_or_b64 exec, exec, s[26:27]
	s_and_b64 s[30:31], s[8:9], s[18:19]
	s_and_saveexec_b64 s[26:27], s[30:31]
	s_cbranch_execz .LBB275_303
.LBB275_319:
	s_and_b64 vcc, exec, s[0:1]
	s_cbranch_vccnz .LBB275_321
; %bb.320:
	v_lshl_add_u64 v[24:25], v[38:39], 1, v[22:23]
	global_load_ushort v24, v[24:25], off
	s_waitcnt vmcnt(0)
	v_mul_f16_e32 v24, s33, v24
	v_cvt_f32_f16_e32 v24, v24
	s_branch .LBB275_322
.LBB275_321:
	v_mov_b32_e32 v24, 0
.LBB275_322:
	s_waitcnt lgkmcnt(0)
	v_pk_add_f16 v25, v14, v4
	v_max_f16_e32 v26, v64, v64
	v_pk_add_f16 v28, v15, v5
	v_min_f16_e32 v26, v26, v25
	v_lshrrev_b32_e32 v27, 16, v64
	v_lshrrev_b32_e32 v25, 16, v25
	;; [unrolled: 1-line block ×3, first 2 shown]
	v_min3_f16 v25, v27, v25, v29
	v_min3_f16 v25, v26, v28, v25
	v_cvt_f32_f16_e32 v25, v25
	v_max_f32_e32 v24, v24, v24
	v_min_f32_e32 v24, v24, v25
	v_cvt_f16_f32_e32 v26, v24
	v_lshl_add_u64 v[24:25], v[38:39], 1, v[20:21]
	global_store_short v[24:25], v26, off
	s_or_b64 exec, exec, s[26:27]
	s_and_b64 s[30:31], s[10:11], s[18:19]
	s_and_saveexec_b64 s[26:27], s[30:31]
	s_cbranch_execz .LBB275_304
.LBB275_323:
	s_and_b64 vcc, exec, s[0:1]
	s_cbranch_vccnz .LBB275_325
; %bb.324:
	v_lshl_add_u64 v[24:25], v[40:41], 1, v[22:23]
	global_load_ushort v24, v[24:25], off
	s_waitcnt vmcnt(0)
	v_mul_f16_e32 v24, s33, v24
	v_cvt_f32_f16_e32 v24, v24
	s_branch .LBB275_326
.LBB275_325:
	v_mov_b32_e32 v24, 0
.LBB275_326:
	s_waitcnt lgkmcnt(0)
	v_pk_add_f16 v25, v8, v4
	v_max_f16_e32 v26, v63, v63
	v_pk_add_f16 v28, v9, v5
	v_min_f16_e32 v26, v26, v25
	v_lshrrev_b32_e32 v27, 16, v63
	v_lshrrev_b32_e32 v25, 16, v25
	;; [unrolled: 1-line block ×3, first 2 shown]
	v_min3_f16 v25, v27, v25, v29
	v_min3_f16 v25, v26, v28, v25
	v_cvt_f32_f16_e32 v25, v25
	v_max_f32_e32 v24, v24, v24
	v_min_f32_e32 v24, v24, v25
	v_cvt_f16_f32_e32 v26, v24
	v_lshl_add_u64 v[24:25], v[40:41], 1, v[20:21]
	global_store_short v[24:25], v26, off
	s_or_b64 exec, exec, s[26:27]
	s_and_b64 s[30:31], s[12:13], s[18:19]
	s_and_saveexec_b64 s[26:27], s[30:31]
	s_cbranch_execz .LBB275_305
.LBB275_327:
	s_and_b64 vcc, exec, s[0:1]
	s_cbranch_vccnz .LBB275_329
; %bb.328:
	v_lshl_add_u64 v[24:25], v[42:43], 1, v[22:23]
	global_load_ushort v24, v[24:25], off
	s_waitcnt vmcnt(0)
	v_mul_f16_e32 v24, s33, v24
	v_cvt_f32_f16_e32 v24, v24
	s_branch .LBB275_330
.LBB275_329:
	v_mov_b32_e32 v24, 0
.LBB275_330:
	s_waitcnt lgkmcnt(0)
	v_pk_add_f16 v25, v10, v4
	v_max_f16_e32 v26, v62, v62
	v_pk_add_f16 v28, v11, v5
	v_min_f16_e32 v26, v26, v25
	v_lshrrev_b32_e32 v27, 16, v62
	v_lshrrev_b32_e32 v25, 16, v25
	;; [unrolled: 1-line block ×3, first 2 shown]
	v_min3_f16 v25, v27, v25, v29
	v_min3_f16 v25, v26, v28, v25
	v_cvt_f32_f16_e32 v25, v25
	v_max_f32_e32 v24, v24, v24
	v_min_f32_e32 v24, v24, v25
	v_cvt_f16_f32_e32 v26, v24
	v_lshl_add_u64 v[24:25], v[42:43], 1, v[20:21]
	global_store_short v[24:25], v26, off
	s_or_b64 exec, exec, s[26:27]
	s_and_b64 s[30:31], s[14:15], s[18:19]
	s_and_saveexec_b64 s[26:27], s[30:31]
	s_cbranch_execz .LBB275_306
.LBB275_331:
	s_and_b64 vcc, exec, s[0:1]
	s_cbranch_vccnz .LBB275_333
; %bb.332:
	v_lshl_add_u64 v[24:25], v[44:45], 1, v[22:23]
	global_load_ushort v24, v[24:25], off
	s_waitcnt vmcnt(0)
	v_mul_f16_e32 v24, s33, v24
	v_cvt_f32_f16_e32 v24, v24
	s_branch .LBB275_334
.LBB275_333:
	v_mov_b32_e32 v24, 0
.LBB275_334:
	s_waitcnt lgkmcnt(0)
	v_pk_add_f16 v25, v0, v4
	v_max_f16_e32 v26, v61, v61
	v_pk_add_f16 v28, v1, v5
	v_min_f16_e32 v26, v26, v25
	v_lshrrev_b32_e32 v27, 16, v61
	v_lshrrev_b32_e32 v25, 16, v25
	;; [unrolled: 1-line block ×3, first 2 shown]
	v_min3_f16 v25, v27, v25, v29
	v_min3_f16 v25, v26, v28, v25
	v_cvt_f32_f16_e32 v25, v25
	v_max_f32_e32 v24, v24, v24
	v_min_f32_e32 v24, v24, v25
	v_cvt_f16_f32_e32 v26, v24
	v_lshl_add_u64 v[24:25], v[44:45], 1, v[20:21]
	global_store_short v[24:25], v26, off
	s_or_b64 exec, exec, s[26:27]
	s_and_b64 s[26:27], s[16:17], s[18:19]
	s_and_saveexec_b64 s[18:19], s[26:27]
	s_cbranch_execz .LBB275_339
.LBB275_335:
	s_and_b64 vcc, exec, s[0:1]
	s_cbranch_vccnz .LBB275_337
; %bb.336:
	v_lshl_add_u64 v[22:23], v[46:47], 1, v[22:23]
	global_load_ushort v22, v[22:23], off
	s_waitcnt vmcnt(0)
	v_mul_f16_e32 v22, s33, v22
	v_cvt_f32_f16_e32 v22, v22
	s_branch .LBB275_338
.LBB275_337:
	v_mov_b32_e32 v22, 0
.LBB275_338:
	s_waitcnt lgkmcnt(0)
	v_pk_add_f16 v4, v2, v4
	v_max_f16_e32 v23, v60, v60
	v_pk_add_f16 v5, v3, v5
	v_min_f16_e32 v23, v23, v4
	v_lshrrev_b32_e32 v24, 16, v60
	v_lshrrev_b32_e32 v4, 16, v4
	;; [unrolled: 1-line block ×3, first 2 shown]
	v_min3_f16 v4, v24, v4, v25
	v_min3_f16 v4, v23, v5, v4
	v_cvt_f32_f16_e32 v4, v4
	v_max_f32_e32 v5, v22, v22
	v_min_f32_e32 v4, v5, v4
	v_cvt_f16_f32_e32 v22, v4
	v_lshl_add_u64 v[4:5], v[46:47], 1, v[20:21]
	global_store_short v[4:5], v22, off
.LBB275_339:
	s_or_b64 exec, exec, s[18:19]
	v_add_u32_e32 v22, 0xe0, v92
	v_cmp_gt_i32_e64 s[18:19], s21, v22
	s_waitcnt lgkmcnt(0)
	v_mad_i64_i32 v[4:5], s[20:21], v22, s29, 0
	v_lshl_add_u64 v[20:21], v[4:5], 1, s[24:25]
	v_mad_i64_i32 v[4:5], s[20:21], v22, s28, 0
	v_lshl_add_u64 v[4:5], v[4:5], 1, s[22:23]
	s_and_b64 s[20:21], s[2:3], s[18:19]
	s_and_saveexec_b64 s[2:3], s[20:21]
	s_cbranch_execnz .LBB275_348
; %bb.340:
	s_or_b64 exec, exec, s[2:3]
	s_and_b64 s[4:5], s[4:5], s[18:19]
	s_and_saveexec_b64 s[2:3], s[4:5]
	s_cbranch_execnz .LBB275_352
.LBB275_341:
	s_or_b64 exec, exec, s[2:3]
	s_and_b64 s[4:5], s[6:7], s[18:19]
	s_and_saveexec_b64 s[2:3], s[4:5]
	s_cbranch_execnz .LBB275_356
.LBB275_342:
	s_or_b64 exec, exec, s[2:3]
	s_and_b64 s[4:5], s[8:9], s[18:19]
	s_and_saveexec_b64 s[2:3], s[4:5]
	s_cbranch_execnz .LBB275_360
.LBB275_343:
	s_or_b64 exec, exec, s[2:3]
	s_and_b64 s[4:5], s[10:11], s[18:19]
	s_and_saveexec_b64 s[2:3], s[4:5]
	s_cbranch_execnz .LBB275_364
.LBB275_344:
	s_or_b64 exec, exec, s[2:3]
	s_and_b64 s[4:5], s[12:13], s[18:19]
	s_and_saveexec_b64 s[2:3], s[4:5]
	s_cbranch_execnz .LBB275_368
.LBB275_345:
	s_or_b64 exec, exec, s[2:3]
	s_and_b64 s[4:5], s[14:15], s[18:19]
	s_and_saveexec_b64 s[2:3], s[4:5]
	s_cbranch_execnz .LBB275_372
.LBB275_346:
	s_or_b64 exec, exec, s[2:3]
	s_and_b64 s[2:3], s[16:17], s[18:19]
	s_and_saveexec_b64 s[4:5], s[2:3]
	s_cbranch_execnz .LBB275_376
.LBB275_347:
	s_endpgm
.LBB275_348:
	s_and_b64 vcc, exec, s[0:1]
	s_cbranch_vccnz .LBB275_350
; %bb.349:
	v_lshl_add_u64 v[22:23], v[32:33], 1, v[20:21]
	global_load_ushort v22, v[22:23], off
	s_waitcnt vmcnt(0)
	v_mul_f16_e32 v22, s33, v22
	v_cvt_f32_f16_e32 v22, v22
	s_branch .LBB275_351
.LBB275_350:
	v_mov_b32_e32 v22, 0
.LBB275_351:
	v_pk_add_f16 v16, v16, v6
	v_max_f16_e32 v23, v59, v59
	v_pk_add_f16 v17, v17, v7
	v_min_f16_e32 v23, v23, v16
	v_lshrrev_b32_e32 v24, 16, v59
	v_lshrrev_b32_e32 v16, 16, v16
	;; [unrolled: 1-line block ×3, first 2 shown]
	v_min3_f16 v16, v24, v16, v25
	v_min3_f16 v16, v23, v17, v16
	v_cvt_f32_f16_e32 v16, v16
	v_max_f32_e32 v17, v22, v22
	v_min_f32_e32 v16, v17, v16
	v_cvt_f16_f32_e32 v22, v16
	v_lshl_add_u64 v[16:17], v[32:33], 1, v[4:5]
	global_store_short v[16:17], v22, off
	s_or_b64 exec, exec, s[2:3]
	s_and_b64 s[4:5], s[4:5], s[18:19]
	s_and_saveexec_b64 s[2:3], s[4:5]
	s_cbranch_execz .LBB275_341
.LBB275_352:
	s_and_b64 vcc, exec, s[0:1]
	s_cbranch_vccnz .LBB275_354
; %bb.353:
	v_lshl_add_u64 v[16:17], v[34:35], 1, v[20:21]
	global_load_ushort v16, v[16:17], off
	s_waitcnt vmcnt(0)
	v_mul_f16_e32 v16, s33, v16
	v_cvt_f32_f16_e32 v16, v16
	s_branch .LBB275_355
.LBB275_354:
	v_mov_b32_e32 v16, 0
.LBB275_355:
	v_pk_add_f16 v17, v18, v6
	v_max_f16_e32 v18, v58, v58
	v_pk_add_f16 v19, v19, v7
	v_min_f16_e32 v18, v18, v17
	v_lshrrev_b32_e32 v22, 16, v58
	v_lshrrev_b32_e32 v17, 16, v17
	;; [unrolled: 1-line block ×3, first 2 shown]
	v_min3_f16 v17, v22, v17, v23
	v_min3_f16 v17, v18, v19, v17
	v_cvt_f32_f16_e32 v17, v17
	v_max_f32_e32 v16, v16, v16
	v_min_f32_e32 v16, v16, v17
	v_cvt_f16_f32_e32 v18, v16
	v_lshl_add_u64 v[16:17], v[34:35], 1, v[4:5]
	global_store_short v[16:17], v18, off
	s_or_b64 exec, exec, s[2:3]
	s_and_b64 s[4:5], s[6:7], s[18:19]
	s_and_saveexec_b64 s[2:3], s[4:5]
	s_cbranch_execz .LBB275_342
.LBB275_356:
	s_and_b64 vcc, exec, s[0:1]
	s_cbranch_vccnz .LBB275_358
; %bb.357:
	v_lshl_add_u64 v[16:17], v[36:37], 1, v[20:21]
	global_load_ushort v16, v[16:17], off
	s_waitcnt vmcnt(0)
	v_mul_f16_e32 v16, s33, v16
	v_cvt_f32_f16_e32 v16, v16
	s_branch .LBB275_359
.LBB275_358:
	v_mov_b32_e32 v16, 0
.LBB275_359:
	v_pk_add_f16 v12, v12, v6
	v_max_f16_e32 v17, v57, v57
	v_pk_add_f16 v13, v13, v7
	v_min_f16_e32 v17, v17, v12
	v_lshrrev_b32_e32 v18, 16, v57
	v_lshrrev_b32_e32 v12, 16, v12
	;; [unrolled: 1-line block ×3, first 2 shown]
	v_min3_f16 v12, v18, v12, v19
	v_min3_f16 v12, v17, v13, v12
	v_cvt_f32_f16_e32 v12, v12
	v_max_f32_e32 v13, v16, v16
	v_min_f32_e32 v12, v13, v12
	v_cvt_f16_f32_e32 v16, v12
	v_lshl_add_u64 v[12:13], v[36:37], 1, v[4:5]
	global_store_short v[12:13], v16, off
	s_or_b64 exec, exec, s[2:3]
	s_and_b64 s[4:5], s[8:9], s[18:19]
	s_and_saveexec_b64 s[2:3], s[4:5]
	s_cbranch_execz .LBB275_343
.LBB275_360:
	s_and_b64 vcc, exec, s[0:1]
	s_cbranch_vccnz .LBB275_362
; %bb.361:
	v_lshl_add_u64 v[12:13], v[38:39], 1, v[20:21]
	global_load_ushort v12, v[12:13], off
	s_waitcnt vmcnt(0)
	v_mul_f16_e32 v12, s33, v12
	v_cvt_f32_f16_e32 v12, v12
	s_branch .LBB275_363
.LBB275_362:
	v_mov_b32_e32 v12, 0
.LBB275_363:
	v_pk_add_f16 v13, v14, v6
	v_max_f16_e32 v14, v56, v56
	v_pk_add_f16 v15, v15, v7
	v_min_f16_e32 v14, v14, v13
	v_lshrrev_b32_e32 v16, 16, v56
	v_lshrrev_b32_e32 v13, 16, v13
	;; [unrolled: 1-line block ×3, first 2 shown]
	v_min3_f16 v13, v16, v13, v17
	v_min3_f16 v13, v14, v15, v13
	v_cvt_f32_f16_e32 v13, v13
	v_max_f32_e32 v12, v12, v12
	v_min_f32_e32 v12, v12, v13
	v_cvt_f16_f32_e32 v14, v12
	v_lshl_add_u64 v[12:13], v[38:39], 1, v[4:5]
	global_store_short v[12:13], v14, off
	s_or_b64 exec, exec, s[2:3]
	s_and_b64 s[4:5], s[10:11], s[18:19]
	s_and_saveexec_b64 s[2:3], s[4:5]
	s_cbranch_execz .LBB275_344
.LBB275_364:
	s_and_b64 vcc, exec, s[0:1]
	s_cbranch_vccnz .LBB275_366
; %bb.365:
	v_lshl_add_u64 v[12:13], v[40:41], 1, v[20:21]
	global_load_ushort v12, v[12:13], off
	s_waitcnt vmcnt(0)
	v_mul_f16_e32 v12, s33, v12
	v_cvt_f32_f16_e32 v12, v12
	s_branch .LBB275_367
.LBB275_366:
	v_mov_b32_e32 v12, 0
.LBB275_367:
	v_pk_add_f16 v8, v8, v6
	v_max_f16_e32 v13, v54, v54
	v_pk_add_f16 v9, v9, v7
	v_min_f16_e32 v13, v13, v8
	v_lshrrev_b32_e32 v14, 16, v54
	v_lshrrev_b32_e32 v8, 16, v8
	;; [unrolled: 1-line block ×3, first 2 shown]
	v_min3_f16 v8, v14, v8, v15
	v_min3_f16 v8, v13, v9, v8
	v_cvt_f32_f16_e32 v8, v8
	v_max_f32_e32 v9, v12, v12
	v_min_f32_e32 v8, v9, v8
	v_cvt_f16_f32_e32 v12, v8
	v_lshl_add_u64 v[8:9], v[40:41], 1, v[4:5]
	global_store_short v[8:9], v12, off
	s_or_b64 exec, exec, s[2:3]
	s_and_b64 s[4:5], s[12:13], s[18:19]
	s_and_saveexec_b64 s[2:3], s[4:5]
	s_cbranch_execz .LBB275_345
.LBB275_368:
	s_and_b64 vcc, exec, s[0:1]
	s_cbranch_vccnz .LBB275_370
; %bb.369:
	v_lshl_add_u64 v[8:9], v[42:43], 1, v[20:21]
	global_load_ushort v8, v[8:9], off
	s_waitcnt vmcnt(0)
	v_mul_f16_e32 v8, s33, v8
	v_cvt_f32_f16_e32 v8, v8
	s_branch .LBB275_371
.LBB275_370:
	v_mov_b32_e32 v8, 0
.LBB275_371:
	v_pk_add_f16 v9, v10, v6
	v_max_f16_e32 v10, v53, v53
	v_pk_add_f16 v11, v11, v7
	v_min_f16_e32 v10, v10, v9
	v_lshrrev_b32_e32 v12, 16, v53
	v_lshrrev_b32_e32 v9, 16, v9
	;; [unrolled: 1-line block ×3, first 2 shown]
	v_min3_f16 v9, v12, v9, v13
	v_min3_f16 v9, v10, v11, v9
	v_cvt_f32_f16_e32 v9, v9
	v_max_f32_e32 v8, v8, v8
	v_min_f32_e32 v8, v8, v9
	v_cvt_f16_f32_e32 v10, v8
	v_lshl_add_u64 v[8:9], v[42:43], 1, v[4:5]
	global_store_short v[8:9], v10, off
	s_or_b64 exec, exec, s[2:3]
	s_and_b64 s[4:5], s[14:15], s[18:19]
	s_and_saveexec_b64 s[2:3], s[4:5]
	s_cbranch_execz .LBB275_346
.LBB275_372:
	s_and_b64 vcc, exec, s[0:1]
	s_cbranch_vccnz .LBB275_374
; %bb.373:
	v_lshl_add_u64 v[8:9], v[44:45], 1, v[20:21]
	global_load_ushort v8, v[8:9], off
	s_waitcnt vmcnt(0)
	v_mul_f16_e32 v8, s33, v8
	v_cvt_f32_f16_e32 v8, v8
	s_branch .LBB275_375
.LBB275_374:
	v_mov_b32_e32 v8, 0
.LBB275_375:
	v_pk_add_f16 v0, v0, v6
	v_max_f16_e32 v9, v52, v52
	v_pk_add_f16 v1, v1, v7
	v_min_f16_e32 v9, v9, v0
	v_lshrrev_b32_e32 v10, 16, v52
	v_lshrrev_b32_e32 v0, 16, v0
	;; [unrolled: 1-line block ×3, first 2 shown]
	v_min3_f16 v0, v10, v0, v11
	v_min3_f16 v0, v9, v1, v0
	v_cvt_f32_f16_e32 v0, v0
	v_max_f32_e32 v1, v8, v8
	v_min_f32_e32 v0, v1, v0
	v_cvt_f16_f32_e32 v8, v0
	v_lshl_add_u64 v[0:1], v[44:45], 1, v[4:5]
	global_store_short v[0:1], v8, off
	s_or_b64 exec, exec, s[2:3]
	s_and_b64 s[2:3], s[16:17], s[18:19]
	s_and_saveexec_b64 s[4:5], s[2:3]
	s_cbranch_execz .LBB275_347
.LBB275_376:
	s_and_b64 vcc, exec, s[0:1]
	s_cbranch_vccnz .LBB275_378
; %bb.377:
	v_lshl_add_u64 v[0:1], v[46:47], 1, v[20:21]
	global_load_ushort v0, v[0:1], off
	s_waitcnt vmcnt(0)
	v_mul_f16_e32 v0, s33, v0
	v_cvt_f32_f16_e32 v0, v0
	s_branch .LBB275_379
.LBB275_378:
	v_mov_b32_e32 v0, 0
.LBB275_379:
	v_pk_add_f16 v1, v2, v6
	v_max_f16_e32 v2, v55, v55
	v_pk_add_f16 v3, v3, v7
	v_min_f16_e32 v2, v2, v1
	v_lshrrev_b32_e32 v6, 16, v55
	v_lshrrev_b32_e32 v1, 16, v1
	;; [unrolled: 1-line block ×3, first 2 shown]
	v_min3_f16 v1, v6, v1, v7
	v_min3_f16 v1, v2, v3, v1
	v_cvt_f32_f16_e32 v1, v1
	v_max_f32_e32 v0, v0, v0
	v_min_f32_e32 v0, v0, v1
	v_cvt_f16_f32_e32 v2, v0
	v_lshl_add_u64 v[0:1], v[46:47], 1, v[4:5]
	global_store_short v[0:1], v2, off
	s_endpgm
	.section	.rodata,"a",@progbits
	.p2align	6, 0x0
	.amdhsa_kernel _ZN12_GLOBAL__N_120geam_min_plus_kernelIDF16_Dv2_DF16_S1_Li8ELi32ELi64ELi256ELi4ELi64ELi4ELi64ELi4ELc78ELc84ELb0ELb1ELb1EDF16_KDF16_DF16_EEviiiT16_PT17_ilS5_ilS3_S5_ilPT18_ili26rocblas_geam_ex_operation_
		.amdhsa_group_segment_fixed_size 5120
		.amdhsa_private_segment_fixed_size 0
		.amdhsa_kernarg_size 128
		.amdhsa_user_sgpr_count 2
		.amdhsa_user_sgpr_dispatch_ptr 0
		.amdhsa_user_sgpr_queue_ptr 0
		.amdhsa_user_sgpr_kernarg_segment_ptr 1
		.amdhsa_user_sgpr_dispatch_id 0
		.amdhsa_user_sgpr_kernarg_preload_length 0
		.amdhsa_user_sgpr_kernarg_preload_offset 0
		.amdhsa_user_sgpr_private_segment_size 0
		.amdhsa_uses_dynamic_stack 0
		.amdhsa_enable_private_segment 0
		.amdhsa_system_sgpr_workgroup_id_x 1
		.amdhsa_system_sgpr_workgroup_id_y 0
		.amdhsa_system_sgpr_workgroup_id_z 1
		.amdhsa_system_sgpr_workgroup_info 0
		.amdhsa_system_vgpr_workitem_id 1
		.amdhsa_next_free_vgpr 180
		.amdhsa_next_free_sgpr 44
		.amdhsa_accum_offset 180
		.amdhsa_reserve_vcc 1
		.amdhsa_float_round_mode_32 0
		.amdhsa_float_round_mode_16_64 0
		.amdhsa_float_denorm_mode_32 3
		.amdhsa_float_denorm_mode_16_64 3
		.amdhsa_dx10_clamp 1
		.amdhsa_ieee_mode 1
		.amdhsa_fp16_overflow 0
		.amdhsa_tg_split 0
		.amdhsa_exception_fp_ieee_invalid_op 0
		.amdhsa_exception_fp_denorm_src 0
		.amdhsa_exception_fp_ieee_div_zero 0
		.amdhsa_exception_fp_ieee_overflow 0
		.amdhsa_exception_fp_ieee_underflow 0
		.amdhsa_exception_fp_ieee_inexact 0
		.amdhsa_exception_int_div_zero 0
	.end_amdhsa_kernel
	.section	.text._ZN12_GLOBAL__N_120geam_min_plus_kernelIDF16_Dv2_DF16_S1_Li8ELi32ELi64ELi256ELi4ELi64ELi4ELi64ELi4ELc78ELc84ELb0ELb1ELb1EDF16_KDF16_DF16_EEviiiT16_PT17_ilS5_ilS3_S5_ilPT18_ili26rocblas_geam_ex_operation_,"axG",@progbits,_ZN12_GLOBAL__N_120geam_min_plus_kernelIDF16_Dv2_DF16_S1_Li8ELi32ELi64ELi256ELi4ELi64ELi4ELi64ELi4ELc78ELc84ELb0ELb1ELb1EDF16_KDF16_DF16_EEviiiT16_PT17_ilS5_ilS3_S5_ilPT18_ili26rocblas_geam_ex_operation_,comdat
.Lfunc_end275:
	.size	_ZN12_GLOBAL__N_120geam_min_plus_kernelIDF16_Dv2_DF16_S1_Li8ELi32ELi64ELi256ELi4ELi64ELi4ELi64ELi4ELc78ELc84ELb0ELb1ELb1EDF16_KDF16_DF16_EEviiiT16_PT17_ilS5_ilS3_S5_ilPT18_ili26rocblas_geam_ex_operation_, .Lfunc_end275-_ZN12_GLOBAL__N_120geam_min_plus_kernelIDF16_Dv2_DF16_S1_Li8ELi32ELi64ELi256ELi4ELi64ELi4ELi64ELi4ELc78ELc84ELb0ELb1ELb1EDF16_KDF16_DF16_EEviiiT16_PT17_ilS5_ilS3_S5_ilPT18_ili26rocblas_geam_ex_operation_
                                        ; -- End function
	.set _ZN12_GLOBAL__N_120geam_min_plus_kernelIDF16_Dv2_DF16_S1_Li8ELi32ELi64ELi256ELi4ELi64ELi4ELi64ELi4ELc78ELc84ELb0ELb1ELb1EDF16_KDF16_DF16_EEviiiT16_PT17_ilS5_ilS3_S5_ilPT18_ili26rocblas_geam_ex_operation_.num_vgpr, 180
	.set _ZN12_GLOBAL__N_120geam_min_plus_kernelIDF16_Dv2_DF16_S1_Li8ELi32ELi64ELi256ELi4ELi64ELi4ELi64ELi4ELc78ELc84ELb0ELb1ELb1EDF16_KDF16_DF16_EEviiiT16_PT17_ilS5_ilS3_S5_ilPT18_ili26rocblas_geam_ex_operation_.num_agpr, 0
	.set _ZN12_GLOBAL__N_120geam_min_plus_kernelIDF16_Dv2_DF16_S1_Li8ELi32ELi64ELi256ELi4ELi64ELi4ELi64ELi4ELc78ELc84ELb0ELb1ELb1EDF16_KDF16_DF16_EEviiiT16_PT17_ilS5_ilS3_S5_ilPT18_ili26rocblas_geam_ex_operation_.numbered_sgpr, 44
	.set _ZN12_GLOBAL__N_120geam_min_plus_kernelIDF16_Dv2_DF16_S1_Li8ELi32ELi64ELi256ELi4ELi64ELi4ELi64ELi4ELc78ELc84ELb0ELb1ELb1EDF16_KDF16_DF16_EEviiiT16_PT17_ilS5_ilS3_S5_ilPT18_ili26rocblas_geam_ex_operation_.num_named_barrier, 0
	.set _ZN12_GLOBAL__N_120geam_min_plus_kernelIDF16_Dv2_DF16_S1_Li8ELi32ELi64ELi256ELi4ELi64ELi4ELi64ELi4ELc78ELc84ELb0ELb1ELb1EDF16_KDF16_DF16_EEviiiT16_PT17_ilS5_ilS3_S5_ilPT18_ili26rocblas_geam_ex_operation_.private_seg_size, 0
	.set _ZN12_GLOBAL__N_120geam_min_plus_kernelIDF16_Dv2_DF16_S1_Li8ELi32ELi64ELi256ELi4ELi64ELi4ELi64ELi4ELc78ELc84ELb0ELb1ELb1EDF16_KDF16_DF16_EEviiiT16_PT17_ilS5_ilS3_S5_ilPT18_ili26rocblas_geam_ex_operation_.uses_vcc, 1
	.set _ZN12_GLOBAL__N_120geam_min_plus_kernelIDF16_Dv2_DF16_S1_Li8ELi32ELi64ELi256ELi4ELi64ELi4ELi64ELi4ELc78ELc84ELb0ELb1ELb1EDF16_KDF16_DF16_EEviiiT16_PT17_ilS5_ilS3_S5_ilPT18_ili26rocblas_geam_ex_operation_.uses_flat_scratch, 0
	.set _ZN12_GLOBAL__N_120geam_min_plus_kernelIDF16_Dv2_DF16_S1_Li8ELi32ELi64ELi256ELi4ELi64ELi4ELi64ELi4ELc78ELc84ELb0ELb1ELb1EDF16_KDF16_DF16_EEviiiT16_PT17_ilS5_ilS3_S5_ilPT18_ili26rocblas_geam_ex_operation_.has_dyn_sized_stack, 0
	.set _ZN12_GLOBAL__N_120geam_min_plus_kernelIDF16_Dv2_DF16_S1_Li8ELi32ELi64ELi256ELi4ELi64ELi4ELi64ELi4ELc78ELc84ELb0ELb1ELb1EDF16_KDF16_DF16_EEviiiT16_PT17_ilS5_ilS3_S5_ilPT18_ili26rocblas_geam_ex_operation_.has_recursion, 0
	.set _ZN12_GLOBAL__N_120geam_min_plus_kernelIDF16_Dv2_DF16_S1_Li8ELi32ELi64ELi256ELi4ELi64ELi4ELi64ELi4ELc78ELc84ELb0ELb1ELb1EDF16_KDF16_DF16_EEviiiT16_PT17_ilS5_ilS3_S5_ilPT18_ili26rocblas_geam_ex_operation_.has_indirect_call, 0
	.section	.AMDGPU.csdata,"",@progbits
; Kernel info:
; codeLenInByte = 21008
; TotalNumSgprs: 50
; NumVgprs: 180
; NumAgprs: 0
; TotalNumVgprs: 180
; ScratchSize: 0
; MemoryBound: 0
; FloatMode: 240
; IeeeMode: 1
; LDSByteSize: 5120 bytes/workgroup (compile time only)
; SGPRBlocks: 6
; VGPRBlocks: 22
; NumSGPRsForWavesPerEU: 50
; NumVGPRsForWavesPerEU: 180
; AccumOffset: 180
; Occupancy: 2
; WaveLimiterHint : 0
; COMPUTE_PGM_RSRC2:SCRATCH_EN: 0
; COMPUTE_PGM_RSRC2:USER_SGPR: 2
; COMPUTE_PGM_RSRC2:TRAP_HANDLER: 0
; COMPUTE_PGM_RSRC2:TGID_X_EN: 1
; COMPUTE_PGM_RSRC2:TGID_Y_EN: 0
; COMPUTE_PGM_RSRC2:TGID_Z_EN: 1
; COMPUTE_PGM_RSRC2:TIDIG_COMP_CNT: 1
; COMPUTE_PGM_RSRC3_GFX90A:ACCUM_OFFSET: 44
; COMPUTE_PGM_RSRC3_GFX90A:TG_SPLIT: 0
	.section	.text._ZN12_GLOBAL__N_120geam_min_plus_kernelIDF16_Dv2_DF16_S1_Li8ELi32ELi64ELi256ELi4ELi4ELi64ELi64ELi4ELc84ELc84ELb0ELb0ELb1EPKDF16_S2_DF16_EEviiiT16_PT17_ilS6_ilS4_S6_ilPT18_ili26rocblas_geam_ex_operation_,"axG",@progbits,_ZN12_GLOBAL__N_120geam_min_plus_kernelIDF16_Dv2_DF16_S1_Li8ELi32ELi64ELi256ELi4ELi4ELi64ELi64ELi4ELc84ELc84ELb0ELb0ELb1EPKDF16_S2_DF16_EEviiiT16_PT17_ilS6_ilS4_S6_ilPT18_ili26rocblas_geam_ex_operation_,comdat
	.globl	_ZN12_GLOBAL__N_120geam_min_plus_kernelIDF16_Dv2_DF16_S1_Li8ELi32ELi64ELi256ELi4ELi4ELi64ELi64ELi4ELc84ELc84ELb0ELb0ELb1EPKDF16_S2_DF16_EEviiiT16_PT17_ilS6_ilS4_S6_ilPT18_ili26rocblas_geam_ex_operation_ ; -- Begin function _ZN12_GLOBAL__N_120geam_min_plus_kernelIDF16_Dv2_DF16_S1_Li8ELi32ELi64ELi256ELi4ELi4ELi64ELi64ELi4ELc84ELc84ELb0ELb0ELb1EPKDF16_S2_DF16_EEviiiT16_PT17_ilS6_ilS4_S6_ilPT18_ili26rocblas_geam_ex_operation_
	.p2align	8
	.type	_ZN12_GLOBAL__N_120geam_min_plus_kernelIDF16_Dv2_DF16_S1_Li8ELi32ELi64ELi256ELi4ELi4ELi64ELi64ELi4ELc84ELc84ELb0ELb0ELb1EPKDF16_S2_DF16_EEviiiT16_PT17_ilS6_ilS4_S6_ilPT18_ili26rocblas_geam_ex_operation_,@function
_ZN12_GLOBAL__N_120geam_min_plus_kernelIDF16_Dv2_DF16_S1_Li8ELi32ELi64ELi256ELi4ELi4ELi64ELi64ELi4ELc84ELc84ELb0ELb0ELb1EPKDF16_S2_DF16_EEviiiT16_PT17_ilS6_ilS4_S6_ilPT18_ili26rocblas_geam_ex_operation_: ; @_ZN12_GLOBAL__N_120geam_min_plus_kernelIDF16_Dv2_DF16_S1_Li8ELi32ELi64ELi256ELi4ELi4ELi64ELi64ELi4ELc84ELc84ELb0ELb0ELb1EPKDF16_S2_DF16_EEviiiT16_PT17_ilS6_ilS4_S6_ilPT18_ili26rocblas_geam_ex_operation_
; %bb.0:
	s_load_dwordx4 s[4:7], s[0:1], 0x10
	s_load_dwordx4 s[12:15], s[0:1], 0x28
	s_mov_b32 s20, s3
	s_mov_b32 s21, 0
	s_lshl_b64 s[8:9], s[20:21], 1
	s_waitcnt lgkmcnt(0)
	s_add_u32 s4, s4, s8
	s_addc_u32 s5, s5, s9
	v_mov_b32_e32 v1, 0
	global_load_ushort v53, v1, s[4:5]
	s_load_dwordx4 s[16:19], s[0:1], 0x40
	s_load_dwordx2 s[10:11], s[0:1], 0x50
	s_mov_b64 s[22:23], 0
	s_waitcnt lgkmcnt(0)
	s_add_u32 s24, s18, s8
	s_addc_u32 s25, s19, s9
	s_mov_b64 s[18:19], 0
	s_waitcnt vmcnt(0)
	v_cmp_eq_f16_e32 vcc, 0, v53
	s_and_b64 s[4:5], exec, vcc
	v_cmp_neq_f16_e64 s[8:9], 0, v53
	s_mov_b64 vcc, s[4:5]
	s_cbranch_vccnz .LBB276_2
; %bb.1:
	s_mul_i32 s3, s13, s20
	s_mul_hi_u32 s13, s12, s20
	s_add_i32 s13, s13, s3
	s_mul_i32 s12, s12, s20
	s_lshl_b64 s[12:13], s[12:13], 1
	s_add_u32 s18, s6, s12
	s_addc_u32 s19, s7, s13
.LBB276_2:
	global_load_ushort v52, v1, s[24:25]
	v_cndmask_b32_e64 v1, 0, 1, s[8:9]
	v_cmp_ne_u32_e64 s[6:7], 1, v1
	s_andn2_b64 vcc, exec, s[8:9]
	s_cbranch_vccnz .LBB276_4
; %bb.3:
	s_mul_i32 s3, s17, s20
	s_mul_hi_u32 s8, s16, s20
	s_add_i32 s9, s8, s3
	s_mul_i32 s8, s16, s20
	s_lshl_b64 s[8:9], s[8:9], 1
	s_add_u32 s22, s14, s8
	s_addc_u32 s23, s15, s9
.LBB276_4:
	s_load_dwordx4 s[12:15], s[0:1], 0x60
	s_waitcnt vmcnt(0)
	v_cmp_eq_f16_e32 vcc, 0, v52
	s_and_b64 s[8:9], exec, vcc
	s_mov_b64 vcc, s[8:9]
	s_cbranch_vccnz .LBB276_6
; %bb.5:
	s_waitcnt lgkmcnt(0)
	s_mul_i32 s3, s13, s20
	s_mul_hi_u32 s13, s12, s20
	s_add_i32 s13, s13, s3
	s_mul_i32 s12, s12, s20
	s_lshl_b64 s[12:13], s[12:13], 1
	s_add_u32 s10, s10, s12
	s_addc_u32 s11, s11, s13
	s_branch .LBB276_7
.LBB276_6:
	s_mov_b64 s[10:11], 0
.LBB276_7:
	s_waitcnt lgkmcnt(0)
	s_load_dword s12, s[0:1], 0x0
	s_load_dword s3, s[0:1], 0x20
	v_and_b32_e32 v50, 0x3ff, v0
	v_bfe_u32 v51, v0, 10, 10
	v_lshl_add_u32 v2, v51, 3, v50
	s_waitcnt lgkmcnt(0)
	s_add_i32 s12, s12, -1
	s_ashr_i32 s13, s12, 31
	s_lshr_b32 s13, s13, 26
	s_add_i32 s12, s12, s13
	s_ashr_i32 s12, s12, 6
	s_add_i32 s16, s12, 1
	v_cvt_f32_u32_e32 v1, s16
	s_not_b32 s12, s12
	v_and_b32_e32 v0, 3, v0
	v_lshrrev_b32_e32 v28, 2, v2
	v_rcp_iflag_f32_e32 v1, v1
	v_mov_b32_e32 v8, 0
	v_lshlrev_b32_e32 v0, 1, v0
	v_mov_b32_e32 v6, 0
	v_mul_f32_e32 v1, 0x4f7ffffe, v1
	v_cvt_u32_f32_e32 v1, v1
	s_nop 0
	v_readfirstlane_b32 s13, v1
	s_mul_i32 s12, s12, s13
	s_mul_hi_u32 s12, s13, s12
	s_add_i32 s13, s13, s12
	s_mul_hi_u32 s12, s2, s13
	s_mul_i32 s13, s12, s16
	s_sub_i32 s13, s2, s13
	s_add_i32 s17, s12, 1
	s_sub_i32 s21, s13, s16
	s_cmp_ge_u32 s13, s16
	s_cselect_b32 s12, s17, s12
	s_cselect_b32 s13, s21, s13
	s_add_i32 s17, s12, 1
	s_cmp_ge_u32 s13, s16
	s_cselect_b32 s13, s17, s12
	s_mul_i32 s25, s13, s16
	s_sub_i32 s12, s2, s25
	s_lshl_b32 s21, s12, 6
	s_and_b64 vcc, exec, s[6:7]
	v_add_u32_e32 v7, s21, v28
	s_cbranch_vccnz .LBB276_9
; %bb.8:
	v_mad_i64_i32 v[4:5], s[16:17], v7, s3, 0
	v_lshl_add_u64 v[4:5], v[4:5], 1, s[18:19]
	v_mov_b32_e32 v1, 0
	v_lshl_add_u64 v[4:5], v[4:5], 0, v[0:1]
	global_load_ushort v1, v[4:5], off
	s_waitcnt vmcnt(0)
	v_mul_f16_e32 v6, v53, v1
.LBB276_9:
	s_load_dword s12, s[0:1], 0x38
	v_and_b32_e32 v30, 63, v2
	v_lshrrev_b32_e32 v29, 6, v2
	s_lshl_b32 s24, s13, 8
	v_or_b32_e32 v2, s24, v30
	s_waitcnt lgkmcnt(0)
	v_mad_i64_i32 v[4:5], s[16:17], s12, v29, 0
	v_lshl_add_u64 v[4:5], v[4:5], 1, s[22:23]
	s_and_b64 vcc, exec, s[6:7]
	v_ashrrev_i32_e32 v3, 31, v2
	s_cbranch_vccnz .LBB276_11
; %bb.10:
	v_lshl_add_u64 v[8:9], v[2:3], 1, v[4:5]
	global_load_ushort v1, v[8:9], off
	global_load_ushort v10, v[8:9], off offset:128
	s_waitcnt vmcnt(1)
	v_mul_f16_e32 v1, v53, v1
	s_waitcnt vmcnt(0)
	v_mul_f16_e32 v8, v53, v10
	v_pack_b32_f16 v9, v1, 0
	s_branch .LBB276_12
.LBB276_11:
	v_mov_b32_e32 v9, 0
.LBB276_12:
	s_mov_b32 s16, 0x5040100
	v_mov_b32_e32 v1, 0
	s_ashr_i32 s13, s12, 31
	v_perm_b32 v32, v8, v9, s16
	s_mov_b64 vcc, s[4:5]
	s_cbranch_vccz .LBB276_14
; %bb.13:
	v_and_b32_e32 v33, 0xffff0000, v1
	v_mov_b32_e32 v34, 0
	v_mov_b32_e32 v31, 0
	s_cbranch_execz .LBB276_15
	s_branch .LBB276_16
.LBB276_14:
	v_mov_b32_e32 v34, 0
	v_mov_b32_e32 v31, 0
.LBB276_15:
	v_lshl_add_u64 v[4:5], v[2:3], 1, v[4:5]
	global_load_ushort v8, v[4:5], off offset:256
	global_load_ushort v9, v[4:5], off offset:384
	s_mov_b32 s16, 0xffff
	s_waitcnt vmcnt(1)
	v_mul_f16_e32 v4, v53, v8
	v_bfi_b32 v33, s16, v4, v1
	s_waitcnt vmcnt(0)
	v_mul_f16_e32 v31, v53, v9
.LBB276_16:
	s_and_b64 vcc, exec, s[6:7]
	s_cbranch_vccnz .LBB276_18
; %bb.17:
	v_mad_i64_i32 v[4:5], s[16:17], v7, s3, 0
	v_lshl_add_u64 v[4:5], v[4:5], 1, s[18:19]
	v_mov_b32_e32 v1, 0
	v_lshl_add_u64 v[4:5], v[4:5], 0, v[0:1]
	global_load_ushort v1, v[4:5], off offset:8
	s_waitcnt vmcnt(0)
	v_mul_f16_e32 v34, v53, v1
.LBB276_18:
	v_add_u32_e32 v1, 4, v29
	v_mad_i64_i32 v[4:5], s[16:17], s12, v1, 0
	s_and_b64 vcc, exec, s[6:7]
	v_lshl_add_u64 v[4:5], v[4:5], 1, s[22:23]
	s_cbranch_vccnz .LBB276_20
; %bb.19:
	v_lshl_add_u64 v[8:9], v[2:3], 1, v[4:5]
	global_load_ushort v1, v[8:9], off
	global_load_ushort v7, v[8:9], off offset:128
	s_waitcnt vmcnt(1)
	v_mul_f16_e32 v1, v53, v1
	s_waitcnt vmcnt(0)
	v_mul_f16_e32 v7, v53, v7
	v_pack_b32_f16 v8, v1, 0
	s_branch .LBB276_21
.LBB276_20:
	v_mov_b32_e32 v8, 0
	v_mov_b32_e32 v7, 0
.LBB276_21:
	s_mov_b32 s16, 0x5040100
	v_mov_b32_e32 v1, 0
	v_perm_b32 v44, v7, v8, s16
	s_mov_b64 vcc, s[4:5]
	s_cbranch_vccz .LBB276_23
; %bb.22:
	v_and_b32_e32 v45, 0xffff0000, v1
	v_mov_b32_e32 v35, 0
	s_cbranch_execz .LBB276_24
	s_branch .LBB276_25
.LBB276_23:
	v_mov_b32_e32 v35, 0
.LBB276_24:
	v_lshl_add_u64 v[2:3], v[2:3], 1, v[4:5]
	global_load_ushort v4, v[2:3], off offset:256
	global_load_ushort v5, v[2:3], off offset:384
	s_mov_b32 s16, 0xffff
	s_waitcnt vmcnt(1)
	v_mul_f16_e32 v2, v53, v4
	v_bfi_b32 v45, s16, v2, v1
	s_waitcnt vmcnt(0)
	v_mul_f16_e32 v35, v53, v5
.LBB276_25:
	v_lshl_or_b32 v36, v28, 3, v0
	v_lshlrev_b32_e32 v0, 3, v30
	v_lshlrev_b32_e32 v59, 3, v50
	v_lshl_add_u32 v71, v29, 1, v0
	v_add_u32_e32 v72, 0x1000, v59
	ds_write_b16 v36, v6 offset:4096
	ds_write_b16 v71, v32
	ds_write_b16_d16_hi v71, v32 offset:512
	ds_write_b16 v71, v33 offset:1024
	ds_write_b16 v71, v31 offset:1536
	s_waitcnt lgkmcnt(0)
	s_barrier
	v_lshlrev_b32_e32 v57, 3, v51
	ds_read2_b64 v[16:19], v72 offset1:8
	ds_read2_b64 v[12:15], v72 offset0:16 offset1:24
	ds_read2_b64 v[4:7], v72 offset0:32 offset1:40
	ds_read2_b64 v[38:41], v57 offset1:32
	ds_read2_b64 v[0:3], v72 offset0:48 offset1:56
	ds_read2_b64 v[24:27], v57 offset0:64 offset1:96
	;; [unrolled: 1-line block ×4, first 2 shown]
	s_waitcnt lgkmcnt(4)
	v_pk_add_f16 v37, v16, v38
	s_movk_i32 s17, 0x7c00
	v_pk_add_f16 v42, v18, v38
	v_pk_add_f16 v43, v12, v38
	;; [unrolled: 1-line block ×5, first 2 shown]
	s_waitcnt lgkmcnt(3)
	v_pk_add_f16 v49, v0, v38
	v_pk_add_f16 v38, v2, v38
	v_pk_add_f16 v54, v16, v40
	v_pk_add_f16 v55, v18, v40
	v_pk_add_f16 v56, v12, v40
	v_pk_add_f16 v58, v14, v40
	v_pk_add_f16 v60, v4, v40
	v_pk_add_f16 v61, v6, v40
	v_pk_add_f16 v62, v0, v40
	v_pk_add_f16 v40, v2, v40
	s_waitcnt lgkmcnt(2)
	v_pk_add_f16 v63, v16, v24
	v_pk_add_f16 v64, v18, v24
	v_pk_add_f16 v65, v12, v24
	v_pk_add_f16 v66, v14, v24
	v_pk_add_f16 v67, v4, v24
	v_pk_add_f16 v68, v6, v24
	v_pk_add_f16 v69, v0, v24
	v_pk_add_f16 v24, v2, v24
	v_pk_add_f16 v70, v16, v26
	v_pk_add_f16 v73, v18, v26
	v_pk_add_f16 v74, v12, v26
	v_pk_add_f16 v75, v14, v26
	v_pk_add_f16 v76, v4, v26
	v_pk_add_f16 v77, v6, v26
	v_pk_add_f16 v78, v0, v26
	v_pk_add_f16 v26, v2, v26
	s_waitcnt lgkmcnt(1)
	v_pk_add_f16 v79, v16, v20
	v_pk_add_f16 v80, v18, v20
	v_pk_add_f16 v81, v12, v20
	v_pk_add_f16 v82, v14, v20
	v_pk_add_f16 v84, v4, v20
	v_pk_add_f16 v86, v6, v20
	;; [unrolled: 17-line block ×3, first 2 shown]
	v_pk_add_f16 v136, v0, v8
	v_pk_add_f16 v8, v2, v8
	;; [unrolled: 1-line block ×11, first 2 shown]
	v_pk_min_f16 v10, v37, s17 op_sel_hi:[1,0]
	v_pk_min_f16 v8, v8, s17 op_sel_hi:[1,0]
	v_pk_min_f16 v121, v10, v2
	v_pk_add_f16 v2, v19, v39
	v_pk_min_f16 v10, v42, s17 op_sel_hi:[1,0]
	s_load_dword s16, s[0:1], 0x8
	v_pk_min_f16 v120, v10, v2
	v_pk_add_f16 v2, v13, v39
	v_pk_min_f16 v10, v43, s17 op_sel_hi:[1,0]
	v_pk_min_f16 v4, v4, s17 op_sel_hi:[1,0]
	v_pk_min_f16 v119, v10, v2
	v_pk_add_f16 v2, v15, v39
	v_pk_min_f16 v10, v46, s17 op_sel_hi:[1,0]
	v_pk_min_f16 v0, v0, s17 op_sel_hi:[1,0]
	v_pk_min_f16 v118, v10, v2
	v_pk_add_f16 v2, v5, v39
	v_pk_min_f16 v10, v47, s17 op_sel_hi:[1,0]
	s_waitcnt lgkmcnt(0)
	s_cmp_lt_i32 s16, 9
	v_pk_min_f16 v117, v10, v2
	v_pk_add_f16 v2, v7, v39
	v_pk_min_f16 v10, v48, s17 op_sel_hi:[1,0]
	ds_write_b16 v36, v34 offset:4608
	ds_write_b16 v71, v44 offset:2048
	ds_write_b16_d16_hi v71, v44 offset:2560
	ds_write_b16 v71, v45 offset:3072
	ds_write_b16 v71, v35 offset:3584
	v_pk_min_f16 v116, v10, v2
	v_pk_add_f16 v2, v1, v39
	v_pk_min_f16 v10, v49, s17 op_sel_hi:[1,0]
	s_waitcnt lgkmcnt(0)
	v_pk_min_f16 v114, v10, v2
	v_pk_add_f16 v2, v3, v39
	v_pk_min_f16 v10, v38, s17 op_sel_hi:[1,0]
	s_barrier
	v_pk_min_f16 v115, v10, v2
	v_pk_add_f16 v2, v17, v41
	v_pk_min_f16 v10, v54, s17 op_sel_hi:[1,0]
	s_nop 0
	v_pk_min_f16 v112, v10, v2
	v_pk_add_f16 v2, v19, v41
	v_pk_min_f16 v10, v55, s17 op_sel_hi:[1,0]
	s_nop 0
	v_pk_min_f16 v110, v10, v2
	v_pk_add_f16 v2, v13, v41
	v_pk_min_f16 v10, v56, s17 op_sel_hi:[1,0]
	s_nop 0
	v_pk_min_f16 v108, v10, v2
	v_pk_add_f16 v2, v15, v41
	v_pk_min_f16 v10, v58, s17 op_sel_hi:[1,0]
	s_nop 0
	v_pk_min_f16 v106, v10, v2
	v_pk_add_f16 v2, v5, v41
	v_pk_min_f16 v10, v60, s17 op_sel_hi:[1,0]
	s_nop 0
	v_pk_min_f16 v104, v10, v2
	v_pk_add_f16 v2, v7, v41
	v_pk_min_f16 v10, v61, s17 op_sel_hi:[1,0]
	s_nop 0
	v_pk_min_f16 v102, v10, v2
	v_pk_add_f16 v2, v1, v41
	v_pk_min_f16 v10, v62, s17 op_sel_hi:[1,0]
	s_nop 0
	v_pk_min_f16 v100, v10, v2
	v_pk_add_f16 v2, v3, v41
	v_pk_min_f16 v10, v40, s17 op_sel_hi:[1,0]
	s_nop 0
	v_pk_min_f16 v97, v10, v2
	v_pk_add_f16 v2, v17, v25
	v_pk_min_f16 v10, v63, s17 op_sel_hi:[1,0]
	s_nop 0
	v_pk_min_f16 v95, v10, v2
	v_pk_add_f16 v2, v19, v25
	v_pk_min_f16 v10, v64, s17 op_sel_hi:[1,0]
	s_nop 0
	v_pk_min_f16 v93, v10, v2
	v_pk_add_f16 v2, v13, v25
	v_pk_min_f16 v10, v65, s17 op_sel_hi:[1,0]
	s_nop 0
	v_pk_min_f16 v91, v10, v2
	v_pk_add_f16 v2, v15, v25
	v_pk_min_f16 v10, v66, s17 op_sel_hi:[1,0]
	s_nop 0
	v_pk_min_f16 v89, v10, v2
	v_pk_add_f16 v2, v5, v25
	v_pk_min_f16 v10, v67, s17 op_sel_hi:[1,0]
	s_nop 0
	v_pk_min_f16 v87, v10, v2
	v_pk_add_f16 v2, v7, v25
	v_pk_min_f16 v10, v68, s17 op_sel_hi:[1,0]
	s_nop 0
	v_pk_min_f16 v85, v10, v2
	v_pk_add_f16 v2, v1, v25
	v_pk_min_f16 v10, v69, s17 op_sel_hi:[1,0]
	s_nop 0
	v_pk_min_f16 v83, v10, v2
	v_pk_add_f16 v2, v3, v25
	v_pk_min_f16 v10, v24, s17 op_sel_hi:[1,0]
	s_nop 0
	v_pk_min_f16 v113, v10, v2
	v_pk_add_f16 v2, v17, v27
	v_pk_min_f16 v10, v70, s17 op_sel_hi:[1,0]
	s_nop 0
	v_pk_min_f16 v111, v10, v2
	v_pk_add_f16 v2, v19, v27
	v_pk_min_f16 v10, v73, s17 op_sel_hi:[1,0]
	s_nop 0
	v_pk_min_f16 v109, v10, v2
	v_pk_add_f16 v2, v13, v27
	v_pk_min_f16 v10, v74, s17 op_sel_hi:[1,0]
	s_nop 0
	v_pk_min_f16 v107, v10, v2
	v_pk_add_f16 v2, v15, v27
	v_pk_min_f16 v10, v75, s17 op_sel_hi:[1,0]
	s_nop 0
	v_pk_min_f16 v105, v10, v2
	v_pk_add_f16 v2, v5, v27
	v_pk_min_f16 v10, v76, s17 op_sel_hi:[1,0]
	s_nop 0
	v_pk_min_f16 v103, v10, v2
	v_pk_add_f16 v2, v7, v27
	v_pk_min_f16 v10, v77, s17 op_sel_hi:[1,0]
	s_nop 0
	v_pk_min_f16 v101, v10, v2
	v_pk_add_f16 v2, v1, v27
	v_pk_min_f16 v10, v78, s17 op_sel_hi:[1,0]
	s_nop 0
	v_pk_min_f16 v99, v10, v2
	v_pk_add_f16 v2, v3, v27
	v_pk_min_f16 v10, v26, s17 op_sel_hi:[1,0]
	s_nop 0
	v_pk_min_f16 v98, v10, v2
	v_pk_add_f16 v2, v17, v21
	v_pk_min_f16 v10, v79, s17 op_sel_hi:[1,0]
	s_nop 0
	v_pk_min_f16 v96, v10, v2
	v_pk_add_f16 v2, v19, v21
	v_pk_min_f16 v10, v80, s17 op_sel_hi:[1,0]
	s_nop 0
	v_pk_min_f16 v94, v10, v2
	v_pk_add_f16 v2, v13, v21
	v_pk_min_f16 v10, v81, s17 op_sel_hi:[1,0]
	s_nop 0
	v_pk_min_f16 v92, v10, v2
	v_pk_add_f16 v2, v15, v21
	v_pk_min_f16 v10, v82, s17 op_sel_hi:[1,0]
	s_nop 0
	v_pk_min_f16 v90, v10, v2
	v_pk_add_f16 v2, v5, v21
	v_pk_min_f16 v10, v84, s17 op_sel_hi:[1,0]
	s_nop 0
	v_pk_min_f16 v88, v10, v2
	v_pk_add_f16 v2, v7, v21
	v_pk_min_f16 v10, v86, s17 op_sel_hi:[1,0]
	s_nop 0
	v_pk_min_f16 v86, v10, v2
	v_pk_add_f16 v2, v1, v21
	v_pk_min_f16 v10, v122, s17 op_sel_hi:[1,0]
	s_nop 0
	v_pk_min_f16 v84, v10, v2
	v_pk_add_f16 v2, v3, v21
	v_pk_min_f16 v10, v20, s17 op_sel_hi:[1,0]
	s_nop 0
	v_pk_min_f16 v82, v10, v2
	v_pk_add_f16 v2, v17, v23
	v_pk_min_f16 v10, v123, s17 op_sel_hi:[1,0]
	s_nop 0
	v_pk_min_f16 v81, v10, v2
	v_pk_add_f16 v2, v19, v23
	v_pk_min_f16 v10, v124, s17 op_sel_hi:[1,0]
	s_nop 0
	v_pk_min_f16 v80, v10, v2
	v_pk_add_f16 v2, v13, v23
	v_pk_min_f16 v10, v125, s17 op_sel_hi:[1,0]
	s_nop 0
	v_pk_min_f16 v79, v10, v2
	v_pk_add_f16 v2, v15, v23
	v_pk_min_f16 v10, v126, s17 op_sel_hi:[1,0]
	s_nop 0
	v_pk_min_f16 v78, v10, v2
	v_pk_add_f16 v2, v5, v23
	v_pk_min_f16 v10, v127, s17 op_sel_hi:[1,0]
	s_nop 0
	v_pk_min_f16 v77, v10, v2
	v_pk_add_f16 v2, v7, v23
	v_pk_min_f16 v10, v128, s17 op_sel_hi:[1,0]
	s_nop 0
	v_pk_min_f16 v76, v10, v2
	v_pk_add_f16 v2, v1, v23
	v_pk_min_f16 v10, v129, s17 op_sel_hi:[1,0]
	s_nop 0
	v_pk_min_f16 v74, v10, v2
	v_pk_add_f16 v2, v3, v23
	v_pk_min_f16 v10, v22, s17 op_sel_hi:[1,0]
	s_nop 0
	v_pk_min_f16 v75, v10, v2
	v_pk_add_f16 v2, v17, v9
	v_pk_min_f16 v10, v130, s17 op_sel_hi:[1,0]
	s_nop 0
	v_pk_min_f16 v73, v10, v2
	v_pk_add_f16 v2, v19, v9
	v_pk_min_f16 v10, v131, s17 op_sel_hi:[1,0]
	s_nop 0
	v_pk_min_f16 v70, v10, v2
	v_pk_add_f16 v2, v13, v9
	v_pk_min_f16 v10, v132, s17 op_sel_hi:[1,0]
	s_nop 0
	v_pk_min_f16 v69, v10, v2
	v_pk_add_f16 v2, v15, v9
	v_pk_min_f16 v10, v133, s17 op_sel_hi:[1,0]
	s_nop 0
	v_pk_min_f16 v68, v10, v2
	v_pk_add_f16 v2, v5, v9
	v_pk_min_f16 v10, v134, s17 op_sel_hi:[1,0]
	s_nop 0
	v_pk_min_f16 v67, v10, v2
	v_pk_add_f16 v2, v7, v9
	v_pk_min_f16 v10, v135, s17 op_sel_hi:[1,0]
	s_nop 0
	v_pk_min_f16 v66, v10, v2
	v_pk_add_f16 v2, v1, v9
	v_pk_min_f16 v10, v136, s17 op_sel_hi:[1,0]
	v_pk_add_f16 v1, v1, v11
	v_pk_min_f16 v65, v10, v2
	v_pk_add_f16 v2, v3, v9
	s_nop 0
	v_pk_min_f16 v64, v8, v2
	v_pk_add_f16 v2, v17, v11
	v_pk_min_f16 v8, v16, s17 op_sel_hi:[1,0]
	s_nop 0
	v_pk_min_f16 v63, v8, v2
	v_pk_add_f16 v2, v19, v11
	v_pk_min_f16 v8, v18, s17 op_sel_hi:[1,0]
	;; [unrolled: 4-line block ×4, first 2 shown]
	s_nop 0
	v_pk_min_f16 v58, v8, v2
	v_pk_add_f16 v2, v5, v11
	s_nop 0
	v_pk_min_f16 v56, v4, v2
	v_pk_add_f16 v2, v7, v11
	v_pk_min_f16 v4, v6, s17 op_sel_hi:[1,0]
	s_nop 0
	v_pk_min_f16 v54, v4, v2
	v_pk_min_f16 v2, v137, s17 op_sel_hi:[1,0]
	s_nop 0
	v_pk_min_f16 v55, v2, v1
	v_pk_add_f16 v1, v3, v11
	s_nop 0
	v_pk_min_f16 v61, v0, v1
	s_cbranch_scc1 .LBB276_48
; %bb.26:
	v_mov_b32_e32 v0, 0x1200
	v_lshl_add_u32 v125, v50, 3, v0
	v_mov_b32_e32 v0, 0x800
	v_lshl_add_u32 v126, v51, 3, v0
	v_lshl_add_u32 v0, s2, 6, v28
	s_lshl_b32 s2, s25, 6
	v_subrev_u32_e32 v0, s2, v0
	v_and_b32_e32 v2, 3, v50
	v_mad_i64_i32 v[0:1], s[2:3], s3, v0, 0
	v_lshlrev_b32_e32 v2, 1, v2
	v_mov_b32_e32 v3, 0
	v_lshl_add_u64 v[0:1], v[0:1], 1, v[2:3]
	s_mov_b32 s17, 0x5040100
	v_lshl_add_u64 v[0:1], s[18:19], 0, v[0:1]
	v_perm_b32 v45, v35, v45, s17
	v_lshl_add_u64 v[34:35], v[0:1], 0, 16
	v_add_u32_e32 v0, s24, v30
	v_ashrrev_i32_e32 v1, 31, v0
	v_add_u32_e32 v122, 0x1000, v36
	v_add_u32_e32 v123, 0x1200, v36
	v_lshlrev_b64 v[36:37], 1, v[0:1]
	v_add_u32_e32 v0, 8, v29
	v_mad_i64_i32 v[0:1], s[2:3], v0, s12, 0
	v_lshl_add_u64 v[38:39], v[0:1], 1, s[22:23]
	v_add_u32_e32 v0, 12, v29
	s_lshl_b64 s[2:3], s[12:13], 4
	v_mad_i64_i32 v[0:1], s[12:13], v0, s12, 0
	v_or_b32_e32 v124, 0x800, v71
	s_add_i32 s16, s16, -8
	v_perm_b32 v33, v31, v33, s17
	v_lshl_add_u64 v[40:41], v[0:1], 1, s[22:23]
	s_mov_b32 s18, 0
	s_mov_b32 s19, 0xffff
	s_and_b64 vcc, exec, s[6:7]
	v_mov_b32_e32 v42, 0
	s_cbranch_vccz .LBB276_28
	s_branch .LBB276_29
.LBB276_27:                             ;   in Loop: Header=BB276_29 Depth=1
	v_mov_b32_e32 v44, v42
	s_and_b64 vcc, exec, s[6:7]
	v_mov_b32_e32 v42, 0
	s_cbranch_vccnz .LBB276_29
.LBB276_28:
	global_load_ushort v0, v[34:35], off
	s_waitcnt vmcnt(0)
	v_mul_f16_e32 v42, v53, v0
.LBB276_29:                             ; =>This Inner Loop Header: Depth=1
	s_mov_b64 s[12:13], -1
	s_mov_b64 vcc, s[4:5]
                                        ; implicit-def: $vgpr0_vgpr1
	s_cbranch_vccz .LBB276_33
; %bb.30:                               ;   in Loop: Header=BB276_29 Depth=1
	v_and_b32_e32 v0, 0xffff0000, v32
	v_mov_b32_e32 v1, v33
	v_mov_b32_e32 v4, 0
	v_lshl_add_u64 v[2:3], v[38:39], 0, v[36:37]
	s_cbranch_execz .LBB276_34
.LBB276_31:                             ;   in Loop: Header=BB276_29 Depth=1
	v_perm_b32 v32, v4, v0, s17
	s_mov_b64 s[12:13], -1
	s_mov_b64 vcc, s[4:5]
	s_cbranch_vccz .LBB276_35
.LBB276_32:                             ;   in Loop: Header=BB276_29 Depth=1
	v_and_b32_e32 v33, 0xffff0000, v1
	v_mov_b32_e32 v127, 0
	v_mov_b32_e32 v129, 0
	s_cbranch_execz .LBB276_36
	s_branch .LBB276_37
.LBB276_33:                             ;   in Loop: Header=BB276_29 Depth=1
	v_mov_b32_e32 v4, 0
	s_andn2_b64 vcc, exec, s[12:13]
	v_lshl_add_u64 v[2:3], v[38:39], 0, v[36:37]
	s_cbranch_vccnz .LBB276_31
.LBB276_34:                             ;   in Loop: Header=BB276_29 Depth=1
	global_load_ushort v0, v[2:3], off
	global_load_ushort v1, v[2:3], off offset:128
	s_waitcnt vmcnt(1)
	v_mul_f16_e32 v0, v53, v0
	v_bfi_b32 v32, s19, v0, v32
	s_waitcnt vmcnt(0)
	v_mul_f16_e32 v4, v53, v1
	v_mov_b64_e32 v[0:1], v[32:33]
	v_perm_b32 v32, v4, v0, s17
	s_mov_b64 s[12:13], -1
	s_mov_b64 vcc, s[4:5]
	s_cbranch_vccnz .LBB276_32
.LBB276_35:                             ;   in Loop: Header=BB276_29 Depth=1
	v_mov_b32_e32 v127, 0
	s_andn2_b64 vcc, exec, s[12:13]
	v_mov_b32_e32 v129, 0
	s_cbranch_vccnz .LBB276_37
.LBB276_36:                             ;   in Loop: Header=BB276_29 Depth=1
	global_load_ushort v0, v[2:3], off offset:256
	global_load_ushort v4, v[2:3], off offset:384
	s_waitcnt vmcnt(1)
	v_mul_f16_e32 v0, v53, v0
	v_bfi_b32 v33, s19, v0, v1
	s_waitcnt vmcnt(0)
	v_mul_f16_e32 v129, v53, v4
.LBB276_37:                             ;   in Loop: Header=BB276_29 Depth=1
	ds_read2_b64 v[16:19], v125 offset1:8
	ds_read2_b64 v[12:15], v125 offset0:16 offset1:24
	ds_read2_b64 v[4:7], v125 offset0:32 offset1:40
	ds_read2_b64 v[0:3], v125 offset0:48 offset1:56
	ds_read2_b64 v[28:31], v126 offset1:32
	ds_read2_b64 v[24:27], v126 offset0:64 offset1:96
	ds_read2_b64 v[20:23], v126 offset0:128 offset1:160
	;; [unrolled: 1-line block ×3, first 2 shown]
	s_and_b64 vcc, exec, s[6:7]
	ds_write_b16 v122, v42
	ds_write_b16 v71, v32
	ds_write_b16_d16_hi v71, v32 offset:512
	ds_write_b16 v71, v33 offset:1024
	ds_write_b16 v71, v129 offset:1536
	s_waitcnt lgkmcnt(0)
	s_barrier
	s_cbranch_vccnz .LBB276_39
; %bb.38:                               ;   in Loop: Header=BB276_29 Depth=1
	global_load_ushort v42, v[34:35], off offset:8
	s_waitcnt vmcnt(0)
	v_mul_f16_e32 v127, v53, v42
.LBB276_39:                             ;   in Loop: Header=BB276_29 Depth=1
	s_mov_b64 s[12:13], -1
	s_mov_b64 vcc, s[4:5]
                                        ; implicit-def: $vgpr46_vgpr47
	s_cbranch_vccz .LBB276_41
; %bb.40:                               ;   in Loop: Header=BB276_29 Depth=1
	v_and_b32_e32 v46, 0xffff0000, v44
	v_mov_b32_e32 v47, v45
	v_mov_b32_e32 v42, 0
	v_lshl_add_u64 v[48:49], v[40:41], 0, v[36:37]
	s_cbranch_execnz .LBB276_43
	s_branch .LBB276_42
.LBB276_41:                             ;   in Loop: Header=BB276_29 Depth=1
	v_mov_b32_e32 v42, 0
	s_andn2_b64 vcc, exec, s[12:13]
	v_lshl_add_u64 v[48:49], v[40:41], 0, v[36:37]
	s_cbranch_vccnz .LBB276_43
.LBB276_42:                             ;   in Loop: Header=BB276_29 Depth=1
	global_load_ushort v42, v[48:49], off
	global_load_ushort v43, v[48:49], off offset:128
	s_waitcnt vmcnt(1)
	v_mul_f16_e32 v42, v53, v42
	v_bfi_b32 v44, s19, v42, v44
	s_waitcnt vmcnt(0)
	v_mul_f16_e32 v42, v53, v43
	v_mov_b64_e32 v[46:47], v[44:45]
.LBB276_43:                             ;   in Loop: Header=BB276_29 Depth=1
	v_perm_b32 v42, v42, v46, s17
	s_mov_b64 s[12:13], -1
	s_mov_b64 vcc, s[4:5]
                                        ; implicit-def: $vgpr43
	s_cbranch_vccz .LBB276_45
; %bb.44:                               ;   in Loop: Header=BB276_29 Depth=1
	v_and_b32_e32 v43, 0xffff0000, v47
	v_mov_b32_e32 v46, 0
	s_cbranch_execz .LBB276_46
	s_branch .LBB276_47
.LBB276_45:                             ;   in Loop: Header=BB276_29 Depth=1
	s_andn2_b64 vcc, exec, s[12:13]
	v_mov_b32_e32 v46, 0
	s_cbranch_vccnz .LBB276_47
.LBB276_46:                             ;   in Loop: Header=BB276_29 Depth=1
	global_load_ushort v43, v[48:49], off offset:256
	global_load_ushort v44, v[48:49], off offset:384
	s_waitcnt vmcnt(1)
	v_mul_f16_e32 v43, v53, v43
	v_bfi_b32 v43, s19, v43, v47
	s_waitcnt vmcnt(0)
	v_mul_f16_e32 v46, v53, v44
.LBB276_47:                             ;   in Loop: Header=BB276_29 Depth=1
	v_pk_add_f16 v44, v16, v28
	v_pk_max_f16 v45, v121, v121
	v_pk_max_f16 v47, v120, v120
	v_pk_min_f16 v44, v45, v44
	v_pk_add_f16 v45, v18, v28
	v_pk_max_f16 v48, v119, v119
	v_pk_min_f16 v45, v47, v45
	v_pk_add_f16 v47, v12, v28
	;; [unrolled: 3-line block ×6, first 2 shown]
	v_pk_add_f16 v28, v2, v28
	v_pk_max_f16 v112, v112, v112
	v_pk_min_f16 v28, v115, v28
	v_pk_add_f16 v115, v16, v30
	v_pk_max_f16 v110, v110, v110
	v_pk_min_f16 v112, v112, v115
	;; [unrolled: 3-line block ×7, first 2 shown]
	v_pk_add_f16 v115, v0, v30
	v_pk_add_f16 v30, v2, v30
	v_pk_max_f16 v95, v95, v95
	v_pk_min_f16 v30, v97, v30
	v_pk_add_f16 v97, v16, v24
	v_pk_max_f16 v93, v93, v93
	v_pk_min_f16 v95, v95, v97
	v_pk_add_f16 v97, v18, v24
	v_pk_max_f16 v91, v91, v91
	v_pk_min_f16 v93, v93, v97
	v_pk_add_f16 v97, v12, v24
	v_pk_max_f16 v89, v89, v89
	v_pk_min_f16 v91, v91, v97
	v_pk_add_f16 v97, v14, v24
	v_pk_max_f16 v87, v87, v87
	v_pk_min_f16 v89, v89, v97
	v_pk_add_f16 v97, v4, v24
	v_pk_max_f16 v85, v85, v85
	v_pk_min_f16 v87, v87, v97
	v_pk_add_f16 v97, v6, v24
	v_pk_max_f16 v83, v83, v83
	v_pk_min_f16 v85, v85, v97
	v_pk_add_f16 v97, v0, v24
	v_pk_add_f16 v24, v2, v24
	v_pk_min_f16 v83, v83, v97
	v_pk_max_f16 v97, v113, v113
	v_pk_max_f16 v111, v111, v111
	v_pk_min_f16 v24, v97, v24
	v_pk_add_f16 v97, v16, v26
	v_pk_max_f16 v109, v109, v109
	v_pk_min_f16 v97, v111, v97
	v_pk_add_f16 v111, v18, v26
	v_pk_max_f16 v107, v107, v107
	v_pk_min_f16 v109, v109, v111
	v_pk_add_f16 v111, v12, v26
	v_pk_max_f16 v105, v105, v105
	v_pk_min_f16 v107, v107, v111
	v_pk_add_f16 v111, v14, v26
	v_pk_max_f16 v103, v103, v103
	v_pk_min_f16 v105, v105, v111
	v_pk_add_f16 v111, v4, v26
	v_pk_max_f16 v101, v101, v101
	v_pk_min_f16 v103, v103, v111
	v_pk_add_f16 v111, v6, v26
	v_pk_max_f16 v98, v98, v98
	v_pk_min_f16 v101, v101, v111
	v_pk_add_f16 v111, v0, v26
	v_pk_add_f16 v26, v2, v26
	v_pk_max_f16 v96, v96, v96
	v_pk_min_f16 v26, v98, v26
	v_pk_add_f16 v98, v16, v20
	v_pk_max_f16 v94, v94, v94
	v_pk_min_f16 v96, v96, v98
	v_pk_add_f16 v98, v18, v20
	v_pk_max_f16 v92, v92, v92
	v_pk_min_f16 v94, v94, v98
	v_pk_add_f16 v98, v12, v20
	v_pk_max_f16 v90, v90, v90
	v_pk_min_f16 v92, v92, v98
	v_pk_add_f16 v98, v14, v20
	v_pk_max_f16 v88, v88, v88
	v_pk_min_f16 v90, v90, v98
	v_pk_add_f16 v98, v4, v20
	v_pk_max_f16 v86, v86, v86
	v_pk_min_f16 v88, v88, v98
	v_pk_add_f16 v98, v6, v20
	v_pk_max_f16 v82, v82, v82
	v_pk_min_f16 v98, v86, v98
	v_pk_add_f16 v86, v0, v20
	v_pk_add_f16 v20, v2, v20
	v_pk_max_f16 v81, v81, v81
	v_pk_min_f16 v20, v82, v20
	v_pk_add_f16 v82, v16, v22
	v_pk_max_f16 v100, v100, v100
	v_pk_min_f16 v113, v81, v82
	v_pk_add_f16 v81, v18, v22
	v_pk_max_f16 v80, v80, v80
	v_pk_max_f16 v114, v114, v114
	v_pk_min_f16 v100, v100, v115
	v_pk_min_f16 v115, v80, v81
	v_pk_add_f16 v80, v12, v22
	v_pk_max_f16 v79, v79, v79
	v_pk_min_f16 v114, v114, v117
	v_pk_min_f16 v117, v79, v80
	v_pk_add_f16 v79, v14, v22
	v_pk_max_f16 v78, v78, v78
	v_pk_max_f16 v77, v77, v77
	v_pk_min_f16 v118, v78, v79
	v_pk_add_f16 v78, v4, v22
	v_pk_max_f16 v76, v76, v76
	v_pk_min_f16 v119, v77, v78
	v_pk_add_f16 v77, v6, v22
	;; [unrolled: 3-line block ×3, first 2 shown]
	v_pk_add_f16 v22, v2, v22
	v_pk_min_f16 v121, v74, v76
	v_pk_max_f16 v74, v75, v75
	v_pk_max_f16 v73, v73, v73
	v_pk_min_f16 v22, v74, v22
	v_pk_add_f16 v74, v16, v8
	v_pk_max_f16 v70, v70, v70
	v_pk_min_f16 v128, v73, v74
	v_pk_add_f16 v73, v18, v8
	;; [unrolled: 3-line block ×6, first 2 shown]
	v_pk_add_f16 v16, v16, v10
	v_pk_min_f16 v134, v66, v67
	v_pk_add_f16 v66, v0, v8
	v_pk_add_f16 v8, v2, v8
	;; [unrolled: 1-line block ×9, first 2 shown]
	v_pk_max_f16 v10, v61, v61
	v_pk_max_f16 v99, v99, v99
	v_pk_min_f16 v2, v10, v2
	v_pk_add_f16 v10, v17, v29
	v_pk_max_f16 v84, v84, v84
	v_pk_min_f16 v136, v44, v10
	v_pk_add_f16 v10, v19, v29
	v_pk_min_f16 v99, v99, v111
	v_pk_min_f16 v137, v45, v10
	v_pk_add_f16 v10, v13, v29
	v_pk_min_f16 v111, v84, v86
	v_pk_min_f16 v138, v47, v10
	v_pk_add_f16 v10, v15, v29
	v_pk_max_f16 v65, v65, v65
	v_pk_min_f16 v139, v48, v10
	v_pk_add_f16 v10, v5, v29
	v_pk_min_f16 v135, v65, v66
	v_pk_min_f16 v140, v49, v10
	v_pk_add_f16 v10, v7, v29
	v_pk_max_f16 v64, v64, v64
	;; [unrolled: 6-line block ×9, first 2 shown]
	v_pk_min_f16 v89, v89, v10
	v_pk_add_f16 v10, v5, v25
	v_pk_min_f16 v0, v54, v0
	v_pk_min_f16 v87, v87, v10
	v_pk_add_f16 v10, v7, v25
	v_perm_b32 v33, v129, v33, s17
	v_pk_min_f16 v85, v85, v10
	v_pk_add_f16 v10, v1, v25
	s_add_i32 s18, s18, 8
	v_pk_min_f16 v83, v83, v10
	v_pk_add_f16 v10, v3, v25
	v_lshl_add_u64 v[34:35], v[34:35], 0, 16
	v_pk_min_f16 v86, v24, v10
	v_pk_add_f16 v10, v17, v27
	v_pk_max_f16 v86, v86, v86
	v_pk_min_f16 v84, v97, v10
	v_pk_add_f16 v10, v19, v27
	v_pk_max_f16 v84, v84, v84
	v_pk_min_f16 v82, v109, v10
	v_pk_add_f16 v10, v13, v27
	v_pk_max_f16 v82, v82, v82
	v_pk_min_f16 v81, v107, v10
	v_pk_add_f16 v10, v15, v27
	v_pk_max_f16 v81, v81, v81
	v_pk_min_f16 v80, v105, v10
	v_pk_add_f16 v10, v5, v27
	v_pk_max_f16 v80, v80, v80
	v_pk_min_f16 v79, v103, v10
	v_pk_add_f16 v10, v7, v27
	v_pk_max_f16 v79, v79, v79
	v_pk_min_f16 v78, v101, v10
	v_pk_add_f16 v10, v1, v27
	v_pk_max_f16 v78, v78, v78
	v_pk_min_f16 v76, v99, v10
	v_pk_add_f16 v10, v3, v27
	v_pk_max_f16 v76, v76, v76
	v_pk_min_f16 v73, v26, v10
	v_pk_add_f16 v10, v17, v21
	v_pk_max_f16 v73, v73, v73
	v_pk_min_f16 v77, v96, v10
	v_pk_add_f16 v10, v19, v21
	v_lshl_add_u64 v[38:39], v[38:39], 0, s[2:3]
	v_pk_min_f16 v75, v94, v10
	v_pk_add_f16 v10, v13, v21
	s_cmp_ge_i32 s18, s16
	v_pk_min_f16 v74, v92, v10
	v_pk_add_f16 v10, v15, v21
	v_lshl_add_u64 v[40:41], v[40:41], 0, s[2:3]
	v_pk_min_f16 v70, v90, v10
	v_pk_add_f16 v10, v5, v21
	v_pk_max_f16 v70, v70, v70
	v_pk_min_f16 v69, v88, v10
	v_pk_add_f16 v10, v7, v21
	v_pk_max_f16 v69, v69, v69
	;; [unrolled: 3-line block ×5, first 2 shown]
	v_pk_min_f16 v65, v113, v10
	v_pk_add_f16 v10, v19, v23
	s_nop 0
	v_pk_min_f16 v64, v115, v10
	v_pk_add_f16 v10, v13, v23
	v_pk_max_f16 v115, v141, v141
	v_pk_min_f16 v63, v117, v10
	v_pk_add_f16 v10, v15, v23
	s_nop 0
	v_pk_min_f16 v62, v118, v10
	v_pk_add_f16 v10, v5, v23
	s_nop 0
	v_pk_min_f16 v60, v119, v10
	v_pk_add_f16 v10, v7, v23
	s_nop 0
	v_pk_min_f16 v58, v120, v10
	v_pk_add_f16 v10, v1, v23
	s_nop 0
	v_pk_min_f16 v56, v121, v10
	v_pk_add_f16 v10, v3, v23
	s_nop 0
	v_pk_min_f16 v48, v22, v10
	v_pk_add_f16 v10, v17, v9
	s_nop 0
	v_pk_min_f16 v49, v128, v10
	v_pk_add_f16 v10, v19, v9
	s_nop 0
	v_pk_min_f16 v44, v130, v10
	v_pk_add_f16 v10, v13, v9
	s_nop 0
	v_pk_min_f16 v29, v131, v10
	v_pk_add_f16 v10, v15, v9
	s_nop 0
	v_pk_min_f16 v28, v132, v10
	v_pk_add_f16 v10, v5, v9
	v_pk_add_f16 v5, v5, v11
	v_pk_min_f16 v27, v133, v10
	v_pk_add_f16 v10, v7, v9
	v_pk_min_f16 v55, v4, v5
	v_pk_min_f16 v26, v134, v10
	v_pk_add_f16 v10, v1, v9
	v_pk_add_f16 v9, v3, v9
	;; [unrolled: 1-line block ×3, first 2 shown]
	v_pk_min_f16 v24, v8, v9
	v_pk_add_f16 v8, v17, v11
	v_pk_add_f16 v4, v7, v11
	v_pk_min_f16 v31, v16, v8
	v_pk_add_f16 v8, v19, v11
	v_pk_min_f16 v128, v0, v1
	v_pk_min_f16 v30, v18, v8
	v_pk_add_f16 v8, v13, v11
	v_pk_add_f16 v0, v3, v11
	v_pk_min_f16 v47, v12, v8
	v_pk_add_f16 v8, v15, v11
	v_pk_min_f16 v25, v135, v10
	v_pk_min_f16 v45, v14, v8
	;; [unrolled: 1-line block ×4, first 2 shown]
	ds_read2_b64 v[8:11], v72 offset1:8
	ds_read2_b64 v[16:19], v57 offset1:32
	ds_read2_b64 v[12:15], v72 offset0:16 offset1:24
	ds_read2_b64 v[4:7], v72 offset0:32 offset1:40
	;; [unrolled: 1-line block ×4, first 2 shown]
	s_waitcnt lgkmcnt(4)
	v_pk_add_f16 v88, v8, v16
	v_pk_add_f16 v101, v8, v18
	;; [unrolled: 1-line block ×3, first 2 shown]
	s_waitcnt lgkmcnt(1)
	v_pk_add_f16 v99, v2, v16
	v_pk_add_f16 v105, v12, v18
	v_pk_add_f16 v107, v14, v18
	v_pk_add_f16 v109, v4, v18
	v_pk_add_f16 v111, v6, v18
	v_pk_add_f16 v113, v0, v18
	v_pk_add_f16 v129, v2, v18
	v_pk_max_f16 v18, v136, v136
	v_pk_add_f16 v90, v10, v16
	v_pk_add_f16 v92, v12, v16
	;; [unrolled: 1-line block ×7, first 2 shown]
	v_pk_min_f16 v18, v18, v88
	v_pk_add_f16 v88, v3, v17
	v_pk_min_f16 v99, v115, v99
	v_pk_min_f16 v121, v18, v16
	v_pk_max_f16 v18, v137, v137
	v_pk_min_f16 v115, v99, v88
	v_pk_max_f16 v99, v112, v112
	v_pk_add_f16 v16, v11, v17
	v_pk_min_f16 v18, v18, v90
	v_pk_add_f16 v90, v9, v19
	v_pk_min_f16 v99, v99, v101
	v_pk_min_f16 v120, v18, v16
	v_pk_max_f16 v18, v138, v138
	v_pk_min_f16 v112, v99, v90
	v_pk_max_f16 v99, v110, v110
	v_pk_add_f16 v16, v13, v17
	;; [unrolled: 8-line block ×3, first 2 shown]
	v_pk_min_f16 v18, v18, v94
	v_pk_add_f16 v94, v13, v19
	v_pk_min_f16 v99, v99, v105
	v_pk_min_f16 v118, v18, v16
	v_pk_max_f16 v18, v140, v140
	s_waitcnt lgkmcnt(0)
	v_pk_add_f16 v132, v8, v20
	v_pk_add_f16 v88, v10, v20
	;; [unrolled: 1-line block ×7, first 2 shown]
	v_pk_min_f16 v108, v99, v94
	v_pk_add_f16 v94, v2, v20
	v_pk_max_f16 v20, v106, v106
	v_pk_add_f16 v16, v5, v17
	v_pk_min_f16 v18, v18, v96
	v_pk_add_f16 v96, v15, v19
	v_pk_min_f16 v20, v20, v107
	v_pk_min_f16 v117, v18, v16
	v_pk_max_f16 v18, v116, v116
	v_pk_min_f16 v106, v20, v96
	v_pk_max_f16 v20, v104, v104
	v_pk_add_f16 v16, v7, v17
	v_pk_min_f16 v18, v18, v97
	v_pk_add_f16 v97, v5, v19
	v_pk_min_f16 v20, v20, v109
	v_pk_min_f16 v116, v18, v16
	v_pk_max_f16 v18, v114, v114
	v_pk_min_f16 v104, v20, v97
	v_pk_max_f16 v20, v102, v102
	v_pk_min_f16 v18, v18, v98
	v_pk_add_f16 v98, v7, v19
	v_pk_min_f16 v20, v20, v111
	v_pk_add_f16 v130, v1, v19
	v_pk_min_f16 v102, v20, v98
	v_pk_max_f16 v20, v100, v100
	v_pk_add_f16 v16, v1, v17
	v_pk_min_f16 v20, v20, v113
	v_pk_add_f16 v131, v3, v19
	v_pk_min_f16 v100, v20, v130
	v_pk_max_f16 v20, v142, v142
	v_pk_add_f16 v99, v8, v22
	v_pk_add_f16 v96, v10, v22
	;; [unrolled: 1-line block ×8, first 2 shown]
	v_pk_min_f16 v20, v20, v129
	v_pk_max_f16 v22, v95, v95
	v_pk_min_f16 v114, v18, v16
	ds_read2_b64 v[16:19], v57 offset0:128 offset1:160
	v_pk_min_f16 v97, v20, v131
	v_pk_add_f16 v20, v9, v21
	v_pk_min_f16 v22, v22, v132
	v_pk_add_f16 v136, v3, v23
	v_pk_min_f16 v95, v22, v20
	v_pk_max_f16 v22, v93, v93
	v_pk_add_f16 v20, v11, v21
	v_pk_min_f16 v22, v22, v88
	v_pk_min_f16 v73, v73, v130
	;; [unrolled: 1-line block ×3, first 2 shown]
	v_pk_max_f16 v22, v91, v91
	v_pk_add_f16 v20, v13, v21
	v_pk_min_f16 v22, v22, v101
	v_pk_add_f16 v132, v1, v23
	v_pk_min_f16 v91, v22, v20
	v_pk_max_f16 v22, v89, v89
	v_pk_min_f16 v86, v86, v94
	s_waitcnt lgkmcnt(0)
	v_pk_add_f16 v94, v8, v16
	v_pk_min_f16 v78, v78, v98
	v_pk_min_f16 v76, v76, v135
	;; [unrolled: 1-line block ×3, first 2 shown]
	v_pk_max_f16 v73, v77, v77
	v_pk_add_f16 v20, v15, v21
	v_pk_min_f16 v22, v22, v90
	v_pk_add_f16 v88, v3, v21
	v_pk_min_f16 v84, v84, v99
	v_pk_min_f16 v99, v76, v132
	;; [unrolled: 1-line block ×3, first 2 shown]
	v_pk_add_f16 v76, v9, v17
	v_pk_min_f16 v89, v22, v20
	v_pk_max_f16 v22, v87, v87
	v_pk_min_f16 v113, v86, v88
	v_pk_add_f16 v86, v10, v16
	v_pk_min_f16 v82, v82, v96
	v_pk_min_f16 v96, v73, v76
	v_pk_max_f16 v73, v75, v75
	v_pk_add_f16 v20, v5, v21
	v_pk_min_f16 v22, v22, v103
	v_pk_min_f16 v73, v73, v86
	v_pk_add_f16 v75, v11, v17
	v_pk_min_f16 v87, v22, v20
	v_pk_max_f16 v22, v85, v85
	v_pk_add_f16 v90, v9, v23
	v_pk_add_f16 v88, v12, v16
	v_pk_min_f16 v94, v73, v75
	v_pk_max_f16 v73, v74, v74
	v_pk_min_f16 v22, v22, v92
	v_pk_add_f16 v92, v11, v23
	v_pk_min_f16 v111, v84, v90
	v_pk_add_f16 v84, v14, v16
	;; [unrolled: 2-line block ×3, first 2 shown]
	v_pk_add_f16 v137, v4, v16
	v_pk_min_f16 v109, v82, v92
	v_pk_min_f16 v92, v73, v74
	;; [unrolled: 1-line block ×3, first 2 shown]
	v_pk_add_f16 v73, v15, v17
	v_pk_add_f16 v82, v6, v16
	v_pk_min_f16 v90, v70, v73
	v_pk_min_f16 v69, v69, v137
	v_pk_add_f16 v70, v5, v17
	v_pk_add_f16 v138, v0, v16
	;; [unrolled: 1-line block ×3, first 2 shown]
	v_pk_min_f16 v88, v69, v70
	v_pk_min_f16 v68, v68, v82
	v_pk_add_f16 v69, v7, v17
	v_pk_add_f16 v101, v13, v23
	v_pk_min_f16 v81, v81, v107
	v_pk_min_f16 v86, v68, v69
	v_pk_add_f16 v68, v1, v17
	v_pk_min_f16 v16, v66, v16
	v_pk_add_f16 v17, v3, v17
	v_pk_add_f16 v20, v7, v21
	v_pk_min_f16 v107, v81, v101
	v_pk_add_f16 v81, v8, v18
	v_pk_min_f16 v82, v16, v17
	v_pk_max_f16 v16, v65, v65
	v_pk_min_f16 v85, v22, v20
	v_pk_max_f16 v22, v83, v83
	v_pk_add_f16 v103, v15, v23
	v_pk_min_f16 v80, v80, v133
	v_pk_min_f16 v16, v16, v81
	v_pk_add_f16 v17, v9, v19
	v_pk_min_f16 v22, v22, v105
	v_pk_min_f16 v105, v80, v103
	v_pk_add_f16 v80, v10, v18
	v_pk_min_f16 v81, v16, v17
	v_pk_max_f16 v16, v64, v64
	v_pk_add_f16 v17, v11, v19
	v_pk_min_f16 v16, v16, v80
	v_pk_add_f16 v133, v12, v18
	v_pk_min_f16 v80, v16, v17
	v_pk_max_f16 v16, v63, v63
	v_pk_add_f16 v129, v5, v23
	v_pk_min_f16 v79, v79, v134
	v_pk_min_f16 v16, v16, v133
	v_pk_add_f16 v17, v13, v19
	v_pk_min_f16 v103, v79, v129
	v_pk_add_f16 v129, v14, v18
	v_pk_min_f16 v79, v16, v17
	v_pk_max_f16 v16, v62, v62
	v_pk_add_f16 v131, v7, v23
	v_pk_min_f16 v16, v16, v129
	v_pk_add_f16 v17, v15, v19
	v_pk_add_f16 v134, v4, v18
	v_pk_min_f16 v101, v78, v131
	v_pk_min_f16 v78, v16, v17
	v_pk_max_f16 v16, v60, v60
	v_pk_add_f16 v17, v5, v19
	v_pk_min_f16 v16, v16, v134
	v_pk_add_f16 v20, v1, v21
	v_pk_add_f16 v131, v6, v18
	v_pk_min_f16 v77, v16, v17
	v_pk_max_f16 v16, v58, v58
	v_pk_min_f16 v83, v22, v20
	ds_read2_b64 v[20:23], v57 offset0:192 offset1:224
	v_pk_min_f16 v16, v16, v131
	v_pk_add_f16 v17, v7, v19
	v_pk_add_f16 v135, v0, v18
	v_pk_min_f16 v76, v16, v17
	v_pk_max_f16 v16, v56, v56
	v_pk_add_f16 v17, v1, v19
	v_pk_min_f16 v16, v16, v135
	v_pk_add_f16 v18, v2, v18
	v_pk_min_f16 v74, v16, v17
	v_pk_max_f16 v17, v48, v48
	v_pk_add_f16 v16, v3, v19
	v_pk_min_f16 v17, v17, v18
	s_waitcnt lgkmcnt(0)
	v_pk_add_f16 v130, v8, v20
	v_pk_min_f16 v75, v17, v16
	v_pk_max_f16 v17, v49, v49
	v_pk_add_f16 v16, v9, v21
	v_pk_min_f16 v17, v17, v130
	v_pk_add_f16 v132, v10, v20
	v_pk_min_f16 v73, v17, v16
	v_pk_max_f16 v17, v44, v44
	v_pk_add_f16 v16, v11, v21
	v_pk_min_f16 v17, v17, v132
	;; [unrolled: 5-line block ×3, first 2 shown]
	v_pk_add_f16 v139, v14, v20
	v_pk_min_f16 v69, v17, v16
	v_pk_max_f16 v17, v28, v28
	v_pk_min_f16 v67, v67, v138
	v_pk_add_f16 v16, v15, v21
	v_pk_min_f16 v17, v17, v139
	v_pk_add_f16 v140, v4, v20
	v_pk_min_f16 v84, v67, v68
	v_pk_min_f16 v68, v17, v16
	v_pk_max_f16 v17, v27, v27
	v_pk_add_f16 v16, v5, v21
	v_pk_min_f16 v17, v17, v140
	v_pk_add_f16 v141, v6, v20
	v_pk_min_f16 v67, v17, v16
	v_pk_max_f16 v17, v26, v26
	v_pk_add_f16 v16, v7, v21
	v_pk_min_f16 v17, v17, v141
	v_pk_add_f16 v137, v0, v20
	;; [unrolled: 5-line block ×11, first 2 shown]
	v_pk_min_f16 v55, v0, v1
	v_pk_max_f16 v1, v61, v61
	v_pk_add_f16 v0, v3, v23
	v_pk_min_f16 v1, v1, v2
	v_perm_b32 v45, v46, v43, s17
	v_pk_min_f16 v61, v1, v0
	ds_write_b16 v123, v127
	ds_write_b16 v124, v42
	ds_write_b16_d16_hi v124, v42 offset:512
	ds_write_b16 v124, v43 offset:1024
	ds_write_b16 v124, v46 offset:1536
	s_waitcnt lgkmcnt(0)
	s_barrier
	s_cbranch_scc0 .LBB276_27
.LBB276_48:
	s_load_dword s6, s[0:1], 0x58
	ds_read_b64 v[30:31], v59 offset:4608
	ds_read_b64 v[46:47], v57 offset:2048
	v_add_u32_e32 v53, s24, v51
	v_cmp_neq_f16_e64 s[4:5], 0, v52
	v_add_u32_e32 v28, s21, v50
	s_waitcnt lgkmcnt(0)
	v_mad_i64_i32 v[0:1], s[2:3], v53, s6, 0
	v_ashrrev_i32_e32 v29, 31, v28
	v_lshl_add_u64 v[48:49], v[0:1], 1, s[10:11]
	v_mov_b32_e32 v34, 0
	s_and_b64 vcc, exec, s[4:5]
	v_mov_b32_e32 v35, 0
	s_cbranch_vccz .LBB276_50
; %bb.49:
	v_lshl_add_u64 v[0:1], v[28:29], 1, v[48:49]
	global_load_ushort v0, v[0:1], off
	s_waitcnt vmcnt(0)
	v_mul_f16_e32 v0, v52, v0
	v_cvt_f32_f16_e32 v35, v0
.LBB276_50:
	v_add_u32_e32 v0, 0x1000, v59
	v_pk_add_f16 v32, v30, v46
	v_max_f16_e32 v33, v121, v121
	v_pk_add_f16 v37, v31, v47
	ds_read2_b64 v[8:11], v0 offset0:72 offset1:80
	ds_read2_b64 v[4:7], v0 offset0:88 offset1:96
	;; [unrolled: 1-line block ×3, first 2 shown]
	ds_read_b64 v[24:25], v59 offset:5056
	s_load_dword s7, s[0:1], 0x70
	s_load_dwordx2 s[2:3], s[0:1], 0x78
	v_min_f16_e32 v36, v33, v32
	v_lshrrev_b32_e32 v33, 16, v121
	v_lshrrev_b32_e32 v32, 16, v32
	;; [unrolled: 1-line block ×3, first 2 shown]
	v_min3_f16 v38, v33, v32, v38
	v_min3_f16 v36, v36, v37, v38
	v_cvt_f32_f16_e32 v38, v36
	v_add_u32_e32 v12, 0x800, v57
	ds_read2_b64 v[20:23], v12 offset0:32 offset1:64
	ds_read2_b64 v[16:19], v12 offset0:96 offset1:128
	;; [unrolled: 1-line block ×3, first 2 shown]
	ds_read_b64 v[26:27], v57 offset:3840
	s_waitcnt lgkmcnt(0)
	s_mul_i32 s0, s3, s20
	s_mul_hi_u32 s1, s2, s20
	s_add_i32 s1, s1, s0
	s_mul_i32 s0, s2, s20
	v_max_f32_e32 v35, v35, v35
	s_lshl_b64 s[0:1], s[0:1], 1
	v_min_f32_e32 v35, v35, v38
	s_add_u32 s2, s14, s0
	v_cvt_f16_f32_e32 v35, v35
	s_addc_u32 s3, s15, s1
	v_mad_i64_i32 v[36:37], s[0:1], v53, s7, 0
	v_add_u32_e32 v32, 8, v28
	v_lshl_add_u64 v[50:51], v[36:37], 1, s[2:3]
	v_cndmask_b32_e64 v38, 0, 1, s[4:5]
	v_ashrrev_i32_e32 v33, 31, v32
	v_lshl_add_u64 v[36:37], v[28:29], 1, v[50:51]
	v_cmp_ne_u32_e64 s[0:1], 1, v38
	s_andn2_b64 vcc, exec, s[4:5]
	global_store_short v[36:37], v35, off
	s_cbranch_vccnz .LBB276_52
; %bb.51:
	v_lshl_add_u64 v[34:35], v[32:33], 1, v[48:49]
	global_load_ushort v34, v[34:35], off
	s_waitcnt vmcnt(0)
	v_mul_f16_e32 v34, v52, v34
	v_cvt_f32_f16_e32 v34, v34
.LBB276_52:
	v_pk_add_f16 v35, v8, v46
	v_max_f16_e32 v36, v120, v120
	v_pk_add_f16 v38, v9, v47
	v_min_f16_e32 v36, v36, v35
	v_lshrrev_b32_e32 v37, 16, v120
	v_lshrrev_b32_e32 v35, 16, v35
	;; [unrolled: 1-line block ×3, first 2 shown]
	v_min3_f16 v35, v37, v35, v39
	v_min3_f16 v35, v36, v38, v35
	v_cvt_f32_f16_e32 v35, v35
	v_max_f32_e32 v34, v34, v34
	v_lshl_add_u64 v[36:37], v[32:33], 1, v[50:51]
	s_and_b64 vcc, exec, s[0:1]
	v_min_f32_e32 v34, v34, v35
	v_cvt_f16_f32_e32 v38, v34
	v_add_u32_e32 v34, 16, v28
	v_ashrrev_i32_e32 v35, 31, v34
	global_store_short v[36:37], v38, off
	v_mov_b32_e32 v38, 0
	v_mov_b32_e32 v37, 0
	s_cbranch_vccnz .LBB276_54
; %bb.53:
	v_lshl_add_u64 v[36:37], v[34:35], 1, v[48:49]
	global_load_ushort v36, v[36:37], off
	s_waitcnt vmcnt(0)
	v_mul_f16_e32 v36, v52, v36
	v_cvt_f32_f16_e32 v37, v36
.LBB276_54:
	v_pk_add_f16 v36, v10, v46
	v_max_f16_e32 v39, v119, v119
	v_pk_add_f16 v41, v11, v47
	v_min_f16_e32 v39, v39, v36
	v_lshrrev_b32_e32 v40, 16, v119
	v_lshrrev_b32_e32 v36, 16, v36
	;; [unrolled: 1-line block ×3, first 2 shown]
	v_min3_f16 v36, v40, v36, v42
	v_min3_f16 v36, v39, v41, v36
	v_cvt_f32_f16_e32 v39, v36
	v_max_f32_e32 v37, v37, v37
	v_add_u32_e32 v36, 24, v28
	v_lshl_add_u64 v[40:41], v[34:35], 1, v[50:51]
	v_min_f32_e32 v37, v37, v39
	v_cvt_f16_f32_e32 v39, v37
	v_ashrrev_i32_e32 v37, 31, v36
	s_and_b64 vcc, exec, s[0:1]
	global_store_short v[40:41], v39, off
	s_cbranch_vccnz .LBB276_56
; %bb.55:
	v_lshl_add_u64 v[38:39], v[36:37], 1, v[48:49]
	global_load_ushort v38, v[38:39], off
	s_waitcnt vmcnt(0)
	v_mul_f16_e32 v38, v52, v38
	v_cvt_f32_f16_e32 v38, v38
.LBB276_56:
	v_pk_add_f16 v39, v4, v46
	v_max_f16_e32 v40, v118, v118
	v_pk_add_f16 v42, v5, v47
	v_min_f16_e32 v40, v40, v39
	v_lshrrev_b32_e32 v41, 16, v118
	v_lshrrev_b32_e32 v39, 16, v39
	v_lshrrev_b32_e32 v43, 16, v42
	v_min3_f16 v39, v41, v39, v43
	v_min3_f16 v39, v40, v42, v39
	v_cvt_f32_f16_e32 v39, v39
	v_max_f32_e32 v38, v38, v38
	v_add_u32_e32 v40, 32, v28
	v_ashrrev_i32_e32 v41, 31, v40
	v_min_f32_e32 v38, v38, v39
	v_cvt_f16_f32_e32 v42, v38
	v_lshl_add_u64 v[38:39], v[36:37], 1, v[50:51]
	s_and_b64 vcc, exec, s[0:1]
	global_store_short v[38:39], v42, off
	v_mov_b32_e32 v42, 0
	v_mov_b32_e32 v39, 0
	s_cbranch_vccnz .LBB276_58
; %bb.57:
	v_lshl_add_u64 v[38:39], v[40:41], 1, v[48:49]
	global_load_ushort v38, v[38:39], off
	s_waitcnt vmcnt(0)
	v_mul_f16_e32 v38, v52, v38
	v_cvt_f32_f16_e32 v39, v38
.LBB276_58:
	v_pk_add_f16 v38, v6, v46
	v_max_f16_e32 v43, v117, v117
	v_pk_add_f16 v45, v7, v47
	v_min_f16_e32 v43, v43, v38
	v_lshrrev_b32_e32 v44, 16, v117
	v_lshrrev_b32_e32 v38, 16, v38
	;; [unrolled: 1-line block ×3, first 2 shown]
	v_min3_f16 v38, v44, v38, v57
	v_min3_f16 v38, v43, v45, v38
	v_cvt_f32_f16_e32 v43, v38
	v_max_f32_e32 v39, v39, v39
	v_add_u32_e32 v38, 40, v28
	v_lshl_add_u64 v[44:45], v[40:41], 1, v[50:51]
	v_min_f32_e32 v39, v39, v43
	v_cvt_f16_f32_e32 v43, v39
	v_ashrrev_i32_e32 v39, 31, v38
	s_and_b64 vcc, exec, s[0:1]
	global_store_short v[44:45], v43, off
	s_cbranch_vccnz .LBB276_60
; %bb.59:
	v_lshl_add_u64 v[42:43], v[38:39], 1, v[48:49]
	global_load_ushort v42, v[42:43], off
	s_waitcnt vmcnt(0)
	v_mul_f16_e32 v42, v52, v42
	v_cvt_f32_f16_e32 v42, v42
.LBB276_60:
	v_pk_add_f16 v43, v0, v46
	v_max_f16_e32 v44, v116, v116
	v_pk_add_f16 v57, v1, v47
	v_min_f16_e32 v44, v44, v43
	v_lshrrev_b32_e32 v45, 16, v116
	v_lshrrev_b32_e32 v43, 16, v43
	;; [unrolled: 1-line block ×3, first 2 shown]
	v_min3_f16 v43, v45, v43, v59
	v_min3_f16 v43, v44, v57, v43
	v_cvt_f32_f16_e32 v43, v43
	v_max_f32_e32 v42, v42, v42
	v_lshl_add_u64 v[44:45], v[38:39], 1, v[50:51]
	s_and_b64 vcc, exec, s[0:1]
	v_min_f32_e32 v42, v42, v43
	v_cvt_f16_f32_e32 v57, v42
	v_add_u32_e32 v42, 48, v28
	v_ashrrev_i32_e32 v43, 31, v42
	global_store_short v[44:45], v57, off
	v_mov_b32_e32 v57, 0
	v_mov_b32_e32 v45, 0
	s_cbranch_vccnz .LBB276_62
; %bb.61:
	v_lshl_add_u64 v[44:45], v[42:43], 1, v[48:49]
	global_load_ushort v44, v[44:45], off
	s_waitcnt vmcnt(0)
	v_mul_f16_e32 v44, v52, v44
	v_cvt_f32_f16_e32 v45, v44
.LBB276_62:
	v_pk_add_f16 v44, v2, v46
	v_max_f16_e32 v59, v114, v114
	v_pk_add_f16 v72, v3, v47
	v_min_f16_e32 v59, v59, v44
	v_lshrrev_b32_e32 v71, 16, v114
	v_lshrrev_b32_e32 v44, 16, v44
	v_lshrrev_b32_e32 v114, 16, v72
	v_min3_f16 v44, v71, v44, v114
	v_min3_f16 v44, v59, v72, v44
	v_cvt_f32_f16_e32 v59, v44
	v_max_f32_e32 v45, v45, v45
	v_add_u32_e32 v44, 56, v28
	v_lshl_add_u64 v[116:117], v[42:43], 1, v[50:51]
	v_min_f32_e32 v45, v45, v59
	v_cvt_f16_f32_e32 v59, v45
	v_ashrrev_i32_e32 v45, 31, v44
	s_and_b64 vcc, exec, s[0:1]
	global_store_short v[116:117], v59, off
	s_cbranch_vccnz .LBB276_64
; %bb.63:
	v_lshl_add_u64 v[48:49], v[44:45], 1, v[48:49]
	global_load_ushort v48, v[48:49], off
	s_waitcnt vmcnt(0)
	v_mul_f16_e32 v48, v52, v48
	v_cvt_f32_f16_e32 v57, v48
.LBB276_64:
	v_pk_add_f16 v46, v24, v46
	v_max_f16_e32 v48, v115, v115
	v_pk_add_f16 v47, v25, v47
	v_min_f16_e32 v48, v48, v46
	v_lshrrev_b32_e32 v49, 16, v115
	v_lshrrev_b32_e32 v46, 16, v46
	;; [unrolled: 1-line block ×3, first 2 shown]
	v_min3_f16 v46, v49, v46, v59
	v_min3_f16 v46, v48, v47, v46
	v_cvt_f32_f16_e32 v46, v46
	v_max_f32_e32 v47, v57, v57
	s_and_b64 vcc, exec, s[0:1]
	v_mov_b32_e32 v49, 0
	v_min_f32_e32 v46, v47, v46
	v_cvt_f16_f32_e32 v48, v46
	v_lshl_add_u64 v[46:47], v[44:45], 1, v[50:51]
	v_mov_b32_e32 v50, 0
	global_store_short v[46:47], v48, off
	v_add_u32_e32 v48, 32, v53
	v_mad_i64_i32 v[46:47], s[4:5], v48, s6, 0
	v_lshl_add_u64 v[46:47], v[46:47], 1, s[10:11]
	s_cbranch_vccnz .LBB276_66
; %bb.65:
	v_lshl_add_u64 v[114:115], v[28:29], 1, v[46:47]
	global_load_ushort v49, v[114:115], off
	s_waitcnt vmcnt(0)
	v_mul_f16_e32 v49, v52, v49
	v_cvt_f32_f16_e32 v49, v49
.LBB276_66:
	v_pk_add_f16 v51, v30, v20
	v_max_f16_e32 v57, v112, v112
	v_pk_add_f16 v71, v31, v21
	v_min_f16_e32 v57, v57, v51
	v_lshrrev_b32_e32 v59, 16, v112
	v_lshrrev_b32_e32 v51, 16, v51
	;; [unrolled: 1-line block ×3, first 2 shown]
	v_min3_f16 v51, v59, v51, v72
	v_min3_f16 v51, v57, v71, v51
	v_cvt_f32_f16_e32 v51, v51
	v_mad_i64_i32 v[114:115], s[4:5], v48, s7, 0
	v_max_f32_e32 v48, v49, v49
	v_min_f32_e32 v48, v48, v51
	v_cvt_f16_f32_e32 v51, v48
	v_lshl_add_u64 v[48:49], v[114:115], 1, s[2:3]
	v_lshl_add_u64 v[114:115], v[28:29], 1, v[48:49]
	s_and_b64 vcc, exec, s[0:1]
	global_store_short v[114:115], v51, off
	s_cbranch_vccnz .LBB276_68
; %bb.67:
	v_lshl_add_u64 v[50:51], v[32:33], 1, v[46:47]
	global_load_ushort v50, v[50:51], off
	s_waitcnt vmcnt(0)
	v_mul_f16_e32 v50, v52, v50
	v_cvt_f32_f16_e32 v50, v50
.LBB276_68:
	v_pk_add_f16 v51, v8, v20
	v_max_f16_e32 v57, v110, v110
	v_pk_add_f16 v71, v9, v21
	v_min_f16_e32 v57, v57, v51
	v_lshrrev_b32_e32 v59, 16, v110
	v_lshrrev_b32_e32 v51, 16, v51
	v_lshrrev_b32_e32 v72, 16, v71
	v_min3_f16 v51, v59, v51, v72
	v_min3_f16 v51, v57, v71, v51
	v_cvt_f32_f16_e32 v51, v51
	v_max_f32_e32 v50, v50, v50
	s_and_b64 vcc, exec, s[0:1]
	v_min_f32_e32 v50, v50, v51
	v_cvt_f16_f32_e32 v57, v50
	v_lshl_add_u64 v[50:51], v[32:33], 1, v[48:49]
	global_store_short v[50:51], v57, off
	v_mov_b32_e32 v50, 0
	v_mov_b32_e32 v51, 0
	s_cbranch_vccnz .LBB276_70
; %bb.69:
	v_lshl_add_u64 v[114:115], v[34:35], 1, v[46:47]
	global_load_ushort v51, v[114:115], off
	s_waitcnt vmcnt(0)
	v_mul_f16_e32 v51, v52, v51
	v_cvt_f32_f16_e32 v51, v51
.LBB276_70:
	v_pk_add_f16 v57, v10, v20
	v_max_f16_e32 v59, v108, v108
	v_pk_add_f16 v72, v11, v21
	v_min_f16_e32 v59, v59, v57
	v_lshrrev_b32_e32 v71, 16, v108
	v_lshrrev_b32_e32 v57, 16, v57
	v_lshrrev_b32_e32 v108, 16, v72
	v_min3_f16 v57, v71, v57, v108
	v_min3_f16 v57, v59, v72, v57
	v_cvt_f32_f16_e32 v57, v57
	v_max_f32_e32 v51, v51, v51
	v_lshl_add_u64 v[114:115], v[34:35], 1, v[48:49]
	s_and_b64 vcc, exec, s[0:1]
	v_min_f32_e32 v51, v51, v57
	v_cvt_f16_f32_e32 v51, v51
	global_store_short v[114:115], v51, off
	s_cbranch_vccnz .LBB276_72
; %bb.71:
	v_lshl_add_u64 v[50:51], v[36:37], 1, v[46:47]
	global_load_ushort v50, v[50:51], off
	s_waitcnt vmcnt(0)
	v_mul_f16_e32 v50, v52, v50
	v_cvt_f32_f16_e32 v50, v50
.LBB276_72:
	v_pk_add_f16 v51, v4, v20
	v_max_f16_e32 v57, v106, v106
	v_pk_add_f16 v71, v5, v21
	v_min_f16_e32 v57, v57, v51
	v_lshrrev_b32_e32 v59, 16, v106
	v_lshrrev_b32_e32 v51, 16, v51
	v_lshrrev_b32_e32 v72, 16, v71
	v_min3_f16 v51, v59, v51, v72
	v_min3_f16 v51, v57, v71, v51
	v_cvt_f32_f16_e32 v51, v51
	v_max_f32_e32 v50, v50, v50
	s_and_b64 vcc, exec, s[0:1]
	v_min_f32_e32 v50, v50, v51
	v_cvt_f16_f32_e32 v57, v50
	v_lshl_add_u64 v[50:51], v[36:37], 1, v[48:49]
	global_store_short v[50:51], v57, off
	v_mov_b32_e32 v50, 0
	v_mov_b32_e32 v51, 0
	s_cbranch_vccnz .LBB276_74
; %bb.73:
	v_lshl_add_u64 v[114:115], v[40:41], 1, v[46:47]
	global_load_ushort v51, v[114:115], off
	s_waitcnt vmcnt(0)
	v_mul_f16_e32 v51, v52, v51
	v_cvt_f32_f16_e32 v51, v51
.LBB276_74:
	v_pk_add_f16 v57, v6, v20
	v_max_f16_e32 v59, v104, v104
	v_pk_add_f16 v72, v7, v21
	v_min_f16_e32 v59, v59, v57
	v_lshrrev_b32_e32 v71, 16, v104
	v_lshrrev_b32_e32 v57, 16, v57
	v_lshrrev_b32_e32 v104, 16, v72
	v_min3_f16 v57, v71, v57, v104
	v_min3_f16 v57, v59, v72, v57
	v_cvt_f32_f16_e32 v57, v57
	v_max_f32_e32 v51, v51, v51
	v_lshl_add_u64 v[114:115], v[40:41], 1, v[48:49]
	s_and_b64 vcc, exec, s[0:1]
	v_min_f32_e32 v51, v51, v57
	v_cvt_f16_f32_e32 v51, v51
	;; [unrolled: 50-line block ×3, first 2 shown]
	global_store_short v[114:115], v51, off
	s_cbranch_vccnz .LBB276_80
; %bb.79:
	v_lshl_add_u64 v[46:47], v[44:45], 1, v[46:47]
	global_load_ushort v46, v[46:47], off
	s_waitcnt vmcnt(0)
	v_mul_f16_e32 v46, v52, v46
	v_cvt_f32_f16_e32 v50, v46
.LBB276_80:
	v_pk_add_f16 v20, v24, v20
	v_max_f16_e32 v46, v97, v97
	v_pk_add_f16 v21, v25, v21
	v_min_f16_e32 v46, v46, v20
	v_lshrrev_b32_e32 v47, 16, v97
	v_lshrrev_b32_e32 v20, 16, v20
	;; [unrolled: 1-line block ×3, first 2 shown]
	v_min3_f16 v20, v47, v20, v51
	v_min3_f16 v20, v46, v21, v20
	v_cvt_f32_f16_e32 v20, v20
	v_max_f32_e32 v21, v50, v50
	s_and_b64 vcc, exec, s[0:1]
	v_mov_b32_e32 v47, 0
	v_min_f32_e32 v20, v21, v20
	v_cvt_f16_f32_e32 v46, v20
	v_lshl_add_u64 v[20:21], v[44:45], 1, v[48:49]
	v_mov_b32_e32 v48, 0
	global_store_short v[20:21], v46, off
	v_add_u32_e32 v46, 64, v53
	v_mad_i64_i32 v[20:21], s[4:5], v46, s6, 0
	v_lshl_add_u64 v[20:21], v[20:21], 1, s[10:11]
	s_cbranch_vccnz .LBB276_82
; %bb.81:
	v_lshl_add_u64 v[50:51], v[28:29], 1, v[20:21]
	global_load_ushort v47, v[50:51], off
	s_waitcnt vmcnt(0)
	v_mul_f16_e32 v47, v52, v47
	v_cvt_f32_f16_e32 v47, v47
.LBB276_82:
	v_pk_add_f16 v49, v30, v22
	v_max_f16_e32 v50, v95, v95
	v_pk_add_f16 v57, v31, v23
	v_min_f16_e32 v50, v50, v49
	v_lshrrev_b32_e32 v51, 16, v95
	v_lshrrev_b32_e32 v49, 16, v49
	;; [unrolled: 1-line block ×3, first 2 shown]
	v_min3_f16 v49, v51, v49, v59
	v_min3_f16 v49, v50, v57, v49
	v_cvt_f32_f16_e32 v49, v49
	v_mad_i64_i32 v[50:51], s[4:5], v46, s7, 0
	v_max_f32_e32 v46, v47, v47
	v_min_f32_e32 v46, v46, v49
	v_cvt_f16_f32_e32 v49, v46
	v_lshl_add_u64 v[46:47], v[50:51], 1, s[2:3]
	v_lshl_add_u64 v[50:51], v[28:29], 1, v[46:47]
	s_and_b64 vcc, exec, s[0:1]
	global_store_short v[50:51], v49, off
	s_cbranch_vccnz .LBB276_84
; %bb.83:
	v_lshl_add_u64 v[48:49], v[32:33], 1, v[20:21]
	global_load_ushort v48, v[48:49], off
	s_waitcnt vmcnt(0)
	v_mul_f16_e32 v48, v52, v48
	v_cvt_f32_f16_e32 v48, v48
.LBB276_84:
	v_pk_add_f16 v49, v8, v22
	v_max_f16_e32 v50, v93, v93
	v_pk_add_f16 v57, v9, v23
	v_min_f16_e32 v50, v50, v49
	v_lshrrev_b32_e32 v51, 16, v93
	v_lshrrev_b32_e32 v49, 16, v49
	v_lshrrev_b32_e32 v59, 16, v57
	v_min3_f16 v49, v51, v49, v59
	v_min3_f16 v49, v50, v57, v49
	v_cvt_f32_f16_e32 v49, v49
	v_max_f32_e32 v48, v48, v48
	s_and_b64 vcc, exec, s[0:1]
	v_min_f32_e32 v48, v48, v49
	v_cvt_f16_f32_e32 v50, v48
	v_lshl_add_u64 v[48:49], v[32:33], 1, v[46:47]
	global_store_short v[48:49], v50, off
	v_mov_b32_e32 v48, 0
	v_mov_b32_e32 v49, 0
	s_cbranch_vccnz .LBB276_86
; %bb.85:
	v_lshl_add_u64 v[50:51], v[34:35], 1, v[20:21]
	global_load_ushort v49, v[50:51], off
	s_waitcnt vmcnt(0)
	v_mul_f16_e32 v49, v52, v49
	v_cvt_f32_f16_e32 v49, v49
.LBB276_86:
	v_pk_add_f16 v50, v10, v22
	v_max_f16_e32 v51, v91, v91
	v_pk_add_f16 v59, v11, v23
	v_min_f16_e32 v51, v51, v50
	v_lshrrev_b32_e32 v57, 16, v91
	v_lshrrev_b32_e32 v50, 16, v50
	v_lshrrev_b32_e32 v71, 16, v59
	v_min3_f16 v50, v57, v50, v71
	v_min3_f16 v50, v51, v59, v50
	v_cvt_f32_f16_e32 v50, v50
	v_max_f32_e32 v49, v49, v49
	s_and_b64 vcc, exec, s[0:1]
	v_min_f32_e32 v49, v49, v50
	v_cvt_f16_f32_e32 v49, v49
	v_lshl_add_u64 v[50:51], v[34:35], 1, v[46:47]
	global_store_short v[50:51], v49, off
	s_cbranch_vccnz .LBB276_88
; %bb.87:
	v_lshl_add_u64 v[48:49], v[36:37], 1, v[20:21]
	global_load_ushort v48, v[48:49], off
	s_waitcnt vmcnt(0)
	v_mul_f16_e32 v48, v52, v48
	v_cvt_f32_f16_e32 v48, v48
.LBB276_88:
	v_pk_add_f16 v49, v4, v22
	v_max_f16_e32 v50, v89, v89
	v_pk_add_f16 v57, v5, v23
	v_min_f16_e32 v50, v50, v49
	v_lshrrev_b32_e32 v51, 16, v89
	v_lshrrev_b32_e32 v49, 16, v49
	v_lshrrev_b32_e32 v59, 16, v57
	v_min3_f16 v49, v51, v49, v59
	v_min3_f16 v49, v50, v57, v49
	v_cvt_f32_f16_e32 v49, v49
	v_max_f32_e32 v48, v48, v48
	s_and_b64 vcc, exec, s[0:1]
	v_min_f32_e32 v48, v48, v49
	v_cvt_f16_f32_e32 v50, v48
	v_lshl_add_u64 v[48:49], v[36:37], 1, v[46:47]
	global_store_short v[48:49], v50, off
	v_mov_b32_e32 v48, 0
	v_mov_b32_e32 v49, 0
	s_cbranch_vccnz .LBB276_90
; %bb.89:
	v_lshl_add_u64 v[50:51], v[40:41], 1, v[20:21]
	global_load_ushort v49, v[50:51], off
	s_waitcnt vmcnt(0)
	v_mul_f16_e32 v49, v52, v49
	v_cvt_f32_f16_e32 v49, v49
.LBB276_90:
	v_pk_add_f16 v50, v6, v22
	v_max_f16_e32 v51, v87, v87
	v_pk_add_f16 v59, v7, v23
	v_min_f16_e32 v51, v51, v50
	v_lshrrev_b32_e32 v57, 16, v87
	v_lshrrev_b32_e32 v50, 16, v50
	v_lshrrev_b32_e32 v71, 16, v59
	v_min3_f16 v50, v57, v50, v71
	v_min3_f16 v50, v51, v59, v50
	v_cvt_f32_f16_e32 v50, v50
	v_max_f32_e32 v49, v49, v49
	s_and_b64 vcc, exec, s[0:1]
	v_min_f32_e32 v49, v49, v50
	v_cvt_f16_f32_e32 v49, v49
	v_lshl_add_u64 v[50:51], v[40:41], 1, v[46:47]
	;; [unrolled: 50-line block ×3, first 2 shown]
	global_store_short v[50:51], v49, off
	s_cbranch_vccnz .LBB276_96
; %bb.95:
	v_lshl_add_u64 v[20:21], v[44:45], 1, v[20:21]
	global_load_ushort v20, v[20:21], off
	s_waitcnt vmcnt(0)
	v_mul_f16_e32 v20, v52, v20
	v_cvt_f32_f16_e32 v48, v20
.LBB276_96:
	v_pk_add_f16 v20, v24, v22
	v_max_f16_e32 v21, v113, v113
	v_pk_add_f16 v23, v25, v23
	v_min_f16_e32 v21, v21, v20
	v_lshrrev_b32_e32 v22, 16, v113
	v_lshrrev_b32_e32 v20, 16, v20
	;; [unrolled: 1-line block ×3, first 2 shown]
	v_min3_f16 v20, v22, v20, v49
	v_min3_f16 v20, v21, v23, v20
	v_cvt_f32_f16_e32 v20, v20
	v_max_f32_e32 v21, v48, v48
	s_and_b64 vcc, exec, s[0:1]
	v_mov_b32_e32 v23, 0
	v_min_f32_e32 v20, v21, v20
	v_cvt_f16_f32_e32 v22, v20
	v_lshl_add_u64 v[20:21], v[44:45], 1, v[46:47]
	v_mov_b32_e32 v46, 0
	global_store_short v[20:21], v22, off
	v_add_u32_e32 v22, 0x60, v53
	v_mad_i64_i32 v[20:21], s[4:5], v22, s6, 0
	v_lshl_add_u64 v[20:21], v[20:21], 1, s[10:11]
	s_cbranch_vccnz .LBB276_98
; %bb.97:
	v_lshl_add_u64 v[48:49], v[28:29], 1, v[20:21]
	global_load_ushort v23, v[48:49], off
	s_waitcnt vmcnt(0)
	v_mul_f16_e32 v23, v52, v23
	v_cvt_f32_f16_e32 v23, v23
.LBB276_98:
	v_pk_add_f16 v47, v30, v16
	v_max_f16_e32 v48, v111, v111
	v_pk_add_f16 v50, v31, v17
	v_min_f16_e32 v48, v48, v47
	v_lshrrev_b32_e32 v49, 16, v111
	v_lshrrev_b32_e32 v47, 16, v47
	;; [unrolled: 1-line block ×3, first 2 shown]
	v_min3_f16 v47, v49, v47, v51
	v_min3_f16 v47, v48, v50, v47
	v_cvt_f32_f16_e32 v47, v47
	v_mad_i64_i32 v[48:49], s[4:5], v22, s7, 0
	v_max_f32_e32 v22, v23, v23
	v_min_f32_e32 v22, v22, v47
	v_cvt_f16_f32_e32 v47, v22
	v_lshl_add_u64 v[22:23], v[48:49], 1, s[2:3]
	v_lshl_add_u64 v[48:49], v[28:29], 1, v[22:23]
	s_and_b64 vcc, exec, s[0:1]
	global_store_short v[48:49], v47, off
	s_cbranch_vccnz .LBB276_100
; %bb.99:
	v_lshl_add_u64 v[46:47], v[32:33], 1, v[20:21]
	global_load_ushort v46, v[46:47], off
	s_waitcnt vmcnt(0)
	v_mul_f16_e32 v46, v52, v46
	v_cvt_f32_f16_e32 v46, v46
.LBB276_100:
	v_pk_add_f16 v47, v8, v16
	v_max_f16_e32 v48, v109, v109
	v_pk_add_f16 v50, v9, v17
	v_min_f16_e32 v48, v48, v47
	v_lshrrev_b32_e32 v49, 16, v109
	v_lshrrev_b32_e32 v47, 16, v47
	v_lshrrev_b32_e32 v51, 16, v50
	v_min3_f16 v47, v49, v47, v51
	v_min3_f16 v47, v48, v50, v47
	v_cvt_f32_f16_e32 v47, v47
	v_max_f32_e32 v46, v46, v46
	s_and_b64 vcc, exec, s[0:1]
	v_min_f32_e32 v46, v46, v47
	v_cvt_f16_f32_e32 v48, v46
	v_lshl_add_u64 v[46:47], v[32:33], 1, v[22:23]
	global_store_short v[46:47], v48, off
	v_mov_b32_e32 v46, 0
	v_mov_b32_e32 v47, 0
	s_cbranch_vccnz .LBB276_102
; %bb.101:
	v_lshl_add_u64 v[48:49], v[34:35], 1, v[20:21]
	global_load_ushort v47, v[48:49], off
	s_waitcnt vmcnt(0)
	v_mul_f16_e32 v47, v52, v47
	v_cvt_f32_f16_e32 v47, v47
.LBB276_102:
	v_pk_add_f16 v48, v10, v16
	v_max_f16_e32 v49, v107, v107
	v_pk_add_f16 v51, v11, v17
	v_min_f16_e32 v49, v49, v48
	v_lshrrev_b32_e32 v50, 16, v107
	v_lshrrev_b32_e32 v48, 16, v48
	v_lshrrev_b32_e32 v57, 16, v51
	v_min3_f16 v48, v50, v48, v57
	v_min3_f16 v48, v49, v51, v48
	v_cvt_f32_f16_e32 v48, v48
	v_max_f32_e32 v47, v47, v47
	s_and_b64 vcc, exec, s[0:1]
	v_min_f32_e32 v47, v47, v48
	v_cvt_f16_f32_e32 v47, v47
	v_lshl_add_u64 v[48:49], v[34:35], 1, v[22:23]
	global_store_short v[48:49], v47, off
	s_cbranch_vccnz .LBB276_104
; %bb.103:
	v_lshl_add_u64 v[46:47], v[36:37], 1, v[20:21]
	global_load_ushort v46, v[46:47], off
	s_waitcnt vmcnt(0)
	v_mul_f16_e32 v46, v52, v46
	v_cvt_f32_f16_e32 v46, v46
.LBB276_104:
	v_pk_add_f16 v47, v4, v16
	v_max_f16_e32 v48, v105, v105
	v_pk_add_f16 v50, v5, v17
	v_min_f16_e32 v48, v48, v47
	v_lshrrev_b32_e32 v49, 16, v105
	v_lshrrev_b32_e32 v47, 16, v47
	v_lshrrev_b32_e32 v51, 16, v50
	v_min3_f16 v47, v49, v47, v51
	v_min3_f16 v47, v48, v50, v47
	v_cvt_f32_f16_e32 v47, v47
	v_max_f32_e32 v46, v46, v46
	s_and_b64 vcc, exec, s[0:1]
	v_min_f32_e32 v46, v46, v47
	v_cvt_f16_f32_e32 v48, v46
	v_lshl_add_u64 v[46:47], v[36:37], 1, v[22:23]
	global_store_short v[46:47], v48, off
	v_mov_b32_e32 v46, 0
	v_mov_b32_e32 v47, 0
	s_cbranch_vccnz .LBB276_106
; %bb.105:
	v_lshl_add_u64 v[48:49], v[40:41], 1, v[20:21]
	global_load_ushort v47, v[48:49], off
	s_waitcnt vmcnt(0)
	v_mul_f16_e32 v47, v52, v47
	v_cvt_f32_f16_e32 v47, v47
.LBB276_106:
	v_pk_add_f16 v48, v6, v16
	v_max_f16_e32 v49, v103, v103
	v_pk_add_f16 v51, v7, v17
	v_min_f16_e32 v49, v49, v48
	v_lshrrev_b32_e32 v50, 16, v103
	v_lshrrev_b32_e32 v48, 16, v48
	v_lshrrev_b32_e32 v57, 16, v51
	v_min3_f16 v48, v50, v48, v57
	v_min3_f16 v48, v49, v51, v48
	v_cvt_f32_f16_e32 v48, v48
	v_max_f32_e32 v47, v47, v47
	s_and_b64 vcc, exec, s[0:1]
	v_min_f32_e32 v47, v47, v48
	v_cvt_f16_f32_e32 v47, v47
	v_lshl_add_u64 v[48:49], v[40:41], 1, v[22:23]
	;; [unrolled: 50-line block ×3, first 2 shown]
	global_store_short v[48:49], v47, off
	s_cbranch_vccnz .LBB276_112
; %bb.111:
	v_lshl_add_u64 v[20:21], v[44:45], 1, v[20:21]
	global_load_ushort v20, v[20:21], off
	s_waitcnt vmcnt(0)
	v_mul_f16_e32 v20, v52, v20
	v_cvt_f32_f16_e32 v46, v20
.LBB276_112:
	v_pk_add_f16 v16, v24, v16
	v_max_f16_e32 v20, v98, v98
	v_pk_add_f16 v17, v25, v17
	v_min_f16_e32 v20, v20, v16
	v_lshrrev_b32_e32 v21, 16, v98
	v_lshrrev_b32_e32 v16, 16, v16
	;; [unrolled: 1-line block ×3, first 2 shown]
	v_min3_f16 v16, v21, v16, v47
	v_min3_f16 v16, v20, v17, v16
	v_cvt_f32_f16_e32 v16, v16
	v_max_f32_e32 v17, v46, v46
	s_and_b64 vcc, exec, s[0:1]
	v_mov_b32_e32 v21, 0
	v_min_f32_e32 v16, v17, v16
	v_cvt_f16_f32_e32 v20, v16
	v_lshl_add_u64 v[16:17], v[44:45], 1, v[22:23]
	v_mov_b32_e32 v22, 0
	global_store_short v[16:17], v20, off
	v_add_u32_e32 v20, 0x80, v53
	v_mad_i64_i32 v[16:17], s[4:5], v20, s6, 0
	v_lshl_add_u64 v[16:17], v[16:17], 1, s[10:11]
	s_cbranch_vccnz .LBB276_114
; %bb.113:
	v_lshl_add_u64 v[46:47], v[28:29], 1, v[16:17]
	global_load_ushort v21, v[46:47], off
	s_waitcnt vmcnt(0)
	v_mul_f16_e32 v21, v52, v21
	v_cvt_f32_f16_e32 v21, v21
.LBB276_114:
	v_pk_add_f16 v23, v30, v18
	v_max_f16_e32 v46, v96, v96
	v_pk_add_f16 v48, v31, v19
	v_min_f16_e32 v46, v46, v23
	v_lshrrev_b32_e32 v47, 16, v96
	v_lshrrev_b32_e32 v23, 16, v23
	v_lshrrev_b32_e32 v49, 16, v48
	v_min3_f16 v23, v47, v23, v49
	v_min3_f16 v23, v46, v48, v23
	v_cvt_f32_f16_e32 v23, v23
	v_mad_i64_i32 v[46:47], s[4:5], v20, s7, 0
	v_max_f32_e32 v20, v21, v21
	v_min_f32_e32 v20, v20, v23
	v_cvt_f16_f32_e32 v23, v20
	v_lshl_add_u64 v[20:21], v[46:47], 1, s[2:3]
	v_lshl_add_u64 v[46:47], v[28:29], 1, v[20:21]
	s_and_b64 vcc, exec, s[0:1]
	global_store_short v[46:47], v23, off
	s_cbranch_vccnz .LBB276_116
; %bb.115:
	v_lshl_add_u64 v[22:23], v[32:33], 1, v[16:17]
	global_load_ushort v22, v[22:23], off
	s_waitcnt vmcnt(0)
	v_mul_f16_e32 v22, v52, v22
	v_cvt_f32_f16_e32 v22, v22
.LBB276_116:
	v_pk_add_f16 v23, v8, v18
	v_max_f16_e32 v46, v94, v94
	v_pk_add_f16 v48, v9, v19
	v_min_f16_e32 v46, v46, v23
	v_lshrrev_b32_e32 v47, 16, v94
	v_lshrrev_b32_e32 v23, 16, v23
	v_lshrrev_b32_e32 v49, 16, v48
	v_min3_f16 v23, v47, v23, v49
	v_min3_f16 v23, v46, v48, v23
	v_cvt_f32_f16_e32 v23, v23
	v_max_f32_e32 v22, v22, v22
	s_and_b64 vcc, exec, s[0:1]
	v_min_f32_e32 v22, v22, v23
	v_cvt_f16_f32_e32 v46, v22
	v_lshl_add_u64 v[22:23], v[32:33], 1, v[20:21]
	global_store_short v[22:23], v46, off
	v_mov_b32_e32 v22, 0
	v_mov_b32_e32 v23, 0
	s_cbranch_vccnz .LBB276_118
; %bb.117:
	v_lshl_add_u64 v[46:47], v[34:35], 1, v[16:17]
	global_load_ushort v23, v[46:47], off
	s_waitcnt vmcnt(0)
	v_mul_f16_e32 v23, v52, v23
	v_cvt_f32_f16_e32 v23, v23
.LBB276_118:
	v_pk_add_f16 v46, v10, v18
	v_max_f16_e32 v47, v92, v92
	v_pk_add_f16 v49, v11, v19
	v_min_f16_e32 v47, v47, v46
	v_lshrrev_b32_e32 v48, 16, v92
	v_lshrrev_b32_e32 v46, 16, v46
	v_lshrrev_b32_e32 v50, 16, v49
	v_min3_f16 v46, v48, v46, v50
	v_min3_f16 v46, v47, v49, v46
	v_cvt_f32_f16_e32 v46, v46
	v_max_f32_e32 v23, v23, v23
	s_and_b64 vcc, exec, s[0:1]
	v_min_f32_e32 v23, v23, v46
	v_cvt_f16_f32_e32 v23, v23
	v_lshl_add_u64 v[46:47], v[34:35], 1, v[20:21]
	global_store_short v[46:47], v23, off
	s_cbranch_vccnz .LBB276_120
; %bb.119:
	v_lshl_add_u64 v[22:23], v[36:37], 1, v[16:17]
	global_load_ushort v22, v[22:23], off
	s_waitcnt vmcnt(0)
	v_mul_f16_e32 v22, v52, v22
	v_cvt_f32_f16_e32 v22, v22
.LBB276_120:
	v_pk_add_f16 v23, v4, v18
	v_max_f16_e32 v46, v90, v90
	v_pk_add_f16 v48, v5, v19
	v_min_f16_e32 v46, v46, v23
	v_lshrrev_b32_e32 v47, 16, v90
	v_lshrrev_b32_e32 v23, 16, v23
	v_lshrrev_b32_e32 v49, 16, v48
	v_min3_f16 v23, v47, v23, v49
	v_min3_f16 v23, v46, v48, v23
	v_cvt_f32_f16_e32 v23, v23
	v_max_f32_e32 v22, v22, v22
	s_and_b64 vcc, exec, s[0:1]
	v_min_f32_e32 v22, v22, v23
	v_cvt_f16_f32_e32 v46, v22
	v_lshl_add_u64 v[22:23], v[36:37], 1, v[20:21]
	global_store_short v[22:23], v46, off
	v_mov_b32_e32 v22, 0
	v_mov_b32_e32 v23, 0
	s_cbranch_vccnz .LBB276_122
; %bb.121:
	v_lshl_add_u64 v[46:47], v[40:41], 1, v[16:17]
	global_load_ushort v23, v[46:47], off
	s_waitcnt vmcnt(0)
	v_mul_f16_e32 v23, v52, v23
	v_cvt_f32_f16_e32 v23, v23
.LBB276_122:
	v_pk_add_f16 v46, v6, v18
	v_max_f16_e32 v47, v88, v88
	v_pk_add_f16 v49, v7, v19
	v_min_f16_e32 v47, v47, v46
	v_lshrrev_b32_e32 v48, 16, v88
	v_lshrrev_b32_e32 v46, 16, v46
	v_lshrrev_b32_e32 v50, 16, v49
	v_min3_f16 v46, v48, v46, v50
	v_min3_f16 v46, v47, v49, v46
	v_cvt_f32_f16_e32 v46, v46
	v_max_f32_e32 v23, v23, v23
	s_and_b64 vcc, exec, s[0:1]
	v_min_f32_e32 v23, v23, v46
	v_cvt_f16_f32_e32 v23, v23
	v_lshl_add_u64 v[46:47], v[40:41], 1, v[20:21]
	;; [unrolled: 50-line block ×3, first 2 shown]
	global_store_short v[46:47], v23, off
	s_cbranch_vccnz .LBB276_128
; %bb.127:
	v_lshl_add_u64 v[16:17], v[44:45], 1, v[16:17]
	global_load_ushort v16, v[16:17], off
	s_waitcnt vmcnt(0)
	v_mul_f16_e32 v16, v52, v16
	v_cvt_f32_f16_e32 v22, v16
.LBB276_128:
	v_pk_add_f16 v16, v24, v18
	v_max_f16_e32 v17, v82, v82
	v_pk_add_f16 v19, v25, v19
	v_min_f16_e32 v17, v17, v16
	v_lshrrev_b32_e32 v18, 16, v82
	v_lshrrev_b32_e32 v16, 16, v16
	;; [unrolled: 1-line block ×3, first 2 shown]
	v_min3_f16 v16, v18, v16, v23
	v_min3_f16 v16, v17, v19, v16
	v_cvt_f32_f16_e32 v16, v16
	v_max_f32_e32 v17, v22, v22
	s_and_b64 vcc, exec, s[0:1]
	v_mov_b32_e32 v19, 0
	v_min_f32_e32 v16, v17, v16
	v_cvt_f16_f32_e32 v18, v16
	v_lshl_add_u64 v[16:17], v[44:45], 1, v[20:21]
	v_mov_b32_e32 v20, 0
	global_store_short v[16:17], v18, off
	v_add_u32_e32 v18, 0xa0, v53
	v_mad_i64_i32 v[16:17], s[4:5], v18, s6, 0
	v_lshl_add_u64 v[16:17], v[16:17], 1, s[10:11]
	s_cbranch_vccnz .LBB276_130
; %bb.129:
	v_lshl_add_u64 v[22:23], v[28:29], 1, v[16:17]
	global_load_ushort v19, v[22:23], off
	s_waitcnt vmcnt(0)
	v_mul_f16_e32 v19, v52, v19
	v_cvt_f32_f16_e32 v19, v19
.LBB276_130:
	v_pk_add_f16 v21, v30, v12
	v_max_f16_e32 v22, v81, v81
	v_pk_add_f16 v46, v31, v13
	v_min_f16_e32 v22, v22, v21
	v_lshrrev_b32_e32 v23, 16, v81
	v_lshrrev_b32_e32 v21, 16, v21
	;; [unrolled: 1-line block ×3, first 2 shown]
	v_min3_f16 v21, v23, v21, v47
	v_min3_f16 v21, v22, v46, v21
	v_cvt_f32_f16_e32 v21, v21
	v_mad_i64_i32 v[22:23], s[4:5], v18, s7, 0
	v_max_f32_e32 v18, v19, v19
	v_min_f32_e32 v18, v18, v21
	v_cvt_f16_f32_e32 v21, v18
	v_lshl_add_u64 v[18:19], v[22:23], 1, s[2:3]
	v_lshl_add_u64 v[22:23], v[28:29], 1, v[18:19]
	s_and_b64 vcc, exec, s[0:1]
	global_store_short v[22:23], v21, off
	s_cbranch_vccnz .LBB276_132
; %bb.131:
	v_lshl_add_u64 v[20:21], v[32:33], 1, v[16:17]
	global_load_ushort v20, v[20:21], off
	s_waitcnt vmcnt(0)
	v_mul_f16_e32 v20, v52, v20
	v_cvt_f32_f16_e32 v20, v20
.LBB276_132:
	v_pk_add_f16 v21, v8, v12
	v_max_f16_e32 v22, v80, v80
	v_pk_add_f16 v46, v9, v13
	v_min_f16_e32 v22, v22, v21
	v_lshrrev_b32_e32 v23, 16, v80
	v_lshrrev_b32_e32 v21, 16, v21
	v_lshrrev_b32_e32 v47, 16, v46
	v_min3_f16 v21, v23, v21, v47
	v_min3_f16 v21, v22, v46, v21
	v_cvt_f32_f16_e32 v21, v21
	v_max_f32_e32 v20, v20, v20
	s_and_b64 vcc, exec, s[0:1]
	v_min_f32_e32 v20, v20, v21
	v_cvt_f16_f32_e32 v22, v20
	v_lshl_add_u64 v[20:21], v[32:33], 1, v[18:19]
	global_store_short v[20:21], v22, off
	v_mov_b32_e32 v20, 0
	v_mov_b32_e32 v21, 0
	s_cbranch_vccnz .LBB276_134
; %bb.133:
	v_lshl_add_u64 v[22:23], v[34:35], 1, v[16:17]
	global_load_ushort v21, v[22:23], off
	s_waitcnt vmcnt(0)
	v_mul_f16_e32 v21, v52, v21
	v_cvt_f32_f16_e32 v21, v21
.LBB276_134:
	v_pk_add_f16 v22, v10, v12
	v_max_f16_e32 v23, v79, v79
	v_pk_add_f16 v47, v11, v13
	v_min_f16_e32 v23, v23, v22
	v_lshrrev_b32_e32 v46, 16, v79
	v_lshrrev_b32_e32 v22, 16, v22
	v_lshrrev_b32_e32 v48, 16, v47
	v_min3_f16 v22, v46, v22, v48
	v_min3_f16 v22, v23, v47, v22
	v_cvt_f32_f16_e32 v22, v22
	v_max_f32_e32 v21, v21, v21
	s_and_b64 vcc, exec, s[0:1]
	v_min_f32_e32 v21, v21, v22
	v_cvt_f16_f32_e32 v21, v21
	v_lshl_add_u64 v[22:23], v[34:35], 1, v[18:19]
	global_store_short v[22:23], v21, off
	s_cbranch_vccnz .LBB276_136
; %bb.135:
	v_lshl_add_u64 v[20:21], v[36:37], 1, v[16:17]
	global_load_ushort v20, v[20:21], off
	s_waitcnt vmcnt(0)
	v_mul_f16_e32 v20, v52, v20
	v_cvt_f32_f16_e32 v20, v20
.LBB276_136:
	v_pk_add_f16 v21, v4, v12
	v_max_f16_e32 v22, v78, v78
	v_pk_add_f16 v46, v5, v13
	v_min_f16_e32 v22, v22, v21
	v_lshrrev_b32_e32 v23, 16, v78
	v_lshrrev_b32_e32 v21, 16, v21
	v_lshrrev_b32_e32 v47, 16, v46
	v_min3_f16 v21, v23, v21, v47
	v_min3_f16 v21, v22, v46, v21
	v_cvt_f32_f16_e32 v21, v21
	v_max_f32_e32 v20, v20, v20
	s_and_b64 vcc, exec, s[0:1]
	v_min_f32_e32 v20, v20, v21
	v_cvt_f16_f32_e32 v22, v20
	v_lshl_add_u64 v[20:21], v[36:37], 1, v[18:19]
	global_store_short v[20:21], v22, off
	v_mov_b32_e32 v20, 0
	v_mov_b32_e32 v21, 0
	s_cbranch_vccnz .LBB276_138
; %bb.137:
	v_lshl_add_u64 v[22:23], v[40:41], 1, v[16:17]
	global_load_ushort v21, v[22:23], off
	s_waitcnt vmcnt(0)
	v_mul_f16_e32 v21, v52, v21
	v_cvt_f32_f16_e32 v21, v21
.LBB276_138:
	v_pk_add_f16 v22, v6, v12
	v_max_f16_e32 v23, v77, v77
	v_pk_add_f16 v47, v7, v13
	v_min_f16_e32 v23, v23, v22
	v_lshrrev_b32_e32 v46, 16, v77
	v_lshrrev_b32_e32 v22, 16, v22
	v_lshrrev_b32_e32 v48, 16, v47
	v_min3_f16 v22, v46, v22, v48
	v_min3_f16 v22, v23, v47, v22
	v_cvt_f32_f16_e32 v22, v22
	v_max_f32_e32 v21, v21, v21
	s_and_b64 vcc, exec, s[0:1]
	v_min_f32_e32 v21, v21, v22
	v_cvt_f16_f32_e32 v21, v21
	v_lshl_add_u64 v[22:23], v[40:41], 1, v[18:19]
	;; [unrolled: 50-line block ×3, first 2 shown]
	global_store_short v[22:23], v21, off
	s_cbranch_vccnz .LBB276_144
; %bb.143:
	v_lshl_add_u64 v[16:17], v[44:45], 1, v[16:17]
	global_load_ushort v16, v[16:17], off
	s_waitcnt vmcnt(0)
	v_mul_f16_e32 v16, v52, v16
	v_cvt_f32_f16_e32 v20, v16
.LBB276_144:
	v_pk_add_f16 v12, v24, v12
	v_max_f16_e32 v16, v75, v75
	v_pk_add_f16 v13, v25, v13
	v_min_f16_e32 v16, v16, v12
	v_lshrrev_b32_e32 v17, 16, v75
	v_lshrrev_b32_e32 v12, 16, v12
	;; [unrolled: 1-line block ×3, first 2 shown]
	v_min3_f16 v12, v17, v12, v21
	v_min3_f16 v12, v16, v13, v12
	v_cvt_f32_f16_e32 v12, v12
	v_max_f32_e32 v13, v20, v20
	s_and_b64 vcc, exec, s[0:1]
	v_mov_b32_e32 v17, 0
	v_min_f32_e32 v12, v13, v12
	v_cvt_f16_f32_e32 v16, v12
	v_lshl_add_u64 v[12:13], v[44:45], 1, v[18:19]
	v_mov_b32_e32 v18, 0
	global_store_short v[12:13], v16, off
	v_add_u32_e32 v16, 0xc0, v53
	v_mad_i64_i32 v[12:13], s[4:5], v16, s6, 0
	v_lshl_add_u64 v[12:13], v[12:13], 1, s[10:11]
	s_cbranch_vccnz .LBB276_146
; %bb.145:
	v_lshl_add_u64 v[20:21], v[28:29], 1, v[12:13]
	global_load_ushort v17, v[20:21], off
	s_waitcnt vmcnt(0)
	v_mul_f16_e32 v17, v52, v17
	v_cvt_f32_f16_e32 v17, v17
.LBB276_146:
	v_pk_add_f16 v19, v30, v14
	v_max_f16_e32 v20, v73, v73
	v_pk_add_f16 v22, v31, v15
	v_min_f16_e32 v20, v20, v19
	v_lshrrev_b32_e32 v21, 16, v73
	v_lshrrev_b32_e32 v19, 16, v19
	;; [unrolled: 1-line block ×3, first 2 shown]
	v_min3_f16 v19, v21, v19, v23
	v_min3_f16 v19, v20, v22, v19
	v_cvt_f32_f16_e32 v19, v19
	v_mad_i64_i32 v[20:21], s[4:5], v16, s7, 0
	v_max_f32_e32 v16, v17, v17
	v_min_f32_e32 v16, v16, v19
	v_cvt_f16_f32_e32 v19, v16
	v_lshl_add_u64 v[16:17], v[20:21], 1, s[2:3]
	v_lshl_add_u64 v[20:21], v[28:29], 1, v[16:17]
	s_and_b64 vcc, exec, s[0:1]
	global_store_short v[20:21], v19, off
	s_cbranch_vccnz .LBB276_148
; %bb.147:
	v_lshl_add_u64 v[18:19], v[32:33], 1, v[12:13]
	global_load_ushort v18, v[18:19], off
	s_waitcnt vmcnt(0)
	v_mul_f16_e32 v18, v52, v18
	v_cvt_f32_f16_e32 v18, v18
.LBB276_148:
	v_pk_add_f16 v19, v8, v14
	v_max_f16_e32 v20, v70, v70
	v_pk_add_f16 v22, v9, v15
	v_min_f16_e32 v20, v20, v19
	v_lshrrev_b32_e32 v21, 16, v70
	v_lshrrev_b32_e32 v19, 16, v19
	v_lshrrev_b32_e32 v23, 16, v22
	v_min3_f16 v19, v21, v19, v23
	v_min3_f16 v19, v20, v22, v19
	v_cvt_f32_f16_e32 v19, v19
	v_max_f32_e32 v18, v18, v18
	s_and_b64 vcc, exec, s[0:1]
	v_min_f32_e32 v18, v18, v19
	v_cvt_f16_f32_e32 v20, v18
	v_lshl_add_u64 v[18:19], v[32:33], 1, v[16:17]
	global_store_short v[18:19], v20, off
	v_mov_b32_e32 v18, 0
	v_mov_b32_e32 v19, 0
	s_cbranch_vccnz .LBB276_150
; %bb.149:
	v_lshl_add_u64 v[20:21], v[34:35], 1, v[12:13]
	global_load_ushort v19, v[20:21], off
	s_waitcnt vmcnt(0)
	v_mul_f16_e32 v19, v52, v19
	v_cvt_f32_f16_e32 v19, v19
.LBB276_150:
	v_pk_add_f16 v20, v10, v14
	v_max_f16_e32 v21, v69, v69
	v_pk_add_f16 v23, v11, v15
	v_min_f16_e32 v21, v21, v20
	v_lshrrev_b32_e32 v22, 16, v69
	v_lshrrev_b32_e32 v20, 16, v20
	v_lshrrev_b32_e32 v46, 16, v23
	v_min3_f16 v20, v22, v20, v46
	v_min3_f16 v20, v21, v23, v20
	v_cvt_f32_f16_e32 v20, v20
	v_max_f32_e32 v19, v19, v19
	s_and_b64 vcc, exec, s[0:1]
	v_min_f32_e32 v19, v19, v20
	v_cvt_f16_f32_e32 v19, v19
	v_lshl_add_u64 v[20:21], v[34:35], 1, v[16:17]
	global_store_short v[20:21], v19, off
	s_cbranch_vccnz .LBB276_152
; %bb.151:
	v_lshl_add_u64 v[18:19], v[36:37], 1, v[12:13]
	global_load_ushort v18, v[18:19], off
	s_waitcnt vmcnt(0)
	v_mul_f16_e32 v18, v52, v18
	v_cvt_f32_f16_e32 v18, v18
.LBB276_152:
	v_pk_add_f16 v19, v4, v14
	v_max_f16_e32 v20, v68, v68
	v_pk_add_f16 v22, v5, v15
	v_min_f16_e32 v20, v20, v19
	v_lshrrev_b32_e32 v21, 16, v68
	v_lshrrev_b32_e32 v19, 16, v19
	v_lshrrev_b32_e32 v23, 16, v22
	v_min3_f16 v19, v21, v19, v23
	v_min3_f16 v19, v20, v22, v19
	v_cvt_f32_f16_e32 v19, v19
	v_max_f32_e32 v18, v18, v18
	s_and_b64 vcc, exec, s[0:1]
	v_min_f32_e32 v18, v18, v19
	v_cvt_f16_f32_e32 v20, v18
	v_lshl_add_u64 v[18:19], v[36:37], 1, v[16:17]
	global_store_short v[18:19], v20, off
	v_mov_b32_e32 v18, 0
	v_mov_b32_e32 v19, 0
	s_cbranch_vccnz .LBB276_154
; %bb.153:
	v_lshl_add_u64 v[20:21], v[40:41], 1, v[12:13]
	global_load_ushort v19, v[20:21], off
	s_waitcnt vmcnt(0)
	v_mul_f16_e32 v19, v52, v19
	v_cvt_f32_f16_e32 v19, v19
.LBB276_154:
	v_pk_add_f16 v20, v6, v14
	v_max_f16_e32 v21, v67, v67
	v_pk_add_f16 v23, v7, v15
	v_min_f16_e32 v21, v21, v20
	v_lshrrev_b32_e32 v22, 16, v67
	v_lshrrev_b32_e32 v20, 16, v20
	v_lshrrev_b32_e32 v46, 16, v23
	v_min3_f16 v20, v22, v20, v46
	v_min3_f16 v20, v21, v23, v20
	v_cvt_f32_f16_e32 v20, v20
	v_max_f32_e32 v19, v19, v19
	s_and_b64 vcc, exec, s[0:1]
	v_min_f32_e32 v19, v19, v20
	v_cvt_f16_f32_e32 v19, v19
	v_lshl_add_u64 v[20:21], v[40:41], 1, v[16:17]
	global_store_short v[20:21], v19, off
	s_cbranch_vccnz .LBB276_156
; %bb.155:
	v_lshl_add_u64 v[18:19], v[38:39], 1, v[12:13]
	global_load_ushort v18, v[18:19], off
	s_waitcnt vmcnt(0)
	v_mul_f16_e32 v18, v52, v18
	v_cvt_f32_f16_e32 v18, v18
.LBB276_156:
	v_pk_add_f16 v19, v0, v14
	v_max_f16_e32 v20, v66, v66
	v_pk_add_f16 v22, v1, v15
	v_min_f16_e32 v20, v20, v19
	v_lshrrev_b32_e32 v21, 16, v66
	v_lshrrev_b32_e32 v19, 16, v19
	v_lshrrev_b32_e32 v23, 16, v22
	v_min3_f16 v19, v21, v19, v23
	v_min3_f16 v19, v20, v22, v19
	v_cvt_f32_f16_e32 v19, v19
	v_max_f32_e32 v18, v18, v18
	s_and_b64 vcc, exec, s[0:1]
	v_min_f32_e32 v18, v18, v19
	v_cvt_f16_f32_e32 v20, v18
	v_lshl_add_u64 v[18:19], v[38:39], 1, v[16:17]
	global_store_short v[18:19], v20, off
	v_mov_b32_e32 v18, 0
	v_mov_b32_e32 v19, 0
	s_cbranch_vccnz .LBB276_158
; %bb.157:
	v_lshl_add_u64 v[20:21], v[42:43], 1, v[12:13]
	global_load_ushort v19, v[20:21], off
	s_waitcnt vmcnt(0)
	v_mul_f16_e32 v19, v52, v19
	v_cvt_f32_f16_e32 v19, v19
.LBB276_158:
	v_pk_add_f16 v20, v2, v14
	v_max_f16_e32 v21, v65, v65
	v_pk_add_f16 v23, v3, v15
	v_min_f16_e32 v21, v21, v20
	v_lshrrev_b32_e32 v22, 16, v65
	v_lshrrev_b32_e32 v20, 16, v20
	v_lshrrev_b32_e32 v46, 16, v23
	v_min3_f16 v20, v22, v20, v46
	v_min3_f16 v20, v21, v23, v20
	v_cvt_f32_f16_e32 v20, v20
	v_max_f32_e32 v19, v19, v19
	s_and_b64 vcc, exec, s[0:1]
	v_min_f32_e32 v19, v19, v20
	v_cvt_f16_f32_e32 v19, v19
	v_lshl_add_u64 v[20:21], v[42:43], 1, v[16:17]
	global_store_short v[20:21], v19, off
	s_cbranch_vccnz .LBB276_160
; %bb.159:
	v_lshl_add_u64 v[12:13], v[44:45], 1, v[12:13]
	global_load_ushort v12, v[12:13], off
	s_waitcnt vmcnt(0)
	v_mul_f16_e32 v12, v52, v12
	v_cvt_f32_f16_e32 v18, v12
.LBB276_160:
	v_pk_add_f16 v12, v24, v14
	v_max_f16_e32 v13, v64, v64
	v_pk_add_f16 v15, v25, v15
	v_min_f16_e32 v13, v13, v12
	v_lshrrev_b32_e32 v14, 16, v64
	v_lshrrev_b32_e32 v12, 16, v12
	;; [unrolled: 1-line block ×3, first 2 shown]
	v_min3_f16 v12, v14, v12, v19
	v_min3_f16 v12, v13, v15, v12
	v_cvt_f32_f16_e32 v12, v12
	v_max_f32_e32 v13, v18, v18
	s_and_b64 vcc, exec, s[0:1]
	v_mov_b32_e32 v15, 0
	v_min_f32_e32 v12, v13, v12
	v_cvt_f16_f32_e32 v14, v12
	v_lshl_add_u64 v[12:13], v[44:45], 1, v[16:17]
	v_mov_b32_e32 v16, 0
	global_store_short v[12:13], v14, off
	v_add_u32_e32 v14, 0xe0, v53
	v_mad_i64_i32 v[12:13], s[4:5], v14, s6, 0
	v_lshl_add_u64 v[12:13], v[12:13], 1, s[10:11]
	s_cbranch_vccnz .LBB276_162
; %bb.161:
	v_lshl_add_u64 v[18:19], v[28:29], 1, v[12:13]
	global_load_ushort v15, v[18:19], off
	s_waitcnt vmcnt(0)
	v_mul_f16_e32 v15, v52, v15
	v_cvt_f32_f16_e32 v15, v15
.LBB276_162:
	v_pk_add_f16 v17, v30, v26
	v_max_f16_e32 v18, v63, v63
	v_pk_add_f16 v20, v31, v27
	v_min_f16_e32 v18, v18, v17
	v_lshrrev_b32_e32 v19, 16, v63
	v_lshrrev_b32_e32 v17, 16, v17
	;; [unrolled: 1-line block ×3, first 2 shown]
	v_min3_f16 v17, v19, v17, v21
	v_min3_f16 v17, v18, v20, v17
	v_cvt_f32_f16_e32 v17, v17
	v_mad_i64_i32 v[18:19], s[4:5], v14, s7, 0
	v_max_f32_e32 v14, v15, v15
	v_min_f32_e32 v14, v14, v17
	v_cvt_f16_f32_e32 v17, v14
	v_lshl_add_u64 v[14:15], v[18:19], 1, s[2:3]
	v_lshl_add_u64 v[18:19], v[28:29], 1, v[14:15]
	s_and_b64 vcc, exec, s[0:1]
	global_store_short v[18:19], v17, off
	s_cbranch_vccnz .LBB276_164
; %bb.163:
	v_lshl_add_u64 v[16:17], v[32:33], 1, v[12:13]
	global_load_ushort v16, v[16:17], off
	s_waitcnt vmcnt(0)
	v_mul_f16_e32 v16, v52, v16
	v_cvt_f32_f16_e32 v16, v16
.LBB276_164:
	v_pk_add_f16 v8, v8, v26
	v_max_f16_e32 v17, v62, v62
	v_pk_add_f16 v9, v9, v27
	v_min_f16_e32 v17, v17, v8
	v_lshrrev_b32_e32 v18, 16, v62
	v_lshrrev_b32_e32 v8, 16, v8
	;; [unrolled: 1-line block ×3, first 2 shown]
	v_min3_f16 v8, v18, v8, v19
	v_min3_f16 v8, v17, v9, v8
	v_cvt_f32_f16_e32 v8, v8
	v_max_f32_e32 v9, v16, v16
	s_and_b64 vcc, exec, s[0:1]
	v_min_f32_e32 v8, v9, v8
	v_cvt_f16_f32_e32 v16, v8
	v_lshl_add_u64 v[8:9], v[32:33], 1, v[14:15]
	global_store_short v[8:9], v16, off
	v_mov_b32_e32 v8, 0
	v_mov_b32_e32 v9, 0
	s_cbranch_vccnz .LBB276_166
; %bb.165:
	v_lshl_add_u64 v[16:17], v[34:35], 1, v[12:13]
	global_load_ushort v9, v[16:17], off
	s_waitcnt vmcnt(0)
	v_mul_f16_e32 v9, v52, v9
	v_cvt_f32_f16_e32 v9, v9
.LBB276_166:
	v_pk_add_f16 v10, v10, v26
	v_max_f16_e32 v16, v60, v60
	v_pk_add_f16 v11, v11, v27
	v_min_f16_e32 v16, v16, v10
	v_lshrrev_b32_e32 v17, 16, v60
	v_lshrrev_b32_e32 v10, 16, v10
	;; [unrolled: 1-line block ×3, first 2 shown]
	v_min3_f16 v10, v17, v10, v18
	v_min3_f16 v10, v16, v11, v10
	v_cvt_f32_f16_e32 v10, v10
	v_max_f32_e32 v9, v9, v9
	s_and_b64 vcc, exec, s[0:1]
	v_min_f32_e32 v9, v9, v10
	v_cvt_f16_f32_e32 v9, v9
	v_lshl_add_u64 v[10:11], v[34:35], 1, v[14:15]
	global_store_short v[10:11], v9, off
	s_cbranch_vccnz .LBB276_168
; %bb.167:
	v_lshl_add_u64 v[8:9], v[36:37], 1, v[12:13]
	global_load_ushort v8, v[8:9], off
	s_waitcnt vmcnt(0)
	v_mul_f16_e32 v8, v52, v8
	v_cvt_f32_f16_e32 v8, v8
.LBB276_168:
	v_pk_add_f16 v4, v4, v26
	v_max_f16_e32 v9, v58, v58
	v_pk_add_f16 v5, v5, v27
	v_min_f16_e32 v9, v9, v4
	v_lshrrev_b32_e32 v10, 16, v58
	v_lshrrev_b32_e32 v4, 16, v4
	v_lshrrev_b32_e32 v11, 16, v5
	v_min3_f16 v4, v10, v4, v11
	v_min3_f16 v4, v9, v5, v4
	v_cvt_f32_f16_e32 v4, v4
	v_max_f32_e32 v5, v8, v8
	s_and_b64 vcc, exec, s[0:1]
	v_min_f32_e32 v4, v5, v4
	v_cvt_f16_f32_e32 v8, v4
	v_lshl_add_u64 v[4:5], v[36:37], 1, v[14:15]
	global_store_short v[4:5], v8, off
	v_mov_b32_e32 v4, 0
	v_mov_b32_e32 v5, 0
	s_cbranch_vccnz .LBB276_170
; %bb.169:
	v_lshl_add_u64 v[8:9], v[40:41], 1, v[12:13]
	global_load_ushort v5, v[8:9], off
	s_waitcnt vmcnt(0)
	v_mul_f16_e32 v5, v52, v5
	v_cvt_f32_f16_e32 v5, v5
.LBB276_170:
	v_pk_add_f16 v6, v6, v26
	v_max_f16_e32 v8, v56, v56
	v_pk_add_f16 v7, v7, v27
	v_min_f16_e32 v8, v8, v6
	v_lshrrev_b32_e32 v9, 16, v56
	v_lshrrev_b32_e32 v6, 16, v6
	;; [unrolled: 1-line block ×3, first 2 shown]
	v_min3_f16 v6, v9, v6, v10
	v_min3_f16 v6, v8, v7, v6
	v_cvt_f32_f16_e32 v6, v6
	v_max_f32_e32 v5, v5, v5
	s_and_b64 vcc, exec, s[0:1]
	v_min_f32_e32 v5, v5, v6
	v_cvt_f16_f32_e32 v5, v5
	v_lshl_add_u64 v[6:7], v[40:41], 1, v[14:15]
	global_store_short v[6:7], v5, off
	s_cbranch_vccnz .LBB276_172
; %bb.171:
	v_lshl_add_u64 v[4:5], v[38:39], 1, v[12:13]
	global_load_ushort v4, v[4:5], off
	s_waitcnt vmcnt(0)
	v_mul_f16_e32 v4, v52, v4
	v_cvt_f32_f16_e32 v4, v4
.LBB276_172:
	v_pk_add_f16 v0, v0, v26
	v_max_f16_e32 v5, v54, v54
	v_pk_add_f16 v1, v1, v27
	v_min_f16_e32 v5, v5, v0
	v_lshrrev_b32_e32 v6, 16, v54
	v_lshrrev_b32_e32 v0, 16, v0
	;; [unrolled: 1-line block ×3, first 2 shown]
	v_min3_f16 v0, v6, v0, v7
	v_min3_f16 v0, v5, v1, v0
	v_cvt_f32_f16_e32 v0, v0
	v_max_f32_e32 v4, v4, v4
	v_pk_add_f16 v1, v2, v26
	v_max_f16_e32 v2, v55, v55
	v_min_f32_e32 v0, v4, v0
	v_cvt_f16_f32_e32 v4, v0
	v_pk_add_f16 v3, v3, v27
	v_min_f16_e32 v2, v2, v1
	v_lshrrev_b32_e32 v5, 16, v55
	v_lshrrev_b32_e32 v1, 16, v1
	;; [unrolled: 1-line block ×3, first 2 shown]
	v_min3_f16 v5, v5, v1, v0
	v_lshl_add_u64 v[0:1], v[38:39], 1, v[14:15]
	global_store_short v[0:1], v4, off
	v_min3_f16 v0, v2, v3, v5
	s_mov_b64 s[0:1], -1
	s_mov_b64 vcc, s[8:9]
	s_cbranch_vccz .LBB276_174
; %bb.173:
	v_cvt_f32_f16_e32 v1, v0
	v_lshl_add_u64 v[2:3], v[42:43], 1, v[14:15]
	s_mov_b64 s[0:1], 0
	v_min_f32_e32 v1, 0, v1
	v_cvt_f16_f32_e32 v1, v1
	global_store_short v[2:3], v1, off
.LBB276_174:
	s_andn2_b64 vcc, exec, s[0:1]
	v_mov_b32_e32 v1, 0
	s_cbranch_vccnz .LBB276_176
; %bb.175:
	v_lshlrev_b64 v[2:3], 1, v[42:43]
	v_lshl_add_u64 v[4:5], v[12:13], 0, v[2:3]
	global_load_ushort v4, v[4:5], off
	v_max_f16_e32 v5, v0, v0
	v_lshl_add_u64 v[0:1], v[14:15], 0, v[2:3]
	s_waitcnt vmcnt(0)
	v_mul_f16_e32 v2, v52, v4
	v_min_f16_e32 v2, v2, v5
	global_store_short v[0:1], v2, off
	v_lshl_add_u64 v[0:1], v[44:45], 1, v[12:13]
	global_load_ushort v0, v[0:1], off
	s_waitcnt vmcnt(0)
	v_mul_f16_e32 v0, v52, v0
	v_cvt_f32_f16_e32 v1, v0
.LBB276_176:
	v_pk_add_f16 v0, v24, v26
	v_max_f16_e32 v2, v61, v61
	v_pk_add_f16 v3, v25, v27
	v_min_f16_e32 v2, v2, v0
	v_lshrrev_b32_e32 v4, 16, v61
	v_lshrrev_b32_e32 v0, 16, v0
	;; [unrolled: 1-line block ×3, first 2 shown]
	v_min3_f16 v0, v4, v0, v5
	v_min3_f16 v0, v2, v3, v0
	v_cvt_f32_f16_e32 v0, v0
	v_max_f32_e32 v1, v1, v1
	v_min_f32_e32 v0, v1, v0
	v_cvt_f16_f32_e32 v2, v0
	v_lshl_add_u64 v[0:1], v[44:45], 1, v[14:15]
	global_store_short v[0:1], v2, off
	s_endpgm
	.section	.rodata,"a",@progbits
	.p2align	6, 0x0
	.amdhsa_kernel _ZN12_GLOBAL__N_120geam_min_plus_kernelIDF16_Dv2_DF16_S1_Li8ELi32ELi64ELi256ELi4ELi4ELi64ELi64ELi4ELc84ELc84ELb0ELb0ELb1EPKDF16_S2_DF16_EEviiiT16_PT17_ilS6_ilS4_S6_ilPT18_ili26rocblas_geam_ex_operation_
		.amdhsa_group_segment_fixed_size 5120
		.amdhsa_private_segment_fixed_size 0
		.amdhsa_kernarg_size 136
		.amdhsa_user_sgpr_count 2
		.amdhsa_user_sgpr_dispatch_ptr 0
		.amdhsa_user_sgpr_queue_ptr 0
		.amdhsa_user_sgpr_kernarg_segment_ptr 1
		.amdhsa_user_sgpr_dispatch_id 0
		.amdhsa_user_sgpr_kernarg_preload_length 0
		.amdhsa_user_sgpr_kernarg_preload_offset 0
		.amdhsa_user_sgpr_private_segment_size 0
		.amdhsa_uses_dynamic_stack 0
		.amdhsa_enable_private_segment 0
		.amdhsa_system_sgpr_workgroup_id_x 1
		.amdhsa_system_sgpr_workgroup_id_y 0
		.amdhsa_system_sgpr_workgroup_id_z 1
		.amdhsa_system_sgpr_workgroup_info 0
		.amdhsa_system_vgpr_workitem_id 1
		.amdhsa_next_free_vgpr 143
		.amdhsa_next_free_sgpr 26
		.amdhsa_accum_offset 144
		.amdhsa_reserve_vcc 1
		.amdhsa_float_round_mode_32 0
		.amdhsa_float_round_mode_16_64 0
		.amdhsa_float_denorm_mode_32 3
		.amdhsa_float_denorm_mode_16_64 3
		.amdhsa_dx10_clamp 1
		.amdhsa_ieee_mode 1
		.amdhsa_fp16_overflow 0
		.amdhsa_tg_split 0
		.amdhsa_exception_fp_ieee_invalid_op 0
		.amdhsa_exception_fp_denorm_src 0
		.amdhsa_exception_fp_ieee_div_zero 0
		.amdhsa_exception_fp_ieee_overflow 0
		.amdhsa_exception_fp_ieee_underflow 0
		.amdhsa_exception_fp_ieee_inexact 0
		.amdhsa_exception_int_div_zero 0
	.end_amdhsa_kernel
	.section	.text._ZN12_GLOBAL__N_120geam_min_plus_kernelIDF16_Dv2_DF16_S1_Li8ELi32ELi64ELi256ELi4ELi4ELi64ELi64ELi4ELc84ELc84ELb0ELb0ELb1EPKDF16_S2_DF16_EEviiiT16_PT17_ilS6_ilS4_S6_ilPT18_ili26rocblas_geam_ex_operation_,"axG",@progbits,_ZN12_GLOBAL__N_120geam_min_plus_kernelIDF16_Dv2_DF16_S1_Li8ELi32ELi64ELi256ELi4ELi4ELi64ELi64ELi4ELc84ELc84ELb0ELb0ELb1EPKDF16_S2_DF16_EEviiiT16_PT17_ilS6_ilS4_S6_ilPT18_ili26rocblas_geam_ex_operation_,comdat
.Lfunc_end276:
	.size	_ZN12_GLOBAL__N_120geam_min_plus_kernelIDF16_Dv2_DF16_S1_Li8ELi32ELi64ELi256ELi4ELi4ELi64ELi64ELi4ELc84ELc84ELb0ELb0ELb1EPKDF16_S2_DF16_EEviiiT16_PT17_ilS6_ilS4_S6_ilPT18_ili26rocblas_geam_ex_operation_, .Lfunc_end276-_ZN12_GLOBAL__N_120geam_min_plus_kernelIDF16_Dv2_DF16_S1_Li8ELi32ELi64ELi256ELi4ELi4ELi64ELi64ELi4ELc84ELc84ELb0ELb0ELb1EPKDF16_S2_DF16_EEviiiT16_PT17_ilS6_ilS4_S6_ilPT18_ili26rocblas_geam_ex_operation_
                                        ; -- End function
	.set _ZN12_GLOBAL__N_120geam_min_plus_kernelIDF16_Dv2_DF16_S1_Li8ELi32ELi64ELi256ELi4ELi4ELi64ELi64ELi4ELc84ELc84ELb0ELb0ELb1EPKDF16_S2_DF16_EEviiiT16_PT17_ilS6_ilS4_S6_ilPT18_ili26rocblas_geam_ex_operation_.num_vgpr, 143
	.set _ZN12_GLOBAL__N_120geam_min_plus_kernelIDF16_Dv2_DF16_S1_Li8ELi32ELi64ELi256ELi4ELi4ELi64ELi64ELi4ELc84ELc84ELb0ELb0ELb1EPKDF16_S2_DF16_EEviiiT16_PT17_ilS6_ilS4_S6_ilPT18_ili26rocblas_geam_ex_operation_.num_agpr, 0
	.set _ZN12_GLOBAL__N_120geam_min_plus_kernelIDF16_Dv2_DF16_S1_Li8ELi32ELi64ELi256ELi4ELi4ELi64ELi64ELi4ELc84ELc84ELb0ELb0ELb1EPKDF16_S2_DF16_EEviiiT16_PT17_ilS6_ilS4_S6_ilPT18_ili26rocblas_geam_ex_operation_.numbered_sgpr, 26
	.set _ZN12_GLOBAL__N_120geam_min_plus_kernelIDF16_Dv2_DF16_S1_Li8ELi32ELi64ELi256ELi4ELi4ELi64ELi64ELi4ELc84ELc84ELb0ELb0ELb1EPKDF16_S2_DF16_EEviiiT16_PT17_ilS6_ilS4_S6_ilPT18_ili26rocblas_geam_ex_operation_.num_named_barrier, 0
	.set _ZN12_GLOBAL__N_120geam_min_plus_kernelIDF16_Dv2_DF16_S1_Li8ELi32ELi64ELi256ELi4ELi4ELi64ELi64ELi4ELc84ELc84ELb0ELb0ELb1EPKDF16_S2_DF16_EEviiiT16_PT17_ilS6_ilS4_S6_ilPT18_ili26rocblas_geam_ex_operation_.private_seg_size, 0
	.set _ZN12_GLOBAL__N_120geam_min_plus_kernelIDF16_Dv2_DF16_S1_Li8ELi32ELi64ELi256ELi4ELi4ELi64ELi64ELi4ELc84ELc84ELb0ELb0ELb1EPKDF16_S2_DF16_EEviiiT16_PT17_ilS6_ilS4_S6_ilPT18_ili26rocblas_geam_ex_operation_.uses_vcc, 1
	.set _ZN12_GLOBAL__N_120geam_min_plus_kernelIDF16_Dv2_DF16_S1_Li8ELi32ELi64ELi256ELi4ELi4ELi64ELi64ELi4ELc84ELc84ELb0ELb0ELb1EPKDF16_S2_DF16_EEviiiT16_PT17_ilS6_ilS4_S6_ilPT18_ili26rocblas_geam_ex_operation_.uses_flat_scratch, 0
	.set _ZN12_GLOBAL__N_120geam_min_plus_kernelIDF16_Dv2_DF16_S1_Li8ELi32ELi64ELi256ELi4ELi4ELi64ELi64ELi4ELc84ELc84ELb0ELb0ELb1EPKDF16_S2_DF16_EEviiiT16_PT17_ilS6_ilS4_S6_ilPT18_ili26rocblas_geam_ex_operation_.has_dyn_sized_stack, 0
	.set _ZN12_GLOBAL__N_120geam_min_plus_kernelIDF16_Dv2_DF16_S1_Li8ELi32ELi64ELi256ELi4ELi4ELi64ELi64ELi4ELc84ELc84ELb0ELb0ELb1EPKDF16_S2_DF16_EEviiiT16_PT17_ilS6_ilS4_S6_ilPT18_ili26rocblas_geam_ex_operation_.has_recursion, 0
	.set _ZN12_GLOBAL__N_120geam_min_plus_kernelIDF16_Dv2_DF16_S1_Li8ELi32ELi64ELi256ELi4ELi4ELi64ELi64ELi4ELc84ELc84ELb0ELb0ELb1EPKDF16_S2_DF16_EEviiiT16_PT17_ilS6_ilS4_S6_ilPT18_ili26rocblas_geam_ex_operation_.has_indirect_call, 0
	.section	.AMDGPU.csdata,"",@progbits
; Kernel info:
; codeLenInByte = 18196
; TotalNumSgprs: 32
; NumVgprs: 143
; NumAgprs: 0
; TotalNumVgprs: 143
; ScratchSize: 0
; MemoryBound: 0
; FloatMode: 240
; IeeeMode: 1
; LDSByteSize: 5120 bytes/workgroup (compile time only)
; SGPRBlocks: 3
; VGPRBlocks: 17
; NumSGPRsForWavesPerEU: 32
; NumVGPRsForWavesPerEU: 143
; AccumOffset: 144
; Occupancy: 3
; WaveLimiterHint : 1
; COMPUTE_PGM_RSRC2:SCRATCH_EN: 0
; COMPUTE_PGM_RSRC2:USER_SGPR: 2
; COMPUTE_PGM_RSRC2:TRAP_HANDLER: 0
; COMPUTE_PGM_RSRC2:TGID_X_EN: 1
; COMPUTE_PGM_RSRC2:TGID_Y_EN: 0
; COMPUTE_PGM_RSRC2:TGID_Z_EN: 1
; COMPUTE_PGM_RSRC2:TIDIG_COMP_CNT: 1
; COMPUTE_PGM_RSRC3_GFX90A:ACCUM_OFFSET: 35
; COMPUTE_PGM_RSRC3_GFX90A:TG_SPLIT: 0
	.section	.text._ZN12_GLOBAL__N_120geam_min_plus_kernelIDF16_Dv2_DF16_S1_Li8ELi32ELi64ELi256ELi4ELi4ELi64ELi64ELi4ELc84ELc84ELb1ELb0ELb1EDF16_KDF16_DF16_EEviiiT16_PT17_ilS5_ilS3_S5_ilPT18_ili26rocblas_geam_ex_operation_,"axG",@progbits,_ZN12_GLOBAL__N_120geam_min_plus_kernelIDF16_Dv2_DF16_S1_Li8ELi32ELi64ELi256ELi4ELi4ELi64ELi64ELi4ELc84ELc84ELb1ELb0ELb1EDF16_KDF16_DF16_EEviiiT16_PT17_ilS5_ilS3_S5_ilPT18_ili26rocblas_geam_ex_operation_,comdat
	.globl	_ZN12_GLOBAL__N_120geam_min_plus_kernelIDF16_Dv2_DF16_S1_Li8ELi32ELi64ELi256ELi4ELi4ELi64ELi64ELi4ELc84ELc84ELb1ELb0ELb1EDF16_KDF16_DF16_EEviiiT16_PT17_ilS5_ilS3_S5_ilPT18_ili26rocblas_geam_ex_operation_ ; -- Begin function _ZN12_GLOBAL__N_120geam_min_plus_kernelIDF16_Dv2_DF16_S1_Li8ELi32ELi64ELi256ELi4ELi4ELi64ELi64ELi4ELc84ELc84ELb1ELb0ELb1EDF16_KDF16_DF16_EEviiiT16_PT17_ilS5_ilS3_S5_ilPT18_ili26rocblas_geam_ex_operation_
	.p2align	8
	.type	_ZN12_GLOBAL__N_120geam_min_plus_kernelIDF16_Dv2_DF16_S1_Li8ELi32ELi64ELi256ELi4ELi4ELi64ELi64ELi4ELc84ELc84ELb1ELb0ELb1EDF16_KDF16_DF16_EEviiiT16_PT17_ilS5_ilS3_S5_ilPT18_ili26rocblas_geam_ex_operation_,@function
_ZN12_GLOBAL__N_120geam_min_plus_kernelIDF16_Dv2_DF16_S1_Li8ELi32ELi64ELi256ELi4ELi4ELi64ELi64ELi4ELc84ELc84ELb1ELb0ELb1EDF16_KDF16_DF16_EEviiiT16_PT17_ilS5_ilS3_S5_ilPT18_ili26rocblas_geam_ex_operation_: ; @_ZN12_GLOBAL__N_120geam_min_plus_kernelIDF16_Dv2_DF16_S1_Li8ELi32ELi64ELi256ELi4ELi4ELi64ELi64ELi4ELc84ELc84ELb1ELb0ELb1EDF16_KDF16_DF16_EEviiiT16_PT17_ilS5_ilS3_S5_ilPT18_ili26rocblas_geam_ex_operation_
; %bb.0:
	s_load_dwordx2 s[14:15], s[0:1], 0x8
	s_load_dwordx4 s[4:7], s[0:1], 0x20
	s_waitcnt lgkmcnt(0)
	v_cmp_eq_f16_e64 s[8:9], s15, 0
	s_and_b64 vcc, exec, s[8:9]
	s_cbranch_vccnz .LBB277_139
; %bb.1:
	s_load_dwordx2 s[10:11], s[0:1], 0x10
	s_mul_i32 s5, s5, s3
	s_mul_hi_u32 s12, s4, s3
	s_add_i32 s5, s12, s5
	s_mul_i32 s4, s4, s3
	s_lshl_b64 s[4:5], s[4:5], 1
	s_waitcnt lgkmcnt(0)
	s_add_u32 s16, s10, s4
	s_addc_u32 s17, s11, s5
	s_andn2_b64 vcc, exec, s[8:9]
	s_mov_b64 s[4:5], -1
	s_cbranch_vccnz .LBB277_3
.LBB277_2:
	s_mov_b64 s[4:5], 0
.LBB277_3:
	s_mov_b64 s[12:13], 0
	s_andn2_b64 vcc, exec, s[4:5]
	s_mov_b64 s[18:19], 0
	s_cbranch_vccnz .LBB277_5
; %bb.4:
	s_load_dwordx2 s[4:5], s[0:1], 0x38
	s_waitcnt lgkmcnt(0)
	s_mul_i32 s5, s5, s3
	s_mul_hi_u32 s8, s4, s3
	s_add_i32 s5, s8, s5
	s_mul_i32 s4, s4, s3
	s_lshl_b64 s[4:5], s[4:5], 1
	s_add_u32 s18, s6, s4
	s_addc_u32 s19, s7, s5
.LBB277_5:
	s_load_dword s15, s[0:1], 0x40
	s_load_dwordx4 s[8:11], s[0:1], 0x58
	s_waitcnt lgkmcnt(0)
	v_cmp_eq_f16_e64 s[4:5], s15, 0
	s_and_b64 s[4:5], exec, s[4:5]
	s_mov_b64 vcc, s[4:5]
	s_cbranch_vccnz .LBB277_7
; %bb.6:
	s_load_dwordx2 s[6:7], s[0:1], 0x48
	s_mul_i32 s9, s9, s3
	s_mul_hi_u32 s12, s8, s3
	s_add_i32 s9, s12, s9
	s_mul_i32 s8, s8, s3
	s_lshl_b64 s[8:9], s[8:9], 1
	s_waitcnt lgkmcnt(0)
	s_add_u32 s12, s6, s8
	s_addc_u32 s13, s7, s9
.LBB277_7:
	s_load_dword s6, s[0:1], 0x0
	s_load_dword s7, s[0:1], 0x18
	;; [unrolled: 1-line block ×3, first 2 shown]
	v_bfe_u32 v48, v0, 10, 10
	v_and_b32_e32 v45, 0x3ff, v0
	s_waitcnt lgkmcnt(0)
	s_add_i32 s6, s6, -1
	s_ashr_i32 s9, s6, 31
	s_lshr_b32 s9, s9, 26
	s_add_i32 s6, s6, s9
	s_ashr_i32 s6, s6, 6
	s_add_i32 s9, s6, 1
	v_cvt_f32_u32_e32 v1, s9
	s_not_b32 s6, s6
	v_lshlrev_b32_e32 v44, 3, v48
	v_add_u32_e32 v2, v44, v45
	v_rcp_iflag_f32_e32 v1, v1
	v_lshrrev_b32_e32 v6, 2, v2
	v_lshlrev_b32_e32 v0, 1, v0
	v_and_b32_e32 v7, 63, v2
	v_mul_f32_e32 v1, 0x4f7ffffe, v1
	v_cvt_u32_f32_e32 v1, v1
	v_lshrrev_b32_e32 v38, 6, v2
	v_and_b32_e32 v30, 6, v0
	v_mov_b32_e32 v31, 0
	v_readfirstlane_b32 s20, v1
	s_mul_i32 s6, s6, s20
	s_mul_hi_u32 s6, s20, s6
	s_add_i32 s20, s20, s6
	s_mul_hi_u32 s6, s2, s20
	s_mul_i32 s20, s6, s9
	s_sub_i32 s20, s2, s20
	s_add_i32 s21, s6, 1
	s_sub_i32 s22, s20, s9
	s_cmp_ge_u32 s20, s9
	s_cselect_b32 s6, s21, s6
	s_cselect_b32 s20, s22, s20
	s_add_i32 s21, s6, 1
	s_cmp_ge_u32 s20, s9
	s_cselect_b32 s6, s21, s6
	s_mul_i32 s9, s6, s9
	s_sub_i32 s2, s2, s9
	s_lshl_b32 s2, s2, 6
	v_add_u32_e32 v1, s2, v6
	s_lshl_b32 s20, s6, 8
	v_mad_i64_i32 v[28:29], s[6:7], v1, s7, 0
	v_lshl_add_u64 v[2:3], v[28:29], 1, s[16:17]
	v_lshl_add_u64 v[0:1], v[2:3], 0, v[30:31]
	v_or_b32_e32 v2, s20, v7
	v_mad_i64_i32 v[4:5], s[6:7], s8, v38, 0
	v_ashrrev_i32_e32 v3, 31, v2
	v_lshl_add_u64 v[4:5], v[4:5], 1, s[18:19]
	v_lshlrev_b64 v[32:33], 1, v[2:3]
	v_lshl_add_u64 v[2:3], v[4:5], 0, v[32:33]
	global_load_ushort v4, v[2:3], off
	global_load_ushort v5, v[2:3], off offset:128
	global_load_ushort v8, v[2:3], off offset:256
	global_load_ushort v9, v[2:3], off offset:384
	global_load_ushort v10, v[0:1], off
	v_add_u32_e32 v2, 4, v38
	v_mad_i64_i32 v[2:3], s[6:7], s8, v2, 0
	v_lshl_add_u64 v[2:3], v[2:3], 1, s[18:19]
	v_lshl_add_u64 v[2:3], v[2:3], 0, v[32:33]
	global_load_ushort v34, v[2:3], off
	global_load_ushort v35, v[2:3], off offset:128
	global_load_ushort v36, v[2:3], off offset:256
	;; [unrolled: 1-line block ×4, first 2 shown]
	v_lshlrev_b32_e32 v50, 3, v45
	v_lshl_or_b32 v30, v6, 3, v30
	v_lshlrev_b32_e32 v6, 3, v7
	v_add_u32_e32 v46, 0x1000, v50
	v_lshl_add_u32 v47, v38, 1, v6
	s_movk_i32 s6, 0x7c00
	s_cmp_lt_i32 s14, 9
	s_waitcnt vmcnt(9)
	ds_write_b16 v47, v4
	s_waitcnt vmcnt(8)
	ds_write_b16 v47, v5 offset:512
	s_waitcnt vmcnt(7)
	ds_write_b16 v47, v8 offset:1024
	;; [unrolled: 2-line block ×4, first 2 shown]
	s_waitcnt lgkmcnt(0)
	s_barrier
	ds_read2_b64 v[16:19], v46 offset1:8
	ds_read2_b64 v[12:15], v46 offset0:16 offset1:24
	ds_read2_b64 v[4:7], v46 offset0:32 offset1:40
	ds_read2_b64 v[40:43], v44 offset1:32
	ds_read2_b64 v[0:3], v46 offset0:48 offset1:56
	ds_read2_b64 v[24:27], v44 offset0:64 offset1:96
	;; [unrolled: 1-line block ×4, first 2 shown]
	s_waitcnt lgkmcnt(4)
	v_pk_add_f16 v49, v16, v40
	v_pk_add_f16 v51, v18, v40
	;; [unrolled: 1-line block ×6, first 2 shown]
	s_waitcnt lgkmcnt(3)
	v_pk_add_f16 v56, v0, v40
	v_pk_add_f16 v40, v2, v40
	v_pk_add_f16 v57, v16, v42
	v_pk_add_f16 v58, v18, v42
	v_pk_add_f16 v59, v12, v42
	v_pk_add_f16 v60, v14, v42
	v_pk_add_f16 v61, v4, v42
	v_pk_add_f16 v62, v6, v42
	v_pk_add_f16 v63, v0, v42
	v_pk_add_f16 v42, v2, v42
	s_waitcnt lgkmcnt(2)
	v_pk_add_f16 v64, v16, v24
	v_pk_add_f16 v65, v18, v24
	v_pk_add_f16 v66, v12, v24
	v_pk_add_f16 v67, v14, v24
	v_pk_add_f16 v68, v4, v24
	v_pk_add_f16 v69, v6, v24
	v_pk_add_f16 v70, v0, v24
	v_pk_add_f16 v24, v2, v24
	v_pk_add_f16 v71, v16, v26
	v_pk_add_f16 v72, v18, v26
	v_pk_add_f16 v73, v12, v26
	v_pk_add_f16 v74, v14, v26
	v_pk_add_f16 v75, v4, v26
	v_pk_add_f16 v76, v6, v26
	v_pk_add_f16 v77, v0, v26
	v_pk_add_f16 v26, v2, v26
	s_waitcnt lgkmcnt(1)
	v_pk_add_f16 v78, v16, v20
	v_pk_add_f16 v79, v18, v20
	v_pk_add_f16 v80, v12, v20
	v_pk_add_f16 v95, v14, v20
	v_pk_add_f16 v96, v4, v20
	v_pk_add_f16 v97, v6, v20
	;; [unrolled: 17-line block ×3, first 2 shown]
	v_pk_add_f16 v133, v0, v8
	v_pk_add_f16 v8, v2, v8
	;; [unrolled: 1-line block ×11, first 2 shown]
	v_pk_min_f16 v10, v49, s6 op_sel_hi:[1,0]
	v_pk_min_f16 v8, v8, s6 op_sel_hi:[1,0]
	v_pk_min_f16 v119, v10, v2
	v_pk_add_f16 v2, v19, v41
	v_pk_min_f16 v10, v51, s6 op_sel_hi:[1,0]
	v_pk_min_f16 v4, v4, s6 op_sel_hi:[1,0]
	v_pk_min_f16 v118, v10, v2
	v_pk_add_f16 v2, v13, v41
	v_pk_min_f16 v10, v52, s6 op_sel_hi:[1,0]
	v_pk_min_f16 v0, v0, s6 op_sel_hi:[1,0]
	v_pk_min_f16 v117, v10, v2
	v_pk_add_f16 v2, v15, v41
	v_pk_min_f16 v10, v53, s6 op_sel_hi:[1,0]
	s_waitcnt vmcnt(0)
	ds_write_b16 v30, v39 offset:4608
	ds_write_b16 v47, v34 offset:2048
	;; [unrolled: 1-line block ×5, first 2 shown]
	v_pk_min_f16 v116, v10, v2
	v_pk_add_f16 v2, v5, v41
	v_pk_min_f16 v10, v54, s6 op_sel_hi:[1,0]
	s_waitcnt lgkmcnt(0)
	v_pk_min_f16 v115, v10, v2
	v_pk_add_f16 v2, v7, v41
	v_pk_min_f16 v10, v55, s6 op_sel_hi:[1,0]
	s_barrier
	v_pk_min_f16 v114, v10, v2
	v_pk_add_f16 v2, v1, v41
	v_pk_min_f16 v10, v56, s6 op_sel_hi:[1,0]
	s_nop 0
	v_pk_min_f16 v113, v10, v2
	v_pk_add_f16 v2, v3, v41
	v_pk_min_f16 v10, v40, s6 op_sel_hi:[1,0]
	s_nop 0
	v_pk_min_f16 v111, v10, v2
	v_pk_add_f16 v2, v17, v43
	v_pk_min_f16 v10, v57, s6 op_sel_hi:[1,0]
	s_nop 0
	v_pk_min_f16 v110, v10, v2
	v_pk_add_f16 v2, v19, v43
	v_pk_min_f16 v10, v58, s6 op_sel_hi:[1,0]
	s_nop 0
	v_pk_min_f16 v109, v10, v2
	v_pk_add_f16 v2, v13, v43
	v_pk_min_f16 v10, v59, s6 op_sel_hi:[1,0]
	s_nop 0
	v_pk_min_f16 v108, v10, v2
	v_pk_add_f16 v2, v15, v43
	v_pk_min_f16 v10, v60, s6 op_sel_hi:[1,0]
	s_nop 0
	v_pk_min_f16 v107, v10, v2
	v_pk_add_f16 v2, v5, v43
	v_pk_min_f16 v10, v61, s6 op_sel_hi:[1,0]
	s_nop 0
	v_pk_min_f16 v106, v10, v2
	v_pk_add_f16 v2, v7, v43
	v_pk_min_f16 v10, v62, s6 op_sel_hi:[1,0]
	s_nop 0
	v_pk_min_f16 v105, v10, v2
	v_pk_add_f16 v2, v1, v43
	v_pk_min_f16 v10, v63, s6 op_sel_hi:[1,0]
	s_nop 0
	v_pk_min_f16 v104, v10, v2
	v_pk_add_f16 v2, v3, v43
	v_pk_min_f16 v10, v42, s6 op_sel_hi:[1,0]
	s_nop 0
	v_pk_min_f16 v103, v10, v2
	v_pk_add_f16 v2, v17, v25
	v_pk_min_f16 v10, v64, s6 op_sel_hi:[1,0]
	s_nop 0
	v_pk_min_f16 v102, v10, v2
	v_pk_add_f16 v2, v19, v25
	v_pk_min_f16 v10, v65, s6 op_sel_hi:[1,0]
	s_nop 0
	v_pk_min_f16 v101, v10, v2
	v_pk_add_f16 v2, v13, v25
	v_pk_min_f16 v10, v66, s6 op_sel_hi:[1,0]
	s_nop 0
	v_pk_min_f16 v100, v10, v2
	v_pk_add_f16 v2, v15, v25
	v_pk_min_f16 v10, v67, s6 op_sel_hi:[1,0]
	s_nop 0
	v_pk_min_f16 v99, v10, v2
	v_pk_add_f16 v2, v5, v25
	v_pk_min_f16 v10, v68, s6 op_sel_hi:[1,0]
	s_nop 0
	v_pk_min_f16 v98, v10, v2
	v_pk_add_f16 v2, v7, v25
	v_pk_min_f16 v10, v69, s6 op_sel_hi:[1,0]
	s_nop 0
	v_pk_min_f16 v94, v10, v2
	v_pk_add_f16 v2, v1, v25
	v_pk_min_f16 v10, v70, s6 op_sel_hi:[1,0]
	s_nop 0
	v_pk_min_f16 v93, v10, v2
	v_pk_add_f16 v2, v3, v25
	v_pk_min_f16 v10, v24, s6 op_sel_hi:[1,0]
	s_nop 0
	v_pk_min_f16 v92, v10, v2
	v_pk_add_f16 v2, v17, v27
	v_pk_min_f16 v10, v71, s6 op_sel_hi:[1,0]
	s_nop 0
	v_pk_min_f16 v91, v10, v2
	v_pk_add_f16 v2, v19, v27
	v_pk_min_f16 v10, v72, s6 op_sel_hi:[1,0]
	s_nop 0
	v_pk_min_f16 v90, v10, v2
	v_pk_add_f16 v2, v13, v27
	v_pk_min_f16 v10, v73, s6 op_sel_hi:[1,0]
	s_nop 0
	v_pk_min_f16 v89, v10, v2
	v_pk_add_f16 v2, v15, v27
	v_pk_min_f16 v10, v74, s6 op_sel_hi:[1,0]
	s_nop 0
	v_pk_min_f16 v88, v10, v2
	v_pk_add_f16 v2, v5, v27
	v_pk_min_f16 v10, v75, s6 op_sel_hi:[1,0]
	s_nop 0
	v_pk_min_f16 v87, v10, v2
	v_pk_add_f16 v2, v7, v27
	v_pk_min_f16 v10, v76, s6 op_sel_hi:[1,0]
	s_nop 0
	v_pk_min_f16 v86, v10, v2
	v_pk_add_f16 v2, v1, v27
	v_pk_min_f16 v10, v77, s6 op_sel_hi:[1,0]
	s_nop 0
	v_pk_min_f16 v85, v10, v2
	v_pk_add_f16 v2, v3, v27
	v_pk_min_f16 v10, v26, s6 op_sel_hi:[1,0]
	s_nop 0
	v_pk_min_f16 v84, v10, v2
	v_pk_add_f16 v2, v17, v21
	v_pk_min_f16 v10, v78, s6 op_sel_hi:[1,0]
	s_nop 0
	v_pk_min_f16 v83, v10, v2
	v_pk_add_f16 v2, v19, v21
	v_pk_min_f16 v10, v79, s6 op_sel_hi:[1,0]
	s_nop 0
	v_pk_min_f16 v82, v10, v2
	v_pk_add_f16 v2, v13, v21
	v_pk_min_f16 v10, v80, s6 op_sel_hi:[1,0]
	s_nop 0
	v_pk_min_f16 v81, v10, v2
	v_pk_add_f16 v2, v15, v21
	v_pk_min_f16 v10, v95, s6 op_sel_hi:[1,0]
	s_nop 0
	v_pk_min_f16 v80, v10, v2
	v_pk_add_f16 v2, v5, v21
	v_pk_min_f16 v10, v96, s6 op_sel_hi:[1,0]
	s_nop 0
	v_pk_min_f16 v79, v10, v2
	v_pk_add_f16 v2, v7, v21
	v_pk_min_f16 v10, v97, s6 op_sel_hi:[1,0]
	s_nop 0
	v_pk_min_f16 v78, v10, v2
	v_pk_add_f16 v2, v1, v21
	v_pk_min_f16 v10, v112, s6 op_sel_hi:[1,0]
	s_nop 0
	v_pk_min_f16 v77, v10, v2
	v_pk_add_f16 v2, v3, v21
	v_pk_min_f16 v10, v20, s6 op_sel_hi:[1,0]
	s_nop 0
	v_pk_min_f16 v76, v10, v2
	v_pk_add_f16 v2, v17, v23
	v_pk_min_f16 v10, v120, s6 op_sel_hi:[1,0]
	s_nop 0
	v_pk_min_f16 v75, v10, v2
	v_pk_add_f16 v2, v19, v23
	v_pk_min_f16 v10, v121, s6 op_sel_hi:[1,0]
	s_nop 0
	v_pk_min_f16 v74, v10, v2
	v_pk_add_f16 v2, v13, v23
	v_pk_min_f16 v10, v122, s6 op_sel_hi:[1,0]
	s_nop 0
	v_pk_min_f16 v73, v10, v2
	v_pk_add_f16 v2, v15, v23
	v_pk_min_f16 v10, v123, s6 op_sel_hi:[1,0]
	s_nop 0
	v_pk_min_f16 v72, v10, v2
	v_pk_add_f16 v2, v5, v23
	v_pk_min_f16 v10, v124, s6 op_sel_hi:[1,0]
	s_nop 0
	v_pk_min_f16 v71, v10, v2
	v_pk_add_f16 v2, v7, v23
	v_pk_min_f16 v10, v125, s6 op_sel_hi:[1,0]
	s_nop 0
	v_pk_min_f16 v70, v10, v2
	v_pk_add_f16 v2, v1, v23
	v_pk_min_f16 v10, v126, s6 op_sel_hi:[1,0]
	s_nop 0
	v_pk_min_f16 v69, v10, v2
	v_pk_add_f16 v2, v3, v23
	v_pk_min_f16 v10, v22, s6 op_sel_hi:[1,0]
	s_nop 0
	v_pk_min_f16 v68, v10, v2
	v_pk_add_f16 v2, v17, v9
	v_pk_min_f16 v10, v127, s6 op_sel_hi:[1,0]
	s_nop 0
	v_pk_min_f16 v67, v10, v2
	v_pk_add_f16 v2, v19, v9
	v_pk_min_f16 v10, v128, s6 op_sel_hi:[1,0]
	s_nop 0
	v_pk_min_f16 v66, v10, v2
	v_pk_add_f16 v2, v13, v9
	v_pk_min_f16 v10, v129, s6 op_sel_hi:[1,0]
	s_nop 0
	v_pk_min_f16 v65, v10, v2
	v_pk_add_f16 v2, v15, v9
	v_pk_min_f16 v10, v130, s6 op_sel_hi:[1,0]
	s_nop 0
	v_pk_min_f16 v64, v10, v2
	v_pk_add_f16 v2, v5, v9
	v_pk_min_f16 v10, v131, s6 op_sel_hi:[1,0]
	s_nop 0
	v_pk_min_f16 v63, v10, v2
	v_pk_add_f16 v2, v7, v9
	v_pk_min_f16 v10, v132, s6 op_sel_hi:[1,0]
	s_nop 0
	v_pk_min_f16 v62, v10, v2
	v_pk_add_f16 v2, v1, v9
	v_pk_min_f16 v10, v133, s6 op_sel_hi:[1,0]
	v_pk_add_f16 v1, v1, v11
	v_pk_min_f16 v61, v10, v2
	v_pk_add_f16 v2, v3, v9
	s_nop 0
	v_pk_min_f16 v60, v8, v2
	v_pk_add_f16 v2, v17, v11
	v_pk_min_f16 v8, v16, s6 op_sel_hi:[1,0]
	s_nop 0
	v_pk_min_f16 v59, v8, v2
	v_pk_add_f16 v2, v19, v11
	v_pk_min_f16 v8, v18, s6 op_sel_hi:[1,0]
	;; [unrolled: 4-line block ×4, first 2 shown]
	s_nop 0
	v_pk_min_f16 v56, v8, v2
	v_pk_add_f16 v2, v5, v11
	s_nop 0
	v_pk_min_f16 v55, v4, v2
	v_pk_add_f16 v2, v7, v11
	v_pk_min_f16 v4, v6, s6 op_sel_hi:[1,0]
	s_nop 0
	v_pk_min_f16 v54, v4, v2
	v_pk_min_f16 v2, v134, s6 op_sel_hi:[1,0]
	s_nop 0
	v_pk_min_f16 v52, v2, v1
	v_pk_add_f16 v1, v3, v11
	s_nop 0
	v_pk_min_f16 v53, v0, v1
	s_cbranch_scc1 .LBB277_10
; %bb.8:
	v_mov_b32_e32 v0, 0x1200
	v_lshl_add_u32 v96, v45, 3, v0
	v_and_b32_e32 v0, 3, v45
	v_add_u32_e32 v49, 0x1000, v30
	v_add_u32_e32 v51, 0x1200, v30
	v_lshlrev_b32_e32 v30, 1, v0
	v_lshl_add_u64 v[0:1], v[28:29], 1, v[30:31]
	v_lshl_add_u64 v[0:1], s[16:17], 0, v[0:1]
	;; [unrolled: 1-line block ×3, first 2 shown]
	v_add_u32_e32 v0, 12, v38
	v_mad_i64_i32 v[0:1], s[6:7], v0, s8, 0
	s_ashr_i32 s9, s8, 31
	v_lshl_add_u64 v[36:37], v[0:1], 1, s[18:19]
	v_add_u32_e32 v0, 8, v38
	s_lshl_b64 s[6:7], s[8:9], 4
	v_mad_i64_i32 v[0:1], s[8:9], v0, s8, 0
	v_or_b32_e32 v95, 0x800, v47
	s_add_i32 s14, s14, -8
	v_add_u32_e32 v97, 0x800, v44
	v_lshl_add_u64 v[38:39], v[0:1], 1, s[18:19]
	s_mov_b32 s8, 0
.LBB277_9:                              ; =>This Inner Loop Header: Depth=1
	v_lshl_add_u64 v[40:41], v[38:39], 0, v[32:33]
	global_load_ushort v112, v[34:35], off
	ds_read2_b64 v[12:15], v96 offset1:8
	ds_read2_b64 v[8:11], v96 offset0:16 offset1:24
	ds_read2_b64 v[4:7], v96 offset0:32 offset1:40
	;; [unrolled: 1-line block ×3, first 2 shown]
	ds_read2_b64 v[28:31], v97 offset1:32
	ds_read2_b64 v[24:27], v97 offset0:64 offset1:96
	ds_read2_b64 v[20:23], v97 offset0:128 offset1:160
	;; [unrolled: 1-line block ×3, first 2 shown]
	global_load_ushort v120, v[40:41], off
	global_load_ushort v121, v[40:41], off offset:128
	global_load_ushort v122, v[40:41], off offset:256
	;; [unrolled: 1-line block ×3, first 2 shown]
	v_lshl_add_u64 v[42:43], v[36:37], 0, v[32:33]
	v_pk_max_f16 v119, v119, v119
	v_pk_max_f16 v116, v116, v116
	;; [unrolled: 1-line block ×27, first 2 shown]
	s_waitcnt lgkmcnt(3)
	v_pk_add_f16 v40, v12, v28
	v_pk_add_f16 v41, v14, v28
	v_pk_add_f16 v124, v8, v28
	v_pk_add_f16 v125, v10, v28
	v_pk_add_f16 v126, v4, v28
	v_pk_add_f16 v127, v6, v28
	v_pk_add_f16 v128, v0, v28
	v_pk_add_f16 v28, v2, v28
	v_pk_add_f16 v129, v12, v30
	v_pk_add_f16 v130, v14, v30
	v_pk_add_f16 v131, v8, v30
	v_pk_add_f16 v132, v10, v30
	v_pk_add_f16 v133, v4, v30
	v_pk_add_f16 v134, v6, v30
	v_pk_add_f16 v135, v0, v30
	v_pk_add_f16 v30, v2, v30
	s_waitcnt lgkmcnt(2)
	v_pk_add_f16 v136, v12, v24
	v_pk_add_f16 v137, v14, v24
	v_pk_add_f16 v138, v8, v24
	v_pk_add_f16 v139, v10, v24
	v_pk_add_f16 v140, v4, v24
	v_pk_add_f16 v141, v6, v24
	v_pk_add_f16 v142, v0, v24
	v_pk_add_f16 v24, v2, v24
	v_pk_add_f16 v143, v12, v26
	v_pk_add_f16 v144, v14, v26
	v_pk_add_f16 v145, v8, v26
	v_pk_add_f16 v146, v10, v26
	v_pk_add_f16 v147, v4, v26
	v_pk_add_f16 v148, v6, v26
	v_pk_add_f16 v149, v0, v26
	v_pk_add_f16 v26, v2, v26
	s_waitcnt lgkmcnt(1)
	v_pk_add_f16 v150, v12, v20
	v_pk_add_f16 v151, v14, v20
	v_pk_add_f16 v152, v8, v20
	v_pk_add_f16 v153, v10, v20
	v_pk_add_f16 v154, v4, v20
	v_pk_add_f16 v155, v6, v20
	v_pk_add_f16 v156, v0, v20
	v_pk_add_f16 v20, v2, v20
	v_pk_add_f16 v157, v12, v22
	v_pk_add_f16 v158, v14, v22
	v_pk_add_f16 v159, v8, v22
	v_pk_add_f16 v160, v10, v22
	v_pk_add_f16 v161, v4, v22
	v_pk_add_f16 v162, v6, v22
	v_pk_add_f16 v163, v0, v22
	v_pk_add_f16 v22, v2, v22
	s_waitcnt lgkmcnt(0)
	v_pk_add_f16 v164, v12, v16
	s_waitcnt vmcnt(4)
	ds_write_b16 v49, v112
	s_waitcnt vmcnt(3)
	ds_write_b16 v47, v120
	s_waitcnt vmcnt(2)
	ds_write_b16 v47, v121 offset:512
	s_waitcnt vmcnt(1)
	ds_write_b16 v47, v122 offset:1024
	;; [unrolled: 2-line block ×3, first 2 shown]
	s_waitcnt lgkmcnt(0)
	s_barrier
	global_load_ushort v112, v[34:35], off offset:8
	global_load_ushort v120, v[42:43], off
	global_load_ushort v121, v[42:43], off offset:128
	global_load_ushort v122, v[42:43], off offset:256
	;; [unrolled: 1-line block ×3, first 2 shown]
	v_pk_add_f16 v165, v14, v16
	v_pk_add_f16 v166, v8, v16
	;; [unrolled: 1-line block ×15, first 2 shown]
	v_pk_max_f16 v118, v118, v118
	v_pk_max_f16 v117, v117, v117
	v_pk_add_f16 v18, v13, v29
	v_pk_add_f16 v171, v15, v29
	;; [unrolled: 1-line block ×64, first 2 shown]
	v_pk_min_f16 v19, v119, v40
	v_pk_min_f16 v116, v116, v125
	;; [unrolled: 1-line block ×56, first 2 shown]
	ds_read2_b64 v[0:3], v46 offset1:8
	ds_read2_b64 v[4:7], v46 offset0:16 offset1:24
	ds_read2_b64 v[8:11], v46 offset0:32 offset1:40
	;; [unrolled: 1-line block ×3, first 2 shown]
	ds_read2_b64 v[16:19], v44 offset1:32
	ds_read2_b64 v[20:23], v44 offset0:64 offset1:96
	ds_read2_b64 v[24:27], v44 offset0:128 offset1:160
	;; [unrolled: 1-line block ×3, first 2 shown]
	v_pk_max_f16 v102, v102, v102
	v_pk_max_f16 v101, v101, v101
	;; [unrolled: 1-line block ×35, first 2 shown]
	v_pk_min_f16 v102, v102, v136
	v_pk_min_f16 v101, v101, v137
	;; [unrolled: 1-line block ×72, first 2 shown]
	s_waitcnt lgkmcnt(3)
	v_pk_add_f16 v42, v0, v16
	v_pk_add_f16 v43, v2, v16
	v_pk_add_f16 v118, v4, v16
	v_pk_add_f16 v119, v6, v16
	v_pk_add_f16 v124, v8, v16
	v_pk_add_f16 v125, v10, v16
	v_pk_add_f16 v126, v12, v16
	v_pk_add_f16 v16, v14, v16
	v_pk_add_f16 v127, v0, v18
	v_pk_add_f16 v128, v2, v18
	v_pk_add_f16 v129, v4, v18
	v_pk_add_f16 v130, v6, v18
	v_pk_add_f16 v131, v8, v18
	v_pk_add_f16 v132, v10, v18
	v_pk_add_f16 v133, v12, v18
	v_pk_add_f16 v18, v14, v18
	s_waitcnt lgkmcnt(2)
	v_pk_add_f16 v134, v0, v20
	v_pk_add_f16 v135, v2, v20
	v_pk_add_f16 v136, v4, v20
	v_pk_add_f16 v137, v6, v20
	v_pk_add_f16 v138, v8, v20
	v_pk_add_f16 v139, v10, v20
	v_pk_add_f16 v140, v12, v20
	v_pk_add_f16 v20, v14, v20
	v_pk_add_f16 v141, v0, v22
	v_pk_add_f16 v142, v2, v22
	v_pk_add_f16 v143, v4, v22
	v_pk_add_f16 v144, v6, v22
	v_pk_add_f16 v145, v8, v22
	v_pk_add_f16 v146, v10, v22
	v_pk_add_f16 v147, v12, v22
	v_pk_add_f16 v22, v14, v22
	;; [unrolled: 17-line block ×4, first 2 shown]
	s_add_i32 s8, s8, 8
	v_pk_add_f16 v30, v1, v17
	v_pk_add_f16 v169, v3, v17
	;; [unrolled: 1-line block ×64, first 2 shown]
	v_pk_min_f16 v31, v52, v42
	v_pk_min_f16 v40, v40, v43
	;; [unrolled: 1-line block ×64, first 2 shown]
	v_lshl_add_u64 v[36:37], v[36:37], 0, s[6:7]
	v_lshl_add_u64 v[38:39], v[38:39], 0, s[6:7]
	s_cmp_ge_i32 s8, s14
	v_lshl_add_u64 v[34:35], v[34:35], 0, 16
	v_pk_min_f16 v119, v31, v30
	v_pk_min_f16 v118, v40, v169
	;; [unrolled: 1-line block ×64, first 2 shown]
	s_waitcnt vmcnt(4)
	ds_write_b16 v51, v112
	s_waitcnt vmcnt(3)
	ds_write_b16 v95, v120
	s_waitcnt vmcnt(2)
	ds_write_b16 v95, v121 offset:512
	s_waitcnt vmcnt(1)
	ds_write_b16 v95, v122 offset:1024
	;; [unrolled: 2-line block ×3, first 2 shown]
	s_waitcnt lgkmcnt(0)
	s_barrier
	s_cbranch_scc0 .LBB277_9
.LBB277_10:
	s_load_dword s8, s[0:1], 0x50
	ds_read_b64 v[30:31], v50 offset:4608
	ds_read_b64 v[46:47], v44 offset:2048
	v_add_u32_e32 v95, s20, v48
	v_cmp_neq_f16_e64 s[6:7], s15, 0
	v_add_u32_e32 v28, s2, v45
	s_waitcnt lgkmcnt(0)
	v_mad_i64_i32 v[0:1], s[16:17], v95, s8, 0
	v_ashrrev_i32_e32 v29, 31, v28
	v_lshl_add_u64 v[48:49], v[0:1], 1, s[12:13]
	v_mov_b32_e32 v34, 0
	s_and_b64 vcc, exec, s[6:7]
	v_mov_b32_e32 v35, 0
	s_cbranch_vccz .LBB277_12
; %bb.11:
	v_lshl_add_u64 v[0:1], v[28:29], 1, v[48:49]
	global_load_ushort v0, v[0:1], off
	s_waitcnt vmcnt(0)
	v_mul_f16_e32 v0, s15, v0
	v_cvt_f32_f16_e32 v35, v0
.LBB277_12:
	v_add_u32_e32 v0, 0x1000, v50
	v_pk_add_f16 v32, v30, v46
	v_max_f16_e32 v33, v119, v119
	v_pk_add_f16 v37, v31, v47
	ds_read2_b64 v[8:11], v0 offset0:72 offset1:80
	ds_read2_b64 v[4:7], v0 offset0:88 offset1:96
	;; [unrolled: 1-line block ×3, first 2 shown]
	ds_read_b64 v[24:25], v50 offset:5056
	s_load_dword s9, s[0:1], 0x68
	s_load_dwordx2 s[16:17], s[0:1], 0x70
	v_min_f16_e32 v36, v33, v32
	v_lshrrev_b32_e32 v33, 16, v119
	v_lshrrev_b32_e32 v32, 16, v32
	;; [unrolled: 1-line block ×3, first 2 shown]
	v_min3_f16 v38, v33, v32, v38
	v_min3_f16 v36, v36, v37, v38
	v_cvt_f32_f16_e32 v38, v36
	v_add_u32_e32 v12, 0x800, v44
	ds_read2_b64 v[20:23], v12 offset0:32 offset1:64
	ds_read2_b64 v[16:19], v12 offset0:96 offset1:128
	;; [unrolled: 1-line block ×3, first 2 shown]
	ds_read_b64 v[26:27], v44 offset:3840
	s_waitcnt lgkmcnt(0)
	s_mul_i32 s0, s17, s3
	s_mul_hi_u32 s1, s16, s3
	s_add_i32 s1, s1, s0
	s_mul_i32 s0, s16, s3
	v_max_f32_e32 v35, v35, v35
	s_lshl_b64 s[0:1], s[0:1], 1
	v_min_f32_e32 v35, v35, v38
	s_add_u32 s2, s10, s0
	v_cvt_f16_f32_e32 v35, v35
	s_addc_u32 s3, s11, s1
	v_mad_i64_i32 v[36:37], s[0:1], v95, s9, 0
	v_add_u32_e32 v32, 8, v28
	v_lshl_add_u64 v[50:51], v[36:37], 1, s[2:3]
	v_cndmask_b32_e64 v38, 0, 1, s[6:7]
	v_ashrrev_i32_e32 v33, 31, v32
	v_lshl_add_u64 v[36:37], v[28:29], 1, v[50:51]
	v_cmp_ne_u32_e64 s[0:1], 1, v38
	s_andn2_b64 vcc, exec, s[6:7]
	global_store_short v[36:37], v35, off
	s_cbranch_vccnz .LBB277_14
; %bb.13:
	v_lshl_add_u64 v[34:35], v[32:33], 1, v[48:49]
	global_load_ushort v34, v[34:35], off
	s_waitcnt vmcnt(0)
	v_mul_f16_e32 v34, s15, v34
	v_cvt_f32_f16_e32 v34, v34
.LBB277_14:
	v_pk_add_f16 v35, v8, v46
	v_max_f16_e32 v36, v118, v118
	v_pk_add_f16 v38, v9, v47
	v_min_f16_e32 v36, v36, v35
	v_lshrrev_b32_e32 v37, 16, v118
	v_lshrrev_b32_e32 v35, 16, v35
	;; [unrolled: 1-line block ×3, first 2 shown]
	v_min3_f16 v35, v37, v35, v39
	v_min3_f16 v35, v36, v38, v35
	v_cvt_f32_f16_e32 v35, v35
	v_max_f32_e32 v34, v34, v34
	v_lshl_add_u64 v[36:37], v[32:33], 1, v[50:51]
	s_and_b64 vcc, exec, s[0:1]
	v_min_f32_e32 v34, v34, v35
	v_cvt_f16_f32_e32 v38, v34
	v_add_u32_e32 v34, 16, v28
	v_ashrrev_i32_e32 v35, 31, v34
	global_store_short v[36:37], v38, off
	v_mov_b32_e32 v38, 0
	v_mov_b32_e32 v37, 0
	s_cbranch_vccnz .LBB277_16
; %bb.15:
	v_lshl_add_u64 v[36:37], v[34:35], 1, v[48:49]
	global_load_ushort v36, v[36:37], off
	s_waitcnt vmcnt(0)
	v_mul_f16_e32 v36, s15, v36
	v_cvt_f32_f16_e32 v37, v36
.LBB277_16:
	v_pk_add_f16 v36, v10, v46
	v_max_f16_e32 v39, v117, v117
	v_pk_add_f16 v41, v11, v47
	v_min_f16_e32 v39, v39, v36
	v_lshrrev_b32_e32 v40, 16, v117
	v_lshrrev_b32_e32 v36, 16, v36
	;; [unrolled: 1-line block ×3, first 2 shown]
	v_min3_f16 v36, v40, v36, v42
	v_min3_f16 v36, v39, v41, v36
	v_cvt_f32_f16_e32 v39, v36
	v_max_f32_e32 v37, v37, v37
	v_add_u32_e32 v36, 24, v28
	v_lshl_add_u64 v[40:41], v[34:35], 1, v[50:51]
	v_min_f32_e32 v37, v37, v39
	v_cvt_f16_f32_e32 v39, v37
	v_ashrrev_i32_e32 v37, 31, v36
	s_and_b64 vcc, exec, s[0:1]
	global_store_short v[40:41], v39, off
	s_cbranch_vccnz .LBB277_18
; %bb.17:
	v_lshl_add_u64 v[38:39], v[36:37], 1, v[48:49]
	global_load_ushort v38, v[38:39], off
	s_waitcnt vmcnt(0)
	v_mul_f16_e32 v38, s15, v38
	v_cvt_f32_f16_e32 v38, v38
.LBB277_18:
	v_pk_add_f16 v39, v4, v46
	v_max_f16_e32 v40, v116, v116
	v_pk_add_f16 v42, v5, v47
	v_min_f16_e32 v40, v40, v39
	v_lshrrev_b32_e32 v41, 16, v116
	v_lshrrev_b32_e32 v39, 16, v39
	;; [unrolled: 1-line block ×3, first 2 shown]
	v_min3_f16 v39, v41, v39, v43
	v_min3_f16 v39, v40, v42, v39
	v_cvt_f32_f16_e32 v39, v39
	v_max_f32_e32 v38, v38, v38
	v_add_u32_e32 v40, 32, v28
	v_ashrrev_i32_e32 v41, 31, v40
	v_min_f32_e32 v38, v38, v39
	v_cvt_f16_f32_e32 v42, v38
	v_lshl_add_u64 v[38:39], v[36:37], 1, v[50:51]
	s_and_b64 vcc, exec, s[0:1]
	global_store_short v[38:39], v42, off
	v_mov_b32_e32 v42, 0
	v_mov_b32_e32 v39, 0
	s_cbranch_vccnz .LBB277_20
; %bb.19:
	v_lshl_add_u64 v[38:39], v[40:41], 1, v[48:49]
	global_load_ushort v38, v[38:39], off
	s_waitcnt vmcnt(0)
	v_mul_f16_e32 v38, s15, v38
	v_cvt_f32_f16_e32 v39, v38
.LBB277_20:
	v_pk_add_f16 v38, v6, v46
	v_max_f16_e32 v43, v115, v115
	v_pk_add_f16 v45, v7, v47
	v_min_f16_e32 v43, v43, v38
	v_lshrrev_b32_e32 v44, 16, v115
	v_lshrrev_b32_e32 v38, 16, v38
	v_lshrrev_b32_e32 v96, 16, v45
	v_min3_f16 v38, v44, v38, v96
	v_min3_f16 v38, v43, v45, v38
	v_cvt_f32_f16_e32 v43, v38
	v_max_f32_e32 v39, v39, v39
	v_add_u32_e32 v38, 40, v28
	v_lshl_add_u64 v[44:45], v[40:41], 1, v[50:51]
	v_min_f32_e32 v39, v39, v43
	v_cvt_f16_f32_e32 v43, v39
	v_ashrrev_i32_e32 v39, 31, v38
	s_and_b64 vcc, exec, s[0:1]
	global_store_short v[44:45], v43, off
	s_cbranch_vccnz .LBB277_22
; %bb.21:
	v_lshl_add_u64 v[42:43], v[38:39], 1, v[48:49]
	global_load_ushort v42, v[42:43], off
	s_waitcnt vmcnt(0)
	v_mul_f16_e32 v42, s15, v42
	v_cvt_f32_f16_e32 v42, v42
.LBB277_22:
	v_pk_add_f16 v43, v0, v46
	v_max_f16_e32 v44, v114, v114
	v_pk_add_f16 v96, v1, v47
	v_min_f16_e32 v44, v44, v43
	v_lshrrev_b32_e32 v45, 16, v114
	v_lshrrev_b32_e32 v43, 16, v43
	v_lshrrev_b32_e32 v97, 16, v96
	v_min3_f16 v43, v45, v43, v97
	v_min3_f16 v43, v44, v96, v43
	v_cvt_f32_f16_e32 v43, v43
	v_max_f32_e32 v42, v42, v42
	v_lshl_add_u64 v[44:45], v[38:39], 1, v[50:51]
	s_and_b64 vcc, exec, s[0:1]
	v_min_f32_e32 v42, v42, v43
	v_cvt_f16_f32_e32 v96, v42
	v_add_u32_e32 v42, 48, v28
	v_ashrrev_i32_e32 v43, 31, v42
	global_store_short v[44:45], v96, off
	v_mov_b32_e32 v96, 0
	v_mov_b32_e32 v45, 0
	s_cbranch_vccnz .LBB277_24
; %bb.23:
	v_lshl_add_u64 v[44:45], v[42:43], 1, v[48:49]
	global_load_ushort v44, v[44:45], off
	s_waitcnt vmcnt(0)
	v_mul_f16_e32 v44, s15, v44
	v_cvt_f32_f16_e32 v45, v44
.LBB277_24:
	v_pk_add_f16 v44, v2, v46
	v_max_f16_e32 v97, v113, v113
	v_lshrrev_b32_e32 v112, 16, v113
	v_pk_add_f16 v113, v3, v47
	v_min_f16_e32 v97, v97, v44
	v_lshrrev_b32_e32 v44, 16, v44
	v_lshrrev_b32_e32 v114, 16, v113
	v_min3_f16 v44, v112, v44, v114
	v_min3_f16 v44, v97, v113, v44
	v_cvt_f32_f16_e32 v97, v44
	v_max_f32_e32 v45, v45, v45
	v_add_u32_e32 v44, 56, v28
	v_lshl_add_u64 v[112:113], v[42:43], 1, v[50:51]
	v_min_f32_e32 v45, v45, v97
	v_cvt_f16_f32_e32 v97, v45
	v_ashrrev_i32_e32 v45, 31, v44
	s_and_b64 vcc, exec, s[0:1]
	global_store_short v[112:113], v97, off
	s_cbranch_vccnz .LBB277_26
; %bb.25:
	v_lshl_add_u64 v[48:49], v[44:45], 1, v[48:49]
	global_load_ushort v48, v[48:49], off
	s_waitcnt vmcnt(0)
	v_mul_f16_e32 v48, s15, v48
	v_cvt_f32_f16_e32 v96, v48
.LBB277_26:
	v_pk_add_f16 v46, v24, v46
	v_max_f16_e32 v48, v111, v111
	v_pk_add_f16 v47, v25, v47
	v_min_f16_e32 v48, v48, v46
	v_lshrrev_b32_e32 v49, 16, v111
	v_lshrrev_b32_e32 v46, 16, v46
	v_lshrrev_b32_e32 v97, 16, v47
	v_min3_f16 v46, v49, v46, v97
	v_min3_f16 v46, v48, v47, v46
	v_cvt_f32_f16_e32 v46, v46
	v_max_f32_e32 v47, v96, v96
	s_and_b64 vcc, exec, s[0:1]
	v_mov_b32_e32 v49, 0
	v_min_f32_e32 v46, v47, v46
	v_cvt_f16_f32_e32 v48, v46
	v_lshl_add_u64 v[46:47], v[44:45], 1, v[50:51]
	v_mov_b32_e32 v50, 0
	global_store_short v[46:47], v48, off
	v_add_u32_e32 v48, 32, v95
	v_mad_i64_i32 v[46:47], s[6:7], v48, s8, 0
	v_lshl_add_u64 v[46:47], v[46:47], 1, s[12:13]
	s_cbranch_vccnz .LBB277_28
; %bb.27:
	v_lshl_add_u64 v[96:97], v[28:29], 1, v[46:47]
	global_load_ushort v49, v[96:97], off
	s_waitcnt vmcnt(0)
	v_mul_f16_e32 v49, s15, v49
	v_cvt_f32_f16_e32 v49, v49
.LBB277_28:
	v_pk_add_f16 v51, v30, v20
	v_max_f16_e32 v96, v110, v110
	v_lshrrev_b32_e32 v97, 16, v110
	v_pk_add_f16 v110, v31, v21
	v_min_f16_e32 v96, v96, v51
	v_lshrrev_b32_e32 v51, 16, v51
	v_lshrrev_b32_e32 v111, 16, v110
	v_min3_f16 v51, v97, v51, v111
	v_min3_f16 v51, v96, v110, v51
	v_cvt_f32_f16_e32 v51, v51
	v_mad_i64_i32 v[96:97], s[6:7], v48, s9, 0
	v_max_f32_e32 v48, v49, v49
	v_min_f32_e32 v48, v48, v51
	v_cvt_f16_f32_e32 v51, v48
	v_lshl_add_u64 v[48:49], v[96:97], 1, s[2:3]
	v_lshl_add_u64 v[96:97], v[28:29], 1, v[48:49]
	s_and_b64 vcc, exec, s[0:1]
	global_store_short v[96:97], v51, off
	s_cbranch_vccnz .LBB277_30
; %bb.29:
	v_lshl_add_u64 v[50:51], v[32:33], 1, v[46:47]
	global_load_ushort v50, v[50:51], off
	s_waitcnt vmcnt(0)
	v_mul_f16_e32 v50, s15, v50
	v_cvt_f32_f16_e32 v50, v50
.LBB277_30:
	v_pk_add_f16 v51, v8, v20
	v_max_f16_e32 v96, v109, v109
	v_lshrrev_b32_e32 v97, 16, v109
	v_pk_add_f16 v109, v9, v21
	v_min_f16_e32 v96, v96, v51
	v_lshrrev_b32_e32 v51, 16, v51
	v_lshrrev_b32_e32 v110, 16, v109
	v_min3_f16 v51, v97, v51, v110
	v_min3_f16 v51, v96, v109, v51
	v_cvt_f32_f16_e32 v51, v51
	v_max_f32_e32 v50, v50, v50
	s_and_b64 vcc, exec, s[0:1]
	v_min_f32_e32 v50, v50, v51
	v_cvt_f16_f32_e32 v96, v50
	v_lshl_add_u64 v[50:51], v[32:33], 1, v[48:49]
	global_store_short v[50:51], v96, off
	v_mov_b32_e32 v50, 0
	v_mov_b32_e32 v51, 0
	s_cbranch_vccnz .LBB277_32
; %bb.31:
	v_lshl_add_u64 v[96:97], v[34:35], 1, v[46:47]
	global_load_ushort v51, v[96:97], off
	s_waitcnt vmcnt(0)
	v_mul_f16_e32 v51, s15, v51
	v_cvt_f32_f16_e32 v51, v51
.LBB277_32:
	v_pk_add_f16 v96, v10, v20
	v_max_f16_e32 v97, v108, v108
	v_pk_add_f16 v109, v11, v21
	v_min_f16_e32 v97, v97, v96
	v_lshrrev_b32_e32 v108, 16, v108
	v_lshrrev_b32_e32 v96, 16, v96
	v_lshrrev_b32_e32 v110, 16, v109
	v_min3_f16 v96, v108, v96, v110
	v_min3_f16 v96, v97, v109, v96
	v_cvt_f32_f16_e32 v96, v96
	v_max_f32_e32 v51, v51, v51
	s_and_b64 vcc, exec, s[0:1]
	v_min_f32_e32 v51, v51, v96
	v_cvt_f16_f32_e32 v51, v51
	v_lshl_add_u64 v[96:97], v[34:35], 1, v[48:49]
	global_store_short v[96:97], v51, off
	s_cbranch_vccnz .LBB277_34
; %bb.33:
	v_lshl_add_u64 v[50:51], v[36:37], 1, v[46:47]
	global_load_ushort v50, v[50:51], off
	s_waitcnt vmcnt(0)
	v_mul_f16_e32 v50, s15, v50
	v_cvt_f32_f16_e32 v50, v50
.LBB277_34:
	v_pk_add_f16 v51, v4, v20
	v_max_f16_e32 v96, v107, v107
	v_lshrrev_b32_e32 v97, 16, v107
	v_pk_add_f16 v107, v5, v21
	v_min_f16_e32 v96, v96, v51
	v_lshrrev_b32_e32 v51, 16, v51
	v_lshrrev_b32_e32 v108, 16, v107
	v_min3_f16 v51, v97, v51, v108
	v_min3_f16 v51, v96, v107, v51
	v_cvt_f32_f16_e32 v51, v51
	v_max_f32_e32 v50, v50, v50
	s_and_b64 vcc, exec, s[0:1]
	v_min_f32_e32 v50, v50, v51
	v_cvt_f16_f32_e32 v96, v50
	v_lshl_add_u64 v[50:51], v[36:37], 1, v[48:49]
	global_store_short v[50:51], v96, off
	v_mov_b32_e32 v50, 0
	v_mov_b32_e32 v51, 0
	s_cbranch_vccnz .LBB277_36
; %bb.35:
	v_lshl_add_u64 v[96:97], v[40:41], 1, v[46:47]
	global_load_ushort v51, v[96:97], off
	s_waitcnt vmcnt(0)
	v_mul_f16_e32 v51, s15, v51
	v_cvt_f32_f16_e32 v51, v51
.LBB277_36:
	v_pk_add_f16 v96, v6, v20
	v_max_f16_e32 v97, v106, v106
	v_pk_add_f16 v107, v7, v21
	v_min_f16_e32 v97, v97, v96
	v_lshrrev_b32_e32 v106, 16, v106
	v_lshrrev_b32_e32 v96, 16, v96
	v_lshrrev_b32_e32 v108, 16, v107
	v_min3_f16 v96, v106, v96, v108
	v_min3_f16 v96, v97, v107, v96
	v_cvt_f32_f16_e32 v96, v96
	v_max_f32_e32 v51, v51, v51
	s_and_b64 vcc, exec, s[0:1]
	v_min_f32_e32 v51, v51, v96
	v_cvt_f16_f32_e32 v51, v51
	v_lshl_add_u64 v[96:97], v[40:41], 1, v[48:49]
	global_store_short v[96:97], v51, off
	s_cbranch_vccnz .LBB277_38
; %bb.37:
	v_lshl_add_u64 v[50:51], v[38:39], 1, v[46:47]
	global_load_ushort v50, v[50:51], off
	s_waitcnt vmcnt(0)
	v_mul_f16_e32 v50, s15, v50
	v_cvt_f32_f16_e32 v50, v50
.LBB277_38:
	v_pk_add_f16 v51, v0, v20
	v_max_f16_e32 v96, v105, v105
	v_lshrrev_b32_e32 v97, 16, v105
	v_pk_add_f16 v105, v1, v21
	v_min_f16_e32 v96, v96, v51
	v_lshrrev_b32_e32 v51, 16, v51
	v_lshrrev_b32_e32 v106, 16, v105
	v_min3_f16 v51, v97, v51, v106
	v_min3_f16 v51, v96, v105, v51
	v_cvt_f32_f16_e32 v51, v51
	v_max_f32_e32 v50, v50, v50
	s_and_b64 vcc, exec, s[0:1]
	v_min_f32_e32 v50, v50, v51
	v_cvt_f16_f32_e32 v96, v50
	v_lshl_add_u64 v[50:51], v[38:39], 1, v[48:49]
	global_store_short v[50:51], v96, off
	v_mov_b32_e32 v50, 0
	v_mov_b32_e32 v51, 0
	s_cbranch_vccnz .LBB277_40
; %bb.39:
	v_lshl_add_u64 v[96:97], v[42:43], 1, v[46:47]
	global_load_ushort v51, v[96:97], off
	s_waitcnt vmcnt(0)
	v_mul_f16_e32 v51, s15, v51
	v_cvt_f32_f16_e32 v51, v51
.LBB277_40:
	v_pk_add_f16 v96, v2, v20
	v_max_f16_e32 v97, v104, v104
	v_pk_add_f16 v105, v3, v21
	v_min_f16_e32 v97, v97, v96
	v_lshrrev_b32_e32 v104, 16, v104
	v_lshrrev_b32_e32 v96, 16, v96
	v_lshrrev_b32_e32 v106, 16, v105
	v_min3_f16 v96, v104, v96, v106
	v_min3_f16 v96, v97, v105, v96
	v_cvt_f32_f16_e32 v96, v96
	v_max_f32_e32 v51, v51, v51
	s_and_b64 vcc, exec, s[0:1]
	v_min_f32_e32 v51, v51, v96
	v_cvt_f16_f32_e32 v51, v51
	v_lshl_add_u64 v[96:97], v[42:43], 1, v[48:49]
	global_store_short v[96:97], v51, off
	s_cbranch_vccnz .LBB277_42
; %bb.41:
	v_lshl_add_u64 v[46:47], v[44:45], 1, v[46:47]
	global_load_ushort v46, v[46:47], off
	s_waitcnt vmcnt(0)
	v_mul_f16_e32 v46, s15, v46
	v_cvt_f32_f16_e32 v50, v46
.LBB277_42:
	v_pk_add_f16 v20, v24, v20
	v_max_f16_e32 v46, v103, v103
	v_pk_add_f16 v21, v25, v21
	v_min_f16_e32 v46, v46, v20
	v_lshrrev_b32_e32 v47, 16, v103
	v_lshrrev_b32_e32 v20, 16, v20
	;; [unrolled: 1-line block ×3, first 2 shown]
	v_min3_f16 v20, v47, v20, v51
	v_min3_f16 v20, v46, v21, v20
	v_cvt_f32_f16_e32 v20, v20
	v_max_f32_e32 v21, v50, v50
	s_and_b64 vcc, exec, s[0:1]
	v_mov_b32_e32 v47, 0
	v_min_f32_e32 v20, v21, v20
	v_cvt_f16_f32_e32 v46, v20
	v_lshl_add_u64 v[20:21], v[44:45], 1, v[48:49]
	v_mov_b32_e32 v48, 0
	global_store_short v[20:21], v46, off
	v_add_u32_e32 v46, 64, v95
	v_mad_i64_i32 v[20:21], s[6:7], v46, s8, 0
	v_lshl_add_u64 v[20:21], v[20:21], 1, s[12:13]
	s_cbranch_vccnz .LBB277_44
; %bb.43:
	v_lshl_add_u64 v[50:51], v[28:29], 1, v[20:21]
	global_load_ushort v47, v[50:51], off
	s_waitcnt vmcnt(0)
	v_mul_f16_e32 v47, s15, v47
	v_cvt_f32_f16_e32 v47, v47
.LBB277_44:
	v_pk_add_f16 v49, v30, v22
	v_max_f16_e32 v50, v102, v102
	v_pk_add_f16 v96, v31, v23
	v_min_f16_e32 v50, v50, v49
	v_lshrrev_b32_e32 v51, 16, v102
	v_lshrrev_b32_e32 v49, 16, v49
	;; [unrolled: 1-line block ×3, first 2 shown]
	v_min3_f16 v49, v51, v49, v97
	v_min3_f16 v49, v50, v96, v49
	v_cvt_f32_f16_e32 v49, v49
	v_mad_i64_i32 v[50:51], s[6:7], v46, s9, 0
	v_max_f32_e32 v46, v47, v47
	v_min_f32_e32 v46, v46, v49
	v_cvt_f16_f32_e32 v49, v46
	v_lshl_add_u64 v[46:47], v[50:51], 1, s[2:3]
	v_lshl_add_u64 v[50:51], v[28:29], 1, v[46:47]
	s_and_b64 vcc, exec, s[0:1]
	global_store_short v[50:51], v49, off
	s_cbranch_vccnz .LBB277_46
; %bb.45:
	v_lshl_add_u64 v[48:49], v[32:33], 1, v[20:21]
	global_load_ushort v48, v[48:49], off
	s_waitcnt vmcnt(0)
	v_mul_f16_e32 v48, s15, v48
	v_cvt_f32_f16_e32 v48, v48
.LBB277_46:
	v_pk_add_f16 v49, v8, v22
	v_max_f16_e32 v50, v101, v101
	v_pk_add_f16 v96, v9, v23
	v_min_f16_e32 v50, v50, v49
	v_lshrrev_b32_e32 v51, 16, v101
	v_lshrrev_b32_e32 v49, 16, v49
	v_lshrrev_b32_e32 v97, 16, v96
	v_min3_f16 v49, v51, v49, v97
	v_min3_f16 v49, v50, v96, v49
	v_cvt_f32_f16_e32 v49, v49
	v_max_f32_e32 v48, v48, v48
	s_and_b64 vcc, exec, s[0:1]
	v_min_f32_e32 v48, v48, v49
	v_cvt_f16_f32_e32 v50, v48
	v_lshl_add_u64 v[48:49], v[32:33], 1, v[46:47]
	global_store_short v[48:49], v50, off
	v_mov_b32_e32 v48, 0
	v_mov_b32_e32 v49, 0
	s_cbranch_vccnz .LBB277_48
; %bb.47:
	v_lshl_add_u64 v[50:51], v[34:35], 1, v[20:21]
	global_load_ushort v49, v[50:51], off
	s_waitcnt vmcnt(0)
	v_mul_f16_e32 v49, s15, v49
	v_cvt_f32_f16_e32 v49, v49
.LBB277_48:
	v_pk_add_f16 v50, v10, v22
	v_max_f16_e32 v51, v100, v100
	v_pk_add_f16 v97, v11, v23
	v_min_f16_e32 v51, v51, v50
	v_lshrrev_b32_e32 v96, 16, v100
	v_lshrrev_b32_e32 v50, 16, v50
	;; [unrolled: 1-line block ×3, first 2 shown]
	v_min3_f16 v50, v96, v50, v100
	v_min3_f16 v50, v51, v97, v50
	v_cvt_f32_f16_e32 v50, v50
	v_max_f32_e32 v49, v49, v49
	s_and_b64 vcc, exec, s[0:1]
	v_min_f32_e32 v49, v49, v50
	v_cvt_f16_f32_e32 v49, v49
	v_lshl_add_u64 v[50:51], v[34:35], 1, v[46:47]
	global_store_short v[50:51], v49, off
	s_cbranch_vccnz .LBB277_50
; %bb.49:
	v_lshl_add_u64 v[48:49], v[36:37], 1, v[20:21]
	global_load_ushort v48, v[48:49], off
	s_waitcnt vmcnt(0)
	v_mul_f16_e32 v48, s15, v48
	v_cvt_f32_f16_e32 v48, v48
.LBB277_50:
	v_pk_add_f16 v49, v4, v22
	v_max_f16_e32 v50, v99, v99
	v_pk_add_f16 v96, v5, v23
	v_min_f16_e32 v50, v50, v49
	v_lshrrev_b32_e32 v51, 16, v99
	v_lshrrev_b32_e32 v49, 16, v49
	;; [unrolled: 1-line block ×3, first 2 shown]
	v_min3_f16 v49, v51, v49, v97
	v_min3_f16 v49, v50, v96, v49
	v_cvt_f32_f16_e32 v49, v49
	v_max_f32_e32 v48, v48, v48
	s_and_b64 vcc, exec, s[0:1]
	v_min_f32_e32 v48, v48, v49
	v_cvt_f16_f32_e32 v50, v48
	v_lshl_add_u64 v[48:49], v[36:37], 1, v[46:47]
	global_store_short v[48:49], v50, off
	v_mov_b32_e32 v48, 0
	v_mov_b32_e32 v49, 0
	s_cbranch_vccnz .LBB277_52
; %bb.51:
	v_lshl_add_u64 v[50:51], v[40:41], 1, v[20:21]
	global_load_ushort v49, v[50:51], off
	s_waitcnt vmcnt(0)
	v_mul_f16_e32 v49, s15, v49
	v_cvt_f32_f16_e32 v49, v49
.LBB277_52:
	v_pk_add_f16 v50, v6, v22
	v_max_f16_e32 v51, v98, v98
	v_pk_add_f16 v97, v7, v23
	v_min_f16_e32 v51, v51, v50
	v_lshrrev_b32_e32 v96, 16, v98
	v_lshrrev_b32_e32 v50, 16, v50
	;; [unrolled: 1-line block ×3, first 2 shown]
	v_min3_f16 v50, v96, v50, v98
	v_min3_f16 v50, v51, v97, v50
	v_cvt_f32_f16_e32 v50, v50
	v_max_f32_e32 v49, v49, v49
	s_and_b64 vcc, exec, s[0:1]
	v_min_f32_e32 v49, v49, v50
	v_cvt_f16_f32_e32 v49, v49
	v_lshl_add_u64 v[50:51], v[40:41], 1, v[46:47]
	global_store_short v[50:51], v49, off
	s_cbranch_vccnz .LBB277_54
; %bb.53:
	v_lshl_add_u64 v[48:49], v[38:39], 1, v[20:21]
	global_load_ushort v48, v[48:49], off
	s_waitcnt vmcnt(0)
	v_mul_f16_e32 v48, s15, v48
	v_cvt_f32_f16_e32 v48, v48
.LBB277_54:
	v_pk_add_f16 v49, v0, v22
	v_max_f16_e32 v50, v94, v94
	v_lshrrev_b32_e32 v51, 16, v94
	v_pk_add_f16 v94, v1, v23
	v_min_f16_e32 v50, v50, v49
	v_lshrrev_b32_e32 v49, 16, v49
	v_lshrrev_b32_e32 v96, 16, v94
	v_min3_f16 v49, v51, v49, v96
	v_min3_f16 v49, v50, v94, v49
	v_cvt_f32_f16_e32 v49, v49
	v_max_f32_e32 v48, v48, v48
	s_and_b64 vcc, exec, s[0:1]
	v_min_f32_e32 v48, v48, v49
	v_cvt_f16_f32_e32 v50, v48
	v_lshl_add_u64 v[48:49], v[38:39], 1, v[46:47]
	global_store_short v[48:49], v50, off
	v_mov_b32_e32 v48, 0
	v_mov_b32_e32 v49, 0
	s_cbranch_vccnz .LBB277_56
; %bb.55:
	v_lshl_add_u64 v[50:51], v[42:43], 1, v[20:21]
	global_load_ushort v49, v[50:51], off
	s_waitcnt vmcnt(0)
	v_mul_f16_e32 v49, s15, v49
	v_cvt_f32_f16_e32 v49, v49
.LBB277_56:
	v_pk_add_f16 v50, v2, v22
	v_max_f16_e32 v51, v93, v93
	v_pk_add_f16 v94, v3, v23
	v_min_f16_e32 v51, v51, v50
	v_lshrrev_b32_e32 v93, 16, v93
	v_lshrrev_b32_e32 v50, 16, v50
	;; [unrolled: 1-line block ×3, first 2 shown]
	v_min3_f16 v50, v93, v50, v96
	v_min3_f16 v50, v51, v94, v50
	v_cvt_f32_f16_e32 v50, v50
	v_max_f32_e32 v49, v49, v49
	s_and_b64 vcc, exec, s[0:1]
	v_min_f32_e32 v49, v49, v50
	v_cvt_f16_f32_e32 v49, v49
	v_lshl_add_u64 v[50:51], v[42:43], 1, v[46:47]
	global_store_short v[50:51], v49, off
	s_cbranch_vccnz .LBB277_58
; %bb.57:
	v_lshl_add_u64 v[20:21], v[44:45], 1, v[20:21]
	global_load_ushort v20, v[20:21], off
	s_waitcnt vmcnt(0)
	v_mul_f16_e32 v20, s15, v20
	v_cvt_f32_f16_e32 v48, v20
.LBB277_58:
	v_pk_add_f16 v20, v24, v22
	v_max_f16_e32 v21, v92, v92
	v_pk_add_f16 v23, v25, v23
	v_min_f16_e32 v21, v21, v20
	v_lshrrev_b32_e32 v22, 16, v92
	v_lshrrev_b32_e32 v20, 16, v20
	;; [unrolled: 1-line block ×3, first 2 shown]
	v_min3_f16 v20, v22, v20, v49
	v_min3_f16 v20, v21, v23, v20
	v_cvt_f32_f16_e32 v20, v20
	v_max_f32_e32 v21, v48, v48
	s_and_b64 vcc, exec, s[0:1]
	v_mov_b32_e32 v23, 0
	v_min_f32_e32 v20, v21, v20
	v_cvt_f16_f32_e32 v22, v20
	v_lshl_add_u64 v[20:21], v[44:45], 1, v[46:47]
	v_mov_b32_e32 v46, 0
	global_store_short v[20:21], v22, off
	v_add_u32_e32 v22, 0x60, v95
	v_mad_i64_i32 v[20:21], s[6:7], v22, s8, 0
	v_lshl_add_u64 v[20:21], v[20:21], 1, s[12:13]
	s_cbranch_vccnz .LBB277_60
; %bb.59:
	v_lshl_add_u64 v[48:49], v[28:29], 1, v[20:21]
	global_load_ushort v23, v[48:49], off
	s_waitcnt vmcnt(0)
	v_mul_f16_e32 v23, s15, v23
	v_cvt_f32_f16_e32 v23, v23
.LBB277_60:
	v_pk_add_f16 v47, v30, v16
	v_max_f16_e32 v48, v91, v91
	v_pk_add_f16 v50, v31, v17
	v_min_f16_e32 v48, v48, v47
	v_lshrrev_b32_e32 v49, 16, v91
	v_lshrrev_b32_e32 v47, 16, v47
	;; [unrolled: 1-line block ×3, first 2 shown]
	v_min3_f16 v47, v49, v47, v51
	v_min3_f16 v47, v48, v50, v47
	v_cvt_f32_f16_e32 v47, v47
	v_mad_i64_i32 v[48:49], s[6:7], v22, s9, 0
	v_max_f32_e32 v22, v23, v23
	v_min_f32_e32 v22, v22, v47
	v_cvt_f16_f32_e32 v47, v22
	v_lshl_add_u64 v[22:23], v[48:49], 1, s[2:3]
	v_lshl_add_u64 v[48:49], v[28:29], 1, v[22:23]
	s_and_b64 vcc, exec, s[0:1]
	global_store_short v[48:49], v47, off
	s_cbranch_vccnz .LBB277_62
; %bb.61:
	v_lshl_add_u64 v[46:47], v[32:33], 1, v[20:21]
	global_load_ushort v46, v[46:47], off
	s_waitcnt vmcnt(0)
	v_mul_f16_e32 v46, s15, v46
	v_cvt_f32_f16_e32 v46, v46
.LBB277_62:
	v_pk_add_f16 v47, v8, v16
	v_max_f16_e32 v48, v90, v90
	v_pk_add_f16 v50, v9, v17
	v_min_f16_e32 v48, v48, v47
	v_lshrrev_b32_e32 v49, 16, v90
	v_lshrrev_b32_e32 v47, 16, v47
	v_lshrrev_b32_e32 v51, 16, v50
	v_min3_f16 v47, v49, v47, v51
	v_min3_f16 v47, v48, v50, v47
	v_cvt_f32_f16_e32 v47, v47
	v_max_f32_e32 v46, v46, v46
	s_and_b64 vcc, exec, s[0:1]
	v_min_f32_e32 v46, v46, v47
	v_cvt_f16_f32_e32 v48, v46
	v_lshl_add_u64 v[46:47], v[32:33], 1, v[22:23]
	global_store_short v[46:47], v48, off
	v_mov_b32_e32 v46, 0
	v_mov_b32_e32 v47, 0
	s_cbranch_vccnz .LBB277_64
; %bb.63:
	v_lshl_add_u64 v[48:49], v[34:35], 1, v[20:21]
	global_load_ushort v47, v[48:49], off
	s_waitcnt vmcnt(0)
	v_mul_f16_e32 v47, s15, v47
	v_cvt_f32_f16_e32 v47, v47
.LBB277_64:
	v_pk_add_f16 v48, v10, v16
	v_max_f16_e32 v49, v89, v89
	v_pk_add_f16 v51, v11, v17
	v_min_f16_e32 v49, v49, v48
	v_lshrrev_b32_e32 v50, 16, v89
	v_lshrrev_b32_e32 v48, 16, v48
	v_lshrrev_b32_e32 v89, 16, v51
	v_min3_f16 v48, v50, v48, v89
	v_min3_f16 v48, v49, v51, v48
	v_cvt_f32_f16_e32 v48, v48
	v_max_f32_e32 v47, v47, v47
	s_and_b64 vcc, exec, s[0:1]
	v_min_f32_e32 v47, v47, v48
	v_cvt_f16_f32_e32 v47, v47
	v_lshl_add_u64 v[48:49], v[34:35], 1, v[22:23]
	global_store_short v[48:49], v47, off
	s_cbranch_vccnz .LBB277_66
; %bb.65:
	v_lshl_add_u64 v[46:47], v[36:37], 1, v[20:21]
	global_load_ushort v46, v[46:47], off
	s_waitcnt vmcnt(0)
	v_mul_f16_e32 v46, s15, v46
	v_cvt_f32_f16_e32 v46, v46
.LBB277_66:
	v_pk_add_f16 v47, v4, v16
	v_max_f16_e32 v48, v88, v88
	v_pk_add_f16 v50, v5, v17
	v_min_f16_e32 v48, v48, v47
	v_lshrrev_b32_e32 v49, 16, v88
	v_lshrrev_b32_e32 v47, 16, v47
	v_lshrrev_b32_e32 v51, 16, v50
	v_min3_f16 v47, v49, v47, v51
	v_min3_f16 v47, v48, v50, v47
	v_cvt_f32_f16_e32 v47, v47
	v_max_f32_e32 v46, v46, v46
	s_and_b64 vcc, exec, s[0:1]
	v_min_f32_e32 v46, v46, v47
	v_cvt_f16_f32_e32 v48, v46
	v_lshl_add_u64 v[46:47], v[36:37], 1, v[22:23]
	global_store_short v[46:47], v48, off
	v_mov_b32_e32 v46, 0
	v_mov_b32_e32 v47, 0
	s_cbranch_vccnz .LBB277_68
; %bb.67:
	v_lshl_add_u64 v[48:49], v[40:41], 1, v[20:21]
	global_load_ushort v47, v[48:49], off
	s_waitcnt vmcnt(0)
	v_mul_f16_e32 v47, s15, v47
	v_cvt_f32_f16_e32 v47, v47
.LBB277_68:
	v_pk_add_f16 v48, v6, v16
	v_max_f16_e32 v49, v87, v87
	v_pk_add_f16 v51, v7, v17
	v_min_f16_e32 v49, v49, v48
	v_lshrrev_b32_e32 v50, 16, v87
	v_lshrrev_b32_e32 v48, 16, v48
	v_lshrrev_b32_e32 v87, 16, v51
	v_min3_f16 v48, v50, v48, v87
	v_min3_f16 v48, v49, v51, v48
	v_cvt_f32_f16_e32 v48, v48
	v_max_f32_e32 v47, v47, v47
	s_and_b64 vcc, exec, s[0:1]
	v_min_f32_e32 v47, v47, v48
	v_cvt_f16_f32_e32 v47, v47
	v_lshl_add_u64 v[48:49], v[40:41], 1, v[22:23]
	;; [unrolled: 50-line block ×3, first 2 shown]
	global_store_short v[48:49], v47, off
	s_cbranch_vccnz .LBB277_74
; %bb.73:
	v_lshl_add_u64 v[20:21], v[44:45], 1, v[20:21]
	global_load_ushort v20, v[20:21], off
	s_waitcnt vmcnt(0)
	v_mul_f16_e32 v20, s15, v20
	v_cvt_f32_f16_e32 v46, v20
.LBB277_74:
	v_pk_add_f16 v16, v24, v16
	v_max_f16_e32 v20, v84, v84
	v_pk_add_f16 v17, v25, v17
	v_min_f16_e32 v20, v20, v16
	v_lshrrev_b32_e32 v21, 16, v84
	v_lshrrev_b32_e32 v16, 16, v16
	;; [unrolled: 1-line block ×3, first 2 shown]
	v_min3_f16 v16, v21, v16, v47
	v_min3_f16 v16, v20, v17, v16
	v_cvt_f32_f16_e32 v16, v16
	v_max_f32_e32 v17, v46, v46
	s_and_b64 vcc, exec, s[0:1]
	v_mov_b32_e32 v21, 0
	v_min_f32_e32 v16, v17, v16
	v_cvt_f16_f32_e32 v20, v16
	v_lshl_add_u64 v[16:17], v[44:45], 1, v[22:23]
	v_mov_b32_e32 v22, 0
	global_store_short v[16:17], v20, off
	v_add_u32_e32 v20, 0x80, v95
	v_mad_i64_i32 v[16:17], s[6:7], v20, s8, 0
	v_lshl_add_u64 v[16:17], v[16:17], 1, s[12:13]
	s_cbranch_vccnz .LBB277_76
; %bb.75:
	v_lshl_add_u64 v[46:47], v[28:29], 1, v[16:17]
	global_load_ushort v21, v[46:47], off
	s_waitcnt vmcnt(0)
	v_mul_f16_e32 v21, s15, v21
	v_cvt_f32_f16_e32 v21, v21
.LBB277_76:
	v_pk_add_f16 v23, v30, v18
	v_max_f16_e32 v46, v83, v83
	v_pk_add_f16 v48, v31, v19
	v_min_f16_e32 v46, v46, v23
	v_lshrrev_b32_e32 v47, 16, v83
	v_lshrrev_b32_e32 v23, 16, v23
	v_lshrrev_b32_e32 v49, 16, v48
	v_min3_f16 v23, v47, v23, v49
	v_min3_f16 v23, v46, v48, v23
	v_cvt_f32_f16_e32 v23, v23
	v_mad_i64_i32 v[46:47], s[6:7], v20, s9, 0
	v_max_f32_e32 v20, v21, v21
	v_min_f32_e32 v20, v20, v23
	v_cvt_f16_f32_e32 v23, v20
	v_lshl_add_u64 v[20:21], v[46:47], 1, s[2:3]
	v_lshl_add_u64 v[46:47], v[28:29], 1, v[20:21]
	s_and_b64 vcc, exec, s[0:1]
	global_store_short v[46:47], v23, off
	s_cbranch_vccnz .LBB277_78
; %bb.77:
	v_lshl_add_u64 v[22:23], v[32:33], 1, v[16:17]
	global_load_ushort v22, v[22:23], off
	s_waitcnt vmcnt(0)
	v_mul_f16_e32 v22, s15, v22
	v_cvt_f32_f16_e32 v22, v22
.LBB277_78:
	v_pk_add_f16 v23, v8, v18
	v_max_f16_e32 v46, v82, v82
	v_pk_add_f16 v48, v9, v19
	v_min_f16_e32 v46, v46, v23
	v_lshrrev_b32_e32 v47, 16, v82
	v_lshrrev_b32_e32 v23, 16, v23
	v_lshrrev_b32_e32 v49, 16, v48
	v_min3_f16 v23, v47, v23, v49
	v_min3_f16 v23, v46, v48, v23
	v_cvt_f32_f16_e32 v23, v23
	v_max_f32_e32 v22, v22, v22
	s_and_b64 vcc, exec, s[0:1]
	v_min_f32_e32 v22, v22, v23
	v_cvt_f16_f32_e32 v46, v22
	v_lshl_add_u64 v[22:23], v[32:33], 1, v[20:21]
	global_store_short v[22:23], v46, off
	v_mov_b32_e32 v22, 0
	v_mov_b32_e32 v23, 0
	s_cbranch_vccnz .LBB277_80
; %bb.79:
	v_lshl_add_u64 v[46:47], v[34:35], 1, v[16:17]
	global_load_ushort v23, v[46:47], off
	s_waitcnt vmcnt(0)
	v_mul_f16_e32 v23, s15, v23
	v_cvt_f32_f16_e32 v23, v23
.LBB277_80:
	v_pk_add_f16 v46, v10, v18
	v_max_f16_e32 v47, v81, v81
	v_pk_add_f16 v49, v11, v19
	v_min_f16_e32 v47, v47, v46
	v_lshrrev_b32_e32 v48, 16, v81
	v_lshrrev_b32_e32 v46, 16, v46
	v_lshrrev_b32_e32 v50, 16, v49
	v_min3_f16 v46, v48, v46, v50
	v_min3_f16 v46, v47, v49, v46
	v_cvt_f32_f16_e32 v46, v46
	v_max_f32_e32 v23, v23, v23
	s_and_b64 vcc, exec, s[0:1]
	v_min_f32_e32 v23, v23, v46
	v_cvt_f16_f32_e32 v23, v23
	v_lshl_add_u64 v[46:47], v[34:35], 1, v[20:21]
	global_store_short v[46:47], v23, off
	s_cbranch_vccnz .LBB277_82
; %bb.81:
	v_lshl_add_u64 v[22:23], v[36:37], 1, v[16:17]
	global_load_ushort v22, v[22:23], off
	s_waitcnt vmcnt(0)
	v_mul_f16_e32 v22, s15, v22
	v_cvt_f32_f16_e32 v22, v22
.LBB277_82:
	v_pk_add_f16 v23, v4, v18
	v_max_f16_e32 v46, v80, v80
	v_pk_add_f16 v48, v5, v19
	v_min_f16_e32 v46, v46, v23
	v_lshrrev_b32_e32 v47, 16, v80
	v_lshrrev_b32_e32 v23, 16, v23
	v_lshrrev_b32_e32 v49, 16, v48
	v_min3_f16 v23, v47, v23, v49
	v_min3_f16 v23, v46, v48, v23
	v_cvt_f32_f16_e32 v23, v23
	v_max_f32_e32 v22, v22, v22
	s_and_b64 vcc, exec, s[0:1]
	v_min_f32_e32 v22, v22, v23
	v_cvt_f16_f32_e32 v46, v22
	v_lshl_add_u64 v[22:23], v[36:37], 1, v[20:21]
	global_store_short v[22:23], v46, off
	v_mov_b32_e32 v22, 0
	v_mov_b32_e32 v23, 0
	s_cbranch_vccnz .LBB277_84
; %bb.83:
	v_lshl_add_u64 v[46:47], v[40:41], 1, v[16:17]
	global_load_ushort v23, v[46:47], off
	s_waitcnt vmcnt(0)
	v_mul_f16_e32 v23, s15, v23
	v_cvt_f32_f16_e32 v23, v23
.LBB277_84:
	v_pk_add_f16 v46, v6, v18
	v_max_f16_e32 v47, v79, v79
	v_pk_add_f16 v49, v7, v19
	v_min_f16_e32 v47, v47, v46
	v_lshrrev_b32_e32 v48, 16, v79
	v_lshrrev_b32_e32 v46, 16, v46
	v_lshrrev_b32_e32 v50, 16, v49
	v_min3_f16 v46, v48, v46, v50
	v_min3_f16 v46, v47, v49, v46
	v_cvt_f32_f16_e32 v46, v46
	v_max_f32_e32 v23, v23, v23
	s_and_b64 vcc, exec, s[0:1]
	v_min_f32_e32 v23, v23, v46
	v_cvt_f16_f32_e32 v23, v23
	v_lshl_add_u64 v[46:47], v[40:41], 1, v[20:21]
	;; [unrolled: 50-line block ×3, first 2 shown]
	global_store_short v[46:47], v23, off
	s_cbranch_vccnz .LBB277_90
; %bb.89:
	v_lshl_add_u64 v[16:17], v[44:45], 1, v[16:17]
	global_load_ushort v16, v[16:17], off
	s_waitcnt vmcnt(0)
	v_mul_f16_e32 v16, s15, v16
	v_cvt_f32_f16_e32 v22, v16
.LBB277_90:
	v_pk_add_f16 v16, v24, v18
	v_max_f16_e32 v17, v76, v76
	v_pk_add_f16 v19, v25, v19
	v_min_f16_e32 v17, v17, v16
	v_lshrrev_b32_e32 v18, 16, v76
	v_lshrrev_b32_e32 v16, 16, v16
	;; [unrolled: 1-line block ×3, first 2 shown]
	v_min3_f16 v16, v18, v16, v23
	v_min3_f16 v16, v17, v19, v16
	v_cvt_f32_f16_e32 v16, v16
	v_max_f32_e32 v17, v22, v22
	s_and_b64 vcc, exec, s[0:1]
	v_mov_b32_e32 v19, 0
	v_min_f32_e32 v16, v17, v16
	v_cvt_f16_f32_e32 v18, v16
	v_lshl_add_u64 v[16:17], v[44:45], 1, v[20:21]
	v_mov_b32_e32 v20, 0
	global_store_short v[16:17], v18, off
	v_add_u32_e32 v18, 0xa0, v95
	v_mad_i64_i32 v[16:17], s[6:7], v18, s8, 0
	v_lshl_add_u64 v[16:17], v[16:17], 1, s[12:13]
	s_cbranch_vccnz .LBB277_92
; %bb.91:
	v_lshl_add_u64 v[22:23], v[28:29], 1, v[16:17]
	global_load_ushort v19, v[22:23], off
	s_waitcnt vmcnt(0)
	v_mul_f16_e32 v19, s15, v19
	v_cvt_f32_f16_e32 v19, v19
.LBB277_92:
	v_pk_add_f16 v21, v30, v12
	v_max_f16_e32 v22, v75, v75
	v_pk_add_f16 v46, v31, v13
	v_min_f16_e32 v22, v22, v21
	v_lshrrev_b32_e32 v23, 16, v75
	v_lshrrev_b32_e32 v21, 16, v21
	;; [unrolled: 1-line block ×3, first 2 shown]
	v_min3_f16 v21, v23, v21, v47
	v_min3_f16 v21, v22, v46, v21
	v_cvt_f32_f16_e32 v21, v21
	v_mad_i64_i32 v[22:23], s[6:7], v18, s9, 0
	v_max_f32_e32 v18, v19, v19
	v_min_f32_e32 v18, v18, v21
	v_cvt_f16_f32_e32 v21, v18
	v_lshl_add_u64 v[18:19], v[22:23], 1, s[2:3]
	v_lshl_add_u64 v[22:23], v[28:29], 1, v[18:19]
	s_and_b64 vcc, exec, s[0:1]
	global_store_short v[22:23], v21, off
	s_cbranch_vccnz .LBB277_94
; %bb.93:
	v_lshl_add_u64 v[20:21], v[32:33], 1, v[16:17]
	global_load_ushort v20, v[20:21], off
	s_waitcnt vmcnt(0)
	v_mul_f16_e32 v20, s15, v20
	v_cvt_f32_f16_e32 v20, v20
.LBB277_94:
	v_pk_add_f16 v21, v8, v12
	v_max_f16_e32 v22, v74, v74
	v_pk_add_f16 v46, v9, v13
	v_min_f16_e32 v22, v22, v21
	v_lshrrev_b32_e32 v23, 16, v74
	v_lshrrev_b32_e32 v21, 16, v21
	v_lshrrev_b32_e32 v47, 16, v46
	v_min3_f16 v21, v23, v21, v47
	v_min3_f16 v21, v22, v46, v21
	v_cvt_f32_f16_e32 v21, v21
	v_max_f32_e32 v20, v20, v20
	s_and_b64 vcc, exec, s[0:1]
	v_min_f32_e32 v20, v20, v21
	v_cvt_f16_f32_e32 v22, v20
	v_lshl_add_u64 v[20:21], v[32:33], 1, v[18:19]
	global_store_short v[20:21], v22, off
	v_mov_b32_e32 v20, 0
	v_mov_b32_e32 v21, 0
	s_cbranch_vccnz .LBB277_96
; %bb.95:
	v_lshl_add_u64 v[22:23], v[34:35], 1, v[16:17]
	global_load_ushort v21, v[22:23], off
	s_waitcnt vmcnt(0)
	v_mul_f16_e32 v21, s15, v21
	v_cvt_f32_f16_e32 v21, v21
.LBB277_96:
	v_pk_add_f16 v22, v10, v12
	v_max_f16_e32 v23, v73, v73
	v_pk_add_f16 v47, v11, v13
	v_min_f16_e32 v23, v23, v22
	v_lshrrev_b32_e32 v46, 16, v73
	v_lshrrev_b32_e32 v22, 16, v22
	v_lshrrev_b32_e32 v48, 16, v47
	v_min3_f16 v22, v46, v22, v48
	v_min3_f16 v22, v23, v47, v22
	v_cvt_f32_f16_e32 v22, v22
	v_max_f32_e32 v21, v21, v21
	s_and_b64 vcc, exec, s[0:1]
	v_min_f32_e32 v21, v21, v22
	v_cvt_f16_f32_e32 v21, v21
	v_lshl_add_u64 v[22:23], v[34:35], 1, v[18:19]
	global_store_short v[22:23], v21, off
	s_cbranch_vccnz .LBB277_98
; %bb.97:
	v_lshl_add_u64 v[20:21], v[36:37], 1, v[16:17]
	global_load_ushort v20, v[20:21], off
	s_waitcnt vmcnt(0)
	v_mul_f16_e32 v20, s15, v20
	v_cvt_f32_f16_e32 v20, v20
.LBB277_98:
	v_pk_add_f16 v21, v4, v12
	v_max_f16_e32 v22, v72, v72
	v_pk_add_f16 v46, v5, v13
	v_min_f16_e32 v22, v22, v21
	v_lshrrev_b32_e32 v23, 16, v72
	v_lshrrev_b32_e32 v21, 16, v21
	v_lshrrev_b32_e32 v47, 16, v46
	v_min3_f16 v21, v23, v21, v47
	v_min3_f16 v21, v22, v46, v21
	v_cvt_f32_f16_e32 v21, v21
	v_max_f32_e32 v20, v20, v20
	s_and_b64 vcc, exec, s[0:1]
	v_min_f32_e32 v20, v20, v21
	v_cvt_f16_f32_e32 v22, v20
	v_lshl_add_u64 v[20:21], v[36:37], 1, v[18:19]
	global_store_short v[20:21], v22, off
	v_mov_b32_e32 v20, 0
	v_mov_b32_e32 v21, 0
	s_cbranch_vccnz .LBB277_100
; %bb.99:
	v_lshl_add_u64 v[22:23], v[40:41], 1, v[16:17]
	global_load_ushort v21, v[22:23], off
	s_waitcnt vmcnt(0)
	v_mul_f16_e32 v21, s15, v21
	v_cvt_f32_f16_e32 v21, v21
.LBB277_100:
	v_pk_add_f16 v22, v6, v12
	v_max_f16_e32 v23, v71, v71
	v_pk_add_f16 v47, v7, v13
	v_min_f16_e32 v23, v23, v22
	v_lshrrev_b32_e32 v46, 16, v71
	v_lshrrev_b32_e32 v22, 16, v22
	v_lshrrev_b32_e32 v48, 16, v47
	v_min3_f16 v22, v46, v22, v48
	v_min3_f16 v22, v23, v47, v22
	v_cvt_f32_f16_e32 v22, v22
	v_max_f32_e32 v21, v21, v21
	s_and_b64 vcc, exec, s[0:1]
	v_min_f32_e32 v21, v21, v22
	v_cvt_f16_f32_e32 v21, v21
	v_lshl_add_u64 v[22:23], v[40:41], 1, v[18:19]
	;; [unrolled: 50-line block ×3, first 2 shown]
	global_store_short v[22:23], v21, off
	s_cbranch_vccnz .LBB277_106
; %bb.105:
	v_lshl_add_u64 v[16:17], v[44:45], 1, v[16:17]
	global_load_ushort v16, v[16:17], off
	s_waitcnt vmcnt(0)
	v_mul_f16_e32 v16, s15, v16
	v_cvt_f32_f16_e32 v20, v16
.LBB277_106:
	v_pk_add_f16 v12, v24, v12
	v_max_f16_e32 v16, v68, v68
	v_pk_add_f16 v13, v25, v13
	v_min_f16_e32 v16, v16, v12
	v_lshrrev_b32_e32 v17, 16, v68
	v_lshrrev_b32_e32 v12, 16, v12
	;; [unrolled: 1-line block ×3, first 2 shown]
	v_min3_f16 v12, v17, v12, v21
	v_min3_f16 v12, v16, v13, v12
	v_cvt_f32_f16_e32 v12, v12
	v_max_f32_e32 v13, v20, v20
	s_and_b64 vcc, exec, s[0:1]
	v_mov_b32_e32 v17, 0
	v_min_f32_e32 v12, v13, v12
	v_cvt_f16_f32_e32 v16, v12
	v_lshl_add_u64 v[12:13], v[44:45], 1, v[18:19]
	v_mov_b32_e32 v18, 0
	global_store_short v[12:13], v16, off
	v_add_u32_e32 v16, 0xc0, v95
	v_mad_i64_i32 v[12:13], s[6:7], v16, s8, 0
	v_lshl_add_u64 v[12:13], v[12:13], 1, s[12:13]
	s_cbranch_vccnz .LBB277_108
; %bb.107:
	v_lshl_add_u64 v[20:21], v[28:29], 1, v[12:13]
	global_load_ushort v17, v[20:21], off
	s_waitcnt vmcnt(0)
	v_mul_f16_e32 v17, s15, v17
	v_cvt_f32_f16_e32 v17, v17
.LBB277_108:
	v_pk_add_f16 v19, v30, v14
	v_max_f16_e32 v20, v67, v67
	v_pk_add_f16 v22, v31, v15
	v_min_f16_e32 v20, v20, v19
	v_lshrrev_b32_e32 v21, 16, v67
	v_lshrrev_b32_e32 v19, 16, v19
	;; [unrolled: 1-line block ×3, first 2 shown]
	v_min3_f16 v19, v21, v19, v23
	v_min3_f16 v19, v20, v22, v19
	v_cvt_f32_f16_e32 v19, v19
	v_mad_i64_i32 v[20:21], s[6:7], v16, s9, 0
	v_max_f32_e32 v16, v17, v17
	v_min_f32_e32 v16, v16, v19
	v_cvt_f16_f32_e32 v19, v16
	v_lshl_add_u64 v[16:17], v[20:21], 1, s[2:3]
	v_lshl_add_u64 v[20:21], v[28:29], 1, v[16:17]
	s_and_b64 vcc, exec, s[0:1]
	global_store_short v[20:21], v19, off
	s_cbranch_vccnz .LBB277_110
; %bb.109:
	v_lshl_add_u64 v[18:19], v[32:33], 1, v[12:13]
	global_load_ushort v18, v[18:19], off
	s_waitcnt vmcnt(0)
	v_mul_f16_e32 v18, s15, v18
	v_cvt_f32_f16_e32 v18, v18
.LBB277_110:
	v_pk_add_f16 v19, v8, v14
	v_max_f16_e32 v20, v66, v66
	v_pk_add_f16 v22, v9, v15
	v_min_f16_e32 v20, v20, v19
	v_lshrrev_b32_e32 v21, 16, v66
	v_lshrrev_b32_e32 v19, 16, v19
	v_lshrrev_b32_e32 v23, 16, v22
	v_min3_f16 v19, v21, v19, v23
	v_min3_f16 v19, v20, v22, v19
	v_cvt_f32_f16_e32 v19, v19
	v_max_f32_e32 v18, v18, v18
	s_and_b64 vcc, exec, s[0:1]
	v_min_f32_e32 v18, v18, v19
	v_cvt_f16_f32_e32 v20, v18
	v_lshl_add_u64 v[18:19], v[32:33], 1, v[16:17]
	global_store_short v[18:19], v20, off
	v_mov_b32_e32 v18, 0
	v_mov_b32_e32 v19, 0
	s_cbranch_vccnz .LBB277_112
; %bb.111:
	v_lshl_add_u64 v[20:21], v[34:35], 1, v[12:13]
	global_load_ushort v19, v[20:21], off
	s_waitcnt vmcnt(0)
	v_mul_f16_e32 v19, s15, v19
	v_cvt_f32_f16_e32 v19, v19
.LBB277_112:
	v_pk_add_f16 v20, v10, v14
	v_max_f16_e32 v21, v65, v65
	v_pk_add_f16 v23, v11, v15
	v_min_f16_e32 v21, v21, v20
	v_lshrrev_b32_e32 v22, 16, v65
	v_lshrrev_b32_e32 v20, 16, v20
	v_lshrrev_b32_e32 v46, 16, v23
	v_min3_f16 v20, v22, v20, v46
	v_min3_f16 v20, v21, v23, v20
	v_cvt_f32_f16_e32 v20, v20
	v_max_f32_e32 v19, v19, v19
	s_and_b64 vcc, exec, s[0:1]
	v_min_f32_e32 v19, v19, v20
	v_cvt_f16_f32_e32 v19, v19
	v_lshl_add_u64 v[20:21], v[34:35], 1, v[16:17]
	global_store_short v[20:21], v19, off
	s_cbranch_vccnz .LBB277_114
; %bb.113:
	v_lshl_add_u64 v[18:19], v[36:37], 1, v[12:13]
	global_load_ushort v18, v[18:19], off
	s_waitcnt vmcnt(0)
	v_mul_f16_e32 v18, s15, v18
	v_cvt_f32_f16_e32 v18, v18
.LBB277_114:
	v_pk_add_f16 v19, v4, v14
	v_max_f16_e32 v20, v64, v64
	v_pk_add_f16 v22, v5, v15
	v_min_f16_e32 v20, v20, v19
	v_lshrrev_b32_e32 v21, 16, v64
	v_lshrrev_b32_e32 v19, 16, v19
	v_lshrrev_b32_e32 v23, 16, v22
	v_min3_f16 v19, v21, v19, v23
	v_min3_f16 v19, v20, v22, v19
	v_cvt_f32_f16_e32 v19, v19
	v_max_f32_e32 v18, v18, v18
	s_and_b64 vcc, exec, s[0:1]
	v_min_f32_e32 v18, v18, v19
	v_cvt_f16_f32_e32 v20, v18
	v_lshl_add_u64 v[18:19], v[36:37], 1, v[16:17]
	global_store_short v[18:19], v20, off
	v_mov_b32_e32 v18, 0
	v_mov_b32_e32 v19, 0
	s_cbranch_vccnz .LBB277_116
; %bb.115:
	v_lshl_add_u64 v[20:21], v[40:41], 1, v[12:13]
	global_load_ushort v19, v[20:21], off
	s_waitcnt vmcnt(0)
	v_mul_f16_e32 v19, s15, v19
	v_cvt_f32_f16_e32 v19, v19
.LBB277_116:
	v_pk_add_f16 v20, v6, v14
	v_max_f16_e32 v21, v63, v63
	v_pk_add_f16 v23, v7, v15
	v_min_f16_e32 v21, v21, v20
	v_lshrrev_b32_e32 v22, 16, v63
	v_lshrrev_b32_e32 v20, 16, v20
	v_lshrrev_b32_e32 v46, 16, v23
	v_min3_f16 v20, v22, v20, v46
	v_min3_f16 v20, v21, v23, v20
	v_cvt_f32_f16_e32 v20, v20
	v_max_f32_e32 v19, v19, v19
	s_and_b64 vcc, exec, s[0:1]
	v_min_f32_e32 v19, v19, v20
	v_cvt_f16_f32_e32 v19, v19
	v_lshl_add_u64 v[20:21], v[40:41], 1, v[16:17]
	;; [unrolled: 50-line block ×3, first 2 shown]
	global_store_short v[20:21], v19, off
	s_cbranch_vccnz .LBB277_122
; %bb.121:
	v_lshl_add_u64 v[12:13], v[44:45], 1, v[12:13]
	global_load_ushort v12, v[12:13], off
	s_waitcnt vmcnt(0)
	v_mul_f16_e32 v12, s15, v12
	v_cvt_f32_f16_e32 v18, v12
.LBB277_122:
	v_pk_add_f16 v12, v24, v14
	v_max_f16_e32 v13, v60, v60
	v_pk_add_f16 v15, v25, v15
	v_min_f16_e32 v13, v13, v12
	v_lshrrev_b32_e32 v14, 16, v60
	v_lshrrev_b32_e32 v12, 16, v12
	;; [unrolled: 1-line block ×3, first 2 shown]
	v_min3_f16 v12, v14, v12, v19
	v_min3_f16 v12, v13, v15, v12
	v_cvt_f32_f16_e32 v12, v12
	v_max_f32_e32 v13, v18, v18
	s_and_b64 vcc, exec, s[0:1]
	v_mov_b32_e32 v15, 0
	v_min_f32_e32 v12, v13, v12
	v_cvt_f16_f32_e32 v14, v12
	v_lshl_add_u64 v[12:13], v[44:45], 1, v[16:17]
	v_mov_b32_e32 v16, 0
	global_store_short v[12:13], v14, off
	v_add_u32_e32 v14, 0xe0, v95
	v_mad_i64_i32 v[12:13], s[6:7], v14, s8, 0
	v_lshl_add_u64 v[12:13], v[12:13], 1, s[12:13]
	s_cbranch_vccnz .LBB277_124
; %bb.123:
	v_lshl_add_u64 v[18:19], v[28:29], 1, v[12:13]
	global_load_ushort v15, v[18:19], off
	s_waitcnt vmcnt(0)
	v_mul_f16_e32 v15, s15, v15
	v_cvt_f32_f16_e32 v15, v15
.LBB277_124:
	v_pk_add_f16 v17, v30, v26
	v_max_f16_e32 v18, v59, v59
	v_pk_add_f16 v20, v31, v27
	v_min_f16_e32 v18, v18, v17
	v_lshrrev_b32_e32 v19, 16, v59
	v_lshrrev_b32_e32 v17, 16, v17
	;; [unrolled: 1-line block ×3, first 2 shown]
	v_min3_f16 v17, v19, v17, v21
	v_min3_f16 v17, v18, v20, v17
	v_cvt_f32_f16_e32 v17, v17
	v_mad_i64_i32 v[18:19], s[6:7], v14, s9, 0
	v_max_f32_e32 v14, v15, v15
	v_min_f32_e32 v14, v14, v17
	v_cvt_f16_f32_e32 v17, v14
	v_lshl_add_u64 v[14:15], v[18:19], 1, s[2:3]
	v_lshl_add_u64 v[18:19], v[28:29], 1, v[14:15]
	s_and_b64 vcc, exec, s[0:1]
	global_store_short v[18:19], v17, off
	s_cbranch_vccnz .LBB277_126
; %bb.125:
	v_lshl_add_u64 v[16:17], v[32:33], 1, v[12:13]
	global_load_ushort v16, v[16:17], off
	s_waitcnt vmcnt(0)
	v_mul_f16_e32 v16, s15, v16
	v_cvt_f32_f16_e32 v16, v16
.LBB277_126:
	v_pk_add_f16 v8, v8, v26
	v_max_f16_e32 v17, v58, v58
	v_pk_add_f16 v9, v9, v27
	v_min_f16_e32 v17, v17, v8
	v_lshrrev_b32_e32 v18, 16, v58
	v_lshrrev_b32_e32 v8, 16, v8
	;; [unrolled: 1-line block ×3, first 2 shown]
	v_min3_f16 v8, v18, v8, v19
	v_min3_f16 v8, v17, v9, v8
	v_cvt_f32_f16_e32 v8, v8
	v_max_f32_e32 v9, v16, v16
	s_and_b64 vcc, exec, s[0:1]
	v_min_f32_e32 v8, v9, v8
	v_cvt_f16_f32_e32 v16, v8
	v_lshl_add_u64 v[8:9], v[32:33], 1, v[14:15]
	global_store_short v[8:9], v16, off
	v_mov_b32_e32 v8, 0
	v_mov_b32_e32 v9, 0
	s_cbranch_vccnz .LBB277_128
; %bb.127:
	v_lshl_add_u64 v[16:17], v[34:35], 1, v[12:13]
	global_load_ushort v9, v[16:17], off
	s_waitcnt vmcnt(0)
	v_mul_f16_e32 v9, s15, v9
	v_cvt_f32_f16_e32 v9, v9
.LBB277_128:
	v_pk_add_f16 v10, v10, v26
	v_max_f16_e32 v16, v57, v57
	v_pk_add_f16 v11, v11, v27
	v_min_f16_e32 v16, v16, v10
	v_lshrrev_b32_e32 v17, 16, v57
	v_lshrrev_b32_e32 v10, 16, v10
	;; [unrolled: 1-line block ×3, first 2 shown]
	v_min3_f16 v10, v17, v10, v18
	v_min3_f16 v10, v16, v11, v10
	v_cvt_f32_f16_e32 v10, v10
	v_max_f32_e32 v9, v9, v9
	s_and_b64 vcc, exec, s[0:1]
	v_min_f32_e32 v9, v9, v10
	v_cvt_f16_f32_e32 v9, v9
	v_lshl_add_u64 v[10:11], v[34:35], 1, v[14:15]
	global_store_short v[10:11], v9, off
	s_cbranch_vccnz .LBB277_130
; %bb.129:
	v_lshl_add_u64 v[8:9], v[36:37], 1, v[12:13]
	global_load_ushort v8, v[8:9], off
	s_waitcnt vmcnt(0)
	v_mul_f16_e32 v8, s15, v8
	v_cvt_f32_f16_e32 v8, v8
.LBB277_130:
	v_pk_add_f16 v4, v4, v26
	v_max_f16_e32 v9, v56, v56
	v_pk_add_f16 v5, v5, v27
	v_min_f16_e32 v9, v9, v4
	v_lshrrev_b32_e32 v10, 16, v56
	v_lshrrev_b32_e32 v4, 16, v4
	v_lshrrev_b32_e32 v11, 16, v5
	v_min3_f16 v4, v10, v4, v11
	v_min3_f16 v4, v9, v5, v4
	v_cvt_f32_f16_e32 v4, v4
	v_max_f32_e32 v5, v8, v8
	s_and_b64 vcc, exec, s[0:1]
	v_min_f32_e32 v4, v5, v4
	v_cvt_f16_f32_e32 v8, v4
	v_lshl_add_u64 v[4:5], v[36:37], 1, v[14:15]
	global_store_short v[4:5], v8, off
	v_mov_b32_e32 v4, 0
	v_mov_b32_e32 v5, 0
	s_cbranch_vccnz .LBB277_132
; %bb.131:
	v_lshl_add_u64 v[8:9], v[40:41], 1, v[12:13]
	global_load_ushort v5, v[8:9], off
	s_waitcnt vmcnt(0)
	v_mul_f16_e32 v5, s15, v5
	v_cvt_f32_f16_e32 v5, v5
.LBB277_132:
	v_pk_add_f16 v6, v6, v26
	v_max_f16_e32 v8, v55, v55
	v_pk_add_f16 v7, v7, v27
	v_min_f16_e32 v8, v8, v6
	v_lshrrev_b32_e32 v9, 16, v55
	v_lshrrev_b32_e32 v6, 16, v6
	;; [unrolled: 1-line block ×3, first 2 shown]
	v_min3_f16 v6, v9, v6, v10
	v_min3_f16 v6, v8, v7, v6
	v_cvt_f32_f16_e32 v6, v6
	v_max_f32_e32 v5, v5, v5
	s_and_b64 vcc, exec, s[0:1]
	v_min_f32_e32 v5, v5, v6
	v_cvt_f16_f32_e32 v5, v5
	v_lshl_add_u64 v[6:7], v[40:41], 1, v[14:15]
	global_store_short v[6:7], v5, off
	s_cbranch_vccnz .LBB277_134
; %bb.133:
	v_lshl_add_u64 v[4:5], v[38:39], 1, v[12:13]
	global_load_ushort v4, v[4:5], off
	s_waitcnt vmcnt(0)
	v_mul_f16_e32 v4, s15, v4
	v_cvt_f32_f16_e32 v4, v4
.LBB277_134:
	v_pk_add_f16 v0, v0, v26
	v_max_f16_e32 v5, v54, v54
	v_pk_add_f16 v1, v1, v27
	v_min_f16_e32 v5, v5, v0
	v_lshrrev_b32_e32 v6, 16, v54
	v_lshrrev_b32_e32 v0, 16, v0
	;; [unrolled: 1-line block ×3, first 2 shown]
	v_min3_f16 v0, v6, v0, v7
	v_min3_f16 v0, v5, v1, v0
	v_cvt_f32_f16_e32 v0, v0
	v_max_f32_e32 v4, v4, v4
	v_pk_add_f16 v1, v2, v26
	v_max_f16_e32 v2, v52, v52
	v_min_f32_e32 v0, v4, v0
	v_cvt_f16_f32_e32 v4, v0
	v_pk_add_f16 v3, v3, v27
	v_min_f16_e32 v2, v2, v1
	v_lshrrev_b32_e32 v5, 16, v52
	v_lshrrev_b32_e32 v1, 16, v1
	;; [unrolled: 1-line block ×3, first 2 shown]
	v_min3_f16 v5, v5, v1, v0
	v_lshl_add_u64 v[0:1], v[38:39], 1, v[14:15]
	global_store_short v[0:1], v4, off
	v_min3_f16 v0, v2, v3, v5
	s_mov_b64 s[0:1], -1
	s_mov_b64 vcc, s[4:5]
	s_cbranch_vccz .LBB277_136
; %bb.135:
	v_cvt_f32_f16_e32 v1, v0
	v_lshl_add_u64 v[2:3], v[42:43], 1, v[14:15]
	s_mov_b64 s[0:1], 0
	v_min_f32_e32 v1, 0, v1
	v_cvt_f16_f32_e32 v1, v1
	global_store_short v[2:3], v1, off
.LBB277_136:
	s_andn2_b64 vcc, exec, s[0:1]
	v_mov_b32_e32 v1, 0
	s_cbranch_vccnz .LBB277_138
; %bb.137:
	v_lshlrev_b64 v[2:3], 1, v[42:43]
	v_lshl_add_u64 v[4:5], v[12:13], 0, v[2:3]
	global_load_ushort v4, v[4:5], off
	v_max_f16_e32 v5, v0, v0
	v_lshl_add_u64 v[0:1], v[14:15], 0, v[2:3]
	s_waitcnt vmcnt(0)
	v_mul_f16_e32 v2, s15, v4
	v_min_f16_e32 v2, v2, v5
	global_store_short v[0:1], v2, off
	v_lshl_add_u64 v[0:1], v[44:45], 1, v[12:13]
	global_load_ushort v0, v[0:1], off
	s_waitcnt vmcnt(0)
	v_mul_f16_e32 v0, s15, v0
	v_cvt_f32_f16_e32 v1, v0
.LBB277_138:
	v_pk_add_f16 v0, v24, v26
	v_max_f16_e32 v2, v53, v53
	v_pk_add_f16 v3, v25, v27
	v_min_f16_e32 v2, v2, v0
	v_lshrrev_b32_e32 v4, 16, v53
	v_lshrrev_b32_e32 v0, 16, v0
	;; [unrolled: 1-line block ×3, first 2 shown]
	v_min3_f16 v0, v4, v0, v5
	v_min3_f16 v0, v2, v3, v0
	v_cvt_f32_f16_e32 v0, v0
	v_max_f32_e32 v1, v1, v1
	v_min_f32_e32 v0, v1, v0
	v_cvt_f16_f32_e32 v2, v0
	v_lshl_add_u64 v[0:1], v[44:45], 1, v[14:15]
	global_store_short v[0:1], v2, off
	s_endpgm
.LBB277_139:
	s_mov_b64 s[16:17], 0
	s_andn2_b64 vcc, exec, s[8:9]
	s_mov_b64 s[4:5], -1
	s_cbranch_vccz .LBB277_2
	s_branch .LBB277_3
	.section	.rodata,"a",@progbits
	.p2align	6, 0x0
	.amdhsa_kernel _ZN12_GLOBAL__N_120geam_min_plus_kernelIDF16_Dv2_DF16_S1_Li8ELi32ELi64ELi256ELi4ELi4ELi64ELi64ELi4ELc84ELc84ELb1ELb0ELb1EDF16_KDF16_DF16_EEviiiT16_PT17_ilS5_ilS3_S5_ilPT18_ili26rocblas_geam_ex_operation_
		.amdhsa_group_segment_fixed_size 5120
		.amdhsa_private_segment_fixed_size 0
		.amdhsa_kernarg_size 128
		.amdhsa_user_sgpr_count 2
		.amdhsa_user_sgpr_dispatch_ptr 0
		.amdhsa_user_sgpr_queue_ptr 0
		.amdhsa_user_sgpr_kernarg_segment_ptr 1
		.amdhsa_user_sgpr_dispatch_id 0
		.amdhsa_user_sgpr_kernarg_preload_length 0
		.amdhsa_user_sgpr_kernarg_preload_offset 0
		.amdhsa_user_sgpr_private_segment_size 0
		.amdhsa_uses_dynamic_stack 0
		.amdhsa_enable_private_segment 0
		.amdhsa_system_sgpr_workgroup_id_x 1
		.amdhsa_system_sgpr_workgroup_id_y 0
		.amdhsa_system_sgpr_workgroup_id_z 1
		.amdhsa_system_sgpr_workgroup_info 0
		.amdhsa_system_vgpr_workitem_id 1
		.amdhsa_next_free_vgpr 219
		.amdhsa_next_free_sgpr 23
		.amdhsa_accum_offset 220
		.amdhsa_reserve_vcc 1
		.amdhsa_float_round_mode_32 0
		.amdhsa_float_round_mode_16_64 0
		.amdhsa_float_denorm_mode_32 3
		.amdhsa_float_denorm_mode_16_64 3
		.amdhsa_dx10_clamp 1
		.amdhsa_ieee_mode 1
		.amdhsa_fp16_overflow 0
		.amdhsa_tg_split 0
		.amdhsa_exception_fp_ieee_invalid_op 0
		.amdhsa_exception_fp_denorm_src 0
		.amdhsa_exception_fp_ieee_div_zero 0
		.amdhsa_exception_fp_ieee_overflow 0
		.amdhsa_exception_fp_ieee_underflow 0
		.amdhsa_exception_fp_ieee_inexact 0
		.amdhsa_exception_int_div_zero 0
	.end_amdhsa_kernel
	.section	.text._ZN12_GLOBAL__N_120geam_min_plus_kernelIDF16_Dv2_DF16_S1_Li8ELi32ELi64ELi256ELi4ELi4ELi64ELi64ELi4ELc84ELc84ELb1ELb0ELb1EDF16_KDF16_DF16_EEviiiT16_PT17_ilS5_ilS3_S5_ilPT18_ili26rocblas_geam_ex_operation_,"axG",@progbits,_ZN12_GLOBAL__N_120geam_min_plus_kernelIDF16_Dv2_DF16_S1_Li8ELi32ELi64ELi256ELi4ELi4ELi64ELi64ELi4ELc84ELc84ELb1ELb0ELb1EDF16_KDF16_DF16_EEviiiT16_PT17_ilS5_ilS3_S5_ilPT18_ili26rocblas_geam_ex_operation_,comdat
.Lfunc_end277:
	.size	_ZN12_GLOBAL__N_120geam_min_plus_kernelIDF16_Dv2_DF16_S1_Li8ELi32ELi64ELi256ELi4ELi4ELi64ELi64ELi4ELc84ELc84ELb1ELb0ELb1EDF16_KDF16_DF16_EEviiiT16_PT17_ilS5_ilS3_S5_ilPT18_ili26rocblas_geam_ex_operation_, .Lfunc_end277-_ZN12_GLOBAL__N_120geam_min_plus_kernelIDF16_Dv2_DF16_S1_Li8ELi32ELi64ELi256ELi4ELi4ELi64ELi64ELi4ELc84ELc84ELb1ELb0ELb1EDF16_KDF16_DF16_EEviiiT16_PT17_ilS5_ilS3_S5_ilPT18_ili26rocblas_geam_ex_operation_
                                        ; -- End function
	.set _ZN12_GLOBAL__N_120geam_min_plus_kernelIDF16_Dv2_DF16_S1_Li8ELi32ELi64ELi256ELi4ELi4ELi64ELi64ELi4ELc84ELc84ELb1ELb0ELb1EDF16_KDF16_DF16_EEviiiT16_PT17_ilS5_ilS3_S5_ilPT18_ili26rocblas_geam_ex_operation_.num_vgpr, 219
	.set _ZN12_GLOBAL__N_120geam_min_plus_kernelIDF16_Dv2_DF16_S1_Li8ELi32ELi64ELi256ELi4ELi4ELi64ELi64ELi4ELc84ELc84ELb1ELb0ELb1EDF16_KDF16_DF16_EEviiiT16_PT17_ilS5_ilS3_S5_ilPT18_ili26rocblas_geam_ex_operation_.num_agpr, 0
	.set _ZN12_GLOBAL__N_120geam_min_plus_kernelIDF16_Dv2_DF16_S1_Li8ELi32ELi64ELi256ELi4ELi4ELi64ELi64ELi4ELc84ELc84ELb1ELb0ELb1EDF16_KDF16_DF16_EEviiiT16_PT17_ilS5_ilS3_S5_ilPT18_ili26rocblas_geam_ex_operation_.numbered_sgpr, 23
	.set _ZN12_GLOBAL__N_120geam_min_plus_kernelIDF16_Dv2_DF16_S1_Li8ELi32ELi64ELi256ELi4ELi4ELi64ELi64ELi4ELc84ELc84ELb1ELb0ELb1EDF16_KDF16_DF16_EEviiiT16_PT17_ilS5_ilS3_S5_ilPT18_ili26rocblas_geam_ex_operation_.num_named_barrier, 0
	.set _ZN12_GLOBAL__N_120geam_min_plus_kernelIDF16_Dv2_DF16_S1_Li8ELi32ELi64ELi256ELi4ELi4ELi64ELi64ELi4ELc84ELc84ELb1ELb0ELb1EDF16_KDF16_DF16_EEviiiT16_PT17_ilS5_ilS3_S5_ilPT18_ili26rocblas_geam_ex_operation_.private_seg_size, 0
	.set _ZN12_GLOBAL__N_120geam_min_plus_kernelIDF16_Dv2_DF16_S1_Li8ELi32ELi64ELi256ELi4ELi4ELi64ELi64ELi4ELc84ELc84ELb1ELb0ELb1EDF16_KDF16_DF16_EEviiiT16_PT17_ilS5_ilS3_S5_ilPT18_ili26rocblas_geam_ex_operation_.uses_vcc, 1
	.set _ZN12_GLOBAL__N_120geam_min_plus_kernelIDF16_Dv2_DF16_S1_Li8ELi32ELi64ELi256ELi4ELi4ELi64ELi64ELi4ELc84ELc84ELb1ELb0ELb1EDF16_KDF16_DF16_EEviiiT16_PT17_ilS5_ilS3_S5_ilPT18_ili26rocblas_geam_ex_operation_.uses_flat_scratch, 0
	.set _ZN12_GLOBAL__N_120geam_min_plus_kernelIDF16_Dv2_DF16_S1_Li8ELi32ELi64ELi256ELi4ELi4ELi64ELi64ELi4ELc84ELc84ELb1ELb0ELb1EDF16_KDF16_DF16_EEviiiT16_PT17_ilS5_ilS3_S5_ilPT18_ili26rocblas_geam_ex_operation_.has_dyn_sized_stack, 0
	.set _ZN12_GLOBAL__N_120geam_min_plus_kernelIDF16_Dv2_DF16_S1_Li8ELi32ELi64ELi256ELi4ELi4ELi64ELi64ELi4ELc84ELc84ELb1ELb0ELb1EDF16_KDF16_DF16_EEviiiT16_PT17_ilS5_ilS3_S5_ilPT18_ili26rocblas_geam_ex_operation_.has_recursion, 0
	.set _ZN12_GLOBAL__N_120geam_min_plus_kernelIDF16_Dv2_DF16_S1_Li8ELi32ELi64ELi256ELi4ELi4ELi64ELi64ELi4ELc84ELc84ELb1ELb0ELb1EDF16_KDF16_DF16_EEviiiT16_PT17_ilS5_ilS3_S5_ilPT18_ili26rocblas_geam_ex_operation_.has_indirect_call, 0
	.section	.AMDGPU.csdata,"",@progbits
; Kernel info:
; codeLenInByte = 16840
; TotalNumSgprs: 29
; NumVgprs: 219
; NumAgprs: 0
; TotalNumVgprs: 219
; ScratchSize: 0
; MemoryBound: 0
; FloatMode: 240
; IeeeMode: 1
; LDSByteSize: 5120 bytes/workgroup (compile time only)
; SGPRBlocks: 3
; VGPRBlocks: 27
; NumSGPRsForWavesPerEU: 29
; NumVGPRsForWavesPerEU: 219
; AccumOffset: 220
; Occupancy: 2
; WaveLimiterHint : 1
; COMPUTE_PGM_RSRC2:SCRATCH_EN: 0
; COMPUTE_PGM_RSRC2:USER_SGPR: 2
; COMPUTE_PGM_RSRC2:TRAP_HANDLER: 0
; COMPUTE_PGM_RSRC2:TGID_X_EN: 1
; COMPUTE_PGM_RSRC2:TGID_Y_EN: 0
; COMPUTE_PGM_RSRC2:TGID_Z_EN: 1
; COMPUTE_PGM_RSRC2:TIDIG_COMP_CNT: 1
; COMPUTE_PGM_RSRC3_GFX90A:ACCUM_OFFSET: 54
; COMPUTE_PGM_RSRC3_GFX90A:TG_SPLIT: 0
	.section	.text._ZN12_GLOBAL__N_120geam_min_plus_kernelIDF16_Dv2_DF16_S1_Li8ELi32ELi64ELi256ELi4ELi4ELi64ELi64ELi4ELc84ELc84ELb0ELb0ELb1EDF16_KDF16_DF16_EEviiiT16_PT17_ilS5_ilS3_S5_ilPT18_ili26rocblas_geam_ex_operation_,"axG",@progbits,_ZN12_GLOBAL__N_120geam_min_plus_kernelIDF16_Dv2_DF16_S1_Li8ELi32ELi64ELi256ELi4ELi4ELi64ELi64ELi4ELc84ELc84ELb0ELb0ELb1EDF16_KDF16_DF16_EEviiiT16_PT17_ilS5_ilS3_S5_ilPT18_ili26rocblas_geam_ex_operation_,comdat
	.globl	_ZN12_GLOBAL__N_120geam_min_plus_kernelIDF16_Dv2_DF16_S1_Li8ELi32ELi64ELi256ELi4ELi4ELi64ELi64ELi4ELc84ELc84ELb0ELb0ELb1EDF16_KDF16_DF16_EEviiiT16_PT17_ilS5_ilS3_S5_ilPT18_ili26rocblas_geam_ex_operation_ ; -- Begin function _ZN12_GLOBAL__N_120geam_min_plus_kernelIDF16_Dv2_DF16_S1_Li8ELi32ELi64ELi256ELi4ELi4ELi64ELi64ELi4ELc84ELc84ELb0ELb0ELb1EDF16_KDF16_DF16_EEviiiT16_PT17_ilS5_ilS3_S5_ilPT18_ili26rocblas_geam_ex_operation_
	.p2align	8
	.type	_ZN12_GLOBAL__N_120geam_min_plus_kernelIDF16_Dv2_DF16_S1_Li8ELi32ELi64ELi256ELi4ELi4ELi64ELi64ELi4ELc84ELc84ELb0ELb0ELb1EDF16_KDF16_DF16_EEviiiT16_PT17_ilS5_ilS3_S5_ilPT18_ili26rocblas_geam_ex_operation_,@function
_ZN12_GLOBAL__N_120geam_min_plus_kernelIDF16_Dv2_DF16_S1_Li8ELi32ELi64ELi256ELi4ELi4ELi64ELi64ELi4ELc84ELc84ELb0ELb0ELb1EDF16_KDF16_DF16_EEviiiT16_PT17_ilS5_ilS3_S5_ilPT18_ili26rocblas_geam_ex_operation_: ; @_ZN12_GLOBAL__N_120geam_min_plus_kernelIDF16_Dv2_DF16_S1_Li8ELi32ELi64ELi256ELi4ELi4ELi64ELi64ELi4ELc84ELc84ELb0ELb0ELb1EDF16_KDF16_DF16_EEviiiT16_PT17_ilS5_ilS3_S5_ilPT18_ili26rocblas_geam_ex_operation_
; %bb.0:
	s_load_dwordx2 s[18:19], s[0:1], 0x8
	s_load_dwordx4 s[8:11], s[0:1], 0x20
	s_waitcnt lgkmcnt(0)
	v_cmp_eq_f16_e64 s[6:7], s19, 0
	s_and_b64 s[4:5], exec, s[6:7]
	s_mov_b64 vcc, s[4:5]
	s_cbranch_vccnz .LBB278_11
; %bb.1:
	s_load_dwordx2 s[12:13], s[0:1], 0x10
	s_mul_i32 s9, s9, s3
	s_mul_hi_u32 s14, s8, s3
	s_add_i32 s9, s14, s9
	s_mul_i32 s8, s8, s3
	s_lshl_b64 s[8:9], s[8:9], 1
	s_waitcnt lgkmcnt(0)
	s_add_u32 s20, s12, s8
	s_addc_u32 s21, s13, s9
	s_andn2_b64 vcc, exec, s[6:7]
	s_mov_b64 s[6:7], -1
	s_cbranch_vccnz .LBB278_3
.LBB278_2:
	s_mov_b64 s[6:7], 0
.LBB278_3:
	s_mov_b64 s[16:17], 0
	s_andn2_b64 vcc, exec, s[6:7]
	s_mov_b64 s[22:23], 0
	s_cbranch_vccnz .LBB278_5
; %bb.4:
	s_load_dwordx2 s[6:7], s[0:1], 0x38
	s_waitcnt lgkmcnt(0)
	s_mul_i32 s7, s7, s3
	s_mul_hi_u32 s8, s6, s3
	s_add_i32 s7, s8, s7
	s_mul_i32 s6, s6, s3
	s_lshl_b64 s[6:7], s[6:7], 1
	s_add_u32 s22, s10, s6
	s_addc_u32 s23, s11, s7
.LBB278_5:
	s_load_dword s24, s[0:1], 0x40
	s_load_dwordx4 s[12:15], s[0:1], 0x58
	v_cmp_neq_f16_e64 s[10:11], s19, 0
	s_waitcnt lgkmcnt(0)
	v_cmp_eq_f16_e64 s[6:7], s24, 0
	s_and_b64 s[8:9], exec, s[6:7]
	s_mov_b64 vcc, s[8:9]
	s_cbranch_vccnz .LBB278_7
; %bb.6:
	s_load_dwordx2 s[6:7], s[0:1], 0x48
	s_mul_i32 s13, s13, s3
	s_mul_hi_u32 s16, s12, s3
	s_add_i32 s13, s16, s13
	s_mul_i32 s12, s12, s3
	s_lshl_b64 s[12:13], s[12:13], 1
	s_waitcnt lgkmcnt(0)
	s_add_u32 s16, s6, s12
	s_addc_u32 s17, s7, s13
.LBB278_7:
	s_load_dword s6, s[0:1], 0x0
	s_load_dword s28, s[0:1], 0x18
	v_and_b32_e32 v50, 0x3ff, v0
	v_bfe_u32 v51, v0, 10, 10
	v_cndmask_b32_e64 v3, 0, 1, s[10:11]
	s_waitcnt lgkmcnt(0)
	s_add_i32 s6, s6, -1
	s_ashr_i32 s7, s6, 31
	s_lshr_b32 s7, s7, 26
	s_add_i32 s6, s6, s7
	s_ashr_i32 s12, s6, 6
	s_add_i32 s25, s12, 1
	v_cvt_f32_u32_e32 v1, s25
	s_not_b32 s12, s12
	v_lshl_add_u32 v2, v51, 3, v50
	v_and_b32_e32 v0, 3, v0
	v_rcp_iflag_f32_e32 v1, v1
	v_lshrrev_b32_e32 v28, 2, v2
	v_mov_b32_e32 v8, 0
	v_cmp_ne_u32_e64 s[6:7], 1, v3
	v_mul_f32_e32 v1, 0x4f7ffffe, v1
	v_cvt_u32_f32_e32 v1, v1
	v_lshlrev_b32_e32 v0, 1, v0
	v_mov_b32_e32 v6, 0
	v_readfirstlane_b32 s13, v1
	s_mul_i32 s12, s12, s13
	s_mul_hi_u32 s12, s13, s12
	s_add_i32 s13, s13, s12
	s_mul_hi_u32 s12, s2, s13
	s_mul_i32 s13, s12, s25
	s_sub_i32 s13, s2, s13
	s_add_i32 s26, s12, 1
	s_sub_i32 s27, s13, s25
	s_cmp_ge_u32 s13, s25
	s_cselect_b32 s12, s26, s12
	s_cselect_b32 s13, s27, s13
	s_add_i32 s26, s12, 1
	s_cmp_ge_u32 s13, s25
	s_cselect_b32 s13, s26, s12
	s_mul_i32 s29, s13, s25
	s_andn2_b64 vcc, exec, s[10:11]
	s_sub_i32 s10, s2, s29
	s_lshl_b32 s25, s10, 6
	v_add_u32_e32 v7, s25, v28
	s_cbranch_vccnz .LBB278_9
; %bb.8:
	v_mad_i64_i32 v[4:5], s[10:11], v7, s28, 0
	v_lshl_add_u64 v[4:5], v[4:5], 1, s[20:21]
	v_mov_b32_e32 v1, 0
	v_lshl_add_u64 v[4:5], v[4:5], 0, v[0:1]
	global_load_ushort v1, v[4:5], off
	s_waitcnt vmcnt(0)
	v_mul_f16_e32 v6, s19, v1
.LBB278_9:
	s_load_dword s12, s[0:1], 0x30
	v_and_b32_e32 v30, 63, v2
	v_lshrrev_b32_e32 v29, 6, v2
	s_lshl_b32 s26, s13, 8
	v_or_b32_e32 v2, s26, v30
	s_waitcnt lgkmcnt(0)
	v_mad_i64_i32 v[4:5], s[10:11], s12, v29, 0
	v_lshl_add_u64 v[4:5], v[4:5], 1, s[22:23]
	s_and_b64 vcc, exec, s[6:7]
	v_ashrrev_i32_e32 v3, 31, v2
	s_cbranch_vccnz .LBB278_12
; %bb.10:
	v_lshl_add_u64 v[8:9], v[2:3], 1, v[4:5]
	global_load_ushort v1, v[8:9], off
	global_load_ushort v10, v[8:9], off offset:128
	s_waitcnt vmcnt(1)
	v_mul_f16_e32 v1, s19, v1
	s_waitcnt vmcnt(0)
	v_mul_f16_e32 v8, s19, v10
	v_pack_b32_f16 v9, v1, 0
	s_branch .LBB278_13
.LBB278_11:
	s_mov_b64 s[20:21], 0
	s_andn2_b64 vcc, exec, s[6:7]
	s_mov_b64 s[6:7], -1
	s_cbranch_vccz .LBB278_2
	s_branch .LBB278_3
.LBB278_12:
	v_mov_b32_e32 v9, 0
.LBB278_13:
	s_mov_b32 s10, 0x5040100
	v_mov_b32_e32 v1, 0
	s_ashr_i32 s13, s12, 31
	v_perm_b32 v32, v8, v9, s10
	s_mov_b64 vcc, s[4:5]
	s_cbranch_vccz .LBB278_15
; %bb.14:
	v_and_b32_e32 v33, 0xffff0000, v1
	v_mov_b32_e32 v34, 0
	v_mov_b32_e32 v31, 0
	s_cbranch_execz .LBB278_16
	s_branch .LBB278_17
.LBB278_15:
	v_mov_b32_e32 v34, 0
	v_mov_b32_e32 v31, 0
.LBB278_16:
	v_lshl_add_u64 v[4:5], v[2:3], 1, v[4:5]
	global_load_ushort v8, v[4:5], off offset:256
	global_load_ushort v9, v[4:5], off offset:384
	s_mov_b32 s10, 0xffff
	s_waitcnt vmcnt(1)
	v_mul_f16_e32 v4, s19, v8
	v_bfi_b32 v33, s10, v4, v1
	s_waitcnt vmcnt(0)
	v_mul_f16_e32 v31, s19, v9
.LBB278_17:
	s_and_b64 vcc, exec, s[6:7]
	s_cbranch_vccnz .LBB278_19
; %bb.18:
	v_mad_i64_i32 v[4:5], s[10:11], v7, s28, 0
	v_lshl_add_u64 v[4:5], v[4:5], 1, s[20:21]
	v_mov_b32_e32 v1, 0
	v_lshl_add_u64 v[4:5], v[4:5], 0, v[0:1]
	global_load_ushort v1, v[4:5], off offset:8
	s_waitcnt vmcnt(0)
	v_mul_f16_e32 v34, s19, v1
.LBB278_19:
	v_add_u32_e32 v1, 4, v29
	v_mad_i64_i32 v[4:5], s[10:11], s12, v1, 0
	s_and_b64 vcc, exec, s[6:7]
	v_lshl_add_u64 v[4:5], v[4:5], 1, s[22:23]
	s_cbranch_vccnz .LBB278_21
; %bb.20:
	v_lshl_add_u64 v[8:9], v[2:3], 1, v[4:5]
	global_load_ushort v1, v[8:9], off
	global_load_ushort v7, v[8:9], off offset:128
	s_waitcnt vmcnt(1)
	v_mul_f16_e32 v1, s19, v1
	s_waitcnt vmcnt(0)
	v_mul_f16_e32 v7, s19, v7
	v_pack_b32_f16 v8, v1, 0
	s_branch .LBB278_22
.LBB278_21:
	v_mov_b32_e32 v8, 0
	v_mov_b32_e32 v7, 0
.LBB278_22:
	s_mov_b32 s10, 0x5040100
	v_mov_b32_e32 v1, 0
	v_perm_b32 v44, v7, v8, s10
	s_mov_b64 vcc, s[4:5]
	s_cbranch_vccz .LBB278_24
; %bb.23:
	v_and_b32_e32 v45, 0xffff0000, v1
	v_mov_b32_e32 v35, 0
	s_cbranch_execz .LBB278_25
	s_branch .LBB278_26
.LBB278_24:
	v_mov_b32_e32 v35, 0
.LBB278_25:
	v_lshl_add_u64 v[2:3], v[2:3], 1, v[4:5]
	global_load_ushort v4, v[2:3], off offset:256
	global_load_ushort v5, v[2:3], off offset:384
	s_mov_b32 s10, 0xffff
	s_waitcnt vmcnt(1)
	v_mul_f16_e32 v2, s19, v4
	v_bfi_b32 v45, s10, v2, v1
	s_waitcnt vmcnt(0)
	v_mul_f16_e32 v35, s19, v5
.LBB278_26:
	v_lshl_or_b32 v36, v28, 3, v0
	v_lshlrev_b32_e32 v0, 3, v30
	v_lshlrev_b32_e32 v57, 3, v50
	v_lshl_add_u32 v69, v29, 1, v0
	v_add_u32_e32 v70, 0x1000, v57
	ds_write_b16 v36, v6 offset:4096
	ds_write_b16 v69, v32
	ds_write_b16_d16_hi v69, v32 offset:512
	ds_write_b16 v69, v33 offset:1024
	ds_write_b16 v69, v31 offset:1536
	s_waitcnt lgkmcnt(0)
	s_barrier
	v_lshlrev_b32_e32 v55, 3, v51
	ds_read2_b64 v[16:19], v70 offset1:8
	ds_read2_b64 v[12:15], v70 offset0:16 offset1:24
	ds_read2_b64 v[4:7], v70 offset0:32 offset1:40
	ds_read2_b64 v[38:41], v55 offset1:32
	ds_read2_b64 v[0:3], v70 offset0:48 offset1:56
	ds_read2_b64 v[24:27], v55 offset0:64 offset1:96
	;; [unrolled: 1-line block ×4, first 2 shown]
	s_waitcnt lgkmcnt(4)
	v_pk_add_f16 v37, v16, v38
	s_movk_i32 s10, 0x7c00
	v_pk_add_f16 v42, v18, v38
	v_pk_add_f16 v43, v12, v38
	;; [unrolled: 1-line block ×5, first 2 shown]
	s_waitcnt lgkmcnt(3)
	v_pk_add_f16 v49, v0, v38
	v_pk_add_f16 v38, v2, v38
	v_pk_add_f16 v52, v16, v40
	v_pk_add_f16 v53, v18, v40
	v_pk_add_f16 v54, v12, v40
	v_pk_add_f16 v56, v14, v40
	v_pk_add_f16 v58, v4, v40
	v_pk_add_f16 v59, v6, v40
	v_pk_add_f16 v60, v0, v40
	v_pk_add_f16 v40, v2, v40
	s_waitcnt lgkmcnt(2)
	v_pk_add_f16 v61, v16, v24
	v_pk_add_f16 v62, v18, v24
	v_pk_add_f16 v63, v12, v24
	v_pk_add_f16 v64, v14, v24
	v_pk_add_f16 v65, v4, v24
	v_pk_add_f16 v66, v6, v24
	v_pk_add_f16 v67, v0, v24
	v_pk_add_f16 v24, v2, v24
	v_pk_add_f16 v68, v16, v26
	v_pk_add_f16 v71, v18, v26
	v_pk_add_f16 v72, v12, v26
	v_pk_add_f16 v73, v14, v26
	v_pk_add_f16 v74, v4, v26
	v_pk_add_f16 v75, v6, v26
	v_pk_add_f16 v76, v0, v26
	v_pk_add_f16 v26, v2, v26
	s_waitcnt lgkmcnt(1)
	v_pk_add_f16 v77, v16, v20
	v_pk_add_f16 v78, v18, v20
	v_pk_add_f16 v79, v12, v20
	v_pk_add_f16 v80, v14, v20
	v_pk_add_f16 v82, v4, v20
	v_pk_add_f16 v84, v6, v20
	;; [unrolled: 17-line block ×3, first 2 shown]
	v_pk_add_f16 v134, v0, v8
	v_pk_add_f16 v8, v2, v8
	;; [unrolled: 1-line block ×11, first 2 shown]
	v_pk_min_f16 v10, v37, s10 op_sel_hi:[1,0]
	v_pk_min_f16 v8, v8, s10 op_sel_hi:[1,0]
	v_pk_min_f16 v119, v10, v2
	v_pk_add_f16 v2, v19, v39
	v_pk_min_f16 v10, v42, s10 op_sel_hi:[1,0]
	v_pk_min_f16 v4, v4, s10 op_sel_hi:[1,0]
	v_pk_min_f16 v118, v10, v2
	v_pk_add_f16 v2, v13, v39
	;; [unrolled: 4-line block ×3, first 2 shown]
	v_pk_min_f16 v10, v46, s10 op_sel_hi:[1,0]
	s_cmp_lt_i32 s18, 9
	v_pk_min_f16 v116, v10, v2
	v_pk_add_f16 v2, v5, v39
	v_pk_min_f16 v10, v47, s10 op_sel_hi:[1,0]
	ds_write_b16 v36, v34 offset:4608
	ds_write_b16 v69, v44 offset:2048
	ds_write_b16_d16_hi v69, v44 offset:2560
	ds_write_b16 v69, v45 offset:3072
	ds_write_b16 v69, v35 offset:3584
	v_pk_min_f16 v115, v10, v2
	v_pk_add_f16 v2, v7, v39
	v_pk_min_f16 v10, v48, s10 op_sel_hi:[1,0]
	s_waitcnt lgkmcnt(0)
	v_pk_min_f16 v114, v10, v2
	v_pk_add_f16 v2, v1, v39
	v_pk_min_f16 v10, v49, s10 op_sel_hi:[1,0]
	s_barrier
	v_pk_min_f16 v112, v10, v2
	v_pk_add_f16 v2, v3, v39
	v_pk_min_f16 v10, v38, s10 op_sel_hi:[1,0]
	s_nop 0
	v_pk_min_f16 v113, v10, v2
	v_pk_add_f16 v2, v17, v41
	v_pk_min_f16 v10, v52, s10 op_sel_hi:[1,0]
	s_nop 0
	;; [unrolled: 4-line block ×47, first 2 shown]
	v_pk_min_f16 v64, v10, v2
	v_pk_add_f16 v2, v1, v9
	v_pk_min_f16 v10, v134, s10 op_sel_hi:[1,0]
	v_pk_add_f16 v1, v1, v11
	v_pk_min_f16 v63, v10, v2
	v_pk_add_f16 v2, v3, v9
	s_nop 0
	v_pk_min_f16 v62, v8, v2
	v_pk_add_f16 v2, v17, v11
	v_pk_min_f16 v8, v16, s10 op_sel_hi:[1,0]
	s_nop 0
	v_pk_min_f16 v61, v8, v2
	v_pk_add_f16 v2, v19, v11
	v_pk_min_f16 v8, v18, s10 op_sel_hi:[1,0]
	;; [unrolled: 4-line block ×4, first 2 shown]
	s_nop 0
	v_pk_min_f16 v56, v8, v2
	v_pk_add_f16 v2, v5, v11
	s_nop 0
	v_pk_min_f16 v54, v4, v2
	v_pk_add_f16 v2, v7, v11
	v_pk_min_f16 v4, v6, s10 op_sel_hi:[1,0]
	s_nop 0
	v_pk_min_f16 v52, v4, v2
	v_pk_min_f16 v2, v135, s10 op_sel_hi:[1,0]
	s_nop 0
	v_pk_min_f16 v53, v2, v1
	v_pk_add_f16 v1, v3, v11
	s_nop 0
	v_pk_min_f16 v59, v0, v1
	s_cbranch_scc1 .LBB278_49
; %bb.27:
	v_mov_b32_e32 v0, 0x1200
	v_lshl_add_u32 v123, v50, 3, v0
	v_mov_b32_e32 v0, 0x800
	v_lshl_add_u32 v124, v51, 3, v0
	v_lshl_add_u32 v0, s2, 6, v28
	s_lshl_b32 s2, s29, 6
	v_subrev_u32_e32 v0, s2, v0
	v_and_b32_e32 v2, 3, v50
	v_mad_i64_i32 v[0:1], s[10:11], s28, v0, 0
	v_lshlrev_b32_e32 v2, 1, v2
	v_mov_b32_e32 v3, 0
	v_lshl_add_u64 v[0:1], v[0:1], 1, v[2:3]
	s_mov_b32 s27, 0x5040100
	v_lshl_add_u64 v[0:1], s[20:21], 0, v[0:1]
	v_perm_b32 v45, v35, v45, s27
	v_lshl_add_u64 v[34:35], v[0:1], 0, 16
	v_add_u32_e32 v0, s26, v30
	v_ashrrev_i32_e32 v1, 31, v0
	v_add_u32_e32 v120, 0x1000, v36
	v_add_u32_e32 v121, 0x1200, v36
	v_lshlrev_b64 v[36:37], 1, v[0:1]
	v_add_u32_e32 v0, 8, v29
	v_mad_i64_i32 v[0:1], s[10:11], v0, s12, 0
	v_lshl_add_u64 v[38:39], v[0:1], 1, s[22:23]
	v_add_u32_e32 v0, 12, v29
	s_lshl_b64 s[10:11], s[12:13], 4
	v_mad_i64_i32 v[0:1], s[12:13], v0, s12, 0
	v_or_b32_e32 v122, 0x800, v69
	s_add_i32 s18, s18, -8
	v_perm_b32 v33, v31, v33, s27
	v_lshl_add_u64 v[40:41], v[0:1], 1, s[22:23]
	s_mov_b32 s2, 0
	s_mov_b32 s20, 0xffff
	s_and_b64 vcc, exec, s[6:7]
	v_mov_b32_e32 v42, 0
	s_cbranch_vccz .LBB278_29
	s_branch .LBB278_30
.LBB278_28:                             ;   in Loop: Header=BB278_30 Depth=1
	v_mov_b32_e32 v44, v42
	s_and_b64 vcc, exec, s[6:7]
	v_mov_b32_e32 v42, 0
	s_cbranch_vccnz .LBB278_30
.LBB278_29:
	global_load_ushort v0, v[34:35], off
	s_waitcnt vmcnt(0)
	v_mul_f16_e32 v42, s19, v0
.LBB278_30:                             ; =>This Inner Loop Header: Depth=1
	s_mov_b64 s[12:13], -1
	s_mov_b64 vcc, s[4:5]
                                        ; implicit-def: $vgpr0_vgpr1
	s_cbranch_vccz .LBB278_34
; %bb.31:                               ;   in Loop: Header=BB278_30 Depth=1
	v_and_b32_e32 v0, 0xffff0000, v32
	v_mov_b32_e32 v1, v33
	v_mov_b32_e32 v4, 0
	v_lshl_add_u64 v[2:3], v[38:39], 0, v[36:37]
	s_cbranch_execz .LBB278_35
.LBB278_32:                             ;   in Loop: Header=BB278_30 Depth=1
	v_perm_b32 v32, v4, v0, s27
	s_mov_b64 s[12:13], -1
	s_mov_b64 vcc, s[4:5]
	s_cbranch_vccz .LBB278_36
.LBB278_33:                             ;   in Loop: Header=BB278_30 Depth=1
	v_and_b32_e32 v33, 0xffff0000, v1
	v_mov_b32_e32 v125, 0
	v_mov_b32_e32 v127, 0
	s_cbranch_execz .LBB278_37
	s_branch .LBB278_38
.LBB278_34:                             ;   in Loop: Header=BB278_30 Depth=1
	v_mov_b32_e32 v4, 0
	s_andn2_b64 vcc, exec, s[12:13]
	v_lshl_add_u64 v[2:3], v[38:39], 0, v[36:37]
	s_cbranch_vccnz .LBB278_32
.LBB278_35:                             ;   in Loop: Header=BB278_30 Depth=1
	global_load_ushort v0, v[2:3], off
	global_load_ushort v1, v[2:3], off offset:128
	s_waitcnt vmcnt(1)
	v_mul_f16_e32 v0, s19, v0
	v_bfi_b32 v32, s20, v0, v32
	s_waitcnt vmcnt(0)
	v_mul_f16_e32 v4, s19, v1
	v_mov_b64_e32 v[0:1], v[32:33]
	v_perm_b32 v32, v4, v0, s27
	s_mov_b64 s[12:13], -1
	s_mov_b64 vcc, s[4:5]
	s_cbranch_vccnz .LBB278_33
.LBB278_36:                             ;   in Loop: Header=BB278_30 Depth=1
	v_mov_b32_e32 v125, 0
	s_andn2_b64 vcc, exec, s[12:13]
	v_mov_b32_e32 v127, 0
	s_cbranch_vccnz .LBB278_38
.LBB278_37:                             ;   in Loop: Header=BB278_30 Depth=1
	global_load_ushort v0, v[2:3], off offset:256
	global_load_ushort v4, v[2:3], off offset:384
	s_waitcnt vmcnt(1)
	v_mul_f16_e32 v0, s19, v0
	v_bfi_b32 v33, s20, v0, v1
	s_waitcnt vmcnt(0)
	v_mul_f16_e32 v127, s19, v4
.LBB278_38:                             ;   in Loop: Header=BB278_30 Depth=1
	ds_read2_b64 v[16:19], v123 offset1:8
	ds_read2_b64 v[12:15], v123 offset0:16 offset1:24
	ds_read2_b64 v[4:7], v123 offset0:32 offset1:40
	;; [unrolled: 1-line block ×3, first 2 shown]
	ds_read2_b64 v[28:31], v124 offset1:32
	ds_read2_b64 v[24:27], v124 offset0:64 offset1:96
	ds_read2_b64 v[20:23], v124 offset0:128 offset1:160
	;; [unrolled: 1-line block ×3, first 2 shown]
	s_and_b64 vcc, exec, s[6:7]
	ds_write_b16 v120, v42
	ds_write_b16 v69, v32
	ds_write_b16_d16_hi v69, v32 offset:512
	ds_write_b16 v69, v33 offset:1024
	ds_write_b16 v69, v127 offset:1536
	s_waitcnt lgkmcnt(0)
	s_barrier
	s_cbranch_vccnz .LBB278_40
; %bb.39:                               ;   in Loop: Header=BB278_30 Depth=1
	global_load_ushort v42, v[34:35], off offset:8
	s_waitcnt vmcnt(0)
	v_mul_f16_e32 v125, s19, v42
.LBB278_40:                             ;   in Loop: Header=BB278_30 Depth=1
	s_mov_b64 s[12:13], -1
	s_mov_b64 vcc, s[4:5]
                                        ; implicit-def: $vgpr46_vgpr47
	s_cbranch_vccz .LBB278_42
; %bb.41:                               ;   in Loop: Header=BB278_30 Depth=1
	v_and_b32_e32 v46, 0xffff0000, v44
	v_mov_b32_e32 v47, v45
	v_mov_b32_e32 v42, 0
	v_lshl_add_u64 v[48:49], v[40:41], 0, v[36:37]
	s_cbranch_execnz .LBB278_44
	s_branch .LBB278_43
.LBB278_42:                             ;   in Loop: Header=BB278_30 Depth=1
	v_mov_b32_e32 v42, 0
	s_andn2_b64 vcc, exec, s[12:13]
	v_lshl_add_u64 v[48:49], v[40:41], 0, v[36:37]
	s_cbranch_vccnz .LBB278_44
.LBB278_43:                             ;   in Loop: Header=BB278_30 Depth=1
	global_load_ushort v42, v[48:49], off
	global_load_ushort v43, v[48:49], off offset:128
	s_waitcnt vmcnt(1)
	v_mul_f16_e32 v42, s19, v42
	v_bfi_b32 v44, s20, v42, v44
	s_waitcnt vmcnt(0)
	v_mul_f16_e32 v42, s19, v43
	v_mov_b64_e32 v[46:47], v[44:45]
.LBB278_44:                             ;   in Loop: Header=BB278_30 Depth=1
	v_perm_b32 v42, v42, v46, s27
	s_mov_b64 s[12:13], -1
	s_mov_b64 vcc, s[4:5]
                                        ; implicit-def: $vgpr43
	s_cbranch_vccz .LBB278_46
; %bb.45:                               ;   in Loop: Header=BB278_30 Depth=1
	v_and_b32_e32 v43, 0xffff0000, v47
	v_mov_b32_e32 v46, 0
	s_cbranch_execz .LBB278_47
	s_branch .LBB278_48
.LBB278_46:                             ;   in Loop: Header=BB278_30 Depth=1
	s_andn2_b64 vcc, exec, s[12:13]
	v_mov_b32_e32 v46, 0
	s_cbranch_vccnz .LBB278_48
.LBB278_47:                             ;   in Loop: Header=BB278_30 Depth=1
	global_load_ushort v43, v[48:49], off offset:256
	global_load_ushort v44, v[48:49], off offset:384
	s_waitcnt vmcnt(1)
	v_mul_f16_e32 v43, s19, v43
	v_bfi_b32 v43, s20, v43, v47
	s_waitcnt vmcnt(0)
	v_mul_f16_e32 v46, s19, v44
.LBB278_48:                             ;   in Loop: Header=BB278_30 Depth=1
	v_pk_add_f16 v44, v16, v28
	v_pk_max_f16 v45, v119, v119
	v_pk_max_f16 v47, v118, v118
	v_pk_min_f16 v44, v45, v44
	v_pk_add_f16 v45, v18, v28
	v_pk_max_f16 v48, v117, v117
	v_pk_min_f16 v45, v47, v45
	v_pk_add_f16 v47, v12, v28
	;; [unrolled: 3-line block ×6, first 2 shown]
	v_pk_add_f16 v28, v2, v28
	v_pk_max_f16 v110, v110, v110
	v_pk_min_f16 v28, v113, v28
	v_pk_add_f16 v113, v16, v30
	v_pk_max_f16 v108, v108, v108
	v_pk_min_f16 v110, v110, v113
	;; [unrolled: 3-line block ×7, first 2 shown]
	v_pk_add_f16 v113, v0, v30
	v_pk_add_f16 v30, v2, v30
	v_pk_max_f16 v93, v93, v93
	v_pk_min_f16 v30, v95, v30
	v_pk_add_f16 v95, v16, v24
	v_pk_max_f16 v91, v91, v91
	v_pk_min_f16 v93, v93, v95
	;; [unrolled: 3-line block ×7, first 2 shown]
	v_pk_add_f16 v95, v0, v24
	v_pk_add_f16 v24, v2, v24
	v_pk_min_f16 v81, v81, v95
	v_pk_max_f16 v95, v111, v111
	v_pk_max_f16 v109, v109, v109
	v_pk_min_f16 v24, v95, v24
	v_pk_add_f16 v95, v16, v26
	v_pk_max_f16 v107, v107, v107
	v_pk_min_f16 v95, v109, v95
	v_pk_add_f16 v109, v18, v26
	;; [unrolled: 3-line block ×7, first 2 shown]
	v_pk_add_f16 v26, v2, v26
	v_pk_max_f16 v94, v94, v94
	v_pk_min_f16 v26, v96, v26
	v_pk_add_f16 v96, v16, v20
	v_pk_max_f16 v92, v92, v92
	v_pk_min_f16 v94, v94, v96
	;; [unrolled: 3-line block ×7, first 2 shown]
	v_pk_add_f16 v84, v0, v20
	v_pk_add_f16 v20, v2, v20
	v_pk_max_f16 v79, v79, v79
	v_pk_min_f16 v20, v80, v20
	v_pk_add_f16 v80, v16, v22
	v_pk_max_f16 v98, v98, v98
	v_pk_min_f16 v111, v79, v80
	v_pk_add_f16 v79, v18, v22
	v_pk_max_f16 v78, v78, v78
	v_pk_max_f16 v112, v112, v112
	v_pk_min_f16 v98, v98, v113
	v_pk_min_f16 v113, v78, v79
	v_pk_add_f16 v78, v12, v22
	v_pk_max_f16 v77, v77, v77
	v_pk_min_f16 v112, v112, v115
	v_pk_min_f16 v115, v77, v78
	v_pk_add_f16 v77, v14, v22
	v_pk_max_f16 v76, v76, v76
	v_pk_max_f16 v75, v75, v75
	v_pk_min_f16 v116, v76, v77
	v_pk_add_f16 v76, v4, v22
	v_pk_max_f16 v74, v74, v74
	v_pk_min_f16 v117, v75, v76
	v_pk_add_f16 v75, v6, v22
	;; [unrolled: 3-line block ×3, first 2 shown]
	v_pk_add_f16 v22, v2, v22
	v_pk_min_f16 v119, v72, v74
	v_pk_max_f16 v72, v73, v73
	v_pk_max_f16 v71, v71, v71
	v_pk_min_f16 v22, v72, v22
	v_pk_add_f16 v72, v16, v8
	v_pk_max_f16 v68, v68, v68
	v_pk_min_f16 v126, v71, v72
	v_pk_add_f16 v71, v18, v8
	;; [unrolled: 3-line block ×6, first 2 shown]
	v_pk_add_f16 v16, v16, v10
	v_pk_min_f16 v132, v64, v65
	v_pk_add_f16 v64, v0, v8
	v_pk_add_f16 v8, v2, v8
	;; [unrolled: 1-line block ×9, first 2 shown]
	v_pk_max_f16 v10, v59, v59
	v_pk_max_f16 v97, v97, v97
	v_pk_min_f16 v2, v10, v2
	v_pk_add_f16 v10, v17, v29
	v_pk_max_f16 v82, v82, v82
	v_pk_min_f16 v134, v44, v10
	v_pk_add_f16 v10, v19, v29
	v_pk_min_f16 v97, v97, v109
	v_pk_min_f16 v135, v45, v10
	v_pk_add_f16 v10, v13, v29
	v_pk_min_f16 v109, v82, v84
	v_pk_min_f16 v136, v47, v10
	v_pk_add_f16 v10, v15, v29
	v_pk_max_f16 v63, v63, v63
	v_pk_min_f16 v137, v48, v10
	v_pk_add_f16 v10, v5, v29
	v_pk_min_f16 v133, v63, v64
	v_pk_min_f16 v138, v49, v10
	v_pk_add_f16 v10, v7, v29
	v_pk_max_f16 v62, v62, v62
	;; [unrolled: 6-line block ×9, first 2 shown]
	v_pk_min_f16 v87, v87, v10
	v_pk_add_f16 v10, v5, v25
	v_pk_min_f16 v0, v52, v0
	v_pk_min_f16 v85, v85, v10
	v_pk_add_f16 v10, v7, v25
	v_perm_b32 v33, v127, v33, s27
	v_pk_min_f16 v83, v83, v10
	v_pk_add_f16 v10, v1, v25
	s_add_i32 s2, s2, 8
	v_pk_min_f16 v81, v81, v10
	v_pk_add_f16 v10, v3, v25
	v_lshl_add_u64 v[34:35], v[34:35], 0, 16
	v_pk_min_f16 v84, v24, v10
	v_pk_add_f16 v10, v17, v27
	v_pk_max_f16 v84, v84, v84
	v_pk_min_f16 v82, v95, v10
	v_pk_add_f16 v10, v19, v27
	v_pk_max_f16 v82, v82, v82
	;; [unrolled: 3-line block ×9, first 2 shown]
	v_pk_min_f16 v75, v94, v10
	v_pk_add_f16 v10, v19, v21
	v_lshl_add_u64 v[38:39], v[38:39], 0, s[10:11]
	v_pk_min_f16 v73, v92, v10
	v_pk_add_f16 v10, v13, v21
	s_cmp_ge_i32 s2, s18
	v_pk_min_f16 v72, v90, v10
	v_pk_add_f16 v10, v15, v21
	v_lshl_add_u64 v[40:41], v[40:41], 0, s[10:11]
	v_pk_min_f16 v68, v88, v10
	v_pk_add_f16 v10, v5, v21
	v_pk_max_f16 v68, v68, v68
	v_pk_min_f16 v67, v86, v10
	v_pk_add_f16 v10, v7, v21
	v_pk_max_f16 v67, v67, v67
	;; [unrolled: 3-line block ×5, first 2 shown]
	v_pk_min_f16 v63, v111, v10
	v_pk_add_f16 v10, v19, v23
	s_nop 0
	v_pk_min_f16 v62, v113, v10
	v_pk_add_f16 v10, v13, v23
	v_pk_max_f16 v113, v139, v139
	v_pk_min_f16 v61, v115, v10
	v_pk_add_f16 v10, v15, v23
	s_nop 0
	v_pk_min_f16 v60, v116, v10
	v_pk_add_f16 v10, v5, v23
	s_nop 0
	;; [unrolled: 3-line block ×9, first 2 shown]
	v_pk_min_f16 v28, v130, v10
	v_pk_add_f16 v10, v5, v9
	v_pk_add_f16 v5, v5, v11
	v_pk_min_f16 v27, v131, v10
	v_pk_add_f16 v10, v7, v9
	v_pk_min_f16 v53, v4, v5
	v_pk_min_f16 v26, v132, v10
	v_pk_add_f16 v10, v1, v9
	v_pk_add_f16 v9, v3, v9
	;; [unrolled: 1-line block ×3, first 2 shown]
	v_pk_min_f16 v24, v8, v9
	v_pk_add_f16 v8, v17, v11
	v_pk_add_f16 v4, v7, v11
	v_pk_min_f16 v31, v16, v8
	v_pk_add_f16 v8, v19, v11
	v_pk_min_f16 v126, v0, v1
	v_pk_min_f16 v30, v18, v8
	v_pk_add_f16 v8, v13, v11
	v_pk_add_f16 v0, v3, v11
	v_pk_min_f16 v47, v12, v8
	v_pk_add_f16 v8, v15, v11
	v_pk_min_f16 v25, v133, v10
	v_pk_min_f16 v45, v14, v8
	;; [unrolled: 1-line block ×4, first 2 shown]
	ds_read2_b64 v[8:11], v70 offset1:8
	ds_read2_b64 v[16:19], v55 offset1:32
	ds_read2_b64 v[12:15], v70 offset0:16 offset1:24
	ds_read2_b64 v[4:7], v70 offset0:32 offset1:40
	;; [unrolled: 1-line block ×4, first 2 shown]
	s_waitcnt lgkmcnt(4)
	v_pk_add_f16 v86, v8, v16
	v_pk_add_f16 v99, v8, v18
	;; [unrolled: 1-line block ×3, first 2 shown]
	s_waitcnt lgkmcnt(1)
	v_pk_add_f16 v97, v2, v16
	v_pk_add_f16 v103, v12, v18
	;; [unrolled: 1-line block ×7, first 2 shown]
	v_pk_max_f16 v18, v134, v134
	v_pk_add_f16 v88, v10, v16
	v_pk_add_f16 v90, v12, v16
	v_pk_add_f16 v92, v14, v16
	v_pk_add_f16 v94, v4, v16
	v_pk_add_f16 v95, v6, v16
	v_pk_add_f16 v96, v0, v16
	v_pk_add_f16 v16, v9, v17
	v_pk_min_f16 v18, v18, v86
	v_pk_add_f16 v86, v3, v17
	v_pk_min_f16 v97, v113, v97
	v_pk_min_f16 v119, v18, v16
	v_pk_max_f16 v18, v135, v135
	v_pk_min_f16 v113, v97, v86
	v_pk_max_f16 v97, v110, v110
	v_pk_add_f16 v16, v11, v17
	v_pk_min_f16 v18, v18, v88
	v_pk_add_f16 v88, v9, v19
	v_pk_min_f16 v97, v97, v99
	v_pk_min_f16 v118, v18, v16
	v_pk_max_f16 v18, v136, v136
	v_pk_min_f16 v110, v97, v88
	v_pk_max_f16 v97, v108, v108
	v_pk_add_f16 v16, v13, v17
	;; [unrolled: 8-line block ×3, first 2 shown]
	v_pk_min_f16 v18, v18, v92
	v_pk_add_f16 v92, v13, v19
	v_pk_min_f16 v97, v97, v103
	v_pk_min_f16 v116, v18, v16
	v_pk_max_f16 v18, v138, v138
	s_waitcnt lgkmcnt(0)
	v_pk_add_f16 v130, v8, v20
	v_pk_add_f16 v86, v10, v20
	;; [unrolled: 1-line block ×7, first 2 shown]
	v_pk_min_f16 v106, v97, v92
	v_pk_add_f16 v92, v2, v20
	v_pk_max_f16 v20, v104, v104
	v_pk_add_f16 v16, v5, v17
	v_pk_min_f16 v18, v18, v94
	v_pk_add_f16 v94, v15, v19
	v_pk_min_f16 v20, v20, v105
	v_pk_min_f16 v115, v18, v16
	v_pk_max_f16 v18, v114, v114
	v_pk_min_f16 v104, v20, v94
	v_pk_max_f16 v20, v102, v102
	v_pk_add_f16 v16, v7, v17
	v_pk_min_f16 v18, v18, v95
	v_pk_add_f16 v95, v5, v19
	v_pk_min_f16 v20, v20, v107
	v_pk_min_f16 v114, v18, v16
	v_pk_max_f16 v18, v112, v112
	v_pk_min_f16 v102, v20, v95
	v_pk_max_f16 v20, v100, v100
	v_pk_min_f16 v18, v18, v96
	v_pk_add_f16 v96, v7, v19
	v_pk_min_f16 v20, v20, v109
	v_pk_add_f16 v128, v1, v19
	v_pk_min_f16 v100, v20, v96
	v_pk_max_f16 v20, v98, v98
	v_pk_add_f16 v16, v1, v17
	v_pk_min_f16 v20, v20, v111
	v_pk_add_f16 v129, v3, v19
	v_pk_min_f16 v98, v20, v128
	v_pk_max_f16 v20, v140, v140
	v_pk_add_f16 v97, v8, v22
	v_pk_add_f16 v94, v10, v22
	;; [unrolled: 1-line block ×8, first 2 shown]
	v_pk_min_f16 v20, v20, v127
	v_pk_max_f16 v22, v93, v93
	v_pk_min_f16 v112, v18, v16
	ds_read2_b64 v[16:19], v55 offset0:128 offset1:160
	v_pk_min_f16 v95, v20, v129
	v_pk_add_f16 v20, v9, v21
	v_pk_min_f16 v22, v22, v130
	v_pk_add_f16 v134, v3, v23
	v_pk_min_f16 v93, v22, v20
	v_pk_max_f16 v22, v91, v91
	v_pk_add_f16 v20, v11, v21
	v_pk_min_f16 v22, v22, v86
	v_pk_min_f16 v71, v71, v128
	;; [unrolled: 1-line block ×3, first 2 shown]
	v_pk_max_f16 v22, v89, v89
	v_pk_add_f16 v20, v13, v21
	v_pk_min_f16 v22, v22, v99
	v_pk_add_f16 v130, v1, v23
	v_pk_min_f16 v89, v22, v20
	v_pk_max_f16 v22, v87, v87
	v_pk_min_f16 v84, v84, v92
	s_waitcnt lgkmcnt(0)
	v_pk_add_f16 v92, v8, v16
	v_pk_min_f16 v76, v76, v96
	v_pk_min_f16 v74, v74, v133
	;; [unrolled: 1-line block ×3, first 2 shown]
	v_pk_max_f16 v71, v75, v75
	v_pk_add_f16 v20, v15, v21
	v_pk_min_f16 v22, v22, v88
	v_pk_add_f16 v86, v3, v21
	v_pk_min_f16 v82, v82, v97
	v_pk_min_f16 v97, v74, v130
	;; [unrolled: 1-line block ×3, first 2 shown]
	v_pk_add_f16 v74, v9, v17
	v_pk_min_f16 v87, v22, v20
	v_pk_max_f16 v22, v85, v85
	v_pk_min_f16 v111, v84, v86
	v_pk_add_f16 v84, v10, v16
	v_pk_min_f16 v80, v80, v94
	v_pk_min_f16 v94, v71, v74
	v_pk_max_f16 v71, v73, v73
	v_pk_add_f16 v20, v5, v21
	v_pk_min_f16 v22, v22, v101
	v_pk_min_f16 v71, v71, v84
	v_pk_add_f16 v73, v11, v17
	v_pk_min_f16 v85, v22, v20
	v_pk_max_f16 v22, v83, v83
	v_pk_add_f16 v88, v9, v23
	v_pk_add_f16 v86, v12, v16
	v_pk_min_f16 v92, v71, v73
	v_pk_max_f16 v71, v72, v72
	v_pk_min_f16 v22, v22, v90
	v_pk_add_f16 v90, v11, v23
	v_pk_min_f16 v109, v82, v88
	v_pk_add_f16 v82, v14, v16
	;; [unrolled: 2-line block ×3, first 2 shown]
	v_pk_add_f16 v135, v4, v16
	v_pk_min_f16 v107, v80, v90
	v_pk_min_f16 v90, v71, v72
	;; [unrolled: 1-line block ×3, first 2 shown]
	v_pk_add_f16 v71, v15, v17
	v_pk_add_f16 v80, v6, v16
	v_pk_min_f16 v88, v68, v71
	v_pk_min_f16 v67, v67, v135
	v_pk_add_f16 v68, v5, v17
	v_pk_add_f16 v136, v0, v16
	;; [unrolled: 1-line block ×3, first 2 shown]
	v_pk_min_f16 v86, v67, v68
	v_pk_min_f16 v66, v66, v80
	v_pk_add_f16 v67, v7, v17
	v_pk_add_f16 v99, v13, v23
	v_pk_min_f16 v79, v79, v105
	v_pk_min_f16 v84, v66, v67
	v_pk_add_f16 v66, v1, v17
	v_pk_min_f16 v16, v64, v16
	v_pk_add_f16 v17, v3, v17
	v_pk_add_f16 v20, v7, v21
	v_pk_min_f16 v105, v79, v99
	v_pk_add_f16 v79, v8, v18
	v_pk_min_f16 v80, v16, v17
	v_pk_max_f16 v16, v63, v63
	v_pk_min_f16 v83, v22, v20
	v_pk_max_f16 v22, v81, v81
	v_pk_add_f16 v101, v15, v23
	v_pk_min_f16 v78, v78, v131
	v_pk_min_f16 v16, v16, v79
	v_pk_add_f16 v17, v9, v19
	v_pk_min_f16 v22, v22, v103
	v_pk_min_f16 v103, v78, v101
	v_pk_add_f16 v78, v10, v18
	v_pk_min_f16 v79, v16, v17
	v_pk_max_f16 v16, v62, v62
	v_pk_add_f16 v17, v11, v19
	v_pk_min_f16 v16, v16, v78
	v_pk_add_f16 v131, v12, v18
	v_pk_min_f16 v78, v16, v17
	v_pk_max_f16 v16, v61, v61
	v_pk_add_f16 v127, v5, v23
	v_pk_min_f16 v77, v77, v132
	v_pk_min_f16 v16, v16, v131
	v_pk_add_f16 v17, v13, v19
	v_pk_min_f16 v101, v77, v127
	v_pk_add_f16 v127, v14, v18
	v_pk_min_f16 v77, v16, v17
	v_pk_max_f16 v16, v60, v60
	v_pk_add_f16 v129, v7, v23
	v_pk_min_f16 v16, v16, v127
	v_pk_add_f16 v17, v15, v19
	v_pk_add_f16 v132, v4, v18
	v_pk_min_f16 v99, v76, v129
	v_pk_min_f16 v76, v16, v17
	v_pk_max_f16 v16, v58, v58
	v_pk_add_f16 v17, v5, v19
	v_pk_min_f16 v16, v16, v132
	v_pk_add_f16 v20, v1, v21
	v_pk_add_f16 v129, v6, v18
	v_pk_min_f16 v75, v16, v17
	v_pk_max_f16 v16, v56, v56
	v_pk_min_f16 v81, v22, v20
	ds_read2_b64 v[20:23], v55 offset0:192 offset1:224
	v_pk_min_f16 v16, v16, v129
	v_pk_add_f16 v17, v7, v19
	v_pk_add_f16 v133, v0, v18
	v_pk_min_f16 v74, v16, v17
	v_pk_max_f16 v16, v54, v54
	v_pk_add_f16 v17, v1, v19
	v_pk_min_f16 v16, v16, v133
	v_pk_add_f16 v18, v2, v18
	v_pk_min_f16 v72, v16, v17
	v_pk_max_f16 v17, v48, v48
	v_pk_add_f16 v16, v3, v19
	v_pk_min_f16 v17, v17, v18
	s_waitcnt lgkmcnt(0)
	v_pk_add_f16 v128, v8, v20
	v_pk_min_f16 v73, v17, v16
	v_pk_max_f16 v17, v49, v49
	v_pk_add_f16 v16, v9, v21
	v_pk_min_f16 v17, v17, v128
	v_pk_add_f16 v130, v10, v20
	v_pk_min_f16 v71, v17, v16
	v_pk_max_f16 v17, v44, v44
	v_pk_add_f16 v16, v11, v21
	v_pk_min_f16 v17, v17, v130
	;; [unrolled: 5-line block ×3, first 2 shown]
	v_pk_add_f16 v137, v14, v20
	v_pk_min_f16 v67, v17, v16
	v_pk_max_f16 v17, v28, v28
	v_pk_min_f16 v65, v65, v136
	v_pk_add_f16 v16, v15, v21
	v_pk_min_f16 v17, v17, v137
	v_pk_add_f16 v138, v4, v20
	v_pk_min_f16 v82, v65, v66
	v_pk_min_f16 v66, v17, v16
	v_pk_max_f16 v17, v27, v27
	v_pk_add_f16 v16, v5, v21
	v_pk_min_f16 v17, v17, v138
	v_pk_add_f16 v139, v6, v20
	v_pk_min_f16 v65, v17, v16
	v_pk_max_f16 v17, v26, v26
	v_pk_add_f16 v16, v7, v21
	v_pk_min_f16 v17, v17, v139
	v_pk_add_f16 v135, v0, v20
	;; [unrolled: 5-line block ×11, first 2 shown]
	v_pk_min_f16 v53, v0, v1
	v_pk_max_f16 v1, v59, v59
	v_pk_add_f16 v0, v3, v23
	v_pk_min_f16 v1, v1, v2
	v_perm_b32 v45, v46, v43, s27
	v_pk_min_f16 v59, v1, v0
	ds_write_b16 v121, v125
	ds_write_b16 v122, v42
	ds_write_b16_d16_hi v122, v42 offset:512
	ds_write_b16 v122, v43 offset:1024
	ds_write_b16 v122, v46 offset:1536
	s_waitcnt lgkmcnt(0)
	s_barrier
	s_cbranch_scc0 .LBB278_28
.LBB278_49:
	s_load_dword s6, s[0:1], 0x50
	ds_read_b64 v[30:31], v57 offset:4608
	ds_read_b64 v[46:47], v55 offset:2048
	v_add_u32_e32 v69, s26, v51
	v_cmp_neq_f16_e64 s[4:5], s24, 0
	v_add_u32_e32 v28, s25, v50
	s_waitcnt lgkmcnt(0)
	v_mad_i64_i32 v[0:1], s[10:11], v69, s6, 0
	v_ashrrev_i32_e32 v29, 31, v28
	v_lshl_add_u64 v[48:49], v[0:1], 1, s[16:17]
	v_mov_b32_e32 v34, 0
	s_and_b64 vcc, exec, s[4:5]
	v_mov_b32_e32 v35, 0
	s_cbranch_vccz .LBB278_51
; %bb.50:
	v_lshl_add_u64 v[0:1], v[28:29], 1, v[48:49]
	global_load_ushort v0, v[0:1], off
	s_waitcnt vmcnt(0)
	v_mul_f16_e32 v0, s24, v0
	v_cvt_f32_f16_e32 v35, v0
.LBB278_51:
	v_add_u32_e32 v0, 0x1000, v57
	v_pk_add_f16 v32, v30, v46
	v_max_f16_e32 v33, v119, v119
	v_pk_add_f16 v37, v31, v47
	ds_read2_b64 v[8:11], v0 offset0:72 offset1:80
	ds_read2_b64 v[4:7], v0 offset0:88 offset1:96
	;; [unrolled: 1-line block ×3, first 2 shown]
	ds_read_b64 v[24:25], v57 offset:5056
	s_load_dword s7, s[0:1], 0x68
	s_load_dwordx2 s[10:11], s[0:1], 0x70
	v_min_f16_e32 v36, v33, v32
	v_lshrrev_b32_e32 v33, 16, v119
	v_lshrrev_b32_e32 v32, 16, v32
	;; [unrolled: 1-line block ×3, first 2 shown]
	v_min3_f16 v38, v33, v32, v38
	v_min3_f16 v36, v36, v37, v38
	v_cvt_f32_f16_e32 v38, v36
	v_add_u32_e32 v12, 0x800, v55
	ds_read2_b64 v[20:23], v12 offset0:32 offset1:64
	ds_read2_b64 v[16:19], v12 offset0:96 offset1:128
	;; [unrolled: 1-line block ×3, first 2 shown]
	ds_read_b64 v[26:27], v55 offset:3840
	s_waitcnt lgkmcnt(0)
	s_mul_i32 s0, s11, s3
	s_mul_hi_u32 s1, s10, s3
	s_add_i32 s1, s1, s0
	s_mul_i32 s0, s10, s3
	v_max_f32_e32 v35, v35, v35
	s_lshl_b64 s[0:1], s[0:1], 1
	v_min_f32_e32 v35, v35, v38
	s_add_u32 s2, s14, s0
	v_cvt_f16_f32_e32 v35, v35
	s_addc_u32 s3, s15, s1
	v_mad_i64_i32 v[36:37], s[0:1], v69, s7, 0
	v_add_u32_e32 v32, 8, v28
	v_lshl_add_u64 v[50:51], v[36:37], 1, s[2:3]
	v_cndmask_b32_e64 v38, 0, 1, s[4:5]
	v_ashrrev_i32_e32 v33, 31, v32
	v_lshl_add_u64 v[36:37], v[28:29], 1, v[50:51]
	v_cmp_ne_u32_e64 s[0:1], 1, v38
	s_andn2_b64 vcc, exec, s[4:5]
	global_store_short v[36:37], v35, off
	s_cbranch_vccnz .LBB278_53
; %bb.52:
	v_lshl_add_u64 v[34:35], v[32:33], 1, v[48:49]
	global_load_ushort v34, v[34:35], off
	s_waitcnt vmcnt(0)
	v_mul_f16_e32 v34, s24, v34
	v_cvt_f32_f16_e32 v34, v34
.LBB278_53:
	v_pk_add_f16 v35, v8, v46
	v_max_f16_e32 v36, v118, v118
	v_pk_add_f16 v38, v9, v47
	v_min_f16_e32 v36, v36, v35
	v_lshrrev_b32_e32 v37, 16, v118
	v_lshrrev_b32_e32 v35, 16, v35
	;; [unrolled: 1-line block ×3, first 2 shown]
	v_min3_f16 v35, v37, v35, v39
	v_min3_f16 v35, v36, v38, v35
	v_cvt_f32_f16_e32 v35, v35
	v_max_f32_e32 v34, v34, v34
	v_lshl_add_u64 v[36:37], v[32:33], 1, v[50:51]
	s_and_b64 vcc, exec, s[0:1]
	v_min_f32_e32 v34, v34, v35
	v_cvt_f16_f32_e32 v38, v34
	v_add_u32_e32 v34, 16, v28
	v_ashrrev_i32_e32 v35, 31, v34
	global_store_short v[36:37], v38, off
	v_mov_b32_e32 v38, 0
	v_mov_b32_e32 v37, 0
	s_cbranch_vccnz .LBB278_55
; %bb.54:
	v_lshl_add_u64 v[36:37], v[34:35], 1, v[48:49]
	global_load_ushort v36, v[36:37], off
	s_waitcnt vmcnt(0)
	v_mul_f16_e32 v36, s24, v36
	v_cvt_f32_f16_e32 v37, v36
.LBB278_55:
	v_pk_add_f16 v36, v10, v46
	v_max_f16_e32 v39, v117, v117
	v_pk_add_f16 v41, v11, v47
	v_min_f16_e32 v39, v39, v36
	v_lshrrev_b32_e32 v40, 16, v117
	v_lshrrev_b32_e32 v36, 16, v36
	;; [unrolled: 1-line block ×3, first 2 shown]
	v_min3_f16 v36, v40, v36, v42
	v_min3_f16 v36, v39, v41, v36
	v_cvt_f32_f16_e32 v39, v36
	v_max_f32_e32 v37, v37, v37
	v_add_u32_e32 v36, 24, v28
	v_lshl_add_u64 v[40:41], v[34:35], 1, v[50:51]
	v_min_f32_e32 v37, v37, v39
	v_cvt_f16_f32_e32 v39, v37
	v_ashrrev_i32_e32 v37, 31, v36
	s_and_b64 vcc, exec, s[0:1]
	global_store_short v[40:41], v39, off
	s_cbranch_vccnz .LBB278_57
; %bb.56:
	v_lshl_add_u64 v[38:39], v[36:37], 1, v[48:49]
	global_load_ushort v38, v[38:39], off
	s_waitcnt vmcnt(0)
	v_mul_f16_e32 v38, s24, v38
	v_cvt_f32_f16_e32 v38, v38
.LBB278_57:
	v_pk_add_f16 v39, v4, v46
	v_max_f16_e32 v40, v116, v116
	v_pk_add_f16 v42, v5, v47
	v_min_f16_e32 v40, v40, v39
	v_lshrrev_b32_e32 v41, 16, v116
	v_lshrrev_b32_e32 v39, 16, v39
	;; [unrolled: 1-line block ×3, first 2 shown]
	v_min3_f16 v39, v41, v39, v43
	v_min3_f16 v39, v40, v42, v39
	v_cvt_f32_f16_e32 v39, v39
	v_max_f32_e32 v38, v38, v38
	v_add_u32_e32 v40, 32, v28
	v_ashrrev_i32_e32 v41, 31, v40
	v_min_f32_e32 v38, v38, v39
	v_cvt_f16_f32_e32 v42, v38
	v_lshl_add_u64 v[38:39], v[36:37], 1, v[50:51]
	s_and_b64 vcc, exec, s[0:1]
	global_store_short v[38:39], v42, off
	v_mov_b32_e32 v42, 0
	v_mov_b32_e32 v39, 0
	s_cbranch_vccnz .LBB278_59
; %bb.58:
	v_lshl_add_u64 v[38:39], v[40:41], 1, v[48:49]
	global_load_ushort v38, v[38:39], off
	s_waitcnt vmcnt(0)
	v_mul_f16_e32 v38, s24, v38
	v_cvt_f32_f16_e32 v39, v38
.LBB278_59:
	v_pk_add_f16 v38, v6, v46
	v_max_f16_e32 v43, v115, v115
	v_pk_add_f16 v45, v7, v47
	v_min_f16_e32 v43, v43, v38
	v_lshrrev_b32_e32 v44, 16, v115
	v_lshrrev_b32_e32 v38, 16, v38
	;; [unrolled: 1-line block ×3, first 2 shown]
	v_min3_f16 v38, v44, v38, v55
	v_min3_f16 v38, v43, v45, v38
	v_cvt_f32_f16_e32 v43, v38
	v_max_f32_e32 v39, v39, v39
	v_add_u32_e32 v38, 40, v28
	v_lshl_add_u64 v[44:45], v[40:41], 1, v[50:51]
	v_min_f32_e32 v39, v39, v43
	v_cvt_f16_f32_e32 v43, v39
	v_ashrrev_i32_e32 v39, 31, v38
	s_and_b64 vcc, exec, s[0:1]
	global_store_short v[44:45], v43, off
	s_cbranch_vccnz .LBB278_61
; %bb.60:
	v_lshl_add_u64 v[42:43], v[38:39], 1, v[48:49]
	global_load_ushort v42, v[42:43], off
	s_waitcnt vmcnt(0)
	v_mul_f16_e32 v42, s24, v42
	v_cvt_f32_f16_e32 v42, v42
.LBB278_61:
	v_pk_add_f16 v43, v0, v46
	v_max_f16_e32 v44, v114, v114
	v_pk_add_f16 v55, v1, v47
	v_min_f16_e32 v44, v44, v43
	v_lshrrev_b32_e32 v45, 16, v114
	v_lshrrev_b32_e32 v43, 16, v43
	;; [unrolled: 1-line block ×3, first 2 shown]
	v_min3_f16 v43, v45, v43, v57
	v_min3_f16 v43, v44, v55, v43
	v_cvt_f32_f16_e32 v43, v43
	v_max_f32_e32 v42, v42, v42
	v_lshl_add_u64 v[44:45], v[38:39], 1, v[50:51]
	s_and_b64 vcc, exec, s[0:1]
	v_min_f32_e32 v42, v42, v43
	v_cvt_f16_f32_e32 v55, v42
	v_add_u32_e32 v42, 48, v28
	v_ashrrev_i32_e32 v43, 31, v42
	global_store_short v[44:45], v55, off
	v_mov_b32_e32 v55, 0
	v_mov_b32_e32 v45, 0
	s_cbranch_vccnz .LBB278_63
; %bb.62:
	v_lshl_add_u64 v[44:45], v[42:43], 1, v[48:49]
	global_load_ushort v44, v[44:45], off
	s_waitcnt vmcnt(0)
	v_mul_f16_e32 v44, s24, v44
	v_cvt_f32_f16_e32 v45, v44
.LBB278_63:
	v_pk_add_f16 v44, v2, v46
	v_max_f16_e32 v57, v112, v112
	v_lshrrev_b32_e32 v70, 16, v112
	v_pk_add_f16 v112, v3, v47
	v_min_f16_e32 v57, v57, v44
	v_lshrrev_b32_e32 v44, 16, v44
	v_lshrrev_b32_e32 v114, 16, v112
	v_min3_f16 v44, v70, v44, v114
	v_min3_f16 v44, v57, v112, v44
	v_cvt_f32_f16_e32 v57, v44
	v_max_f32_e32 v45, v45, v45
	v_add_u32_e32 v44, 56, v28
	v_lshl_add_u64 v[114:115], v[42:43], 1, v[50:51]
	v_min_f32_e32 v45, v45, v57
	v_cvt_f16_f32_e32 v57, v45
	v_ashrrev_i32_e32 v45, 31, v44
	s_and_b64 vcc, exec, s[0:1]
	global_store_short v[114:115], v57, off
	s_cbranch_vccnz .LBB278_65
; %bb.64:
	v_lshl_add_u64 v[48:49], v[44:45], 1, v[48:49]
	global_load_ushort v48, v[48:49], off
	s_waitcnt vmcnt(0)
	v_mul_f16_e32 v48, s24, v48
	v_cvt_f32_f16_e32 v55, v48
.LBB278_65:
	v_pk_add_f16 v46, v24, v46
	v_max_f16_e32 v48, v113, v113
	v_pk_add_f16 v47, v25, v47
	v_min_f16_e32 v48, v48, v46
	v_lshrrev_b32_e32 v49, 16, v113
	v_lshrrev_b32_e32 v46, 16, v46
	;; [unrolled: 1-line block ×3, first 2 shown]
	v_min3_f16 v46, v49, v46, v57
	v_min3_f16 v46, v48, v47, v46
	v_cvt_f32_f16_e32 v46, v46
	v_max_f32_e32 v47, v55, v55
	s_and_b64 vcc, exec, s[0:1]
	v_mov_b32_e32 v49, 0
	v_min_f32_e32 v46, v47, v46
	v_cvt_f16_f32_e32 v48, v46
	v_lshl_add_u64 v[46:47], v[44:45], 1, v[50:51]
	v_mov_b32_e32 v50, 0
	global_store_short v[46:47], v48, off
	v_add_u32_e32 v48, 32, v69
	v_mad_i64_i32 v[46:47], s[4:5], v48, s6, 0
	v_lshl_add_u64 v[46:47], v[46:47], 1, s[16:17]
	s_cbranch_vccnz .LBB278_67
; %bb.66:
	v_lshl_add_u64 v[112:113], v[28:29], 1, v[46:47]
	global_load_ushort v49, v[112:113], off
	s_waitcnt vmcnt(0)
	v_mul_f16_e32 v49, s24, v49
	v_cvt_f32_f16_e32 v49, v49
.LBB278_67:
	v_pk_add_f16 v51, v30, v20
	v_max_f16_e32 v55, v110, v110
	v_pk_add_f16 v70, v31, v21
	v_min_f16_e32 v55, v55, v51
	v_lshrrev_b32_e32 v57, 16, v110
	v_lshrrev_b32_e32 v51, 16, v51
	;; [unrolled: 1-line block ×3, first 2 shown]
	v_min3_f16 v51, v57, v51, v110
	v_min3_f16 v51, v55, v70, v51
	v_cvt_f32_f16_e32 v51, v51
	v_mad_i64_i32 v[112:113], s[4:5], v48, s7, 0
	v_max_f32_e32 v48, v49, v49
	v_min_f32_e32 v48, v48, v51
	v_cvt_f16_f32_e32 v51, v48
	v_lshl_add_u64 v[48:49], v[112:113], 1, s[2:3]
	v_lshl_add_u64 v[112:113], v[28:29], 1, v[48:49]
	s_and_b64 vcc, exec, s[0:1]
	global_store_short v[112:113], v51, off
	s_cbranch_vccnz .LBB278_69
; %bb.68:
	v_lshl_add_u64 v[50:51], v[32:33], 1, v[46:47]
	global_load_ushort v50, v[50:51], off
	s_waitcnt vmcnt(0)
	v_mul_f16_e32 v50, s24, v50
	v_cvt_f32_f16_e32 v50, v50
.LBB278_69:
	v_pk_add_f16 v51, v8, v20
	v_max_f16_e32 v55, v108, v108
	v_pk_add_f16 v70, v9, v21
	v_min_f16_e32 v55, v55, v51
	v_lshrrev_b32_e32 v57, 16, v108
	v_lshrrev_b32_e32 v51, 16, v51
	v_lshrrev_b32_e32 v108, 16, v70
	v_min3_f16 v51, v57, v51, v108
	v_min3_f16 v51, v55, v70, v51
	v_cvt_f32_f16_e32 v51, v51
	v_max_f32_e32 v50, v50, v50
	s_and_b64 vcc, exec, s[0:1]
	v_min_f32_e32 v50, v50, v51
	v_cvt_f16_f32_e32 v55, v50
	v_lshl_add_u64 v[50:51], v[32:33], 1, v[48:49]
	global_store_short v[50:51], v55, off
	v_mov_b32_e32 v50, 0
	v_mov_b32_e32 v51, 0
	s_cbranch_vccnz .LBB278_71
; %bb.70:
	v_lshl_add_u64 v[112:113], v[34:35], 1, v[46:47]
	global_load_ushort v51, v[112:113], off
	s_waitcnt vmcnt(0)
	v_mul_f16_e32 v51, s24, v51
	v_cvt_f32_f16_e32 v51, v51
.LBB278_71:
	v_pk_add_f16 v55, v10, v20
	v_max_f16_e32 v57, v106, v106
	v_lshrrev_b32_e32 v70, 16, v106
	v_pk_add_f16 v106, v11, v21
	v_min_f16_e32 v57, v57, v55
	v_lshrrev_b32_e32 v55, 16, v55
	v_lshrrev_b32_e32 v108, 16, v106
	v_min3_f16 v55, v70, v55, v108
	v_min3_f16 v55, v57, v106, v55
	v_cvt_f32_f16_e32 v55, v55
	v_max_f32_e32 v51, v51, v51
	v_lshl_add_u64 v[112:113], v[34:35], 1, v[48:49]
	s_and_b64 vcc, exec, s[0:1]
	v_min_f32_e32 v51, v51, v55
	v_cvt_f16_f32_e32 v51, v51
	global_store_short v[112:113], v51, off
	s_cbranch_vccnz .LBB278_73
; %bb.72:
	v_lshl_add_u64 v[50:51], v[36:37], 1, v[46:47]
	global_load_ushort v50, v[50:51], off
	s_waitcnt vmcnt(0)
	v_mul_f16_e32 v50, s24, v50
	v_cvt_f32_f16_e32 v50, v50
.LBB278_73:
	v_pk_add_f16 v51, v4, v20
	v_max_f16_e32 v55, v104, v104
	v_pk_add_f16 v70, v5, v21
	v_min_f16_e32 v55, v55, v51
	v_lshrrev_b32_e32 v57, 16, v104
	v_lshrrev_b32_e32 v51, 16, v51
	v_lshrrev_b32_e32 v104, 16, v70
	v_min3_f16 v51, v57, v51, v104
	v_min3_f16 v51, v55, v70, v51
	v_cvt_f32_f16_e32 v51, v51
	v_max_f32_e32 v50, v50, v50
	s_and_b64 vcc, exec, s[0:1]
	v_min_f32_e32 v50, v50, v51
	v_cvt_f16_f32_e32 v55, v50
	v_lshl_add_u64 v[50:51], v[36:37], 1, v[48:49]
	global_store_short v[50:51], v55, off
	v_mov_b32_e32 v50, 0
	v_mov_b32_e32 v51, 0
	s_cbranch_vccnz .LBB278_75
; %bb.74:
	v_lshl_add_u64 v[112:113], v[40:41], 1, v[46:47]
	global_load_ushort v51, v[112:113], off
	s_waitcnt vmcnt(0)
	v_mul_f16_e32 v51, s24, v51
	v_cvt_f32_f16_e32 v51, v51
.LBB278_75:
	v_pk_add_f16 v55, v6, v20
	v_max_f16_e32 v57, v102, v102
	v_lshrrev_b32_e32 v70, 16, v102
	v_pk_add_f16 v102, v7, v21
	v_min_f16_e32 v57, v57, v55
	v_lshrrev_b32_e32 v55, 16, v55
	v_lshrrev_b32_e32 v104, 16, v102
	v_min3_f16 v55, v70, v55, v104
	v_min3_f16 v55, v57, v102, v55
	v_cvt_f32_f16_e32 v55, v55
	v_max_f32_e32 v51, v51, v51
	v_lshl_add_u64 v[112:113], v[40:41], 1, v[48:49]
	s_and_b64 vcc, exec, s[0:1]
	v_min_f32_e32 v51, v51, v55
	v_cvt_f16_f32_e32 v51, v51
	;; [unrolled: 50-line block ×3, first 2 shown]
	global_store_short v[112:113], v51, off
	s_cbranch_vccnz .LBB278_81
; %bb.80:
	v_lshl_add_u64 v[46:47], v[44:45], 1, v[46:47]
	global_load_ushort v46, v[46:47], off
	s_waitcnt vmcnt(0)
	v_mul_f16_e32 v46, s24, v46
	v_cvt_f32_f16_e32 v50, v46
.LBB278_81:
	v_pk_add_f16 v20, v24, v20
	v_max_f16_e32 v46, v95, v95
	v_pk_add_f16 v21, v25, v21
	v_min_f16_e32 v46, v46, v20
	v_lshrrev_b32_e32 v47, 16, v95
	v_lshrrev_b32_e32 v20, 16, v20
	;; [unrolled: 1-line block ×3, first 2 shown]
	v_min3_f16 v20, v47, v20, v51
	v_min3_f16 v20, v46, v21, v20
	v_cvt_f32_f16_e32 v20, v20
	v_max_f32_e32 v21, v50, v50
	s_and_b64 vcc, exec, s[0:1]
	v_mov_b32_e32 v47, 0
	v_min_f32_e32 v20, v21, v20
	v_cvt_f16_f32_e32 v46, v20
	v_lshl_add_u64 v[20:21], v[44:45], 1, v[48:49]
	v_mov_b32_e32 v48, 0
	global_store_short v[20:21], v46, off
	v_add_u32_e32 v46, 64, v69
	v_mad_i64_i32 v[20:21], s[4:5], v46, s6, 0
	v_lshl_add_u64 v[20:21], v[20:21], 1, s[16:17]
	s_cbranch_vccnz .LBB278_83
; %bb.82:
	v_lshl_add_u64 v[50:51], v[28:29], 1, v[20:21]
	global_load_ushort v47, v[50:51], off
	s_waitcnt vmcnt(0)
	v_mul_f16_e32 v47, s24, v47
	v_cvt_f32_f16_e32 v47, v47
.LBB278_83:
	v_pk_add_f16 v49, v30, v22
	v_max_f16_e32 v50, v93, v93
	v_pk_add_f16 v55, v31, v23
	v_min_f16_e32 v50, v50, v49
	v_lshrrev_b32_e32 v51, 16, v93
	v_lshrrev_b32_e32 v49, 16, v49
	v_lshrrev_b32_e32 v57, 16, v55
	v_min3_f16 v49, v51, v49, v57
	v_min3_f16 v49, v50, v55, v49
	v_cvt_f32_f16_e32 v49, v49
	v_mad_i64_i32 v[50:51], s[4:5], v46, s7, 0
	v_max_f32_e32 v46, v47, v47
	v_min_f32_e32 v46, v46, v49
	v_cvt_f16_f32_e32 v49, v46
	v_lshl_add_u64 v[46:47], v[50:51], 1, s[2:3]
	v_lshl_add_u64 v[50:51], v[28:29], 1, v[46:47]
	s_and_b64 vcc, exec, s[0:1]
	global_store_short v[50:51], v49, off
	s_cbranch_vccnz .LBB278_85
; %bb.84:
	v_lshl_add_u64 v[48:49], v[32:33], 1, v[20:21]
	global_load_ushort v48, v[48:49], off
	s_waitcnt vmcnt(0)
	v_mul_f16_e32 v48, s24, v48
	v_cvt_f32_f16_e32 v48, v48
.LBB278_85:
	v_pk_add_f16 v49, v8, v22
	v_max_f16_e32 v50, v91, v91
	v_pk_add_f16 v55, v9, v23
	v_min_f16_e32 v50, v50, v49
	v_lshrrev_b32_e32 v51, 16, v91
	v_lshrrev_b32_e32 v49, 16, v49
	v_lshrrev_b32_e32 v57, 16, v55
	v_min3_f16 v49, v51, v49, v57
	v_min3_f16 v49, v50, v55, v49
	v_cvt_f32_f16_e32 v49, v49
	v_max_f32_e32 v48, v48, v48
	s_and_b64 vcc, exec, s[0:1]
	v_min_f32_e32 v48, v48, v49
	v_cvt_f16_f32_e32 v50, v48
	v_lshl_add_u64 v[48:49], v[32:33], 1, v[46:47]
	global_store_short v[48:49], v50, off
	v_mov_b32_e32 v48, 0
	v_mov_b32_e32 v49, 0
	s_cbranch_vccnz .LBB278_87
; %bb.86:
	v_lshl_add_u64 v[50:51], v[34:35], 1, v[20:21]
	global_load_ushort v49, v[50:51], off
	s_waitcnt vmcnt(0)
	v_mul_f16_e32 v49, s24, v49
	v_cvt_f32_f16_e32 v49, v49
.LBB278_87:
	v_pk_add_f16 v50, v10, v22
	v_max_f16_e32 v51, v89, v89
	v_pk_add_f16 v57, v11, v23
	v_min_f16_e32 v51, v51, v50
	v_lshrrev_b32_e32 v55, 16, v89
	v_lshrrev_b32_e32 v50, 16, v50
	v_lshrrev_b32_e32 v70, 16, v57
	v_min3_f16 v50, v55, v50, v70
	v_min3_f16 v50, v51, v57, v50
	v_cvt_f32_f16_e32 v50, v50
	v_max_f32_e32 v49, v49, v49
	s_and_b64 vcc, exec, s[0:1]
	v_min_f32_e32 v49, v49, v50
	v_cvt_f16_f32_e32 v49, v49
	v_lshl_add_u64 v[50:51], v[34:35], 1, v[46:47]
	global_store_short v[50:51], v49, off
	s_cbranch_vccnz .LBB278_89
; %bb.88:
	v_lshl_add_u64 v[48:49], v[36:37], 1, v[20:21]
	global_load_ushort v48, v[48:49], off
	s_waitcnt vmcnt(0)
	v_mul_f16_e32 v48, s24, v48
	v_cvt_f32_f16_e32 v48, v48
.LBB278_89:
	v_pk_add_f16 v49, v4, v22
	v_max_f16_e32 v50, v87, v87
	v_pk_add_f16 v55, v5, v23
	v_min_f16_e32 v50, v50, v49
	v_lshrrev_b32_e32 v51, 16, v87
	v_lshrrev_b32_e32 v49, 16, v49
	v_lshrrev_b32_e32 v57, 16, v55
	v_min3_f16 v49, v51, v49, v57
	v_min3_f16 v49, v50, v55, v49
	v_cvt_f32_f16_e32 v49, v49
	v_max_f32_e32 v48, v48, v48
	s_and_b64 vcc, exec, s[0:1]
	v_min_f32_e32 v48, v48, v49
	v_cvt_f16_f32_e32 v50, v48
	v_lshl_add_u64 v[48:49], v[36:37], 1, v[46:47]
	global_store_short v[48:49], v50, off
	v_mov_b32_e32 v48, 0
	v_mov_b32_e32 v49, 0
	s_cbranch_vccnz .LBB278_91
; %bb.90:
	v_lshl_add_u64 v[50:51], v[40:41], 1, v[20:21]
	global_load_ushort v49, v[50:51], off
	s_waitcnt vmcnt(0)
	v_mul_f16_e32 v49, s24, v49
	v_cvt_f32_f16_e32 v49, v49
.LBB278_91:
	v_pk_add_f16 v50, v6, v22
	v_max_f16_e32 v51, v85, v85
	v_pk_add_f16 v57, v7, v23
	v_min_f16_e32 v51, v51, v50
	v_lshrrev_b32_e32 v55, 16, v85
	v_lshrrev_b32_e32 v50, 16, v50
	v_lshrrev_b32_e32 v70, 16, v57
	v_min3_f16 v50, v55, v50, v70
	v_min3_f16 v50, v51, v57, v50
	v_cvt_f32_f16_e32 v50, v50
	v_max_f32_e32 v49, v49, v49
	s_and_b64 vcc, exec, s[0:1]
	v_min_f32_e32 v49, v49, v50
	v_cvt_f16_f32_e32 v49, v49
	v_lshl_add_u64 v[50:51], v[40:41], 1, v[46:47]
	;; [unrolled: 50-line block ×3, first 2 shown]
	global_store_short v[50:51], v49, off
	s_cbranch_vccnz .LBB278_97
; %bb.96:
	v_lshl_add_u64 v[20:21], v[44:45], 1, v[20:21]
	global_load_ushort v20, v[20:21], off
	s_waitcnt vmcnt(0)
	v_mul_f16_e32 v20, s24, v20
	v_cvt_f32_f16_e32 v48, v20
.LBB278_97:
	v_pk_add_f16 v20, v24, v22
	v_max_f16_e32 v21, v111, v111
	v_pk_add_f16 v23, v25, v23
	v_min_f16_e32 v21, v21, v20
	v_lshrrev_b32_e32 v22, 16, v111
	v_lshrrev_b32_e32 v20, 16, v20
	;; [unrolled: 1-line block ×3, first 2 shown]
	v_min3_f16 v20, v22, v20, v49
	v_min3_f16 v20, v21, v23, v20
	v_cvt_f32_f16_e32 v20, v20
	v_max_f32_e32 v21, v48, v48
	s_and_b64 vcc, exec, s[0:1]
	v_mov_b32_e32 v23, 0
	v_min_f32_e32 v20, v21, v20
	v_cvt_f16_f32_e32 v22, v20
	v_lshl_add_u64 v[20:21], v[44:45], 1, v[46:47]
	v_mov_b32_e32 v46, 0
	global_store_short v[20:21], v22, off
	v_add_u32_e32 v22, 0x60, v69
	v_mad_i64_i32 v[20:21], s[4:5], v22, s6, 0
	v_lshl_add_u64 v[20:21], v[20:21], 1, s[16:17]
	s_cbranch_vccnz .LBB278_99
; %bb.98:
	v_lshl_add_u64 v[48:49], v[28:29], 1, v[20:21]
	global_load_ushort v23, v[48:49], off
	s_waitcnt vmcnt(0)
	v_mul_f16_e32 v23, s24, v23
	v_cvt_f32_f16_e32 v23, v23
.LBB278_99:
	v_pk_add_f16 v47, v30, v16
	v_max_f16_e32 v48, v109, v109
	v_pk_add_f16 v50, v31, v17
	v_min_f16_e32 v48, v48, v47
	v_lshrrev_b32_e32 v49, 16, v109
	v_lshrrev_b32_e32 v47, 16, v47
	;; [unrolled: 1-line block ×3, first 2 shown]
	v_min3_f16 v47, v49, v47, v51
	v_min3_f16 v47, v48, v50, v47
	v_cvt_f32_f16_e32 v47, v47
	v_mad_i64_i32 v[48:49], s[4:5], v22, s7, 0
	v_max_f32_e32 v22, v23, v23
	v_min_f32_e32 v22, v22, v47
	v_cvt_f16_f32_e32 v47, v22
	v_lshl_add_u64 v[22:23], v[48:49], 1, s[2:3]
	v_lshl_add_u64 v[48:49], v[28:29], 1, v[22:23]
	s_and_b64 vcc, exec, s[0:1]
	global_store_short v[48:49], v47, off
	s_cbranch_vccnz .LBB278_101
; %bb.100:
	v_lshl_add_u64 v[46:47], v[32:33], 1, v[20:21]
	global_load_ushort v46, v[46:47], off
	s_waitcnt vmcnt(0)
	v_mul_f16_e32 v46, s24, v46
	v_cvt_f32_f16_e32 v46, v46
.LBB278_101:
	v_pk_add_f16 v47, v8, v16
	v_max_f16_e32 v48, v107, v107
	v_pk_add_f16 v50, v9, v17
	v_min_f16_e32 v48, v48, v47
	v_lshrrev_b32_e32 v49, 16, v107
	v_lshrrev_b32_e32 v47, 16, v47
	v_lshrrev_b32_e32 v51, 16, v50
	v_min3_f16 v47, v49, v47, v51
	v_min3_f16 v47, v48, v50, v47
	v_cvt_f32_f16_e32 v47, v47
	v_max_f32_e32 v46, v46, v46
	s_and_b64 vcc, exec, s[0:1]
	v_min_f32_e32 v46, v46, v47
	v_cvt_f16_f32_e32 v48, v46
	v_lshl_add_u64 v[46:47], v[32:33], 1, v[22:23]
	global_store_short v[46:47], v48, off
	v_mov_b32_e32 v46, 0
	v_mov_b32_e32 v47, 0
	s_cbranch_vccnz .LBB278_103
; %bb.102:
	v_lshl_add_u64 v[48:49], v[34:35], 1, v[20:21]
	global_load_ushort v47, v[48:49], off
	s_waitcnt vmcnt(0)
	v_mul_f16_e32 v47, s24, v47
	v_cvt_f32_f16_e32 v47, v47
.LBB278_103:
	v_pk_add_f16 v48, v10, v16
	v_max_f16_e32 v49, v105, v105
	v_pk_add_f16 v51, v11, v17
	v_min_f16_e32 v49, v49, v48
	v_lshrrev_b32_e32 v50, 16, v105
	v_lshrrev_b32_e32 v48, 16, v48
	v_lshrrev_b32_e32 v55, 16, v51
	v_min3_f16 v48, v50, v48, v55
	v_min3_f16 v48, v49, v51, v48
	v_cvt_f32_f16_e32 v48, v48
	v_max_f32_e32 v47, v47, v47
	s_and_b64 vcc, exec, s[0:1]
	v_min_f32_e32 v47, v47, v48
	v_cvt_f16_f32_e32 v47, v47
	v_lshl_add_u64 v[48:49], v[34:35], 1, v[22:23]
	global_store_short v[48:49], v47, off
	s_cbranch_vccnz .LBB278_105
; %bb.104:
	v_lshl_add_u64 v[46:47], v[36:37], 1, v[20:21]
	global_load_ushort v46, v[46:47], off
	s_waitcnt vmcnt(0)
	v_mul_f16_e32 v46, s24, v46
	v_cvt_f32_f16_e32 v46, v46
.LBB278_105:
	v_pk_add_f16 v47, v4, v16
	v_max_f16_e32 v48, v103, v103
	v_pk_add_f16 v50, v5, v17
	v_min_f16_e32 v48, v48, v47
	v_lshrrev_b32_e32 v49, 16, v103
	v_lshrrev_b32_e32 v47, 16, v47
	v_lshrrev_b32_e32 v51, 16, v50
	v_min3_f16 v47, v49, v47, v51
	v_min3_f16 v47, v48, v50, v47
	v_cvt_f32_f16_e32 v47, v47
	v_max_f32_e32 v46, v46, v46
	s_and_b64 vcc, exec, s[0:1]
	v_min_f32_e32 v46, v46, v47
	v_cvt_f16_f32_e32 v48, v46
	v_lshl_add_u64 v[46:47], v[36:37], 1, v[22:23]
	global_store_short v[46:47], v48, off
	v_mov_b32_e32 v46, 0
	v_mov_b32_e32 v47, 0
	s_cbranch_vccnz .LBB278_107
; %bb.106:
	v_lshl_add_u64 v[48:49], v[40:41], 1, v[20:21]
	global_load_ushort v47, v[48:49], off
	s_waitcnt vmcnt(0)
	v_mul_f16_e32 v47, s24, v47
	v_cvt_f32_f16_e32 v47, v47
.LBB278_107:
	v_pk_add_f16 v48, v6, v16
	v_max_f16_e32 v49, v101, v101
	v_pk_add_f16 v51, v7, v17
	v_min_f16_e32 v49, v49, v48
	v_lshrrev_b32_e32 v50, 16, v101
	v_lshrrev_b32_e32 v48, 16, v48
	v_lshrrev_b32_e32 v55, 16, v51
	v_min3_f16 v48, v50, v48, v55
	v_min3_f16 v48, v49, v51, v48
	v_cvt_f32_f16_e32 v48, v48
	v_max_f32_e32 v47, v47, v47
	s_and_b64 vcc, exec, s[0:1]
	v_min_f32_e32 v47, v47, v48
	v_cvt_f16_f32_e32 v47, v47
	v_lshl_add_u64 v[48:49], v[40:41], 1, v[22:23]
	global_store_short v[48:49], v47, off
	s_cbranch_vccnz .LBB278_109
; %bb.108:
	v_lshl_add_u64 v[46:47], v[38:39], 1, v[20:21]
	global_load_ushort v46, v[46:47], off
	s_waitcnt vmcnt(0)
	v_mul_f16_e32 v46, s24, v46
	v_cvt_f32_f16_e32 v46, v46
.LBB278_109:
	v_pk_add_f16 v47, v0, v16
	v_max_f16_e32 v48, v99, v99
	v_pk_add_f16 v50, v1, v17
	v_min_f16_e32 v48, v48, v47
	v_lshrrev_b32_e32 v49, 16, v99
	v_lshrrev_b32_e32 v47, 16, v47
	v_lshrrev_b32_e32 v51, 16, v50
	v_min3_f16 v47, v49, v47, v51
	v_min3_f16 v47, v48, v50, v47
	v_cvt_f32_f16_e32 v47, v47
	v_max_f32_e32 v46, v46, v46
	s_and_b64 vcc, exec, s[0:1]
	v_min_f32_e32 v46, v46, v47
	v_cvt_f16_f32_e32 v48, v46
	v_lshl_add_u64 v[46:47], v[38:39], 1, v[22:23]
	global_store_short v[46:47], v48, off
	v_mov_b32_e32 v46, 0
	v_mov_b32_e32 v47, 0
	s_cbranch_vccnz .LBB278_111
; %bb.110:
	v_lshl_add_u64 v[48:49], v[42:43], 1, v[20:21]
	global_load_ushort v47, v[48:49], off
	s_waitcnt vmcnt(0)
	v_mul_f16_e32 v47, s24, v47
	v_cvt_f32_f16_e32 v47, v47
.LBB278_111:
	v_pk_add_f16 v48, v2, v16
	v_max_f16_e32 v49, v97, v97
	v_pk_add_f16 v51, v3, v17
	v_min_f16_e32 v49, v49, v48
	v_lshrrev_b32_e32 v50, 16, v97
	v_lshrrev_b32_e32 v48, 16, v48
	v_lshrrev_b32_e32 v55, 16, v51
	v_min3_f16 v48, v50, v48, v55
	v_min3_f16 v48, v49, v51, v48
	v_cvt_f32_f16_e32 v48, v48
	v_max_f32_e32 v47, v47, v47
	s_and_b64 vcc, exec, s[0:1]
	v_min_f32_e32 v47, v47, v48
	v_cvt_f16_f32_e32 v47, v47
	v_lshl_add_u64 v[48:49], v[42:43], 1, v[22:23]
	global_store_short v[48:49], v47, off
	s_cbranch_vccnz .LBB278_113
; %bb.112:
	v_lshl_add_u64 v[20:21], v[44:45], 1, v[20:21]
	global_load_ushort v20, v[20:21], off
	s_waitcnt vmcnt(0)
	v_mul_f16_e32 v20, s24, v20
	v_cvt_f32_f16_e32 v46, v20
.LBB278_113:
	v_pk_add_f16 v16, v24, v16
	v_max_f16_e32 v20, v96, v96
	v_pk_add_f16 v17, v25, v17
	v_min_f16_e32 v20, v20, v16
	v_lshrrev_b32_e32 v21, 16, v96
	v_lshrrev_b32_e32 v16, 16, v16
	;; [unrolled: 1-line block ×3, first 2 shown]
	v_min3_f16 v16, v21, v16, v47
	v_min3_f16 v16, v20, v17, v16
	v_cvt_f32_f16_e32 v16, v16
	v_max_f32_e32 v17, v46, v46
	s_and_b64 vcc, exec, s[0:1]
	v_mov_b32_e32 v21, 0
	v_min_f32_e32 v16, v17, v16
	v_cvt_f16_f32_e32 v20, v16
	v_lshl_add_u64 v[16:17], v[44:45], 1, v[22:23]
	v_mov_b32_e32 v22, 0
	global_store_short v[16:17], v20, off
	v_add_u32_e32 v20, 0x80, v69
	v_mad_i64_i32 v[16:17], s[4:5], v20, s6, 0
	v_lshl_add_u64 v[16:17], v[16:17], 1, s[16:17]
	s_cbranch_vccnz .LBB278_115
; %bb.114:
	v_lshl_add_u64 v[46:47], v[28:29], 1, v[16:17]
	global_load_ushort v21, v[46:47], off
	s_waitcnt vmcnt(0)
	v_mul_f16_e32 v21, s24, v21
	v_cvt_f32_f16_e32 v21, v21
.LBB278_115:
	v_pk_add_f16 v23, v30, v18
	v_max_f16_e32 v46, v94, v94
	v_pk_add_f16 v48, v31, v19
	v_min_f16_e32 v46, v46, v23
	v_lshrrev_b32_e32 v47, 16, v94
	v_lshrrev_b32_e32 v23, 16, v23
	;; [unrolled: 1-line block ×3, first 2 shown]
	v_min3_f16 v23, v47, v23, v49
	v_min3_f16 v23, v46, v48, v23
	v_cvt_f32_f16_e32 v23, v23
	v_mad_i64_i32 v[46:47], s[4:5], v20, s7, 0
	v_max_f32_e32 v20, v21, v21
	v_min_f32_e32 v20, v20, v23
	v_cvt_f16_f32_e32 v23, v20
	v_lshl_add_u64 v[20:21], v[46:47], 1, s[2:3]
	v_lshl_add_u64 v[46:47], v[28:29], 1, v[20:21]
	s_and_b64 vcc, exec, s[0:1]
	global_store_short v[46:47], v23, off
	s_cbranch_vccnz .LBB278_117
; %bb.116:
	v_lshl_add_u64 v[22:23], v[32:33], 1, v[16:17]
	global_load_ushort v22, v[22:23], off
	s_waitcnt vmcnt(0)
	v_mul_f16_e32 v22, s24, v22
	v_cvt_f32_f16_e32 v22, v22
.LBB278_117:
	v_pk_add_f16 v23, v8, v18
	v_max_f16_e32 v46, v92, v92
	v_pk_add_f16 v48, v9, v19
	v_min_f16_e32 v46, v46, v23
	v_lshrrev_b32_e32 v47, 16, v92
	v_lshrrev_b32_e32 v23, 16, v23
	v_lshrrev_b32_e32 v49, 16, v48
	v_min3_f16 v23, v47, v23, v49
	v_min3_f16 v23, v46, v48, v23
	v_cvt_f32_f16_e32 v23, v23
	v_max_f32_e32 v22, v22, v22
	s_and_b64 vcc, exec, s[0:1]
	v_min_f32_e32 v22, v22, v23
	v_cvt_f16_f32_e32 v46, v22
	v_lshl_add_u64 v[22:23], v[32:33], 1, v[20:21]
	global_store_short v[22:23], v46, off
	v_mov_b32_e32 v22, 0
	v_mov_b32_e32 v23, 0
	s_cbranch_vccnz .LBB278_119
; %bb.118:
	v_lshl_add_u64 v[46:47], v[34:35], 1, v[16:17]
	global_load_ushort v23, v[46:47], off
	s_waitcnt vmcnt(0)
	v_mul_f16_e32 v23, s24, v23
	v_cvt_f32_f16_e32 v23, v23
.LBB278_119:
	v_pk_add_f16 v46, v10, v18
	v_max_f16_e32 v47, v90, v90
	v_pk_add_f16 v49, v11, v19
	v_min_f16_e32 v47, v47, v46
	v_lshrrev_b32_e32 v48, 16, v90
	v_lshrrev_b32_e32 v46, 16, v46
	v_lshrrev_b32_e32 v50, 16, v49
	v_min3_f16 v46, v48, v46, v50
	v_min3_f16 v46, v47, v49, v46
	v_cvt_f32_f16_e32 v46, v46
	v_max_f32_e32 v23, v23, v23
	s_and_b64 vcc, exec, s[0:1]
	v_min_f32_e32 v23, v23, v46
	v_cvt_f16_f32_e32 v23, v23
	v_lshl_add_u64 v[46:47], v[34:35], 1, v[20:21]
	global_store_short v[46:47], v23, off
	s_cbranch_vccnz .LBB278_121
; %bb.120:
	v_lshl_add_u64 v[22:23], v[36:37], 1, v[16:17]
	global_load_ushort v22, v[22:23], off
	s_waitcnt vmcnt(0)
	v_mul_f16_e32 v22, s24, v22
	v_cvt_f32_f16_e32 v22, v22
.LBB278_121:
	v_pk_add_f16 v23, v4, v18
	v_max_f16_e32 v46, v88, v88
	v_pk_add_f16 v48, v5, v19
	v_min_f16_e32 v46, v46, v23
	v_lshrrev_b32_e32 v47, 16, v88
	v_lshrrev_b32_e32 v23, 16, v23
	v_lshrrev_b32_e32 v49, 16, v48
	v_min3_f16 v23, v47, v23, v49
	v_min3_f16 v23, v46, v48, v23
	v_cvt_f32_f16_e32 v23, v23
	v_max_f32_e32 v22, v22, v22
	s_and_b64 vcc, exec, s[0:1]
	v_min_f32_e32 v22, v22, v23
	v_cvt_f16_f32_e32 v46, v22
	v_lshl_add_u64 v[22:23], v[36:37], 1, v[20:21]
	global_store_short v[22:23], v46, off
	v_mov_b32_e32 v22, 0
	v_mov_b32_e32 v23, 0
	s_cbranch_vccnz .LBB278_123
; %bb.122:
	v_lshl_add_u64 v[46:47], v[40:41], 1, v[16:17]
	global_load_ushort v23, v[46:47], off
	s_waitcnt vmcnt(0)
	v_mul_f16_e32 v23, s24, v23
	v_cvt_f32_f16_e32 v23, v23
.LBB278_123:
	v_pk_add_f16 v46, v6, v18
	v_max_f16_e32 v47, v86, v86
	v_pk_add_f16 v49, v7, v19
	v_min_f16_e32 v47, v47, v46
	v_lshrrev_b32_e32 v48, 16, v86
	v_lshrrev_b32_e32 v46, 16, v46
	v_lshrrev_b32_e32 v50, 16, v49
	v_min3_f16 v46, v48, v46, v50
	v_min3_f16 v46, v47, v49, v46
	v_cvt_f32_f16_e32 v46, v46
	v_max_f32_e32 v23, v23, v23
	s_and_b64 vcc, exec, s[0:1]
	v_min_f32_e32 v23, v23, v46
	v_cvt_f16_f32_e32 v23, v23
	v_lshl_add_u64 v[46:47], v[40:41], 1, v[20:21]
	;; [unrolled: 50-line block ×3, first 2 shown]
	global_store_short v[46:47], v23, off
	s_cbranch_vccnz .LBB278_129
; %bb.128:
	v_lshl_add_u64 v[16:17], v[44:45], 1, v[16:17]
	global_load_ushort v16, v[16:17], off
	s_waitcnt vmcnt(0)
	v_mul_f16_e32 v16, s24, v16
	v_cvt_f32_f16_e32 v22, v16
.LBB278_129:
	v_pk_add_f16 v16, v24, v18
	v_max_f16_e32 v17, v80, v80
	v_pk_add_f16 v19, v25, v19
	v_min_f16_e32 v17, v17, v16
	v_lshrrev_b32_e32 v18, 16, v80
	v_lshrrev_b32_e32 v16, 16, v16
	;; [unrolled: 1-line block ×3, first 2 shown]
	v_min3_f16 v16, v18, v16, v23
	v_min3_f16 v16, v17, v19, v16
	v_cvt_f32_f16_e32 v16, v16
	v_max_f32_e32 v17, v22, v22
	s_and_b64 vcc, exec, s[0:1]
	v_mov_b32_e32 v19, 0
	v_min_f32_e32 v16, v17, v16
	v_cvt_f16_f32_e32 v18, v16
	v_lshl_add_u64 v[16:17], v[44:45], 1, v[20:21]
	v_mov_b32_e32 v20, 0
	global_store_short v[16:17], v18, off
	v_add_u32_e32 v18, 0xa0, v69
	v_mad_i64_i32 v[16:17], s[4:5], v18, s6, 0
	v_lshl_add_u64 v[16:17], v[16:17], 1, s[16:17]
	s_cbranch_vccnz .LBB278_131
; %bb.130:
	v_lshl_add_u64 v[22:23], v[28:29], 1, v[16:17]
	global_load_ushort v19, v[22:23], off
	s_waitcnt vmcnt(0)
	v_mul_f16_e32 v19, s24, v19
	v_cvt_f32_f16_e32 v19, v19
.LBB278_131:
	v_pk_add_f16 v21, v30, v12
	v_max_f16_e32 v22, v79, v79
	v_pk_add_f16 v46, v31, v13
	v_min_f16_e32 v22, v22, v21
	v_lshrrev_b32_e32 v23, 16, v79
	v_lshrrev_b32_e32 v21, 16, v21
	;; [unrolled: 1-line block ×3, first 2 shown]
	v_min3_f16 v21, v23, v21, v47
	v_min3_f16 v21, v22, v46, v21
	v_cvt_f32_f16_e32 v21, v21
	v_mad_i64_i32 v[22:23], s[4:5], v18, s7, 0
	v_max_f32_e32 v18, v19, v19
	v_min_f32_e32 v18, v18, v21
	v_cvt_f16_f32_e32 v21, v18
	v_lshl_add_u64 v[18:19], v[22:23], 1, s[2:3]
	v_lshl_add_u64 v[22:23], v[28:29], 1, v[18:19]
	s_and_b64 vcc, exec, s[0:1]
	global_store_short v[22:23], v21, off
	s_cbranch_vccnz .LBB278_133
; %bb.132:
	v_lshl_add_u64 v[20:21], v[32:33], 1, v[16:17]
	global_load_ushort v20, v[20:21], off
	s_waitcnt vmcnt(0)
	v_mul_f16_e32 v20, s24, v20
	v_cvt_f32_f16_e32 v20, v20
.LBB278_133:
	v_pk_add_f16 v21, v8, v12
	v_max_f16_e32 v22, v78, v78
	v_pk_add_f16 v46, v9, v13
	v_min_f16_e32 v22, v22, v21
	v_lshrrev_b32_e32 v23, 16, v78
	v_lshrrev_b32_e32 v21, 16, v21
	v_lshrrev_b32_e32 v47, 16, v46
	v_min3_f16 v21, v23, v21, v47
	v_min3_f16 v21, v22, v46, v21
	v_cvt_f32_f16_e32 v21, v21
	v_max_f32_e32 v20, v20, v20
	s_and_b64 vcc, exec, s[0:1]
	v_min_f32_e32 v20, v20, v21
	v_cvt_f16_f32_e32 v22, v20
	v_lshl_add_u64 v[20:21], v[32:33], 1, v[18:19]
	global_store_short v[20:21], v22, off
	v_mov_b32_e32 v20, 0
	v_mov_b32_e32 v21, 0
	s_cbranch_vccnz .LBB278_135
; %bb.134:
	v_lshl_add_u64 v[22:23], v[34:35], 1, v[16:17]
	global_load_ushort v21, v[22:23], off
	s_waitcnt vmcnt(0)
	v_mul_f16_e32 v21, s24, v21
	v_cvt_f32_f16_e32 v21, v21
.LBB278_135:
	v_pk_add_f16 v22, v10, v12
	v_max_f16_e32 v23, v77, v77
	v_pk_add_f16 v47, v11, v13
	v_min_f16_e32 v23, v23, v22
	v_lshrrev_b32_e32 v46, 16, v77
	v_lshrrev_b32_e32 v22, 16, v22
	v_lshrrev_b32_e32 v48, 16, v47
	v_min3_f16 v22, v46, v22, v48
	v_min3_f16 v22, v23, v47, v22
	v_cvt_f32_f16_e32 v22, v22
	v_max_f32_e32 v21, v21, v21
	s_and_b64 vcc, exec, s[0:1]
	v_min_f32_e32 v21, v21, v22
	v_cvt_f16_f32_e32 v21, v21
	v_lshl_add_u64 v[22:23], v[34:35], 1, v[18:19]
	global_store_short v[22:23], v21, off
	s_cbranch_vccnz .LBB278_137
; %bb.136:
	v_lshl_add_u64 v[20:21], v[36:37], 1, v[16:17]
	global_load_ushort v20, v[20:21], off
	s_waitcnt vmcnt(0)
	v_mul_f16_e32 v20, s24, v20
	v_cvt_f32_f16_e32 v20, v20
.LBB278_137:
	v_pk_add_f16 v21, v4, v12
	v_max_f16_e32 v22, v76, v76
	v_pk_add_f16 v46, v5, v13
	v_min_f16_e32 v22, v22, v21
	v_lshrrev_b32_e32 v23, 16, v76
	v_lshrrev_b32_e32 v21, 16, v21
	v_lshrrev_b32_e32 v47, 16, v46
	v_min3_f16 v21, v23, v21, v47
	v_min3_f16 v21, v22, v46, v21
	v_cvt_f32_f16_e32 v21, v21
	v_max_f32_e32 v20, v20, v20
	s_and_b64 vcc, exec, s[0:1]
	v_min_f32_e32 v20, v20, v21
	v_cvt_f16_f32_e32 v22, v20
	v_lshl_add_u64 v[20:21], v[36:37], 1, v[18:19]
	global_store_short v[20:21], v22, off
	v_mov_b32_e32 v20, 0
	v_mov_b32_e32 v21, 0
	s_cbranch_vccnz .LBB278_139
; %bb.138:
	v_lshl_add_u64 v[22:23], v[40:41], 1, v[16:17]
	global_load_ushort v21, v[22:23], off
	s_waitcnt vmcnt(0)
	v_mul_f16_e32 v21, s24, v21
	v_cvt_f32_f16_e32 v21, v21
.LBB278_139:
	v_pk_add_f16 v22, v6, v12
	v_max_f16_e32 v23, v75, v75
	v_pk_add_f16 v47, v7, v13
	v_min_f16_e32 v23, v23, v22
	v_lshrrev_b32_e32 v46, 16, v75
	v_lshrrev_b32_e32 v22, 16, v22
	v_lshrrev_b32_e32 v48, 16, v47
	v_min3_f16 v22, v46, v22, v48
	v_min3_f16 v22, v23, v47, v22
	v_cvt_f32_f16_e32 v22, v22
	v_max_f32_e32 v21, v21, v21
	s_and_b64 vcc, exec, s[0:1]
	v_min_f32_e32 v21, v21, v22
	v_cvt_f16_f32_e32 v21, v21
	v_lshl_add_u64 v[22:23], v[40:41], 1, v[18:19]
	;; [unrolled: 50-line block ×3, first 2 shown]
	global_store_short v[22:23], v21, off
	s_cbranch_vccnz .LBB278_145
; %bb.144:
	v_lshl_add_u64 v[16:17], v[44:45], 1, v[16:17]
	global_load_ushort v16, v[16:17], off
	s_waitcnt vmcnt(0)
	v_mul_f16_e32 v16, s24, v16
	v_cvt_f32_f16_e32 v20, v16
.LBB278_145:
	v_pk_add_f16 v12, v24, v12
	v_max_f16_e32 v16, v73, v73
	v_pk_add_f16 v13, v25, v13
	v_min_f16_e32 v16, v16, v12
	v_lshrrev_b32_e32 v17, 16, v73
	v_lshrrev_b32_e32 v12, 16, v12
	;; [unrolled: 1-line block ×3, first 2 shown]
	v_min3_f16 v12, v17, v12, v21
	v_min3_f16 v12, v16, v13, v12
	v_cvt_f32_f16_e32 v12, v12
	v_max_f32_e32 v13, v20, v20
	s_and_b64 vcc, exec, s[0:1]
	v_mov_b32_e32 v17, 0
	v_min_f32_e32 v12, v13, v12
	v_cvt_f16_f32_e32 v16, v12
	v_lshl_add_u64 v[12:13], v[44:45], 1, v[18:19]
	v_mov_b32_e32 v18, 0
	global_store_short v[12:13], v16, off
	v_add_u32_e32 v16, 0xc0, v69
	v_mad_i64_i32 v[12:13], s[4:5], v16, s6, 0
	v_lshl_add_u64 v[12:13], v[12:13], 1, s[16:17]
	s_cbranch_vccnz .LBB278_147
; %bb.146:
	v_lshl_add_u64 v[20:21], v[28:29], 1, v[12:13]
	global_load_ushort v17, v[20:21], off
	s_waitcnt vmcnt(0)
	v_mul_f16_e32 v17, s24, v17
	v_cvt_f32_f16_e32 v17, v17
.LBB278_147:
	v_pk_add_f16 v19, v30, v14
	v_max_f16_e32 v20, v71, v71
	v_pk_add_f16 v22, v31, v15
	v_min_f16_e32 v20, v20, v19
	v_lshrrev_b32_e32 v21, 16, v71
	v_lshrrev_b32_e32 v19, 16, v19
	v_lshrrev_b32_e32 v23, 16, v22
	v_min3_f16 v19, v21, v19, v23
	v_min3_f16 v19, v20, v22, v19
	v_cvt_f32_f16_e32 v19, v19
	v_mad_i64_i32 v[20:21], s[4:5], v16, s7, 0
	v_max_f32_e32 v16, v17, v17
	v_min_f32_e32 v16, v16, v19
	v_cvt_f16_f32_e32 v19, v16
	v_lshl_add_u64 v[16:17], v[20:21], 1, s[2:3]
	v_lshl_add_u64 v[20:21], v[28:29], 1, v[16:17]
	s_and_b64 vcc, exec, s[0:1]
	global_store_short v[20:21], v19, off
	s_cbranch_vccnz .LBB278_149
; %bb.148:
	v_lshl_add_u64 v[18:19], v[32:33], 1, v[12:13]
	global_load_ushort v18, v[18:19], off
	s_waitcnt vmcnt(0)
	v_mul_f16_e32 v18, s24, v18
	v_cvt_f32_f16_e32 v18, v18
.LBB278_149:
	v_pk_add_f16 v19, v8, v14
	v_max_f16_e32 v20, v68, v68
	v_pk_add_f16 v22, v9, v15
	v_min_f16_e32 v20, v20, v19
	v_lshrrev_b32_e32 v21, 16, v68
	v_lshrrev_b32_e32 v19, 16, v19
	v_lshrrev_b32_e32 v23, 16, v22
	v_min3_f16 v19, v21, v19, v23
	v_min3_f16 v19, v20, v22, v19
	v_cvt_f32_f16_e32 v19, v19
	v_max_f32_e32 v18, v18, v18
	s_and_b64 vcc, exec, s[0:1]
	v_min_f32_e32 v18, v18, v19
	v_cvt_f16_f32_e32 v20, v18
	v_lshl_add_u64 v[18:19], v[32:33], 1, v[16:17]
	global_store_short v[18:19], v20, off
	v_mov_b32_e32 v18, 0
	v_mov_b32_e32 v19, 0
	s_cbranch_vccnz .LBB278_151
; %bb.150:
	v_lshl_add_u64 v[20:21], v[34:35], 1, v[12:13]
	global_load_ushort v19, v[20:21], off
	s_waitcnt vmcnt(0)
	v_mul_f16_e32 v19, s24, v19
	v_cvt_f32_f16_e32 v19, v19
.LBB278_151:
	v_pk_add_f16 v20, v10, v14
	v_max_f16_e32 v21, v67, v67
	v_pk_add_f16 v23, v11, v15
	v_min_f16_e32 v21, v21, v20
	v_lshrrev_b32_e32 v22, 16, v67
	v_lshrrev_b32_e32 v20, 16, v20
	v_lshrrev_b32_e32 v46, 16, v23
	v_min3_f16 v20, v22, v20, v46
	v_min3_f16 v20, v21, v23, v20
	v_cvt_f32_f16_e32 v20, v20
	v_max_f32_e32 v19, v19, v19
	s_and_b64 vcc, exec, s[0:1]
	v_min_f32_e32 v19, v19, v20
	v_cvt_f16_f32_e32 v19, v19
	v_lshl_add_u64 v[20:21], v[34:35], 1, v[16:17]
	global_store_short v[20:21], v19, off
	s_cbranch_vccnz .LBB278_153
; %bb.152:
	v_lshl_add_u64 v[18:19], v[36:37], 1, v[12:13]
	global_load_ushort v18, v[18:19], off
	s_waitcnt vmcnt(0)
	v_mul_f16_e32 v18, s24, v18
	v_cvt_f32_f16_e32 v18, v18
.LBB278_153:
	v_pk_add_f16 v19, v4, v14
	v_max_f16_e32 v20, v66, v66
	v_pk_add_f16 v22, v5, v15
	v_min_f16_e32 v20, v20, v19
	v_lshrrev_b32_e32 v21, 16, v66
	v_lshrrev_b32_e32 v19, 16, v19
	v_lshrrev_b32_e32 v23, 16, v22
	v_min3_f16 v19, v21, v19, v23
	v_min3_f16 v19, v20, v22, v19
	v_cvt_f32_f16_e32 v19, v19
	v_max_f32_e32 v18, v18, v18
	s_and_b64 vcc, exec, s[0:1]
	v_min_f32_e32 v18, v18, v19
	v_cvt_f16_f32_e32 v20, v18
	v_lshl_add_u64 v[18:19], v[36:37], 1, v[16:17]
	global_store_short v[18:19], v20, off
	v_mov_b32_e32 v18, 0
	v_mov_b32_e32 v19, 0
	s_cbranch_vccnz .LBB278_155
; %bb.154:
	v_lshl_add_u64 v[20:21], v[40:41], 1, v[12:13]
	global_load_ushort v19, v[20:21], off
	s_waitcnt vmcnt(0)
	v_mul_f16_e32 v19, s24, v19
	v_cvt_f32_f16_e32 v19, v19
.LBB278_155:
	v_pk_add_f16 v20, v6, v14
	v_max_f16_e32 v21, v65, v65
	v_pk_add_f16 v23, v7, v15
	v_min_f16_e32 v21, v21, v20
	v_lshrrev_b32_e32 v22, 16, v65
	v_lshrrev_b32_e32 v20, 16, v20
	v_lshrrev_b32_e32 v46, 16, v23
	v_min3_f16 v20, v22, v20, v46
	v_min3_f16 v20, v21, v23, v20
	v_cvt_f32_f16_e32 v20, v20
	v_max_f32_e32 v19, v19, v19
	s_and_b64 vcc, exec, s[0:1]
	v_min_f32_e32 v19, v19, v20
	v_cvt_f16_f32_e32 v19, v19
	v_lshl_add_u64 v[20:21], v[40:41], 1, v[16:17]
	;; [unrolled: 50-line block ×3, first 2 shown]
	global_store_short v[20:21], v19, off
	s_cbranch_vccnz .LBB278_161
; %bb.160:
	v_lshl_add_u64 v[12:13], v[44:45], 1, v[12:13]
	global_load_ushort v12, v[12:13], off
	s_waitcnt vmcnt(0)
	v_mul_f16_e32 v12, s24, v12
	v_cvt_f32_f16_e32 v18, v12
.LBB278_161:
	v_pk_add_f16 v12, v24, v14
	v_max_f16_e32 v13, v62, v62
	v_pk_add_f16 v15, v25, v15
	v_min_f16_e32 v13, v13, v12
	v_lshrrev_b32_e32 v14, 16, v62
	v_lshrrev_b32_e32 v12, 16, v12
	;; [unrolled: 1-line block ×3, first 2 shown]
	v_min3_f16 v12, v14, v12, v19
	v_min3_f16 v12, v13, v15, v12
	v_cvt_f32_f16_e32 v12, v12
	v_max_f32_e32 v13, v18, v18
	s_and_b64 vcc, exec, s[0:1]
	v_mov_b32_e32 v15, 0
	v_min_f32_e32 v12, v13, v12
	v_cvt_f16_f32_e32 v14, v12
	v_lshl_add_u64 v[12:13], v[44:45], 1, v[16:17]
	v_mov_b32_e32 v16, 0
	global_store_short v[12:13], v14, off
	v_add_u32_e32 v14, 0xe0, v69
	v_mad_i64_i32 v[12:13], s[4:5], v14, s6, 0
	v_lshl_add_u64 v[12:13], v[12:13], 1, s[16:17]
	s_cbranch_vccnz .LBB278_163
; %bb.162:
	v_lshl_add_u64 v[18:19], v[28:29], 1, v[12:13]
	global_load_ushort v15, v[18:19], off
	s_waitcnt vmcnt(0)
	v_mul_f16_e32 v15, s24, v15
	v_cvt_f32_f16_e32 v15, v15
.LBB278_163:
	v_pk_add_f16 v17, v30, v26
	v_max_f16_e32 v18, v61, v61
	v_pk_add_f16 v20, v31, v27
	v_min_f16_e32 v18, v18, v17
	v_lshrrev_b32_e32 v19, 16, v61
	v_lshrrev_b32_e32 v17, 16, v17
	;; [unrolled: 1-line block ×3, first 2 shown]
	v_min3_f16 v17, v19, v17, v21
	v_min3_f16 v17, v18, v20, v17
	v_cvt_f32_f16_e32 v17, v17
	v_mad_i64_i32 v[18:19], s[4:5], v14, s7, 0
	v_max_f32_e32 v14, v15, v15
	v_min_f32_e32 v14, v14, v17
	v_cvt_f16_f32_e32 v17, v14
	v_lshl_add_u64 v[14:15], v[18:19], 1, s[2:3]
	v_lshl_add_u64 v[18:19], v[28:29], 1, v[14:15]
	s_and_b64 vcc, exec, s[0:1]
	global_store_short v[18:19], v17, off
	s_cbranch_vccnz .LBB278_165
; %bb.164:
	v_lshl_add_u64 v[16:17], v[32:33], 1, v[12:13]
	global_load_ushort v16, v[16:17], off
	s_waitcnt vmcnt(0)
	v_mul_f16_e32 v16, s24, v16
	v_cvt_f32_f16_e32 v16, v16
.LBB278_165:
	v_pk_add_f16 v8, v8, v26
	v_max_f16_e32 v17, v60, v60
	v_pk_add_f16 v9, v9, v27
	v_min_f16_e32 v17, v17, v8
	v_lshrrev_b32_e32 v18, 16, v60
	v_lshrrev_b32_e32 v8, 16, v8
	;; [unrolled: 1-line block ×3, first 2 shown]
	v_min3_f16 v8, v18, v8, v19
	v_min3_f16 v8, v17, v9, v8
	v_cvt_f32_f16_e32 v8, v8
	v_max_f32_e32 v9, v16, v16
	s_and_b64 vcc, exec, s[0:1]
	v_min_f32_e32 v8, v9, v8
	v_cvt_f16_f32_e32 v16, v8
	v_lshl_add_u64 v[8:9], v[32:33], 1, v[14:15]
	global_store_short v[8:9], v16, off
	v_mov_b32_e32 v8, 0
	v_mov_b32_e32 v9, 0
	s_cbranch_vccnz .LBB278_167
; %bb.166:
	v_lshl_add_u64 v[16:17], v[34:35], 1, v[12:13]
	global_load_ushort v9, v[16:17], off
	s_waitcnt vmcnt(0)
	v_mul_f16_e32 v9, s24, v9
	v_cvt_f32_f16_e32 v9, v9
.LBB278_167:
	v_pk_add_f16 v10, v10, v26
	v_max_f16_e32 v16, v58, v58
	v_pk_add_f16 v11, v11, v27
	v_min_f16_e32 v16, v16, v10
	v_lshrrev_b32_e32 v17, 16, v58
	v_lshrrev_b32_e32 v10, 16, v10
	;; [unrolled: 1-line block ×3, first 2 shown]
	v_min3_f16 v10, v17, v10, v18
	v_min3_f16 v10, v16, v11, v10
	v_cvt_f32_f16_e32 v10, v10
	v_max_f32_e32 v9, v9, v9
	s_and_b64 vcc, exec, s[0:1]
	v_min_f32_e32 v9, v9, v10
	v_cvt_f16_f32_e32 v9, v9
	v_lshl_add_u64 v[10:11], v[34:35], 1, v[14:15]
	global_store_short v[10:11], v9, off
	s_cbranch_vccnz .LBB278_169
; %bb.168:
	v_lshl_add_u64 v[8:9], v[36:37], 1, v[12:13]
	global_load_ushort v8, v[8:9], off
	s_waitcnt vmcnt(0)
	v_mul_f16_e32 v8, s24, v8
	v_cvt_f32_f16_e32 v8, v8
.LBB278_169:
	v_pk_add_f16 v4, v4, v26
	v_max_f16_e32 v9, v56, v56
	v_pk_add_f16 v5, v5, v27
	v_min_f16_e32 v9, v9, v4
	v_lshrrev_b32_e32 v10, 16, v56
	v_lshrrev_b32_e32 v4, 16, v4
	;; [unrolled: 1-line block ×3, first 2 shown]
	v_min3_f16 v4, v10, v4, v11
	v_min3_f16 v4, v9, v5, v4
	v_cvt_f32_f16_e32 v4, v4
	v_max_f32_e32 v5, v8, v8
	s_and_b64 vcc, exec, s[0:1]
	v_min_f32_e32 v4, v5, v4
	v_cvt_f16_f32_e32 v8, v4
	v_lshl_add_u64 v[4:5], v[36:37], 1, v[14:15]
	global_store_short v[4:5], v8, off
	v_mov_b32_e32 v4, 0
	v_mov_b32_e32 v5, 0
	s_cbranch_vccnz .LBB278_171
; %bb.170:
	v_lshl_add_u64 v[8:9], v[40:41], 1, v[12:13]
	global_load_ushort v5, v[8:9], off
	s_waitcnt vmcnt(0)
	v_mul_f16_e32 v5, s24, v5
	v_cvt_f32_f16_e32 v5, v5
.LBB278_171:
	v_pk_add_f16 v6, v6, v26
	v_max_f16_e32 v8, v54, v54
	v_pk_add_f16 v7, v7, v27
	v_min_f16_e32 v8, v8, v6
	v_lshrrev_b32_e32 v9, 16, v54
	v_lshrrev_b32_e32 v6, 16, v6
	;; [unrolled: 1-line block ×3, first 2 shown]
	v_min3_f16 v6, v9, v6, v10
	v_min3_f16 v6, v8, v7, v6
	v_cvt_f32_f16_e32 v6, v6
	v_max_f32_e32 v5, v5, v5
	s_and_b64 vcc, exec, s[0:1]
	v_min_f32_e32 v5, v5, v6
	v_cvt_f16_f32_e32 v5, v5
	v_lshl_add_u64 v[6:7], v[40:41], 1, v[14:15]
	global_store_short v[6:7], v5, off
	s_cbranch_vccnz .LBB278_173
; %bb.172:
	v_lshl_add_u64 v[4:5], v[38:39], 1, v[12:13]
	global_load_ushort v4, v[4:5], off
	s_waitcnt vmcnt(0)
	v_mul_f16_e32 v4, s24, v4
	v_cvt_f32_f16_e32 v4, v4
.LBB278_173:
	v_pk_add_f16 v0, v0, v26
	v_max_f16_e32 v5, v52, v52
	v_pk_add_f16 v1, v1, v27
	v_min_f16_e32 v5, v5, v0
	v_lshrrev_b32_e32 v6, 16, v52
	v_lshrrev_b32_e32 v0, 16, v0
	;; [unrolled: 1-line block ×3, first 2 shown]
	v_min3_f16 v0, v6, v0, v7
	v_min3_f16 v0, v5, v1, v0
	v_cvt_f32_f16_e32 v0, v0
	v_max_f32_e32 v4, v4, v4
	v_pk_add_f16 v1, v2, v26
	v_max_f16_e32 v2, v53, v53
	v_min_f32_e32 v0, v4, v0
	v_cvt_f16_f32_e32 v4, v0
	v_pk_add_f16 v3, v3, v27
	v_min_f16_e32 v2, v2, v1
	v_lshrrev_b32_e32 v5, 16, v53
	v_lshrrev_b32_e32 v1, 16, v1
	v_lshrrev_b32_e32 v0, 16, v3
	v_min3_f16 v5, v5, v1, v0
	v_lshl_add_u64 v[0:1], v[38:39], 1, v[14:15]
	global_store_short v[0:1], v4, off
	v_min3_f16 v0, v2, v3, v5
	s_mov_b64 s[0:1], -1
	s_mov_b64 vcc, s[8:9]
	s_cbranch_vccz .LBB278_175
; %bb.174:
	v_cvt_f32_f16_e32 v1, v0
	v_lshl_add_u64 v[2:3], v[42:43], 1, v[14:15]
	s_mov_b64 s[0:1], 0
	v_min_f32_e32 v1, 0, v1
	v_cvt_f16_f32_e32 v1, v1
	global_store_short v[2:3], v1, off
.LBB278_175:
	s_andn2_b64 vcc, exec, s[0:1]
	v_mov_b32_e32 v1, 0
	s_cbranch_vccnz .LBB278_177
; %bb.176:
	v_lshlrev_b64 v[2:3], 1, v[42:43]
	v_lshl_add_u64 v[4:5], v[12:13], 0, v[2:3]
	global_load_ushort v4, v[4:5], off
	v_max_f16_e32 v5, v0, v0
	v_lshl_add_u64 v[0:1], v[14:15], 0, v[2:3]
	s_waitcnt vmcnt(0)
	v_mul_f16_e32 v2, s24, v4
	v_min_f16_e32 v2, v2, v5
	global_store_short v[0:1], v2, off
	v_lshl_add_u64 v[0:1], v[44:45], 1, v[12:13]
	global_load_ushort v0, v[0:1], off
	s_waitcnt vmcnt(0)
	v_mul_f16_e32 v0, s24, v0
	v_cvt_f32_f16_e32 v1, v0
.LBB278_177:
	v_pk_add_f16 v0, v24, v26
	v_max_f16_e32 v2, v59, v59
	v_pk_add_f16 v3, v25, v27
	v_min_f16_e32 v2, v2, v0
	v_lshrrev_b32_e32 v4, 16, v59
	v_lshrrev_b32_e32 v0, 16, v0
	v_lshrrev_b32_e32 v5, 16, v3
	v_min3_f16 v0, v4, v0, v5
	v_min3_f16 v0, v2, v3, v0
	v_cvt_f32_f16_e32 v0, v0
	v_max_f32_e32 v1, v1, v1
	v_min_f32_e32 v0, v1, v0
	v_cvt_f16_f32_e32 v2, v0
	v_lshl_add_u64 v[0:1], v[44:45], 1, v[14:15]
	global_store_short v[0:1], v2, off
	s_endpgm
	.section	.rodata,"a",@progbits
	.p2align	6, 0x0
	.amdhsa_kernel _ZN12_GLOBAL__N_120geam_min_plus_kernelIDF16_Dv2_DF16_S1_Li8ELi32ELi64ELi256ELi4ELi4ELi64ELi64ELi4ELc84ELc84ELb0ELb0ELb1EDF16_KDF16_DF16_EEviiiT16_PT17_ilS5_ilS3_S5_ilPT18_ili26rocblas_geam_ex_operation_
		.amdhsa_group_segment_fixed_size 5120
		.amdhsa_private_segment_fixed_size 0
		.amdhsa_kernarg_size 128
		.amdhsa_user_sgpr_count 2
		.amdhsa_user_sgpr_dispatch_ptr 0
		.amdhsa_user_sgpr_queue_ptr 0
		.amdhsa_user_sgpr_kernarg_segment_ptr 1
		.amdhsa_user_sgpr_dispatch_id 0
		.amdhsa_user_sgpr_kernarg_preload_length 0
		.amdhsa_user_sgpr_kernarg_preload_offset 0
		.amdhsa_user_sgpr_private_segment_size 0
		.amdhsa_uses_dynamic_stack 0
		.amdhsa_enable_private_segment 0
		.amdhsa_system_sgpr_workgroup_id_x 1
		.amdhsa_system_sgpr_workgroup_id_y 0
		.amdhsa_system_sgpr_workgroup_id_z 1
		.amdhsa_system_sgpr_workgroup_info 0
		.amdhsa_system_vgpr_workitem_id 1
		.amdhsa_next_free_vgpr 141
		.amdhsa_next_free_sgpr 30
		.amdhsa_accum_offset 144
		.amdhsa_reserve_vcc 1
		.amdhsa_float_round_mode_32 0
		.amdhsa_float_round_mode_16_64 0
		.amdhsa_float_denorm_mode_32 3
		.amdhsa_float_denorm_mode_16_64 3
		.amdhsa_dx10_clamp 1
		.amdhsa_ieee_mode 1
		.amdhsa_fp16_overflow 0
		.amdhsa_tg_split 0
		.amdhsa_exception_fp_ieee_invalid_op 0
		.amdhsa_exception_fp_denorm_src 0
		.amdhsa_exception_fp_ieee_div_zero 0
		.amdhsa_exception_fp_ieee_overflow 0
		.amdhsa_exception_fp_ieee_underflow 0
		.amdhsa_exception_fp_ieee_inexact 0
		.amdhsa_exception_int_div_zero 0
	.end_amdhsa_kernel
	.section	.text._ZN12_GLOBAL__N_120geam_min_plus_kernelIDF16_Dv2_DF16_S1_Li8ELi32ELi64ELi256ELi4ELi4ELi64ELi64ELi4ELc84ELc84ELb0ELb0ELb1EDF16_KDF16_DF16_EEviiiT16_PT17_ilS5_ilS3_S5_ilPT18_ili26rocblas_geam_ex_operation_,"axG",@progbits,_ZN12_GLOBAL__N_120geam_min_plus_kernelIDF16_Dv2_DF16_S1_Li8ELi32ELi64ELi256ELi4ELi4ELi64ELi64ELi4ELc84ELc84ELb0ELb0ELb1EDF16_KDF16_DF16_EEviiiT16_PT17_ilS5_ilS3_S5_ilPT18_ili26rocblas_geam_ex_operation_,comdat
.Lfunc_end278:
	.size	_ZN12_GLOBAL__N_120geam_min_plus_kernelIDF16_Dv2_DF16_S1_Li8ELi32ELi64ELi256ELi4ELi4ELi64ELi64ELi4ELc84ELc84ELb0ELb0ELb1EDF16_KDF16_DF16_EEviiiT16_PT17_ilS5_ilS3_S5_ilPT18_ili26rocblas_geam_ex_operation_, .Lfunc_end278-_ZN12_GLOBAL__N_120geam_min_plus_kernelIDF16_Dv2_DF16_S1_Li8ELi32ELi64ELi256ELi4ELi4ELi64ELi64ELi4ELc84ELc84ELb0ELb0ELb1EDF16_KDF16_DF16_EEviiiT16_PT17_ilS5_ilS3_S5_ilPT18_ili26rocblas_geam_ex_operation_
                                        ; -- End function
	.set _ZN12_GLOBAL__N_120geam_min_plus_kernelIDF16_Dv2_DF16_S1_Li8ELi32ELi64ELi256ELi4ELi4ELi64ELi64ELi4ELc84ELc84ELb0ELb0ELb1EDF16_KDF16_DF16_EEviiiT16_PT17_ilS5_ilS3_S5_ilPT18_ili26rocblas_geam_ex_operation_.num_vgpr, 141
	.set _ZN12_GLOBAL__N_120geam_min_plus_kernelIDF16_Dv2_DF16_S1_Li8ELi32ELi64ELi256ELi4ELi4ELi64ELi64ELi4ELc84ELc84ELb0ELb0ELb1EDF16_KDF16_DF16_EEviiiT16_PT17_ilS5_ilS3_S5_ilPT18_ili26rocblas_geam_ex_operation_.num_agpr, 0
	.set _ZN12_GLOBAL__N_120geam_min_plus_kernelIDF16_Dv2_DF16_S1_Li8ELi32ELi64ELi256ELi4ELi4ELi64ELi64ELi4ELc84ELc84ELb0ELb0ELb1EDF16_KDF16_DF16_EEviiiT16_PT17_ilS5_ilS3_S5_ilPT18_ili26rocblas_geam_ex_operation_.numbered_sgpr, 30
	.set _ZN12_GLOBAL__N_120geam_min_plus_kernelIDF16_Dv2_DF16_S1_Li8ELi32ELi64ELi256ELi4ELi4ELi64ELi64ELi4ELc84ELc84ELb0ELb0ELb1EDF16_KDF16_DF16_EEviiiT16_PT17_ilS5_ilS3_S5_ilPT18_ili26rocblas_geam_ex_operation_.num_named_barrier, 0
	.set _ZN12_GLOBAL__N_120geam_min_plus_kernelIDF16_Dv2_DF16_S1_Li8ELi32ELi64ELi256ELi4ELi4ELi64ELi64ELi4ELc84ELc84ELb0ELb0ELb1EDF16_KDF16_DF16_EEviiiT16_PT17_ilS5_ilS3_S5_ilPT18_ili26rocblas_geam_ex_operation_.private_seg_size, 0
	.set _ZN12_GLOBAL__N_120geam_min_plus_kernelIDF16_Dv2_DF16_S1_Li8ELi32ELi64ELi256ELi4ELi4ELi64ELi64ELi4ELc84ELc84ELb0ELb0ELb1EDF16_KDF16_DF16_EEviiiT16_PT17_ilS5_ilS3_S5_ilPT18_ili26rocblas_geam_ex_operation_.uses_vcc, 1
	.set _ZN12_GLOBAL__N_120geam_min_plus_kernelIDF16_Dv2_DF16_S1_Li8ELi32ELi64ELi256ELi4ELi4ELi64ELi64ELi4ELc84ELc84ELb0ELb0ELb1EDF16_KDF16_DF16_EEviiiT16_PT17_ilS5_ilS3_S5_ilPT18_ili26rocblas_geam_ex_operation_.uses_flat_scratch, 0
	.set _ZN12_GLOBAL__N_120geam_min_plus_kernelIDF16_Dv2_DF16_S1_Li8ELi32ELi64ELi256ELi4ELi4ELi64ELi64ELi4ELc84ELc84ELb0ELb0ELb1EDF16_KDF16_DF16_EEviiiT16_PT17_ilS5_ilS3_S5_ilPT18_ili26rocblas_geam_ex_operation_.has_dyn_sized_stack, 0
	.set _ZN12_GLOBAL__N_120geam_min_plus_kernelIDF16_Dv2_DF16_S1_Li8ELi32ELi64ELi256ELi4ELi4ELi64ELi64ELi4ELc84ELc84ELb0ELb0ELb1EDF16_KDF16_DF16_EEviiiT16_PT17_ilS5_ilS3_S5_ilPT18_ili26rocblas_geam_ex_operation_.has_recursion, 0
	.set _ZN12_GLOBAL__N_120geam_min_plus_kernelIDF16_Dv2_DF16_S1_Li8ELi32ELi64ELi256ELi4ELi4ELi64ELi64ELi4ELc84ELc84ELb0ELb0ELb1EDF16_KDF16_DF16_EEviiiT16_PT17_ilS5_ilS3_S5_ilPT18_ili26rocblas_geam_ex_operation_.has_indirect_call, 0
	.section	.AMDGPU.csdata,"",@progbits
; Kernel info:
; codeLenInByte = 18184
; TotalNumSgprs: 36
; NumVgprs: 141
; NumAgprs: 0
; TotalNumVgprs: 141
; ScratchSize: 0
; MemoryBound: 0
; FloatMode: 240
; IeeeMode: 1
; LDSByteSize: 5120 bytes/workgroup (compile time only)
; SGPRBlocks: 4
; VGPRBlocks: 17
; NumSGPRsForWavesPerEU: 36
; NumVGPRsForWavesPerEU: 141
; AccumOffset: 144
; Occupancy: 3
; WaveLimiterHint : 1
; COMPUTE_PGM_RSRC2:SCRATCH_EN: 0
; COMPUTE_PGM_RSRC2:USER_SGPR: 2
; COMPUTE_PGM_RSRC2:TRAP_HANDLER: 0
; COMPUTE_PGM_RSRC2:TGID_X_EN: 1
; COMPUTE_PGM_RSRC2:TGID_Y_EN: 0
; COMPUTE_PGM_RSRC2:TGID_Z_EN: 1
; COMPUTE_PGM_RSRC2:TIDIG_COMP_CNT: 1
; COMPUTE_PGM_RSRC3_GFX90A:ACCUM_OFFSET: 35
; COMPUTE_PGM_RSRC3_GFX90A:TG_SPLIT: 0
	.section	.text._ZN12_GLOBAL__N_120geam_min_plus_kernelIDF16_Dv2_DF16_S1_Li8ELi32ELi64ELi256ELi4ELi4ELi64ELi64ELi4ELc84ELc84ELb0ELb1ELb1EPKDF16_S2_DF16_EEviiiT16_PT17_ilS6_ilS4_S6_ilPT18_ili26rocblas_geam_ex_operation_,"axG",@progbits,_ZN12_GLOBAL__N_120geam_min_plus_kernelIDF16_Dv2_DF16_S1_Li8ELi32ELi64ELi256ELi4ELi4ELi64ELi64ELi4ELc84ELc84ELb0ELb1ELb1EPKDF16_S2_DF16_EEviiiT16_PT17_ilS6_ilS4_S6_ilPT18_ili26rocblas_geam_ex_operation_,comdat
	.globl	_ZN12_GLOBAL__N_120geam_min_plus_kernelIDF16_Dv2_DF16_S1_Li8ELi32ELi64ELi256ELi4ELi4ELi64ELi64ELi4ELc84ELc84ELb0ELb1ELb1EPKDF16_S2_DF16_EEviiiT16_PT17_ilS6_ilS4_S6_ilPT18_ili26rocblas_geam_ex_operation_ ; -- Begin function _ZN12_GLOBAL__N_120geam_min_plus_kernelIDF16_Dv2_DF16_S1_Li8ELi32ELi64ELi256ELi4ELi4ELi64ELi64ELi4ELc84ELc84ELb0ELb1ELb1EPKDF16_S2_DF16_EEviiiT16_PT17_ilS6_ilS4_S6_ilPT18_ili26rocblas_geam_ex_operation_
	.p2align	8
	.type	_ZN12_GLOBAL__N_120geam_min_plus_kernelIDF16_Dv2_DF16_S1_Li8ELi32ELi64ELi256ELi4ELi4ELi64ELi64ELi4ELc84ELc84ELb0ELb1ELb1EPKDF16_S2_DF16_EEviiiT16_PT17_ilS6_ilS4_S6_ilPT18_ili26rocblas_geam_ex_operation_,@function
_ZN12_GLOBAL__N_120geam_min_plus_kernelIDF16_Dv2_DF16_S1_Li8ELi32ELi64ELi256ELi4ELi4ELi64ELi64ELi4ELc84ELc84ELb0ELb1ELb1EPKDF16_S2_DF16_EEviiiT16_PT17_ilS6_ilS4_S6_ilPT18_ili26rocblas_geam_ex_operation_: ; @_ZN12_GLOBAL__N_120geam_min_plus_kernelIDF16_Dv2_DF16_S1_Li8ELi32ELi64ELi256ELi4ELi4ELi64ELi64ELi4ELc84ELc84ELb0ELb1ELb1EPKDF16_S2_DF16_EEviiiT16_PT17_ilS6_ilS4_S6_ilPT18_ili26rocblas_geam_ex_operation_
; %bb.0:
	s_load_dwordx4 s[4:7], s[0:1], 0x10
	s_load_dwordx4 s[8:11], s[0:1], 0x28
	;; [unrolled: 1-line block ×3, first 2 shown]
	s_mov_b32 s18, s3
	s_mov_b32 s19, 0
	s_lshl_b64 s[16:17], s[18:19], 1
	s_waitcnt lgkmcnt(0)
	s_add_u32 s4, s4, s16
	s_addc_u32 s5, s5, s17
	v_mov_b32_e32 v1, 0
	global_load_ushort v46, v1, s[4:5]
	s_add_u32 s4, s14, s16
	s_addc_u32 s5, s15, s17
	global_load_ushort v52, v1, s[4:5]
	s_load_dwordx2 s[20:21], s[0:1], 0x50
	s_mov_b64 s[28:29], 0
	s_mov_b64 s[30:31], 0
	s_waitcnt vmcnt(1)
	v_cmp_eq_f16_e32 vcc, 0, v46
	v_cmp_neq_f16_e64 s[4:5], 0, v46
	s_cbranch_vccnz .LBB279_2
; %bb.1:
	s_mul_i32 s3, s9, s18
	s_mul_hi_u32 s9, s8, s18
	s_add_i32 s9, s9, s3
	s_mul_i32 s8, s8, s18
	s_lshl_b64 s[8:9], s[8:9], 1
	s_add_u32 s30, s6, s8
	s_addc_u32 s31, s7, s9
.LBB279_2:
	s_andn2_b64 vcc, exec, s[4:5]
	s_cbranch_vccnz .LBB279_4
; %bb.3:
	s_mul_i32 s3, s13, s18
	s_mul_hi_u32 s4, s12, s18
	s_add_i32 s5, s4, s3
	s_mul_i32 s4, s12, s18
	s_lshl_b64 s[4:5], s[4:5], 1
	s_add_u32 s28, s10, s4
	s_addc_u32 s29, s11, s5
.LBB279_4:
	s_load_dwordx4 s[24:27], s[0:1], 0x60
	s_waitcnt vmcnt(0)
	v_cmp_eq_f16_e32 vcc, 0, v52
	v_cmp_neq_f16_e64 s[16:17], 0, v52
	s_cbranch_vccnz .LBB279_6
; %bb.5:
	s_waitcnt lgkmcnt(0)
	s_mul_i32 s3, s25, s18
	s_mul_hi_u32 s4, s24, s18
	s_add_i32 s5, s4, s3
	s_mul_i32 s4, s24, s18
	s_lshl_b64 s[4:5], s[4:5], 1
	s_add_u32 s24, s20, s4
	s_addc_u32 s25, s21, s5
	s_branch .LBB279_7
.LBB279_6:
	s_waitcnt lgkmcnt(0)
	s_mov_b64 s[24:25], 0
.LBB279_7:
	s_load_dwordx4 s[20:23], s[0:1], 0x0
	s_load_dword s36, s[0:1], 0x20
	v_and_b32_e32 v44, 0x3ff, v0
	v_bfe_u32 v45, v0, 10, 10
	v_and_b32_e32 v47, 3, v0
	s_waitcnt lgkmcnt(0)
	s_add_i32 s3, s20, -1
	s_ashr_i32 s4, s3, 31
	s_lshr_b32 s4, s4, 26
	s_add_i32 s3, s3, s4
	s_ashr_i32 s3, s3, 6
	s_add_i32 s6, s3, 1
	v_cvt_f32_u32_e32 v1, s6
	s_not_b32 s3, s3
	v_lshl_add_u32 v0, v45, 3, v44
	v_lshrrev_b32_e32 v2, 2, v0
	v_rcp_iflag_f32_e32 v1, v1
	v_cmp_le_i32_e64 s[4:5], s22, v47
                                        ; implicit-def: $vgpr3
	v_mul_f32_e32 v1, 0x4f7ffffe, v1
	v_cvt_u32_f32_e32 v1, v1
	s_nop 0
	v_readfirstlane_b32 s7, v1
	s_mul_i32 s3, s3, s7
	s_mul_hi_u32 s3, s7, s3
	s_add_i32 s7, s7, s3
	s_mul_hi_u32 s3, s2, s7
	s_mul_i32 s7, s3, s6
	s_sub_i32 s7, s2, s7
	s_add_i32 s8, s3, 1
	s_sub_i32 s9, s7, s6
	s_cmp_ge_u32 s7, s6
	s_cselect_b32 s3, s8, s3
	s_cselect_b32 s7, s9, s7
	s_add_i32 s8, s3, 1
	s_cmp_ge_u32 s7, s6
	s_cselect_b32 s8, s8, s3
	s_mul_i32 s3, s8, s6
	s_sub_i32 s2, s2, s3
	s_lshl_b32 s19, s2, 6
	v_add_u32_e32 v28, s19, v2
	v_cmp_le_i32_e32 vcc, s20, v28
	s_or_b64 s[6:7], s[4:5], vcc
	v_cmp_eq_f16_e64 s[4:5], 0, v46
	s_nor_b64 s[2:3], s[4:5], s[6:7]
                                        ; implicit-def: $sgpr9
	s_and_saveexec_b64 s[10:11], s[2:3]
	s_xor_b64 s[2:3], exec, s[10:11]
	s_cbranch_execz .LBB279_9
; %bb.8:
	s_add_i32 s9, s22, -1
	v_mad_i64_i32 v[4:5], s[10:11], v28, s36, 0
	v_min_u32_e32 v1, s9, v47
	v_lshl_add_u64 v[4:5], v[4:5], 1, s[30:31]
	v_lshlrev_b32_e32 v6, 1, v1
	v_mov_b32_e32 v7, 0
	v_lshl_add_u64 v[4:5], v[4:5], 0, v[6:7]
	global_load_ushort v1, v[4:5], off
	s_waitcnt vmcnt(0)
	v_mul_f16_e32 v3, v46, v1
.LBB279_9:
	s_or_saveexec_b64 s[2:3], s[2:3]
	v_mov_b32_e32 v1, s9
	s_xor_b64 exec, exec, s[2:3]
; %bb.10:
	v_mov_b32_e32 v1, 0x7c00
	v_cndmask_b32_e64 v3, 0, v1, s[6:7]
	s_add_i32 s6, s22, -1
	v_mov_b32_e32 v1, s6
; %bb.11:
	s_or_b64 exec, exec, s[2:3]
	s_load_dword s23, s[0:1], 0x38
	v_and_b32_e32 v4, 63, v0
	v_lshrrev_b32_e32 v48, 6, v0
	s_lshl_b32 s33, s8, 8
	v_or_b32_e32 v32, s33, v4
	v_min_i32_e32 v0, v48, v1
	v_cmp_le_i32_e64 s[14:15], s22, v48
	s_waitcnt lgkmcnt(0)
	v_mad_i64_i32 v[0:1], s[2:3], v0, s23, 0
	v_cmp_le_i32_e64 s[6:7], s21, v32
	v_mov_b32_e32 v6, 0x7c00
	s_or_b64 s[2:3], s[6:7], s[14:15]
	v_lshl_add_u64 v[0:1], v[0:1], 1, s[28:29]
	v_cndmask_b32_e64 v5, 0, v6, s[2:3]
	s_nor_b64 s[8:9], s[4:5], s[2:3]
	v_ashrrev_i32_e32 v33, 31, v32
	s_and_saveexec_b64 s[2:3], s[8:9]
	s_cbranch_execz .LBB279_13
; %bb.12:
	v_lshl_add_u64 v[8:9], v[32:33], 1, v[0:1]
	global_load_ushort v5, v[8:9], off
	s_waitcnt vmcnt(0)
	v_mul_f16_e32 v5, v46, v5
.LBB279_13:
	s_or_b64 exec, exec, s[2:3]
	v_or_b32_e32 v7, 64, v32
	s_add_i32 s34, s21, -1
	v_cmp_le_i32_e64 s[8:9], s21, v7
	v_min_i32_e32 v34, s34, v7
	s_or_b64 s[2:3], s[8:9], s[14:15]
	v_cndmask_b32_e64 v6, 0, v6, s[2:3]
	s_nor_b64 s[10:11], s[2:3], s[4:5]
	v_ashrrev_i32_e32 v35, 31, v34
	s_and_saveexec_b64 s[2:3], s[10:11]
	s_cbranch_execz .LBB279_15
; %bb.14:
	v_lshl_add_u64 v[6:7], v[34:35], 1, v[0:1]
	global_load_ushort v6, v[6:7], off
	s_waitcnt vmcnt(0)
	v_mul_f16_e32 v6, v46, v6
.LBB279_15:
	s_or_b64 exec, exec, s[2:3]
	v_or_b32_e32 v7, 0x80, v32
	v_cmp_le_i32_e64 s[10:11], s21, v7
	v_min_i32_e32 v36, s34, v7
	v_mov_b32_e32 v8, 0x7c00
	s_or_b64 s[2:3], s[10:11], s[14:15]
	v_cndmask_b32_e64 v7, 0, v8, s[2:3]
	s_nor_b64 s[12:13], s[2:3], s[4:5]
	v_ashrrev_i32_e32 v37, 31, v36
	s_and_saveexec_b64 s[2:3], s[12:13]
	s_cbranch_execz .LBB279_17
; %bb.16:
	v_lshl_add_u64 v[10:11], v[36:37], 1, v[0:1]
	global_load_ushort v7, v[10:11], off
	s_waitcnt vmcnt(0)
	v_mul_f16_e32 v7, v46, v7
.LBB279_17:
	s_or_b64 exec, exec, s[2:3]
	v_or_b32_e32 v9, 0xc0, v32
	v_cmp_le_i32_e64 s[12:13], s21, v9
	v_min_i32_e32 v38, s34, v9
	s_or_b64 s[2:3], s[12:13], s[14:15]
	v_cndmask_b32_e64 v8, 0, v8, s[2:3]
	s_nor_b64 s[14:15], s[2:3], s[4:5]
	v_ashrrev_i32_e32 v39, 31, v38
	s_and_saveexec_b64 s[2:3], s[14:15]
	s_cbranch_execz .LBB279_19
; %bb.18:
	v_lshl_add_u64 v[0:1], v[38:39], 1, v[0:1]
	global_load_ushort v0, v[0:1], off
	s_waitcnt vmcnt(0)
	v_mul_f16_e32 v8, v46, v0
.LBB279_19:
	s_or_b64 exec, exec, s[2:3]
	v_or_b32_e32 v0, 4, v47
	v_cmp_le_i32_e64 s[2:3], s22, v0
	s_or_b64 s[14:15], s[2:3], vcc
	s_nor_b64 s[2:3], s[4:5], s[14:15]
                                        ; implicit-def: $vgpr29
                                        ; implicit-def: $sgpr34
	s_and_saveexec_b64 s[38:39], s[2:3]
	s_xor_b64 s[2:3], exec, s[38:39]
	s_cbranch_execz .LBB279_21
; %bb.20:
	v_mad_i64_i32 v[10:11], s[34:35], v28, s36, 0
	s_add_i32 s34, s22, -1
	s_nop 0
	v_min_u32_e32 v0, s34, v0
	v_lshl_add_u64 v[10:11], v[10:11], 1, s[30:31]
	v_lshlrev_b32_e32 v0, 1, v0
	v_mov_b32_e32 v1, 0
	v_lshl_add_u64 v[0:1], v[10:11], 0, v[0:1]
	global_load_ushort v0, v[0:1], off
	s_waitcnt vmcnt(0)
	v_mul_f16_e32 v29, v46, v0
.LBB279_21:
	s_or_saveexec_b64 s[2:3], s[2:3]
	v_mov_b32_e32 v0, s34
	s_xor_b64 exec, exec, s[2:3]
; %bb.22:
	v_mov_b32_e32 v0, 0x7c00
	v_cndmask_b32_e64 v29, 0, v0, s[14:15]
	s_add_i32 s14, s22, -1
	v_mov_b32_e32 v0, s14
; %bb.23:
	s_or_b64 exec, exec, s[2:3]
	v_add_u32_e32 v1, 4, v48
	v_min_i32_e32 v0, v1, v0
	v_cmp_le_i32_e64 s[14:15], s22, v1
	v_mad_i64_i32 v[0:1], s[2:3], v0, s23, 0
	v_mov_b32_e32 v9, 0x7c00
	s_or_b64 s[2:3], s[6:7], s[14:15]
	v_lshl_add_u64 v[0:1], v[0:1], 1, s[28:29]
	v_cndmask_b32_e64 v30, 0, v9, s[2:3]
	s_nor_b64 s[34:35], s[4:5], s[2:3]
	s_and_saveexec_b64 s[2:3], s[34:35]
	s_cbranch_execz .LBB279_25
; %bb.24:
	v_lshl_add_u64 v[10:11], v[32:33], 1, v[0:1]
	global_load_ushort v10, v[10:11], off
	s_waitcnt vmcnt(0)
	v_mul_f16_e32 v30, v46, v10
.LBB279_25:
	s_or_b64 exec, exec, s[2:3]
	s_or_b64 s[2:3], s[8:9], s[14:15]
	v_cndmask_b32_e64 v31, 0, v9, s[2:3]
	s_nor_b64 s[34:35], s[2:3], s[4:5]
	s_and_saveexec_b64 s[2:3], s[34:35]
	s_cbranch_execz .LBB279_27
; %bb.26:
	v_lshl_add_u64 v[10:11], v[34:35], 1, v[0:1]
	global_load_ushort v9, v[10:11], off
	s_waitcnt vmcnt(0)
	v_mul_f16_e32 v31, v46, v9
.LBB279_27:
	s_or_b64 exec, exec, s[2:3]
	v_mov_b32_e32 v9, 0x7c00
	s_or_b64 s[2:3], s[10:11], s[14:15]
	v_cndmask_b32_e64 v40, 0, v9, s[2:3]
	s_nor_b64 s[34:35], s[2:3], s[4:5]
	s_and_saveexec_b64 s[2:3], s[34:35]
	s_cbranch_execz .LBB279_29
; %bb.28:
	v_lshl_add_u64 v[10:11], v[36:37], 1, v[0:1]
	global_load_ushort v10, v[10:11], off
	s_waitcnt vmcnt(0)
	v_mul_f16_e32 v40, v46, v10
.LBB279_29:
	s_or_b64 exec, exec, s[2:3]
	s_or_b64 s[2:3], s[12:13], s[14:15]
	v_cndmask_b32_e64 v41, 0, v9, s[2:3]
	s_nor_b64 s[34:35], s[2:3], s[4:5]
	s_movk_i32 s14, 0x7c00
	s_and_saveexec_b64 s[2:3], s[34:35]
	s_cbranch_execz .LBB279_31
; %bb.30:
	v_lshl_add_u64 v[0:1], v[38:39], 1, v[0:1]
	global_load_ushort v0, v[0:1], off
	s_waitcnt vmcnt(0)
	v_mul_f16_e32 v41, v46, v0
.LBB279_31:
	s_or_b64 exec, exec, s[2:3]
	v_lshlrev_b32_e32 v0, 1, v47
	v_lshl_or_b32 v42, v2, 3, v0
	v_lshlrev_b32_e32 v0, 3, v4
	v_lshlrev_b32_e32 v50, 3, v44
	v_lshl_add_u32 v51, v48, 1, v0
	v_add_u32_e32 v93, 0x1000, v50
	ds_write_b16 v42, v3 offset:4096
	ds_write_b16 v51, v5
	ds_write_b16 v51, v6 offset:512
	ds_write_b16 v51, v7 offset:1024
	;; [unrolled: 1-line block ×3, first 2 shown]
	s_waitcnt lgkmcnt(0)
	s_barrier
	v_lshlrev_b32_e32 v49, 3, v45
	ds_read2_b64 v[16:19], v93 offset1:8
	ds_read2_b64 v[12:15], v93 offset0:16 offset1:24
	ds_read2_b64 v[4:7], v93 offset0:32 offset1:40
	ds_read2_b64 v[54:57], v49 offset1:32
	ds_read2_b64 v[0:3], v93 offset0:48 offset1:56
	ds_read2_b64 v[24:27], v49 offset0:64 offset1:96
	ds_read2_b64 v[20:23], v49 offset0:128 offset1:160
	ds_read2_b64 v[8:11], v49 offset0:192 offset1:224
	s_waitcnt lgkmcnt(4)
	v_pk_add_f16 v43, v16, v54
	v_pk_add_f16 v53, v18, v54
	;; [unrolled: 1-line block ×6, first 2 shown]
	s_waitcnt lgkmcnt(3)
	v_pk_add_f16 v62, v0, v54
	v_pk_add_f16 v54, v2, v54
	v_pk_add_f16 v63, v16, v56
	v_pk_add_f16 v64, v18, v56
	v_pk_add_f16 v65, v12, v56
	v_pk_add_f16 v66, v14, v56
	v_pk_add_f16 v67, v4, v56
	v_pk_add_f16 v68, v6, v56
	v_pk_add_f16 v69, v0, v56
	v_pk_add_f16 v56, v2, v56
	s_waitcnt lgkmcnt(2)
	v_pk_add_f16 v70, v16, v24
	v_pk_add_f16 v71, v18, v24
	v_pk_add_f16 v72, v12, v24
	v_pk_add_f16 v73, v14, v24
	v_pk_add_f16 v74, v4, v24
	v_pk_add_f16 v75, v6, v24
	v_pk_add_f16 v76, v0, v24
	v_pk_add_f16 v24, v2, v24
	v_pk_add_f16 v77, v16, v26
	v_pk_add_f16 v78, v18, v26
	v_pk_add_f16 v79, v12, v26
	v_pk_add_f16 v80, v14, v26
	v_pk_add_f16 v81, v4, v26
	v_pk_add_f16 v82, v6, v26
	v_pk_add_f16 v83, v0, v26
	v_pk_add_f16 v26, v2, v26
	s_waitcnt lgkmcnt(1)
	v_pk_add_f16 v84, v16, v20
	v_pk_add_f16 v118, v18, v20
	v_pk_add_f16 v119, v12, v20
	v_pk_add_f16 v120, v14, v20
	v_pk_add_f16 v121, v4, v20
	v_pk_add_f16 v122, v6, v20
	;; [unrolled: 17-line block ×3, first 2 shown]
	v_pk_add_f16 v137, v0, v8
	v_pk_add_f16 v8, v2, v8
	;; [unrolled: 1-line block ×11, first 2 shown]
	v_pk_min_f16 v10, v43, s14 op_sel_hi:[1,0]
	v_pk_min_f16 v8, v8, s14 op_sel_hi:[1,0]
	v_pk_min_f16 v117, v10, v2
	v_pk_add_f16 v2, v19, v55
	v_pk_min_f16 v10, v53, s14 op_sel_hi:[1,0]
	v_pk_min_f16 v4, v4, s14 op_sel_hi:[1,0]
	v_pk_min_f16 v116, v10, v2
	v_pk_add_f16 v2, v13, v55
	;; [unrolled: 4-line block ×3, first 2 shown]
	v_pk_min_f16 v10, v59, s14 op_sel_hi:[1,0]
	s_cmp_lt_i32 s22, 9
	v_pk_min_f16 v114, v10, v2
	v_pk_add_f16 v2, v5, v55
	v_pk_min_f16 v10, v60, s14 op_sel_hi:[1,0]
	ds_write_b16 v42, v29 offset:4608
	ds_write_b16 v51, v30 offset:2048
	ds_write_b16 v51, v31 offset:2560
	ds_write_b16 v51, v40 offset:3072
	ds_write_b16 v51, v41 offset:3584
	v_pk_min_f16 v113, v10, v2
	v_pk_add_f16 v2, v7, v55
	v_pk_min_f16 v10, v61, s14 op_sel_hi:[1,0]
	s_waitcnt lgkmcnt(0)
	v_pk_min_f16 v112, v10, v2
	v_pk_add_f16 v2, v1, v55
	v_pk_min_f16 v10, v62, s14 op_sel_hi:[1,0]
	s_barrier
	v_pk_min_f16 v111, v10, v2
	v_pk_add_f16 v2, v3, v55
	v_pk_min_f16 v10, v54, s14 op_sel_hi:[1,0]
	s_nop 0
	v_pk_min_f16 v110, v10, v2
	v_pk_add_f16 v2, v17, v57
	v_pk_min_f16 v10, v63, s14 op_sel_hi:[1,0]
	s_nop 0
	v_pk_min_f16 v109, v10, v2
	v_pk_add_f16 v2, v19, v57
	v_pk_min_f16 v10, v64, s14 op_sel_hi:[1,0]
	s_nop 0
	v_pk_min_f16 v108, v10, v2
	v_pk_add_f16 v2, v13, v57
	v_pk_min_f16 v10, v65, s14 op_sel_hi:[1,0]
	s_nop 0
	v_pk_min_f16 v107, v10, v2
	v_pk_add_f16 v2, v15, v57
	v_pk_min_f16 v10, v66, s14 op_sel_hi:[1,0]
	s_nop 0
	v_pk_min_f16 v106, v10, v2
	v_pk_add_f16 v2, v5, v57
	v_pk_min_f16 v10, v67, s14 op_sel_hi:[1,0]
	s_nop 0
	v_pk_min_f16 v105, v10, v2
	v_pk_add_f16 v2, v7, v57
	v_pk_min_f16 v10, v68, s14 op_sel_hi:[1,0]
	s_nop 0
	v_pk_min_f16 v104, v10, v2
	v_pk_add_f16 v2, v1, v57
	v_pk_min_f16 v10, v69, s14 op_sel_hi:[1,0]
	s_nop 0
	v_pk_min_f16 v103, v10, v2
	v_pk_add_f16 v2, v3, v57
	v_pk_min_f16 v10, v56, s14 op_sel_hi:[1,0]
	s_nop 0
	v_pk_min_f16 v102, v10, v2
	v_pk_add_f16 v2, v17, v25
	v_pk_min_f16 v10, v70, s14 op_sel_hi:[1,0]
	s_nop 0
	v_pk_min_f16 v101, v10, v2
	v_pk_add_f16 v2, v19, v25
	v_pk_min_f16 v10, v71, s14 op_sel_hi:[1,0]
	s_nop 0
	v_pk_min_f16 v100, v10, v2
	v_pk_add_f16 v2, v13, v25
	v_pk_min_f16 v10, v72, s14 op_sel_hi:[1,0]
	s_nop 0
	v_pk_min_f16 v99, v10, v2
	v_pk_add_f16 v2, v15, v25
	v_pk_min_f16 v10, v73, s14 op_sel_hi:[1,0]
	s_nop 0
	v_pk_min_f16 v98, v10, v2
	v_pk_add_f16 v2, v5, v25
	v_pk_min_f16 v10, v74, s14 op_sel_hi:[1,0]
	s_nop 0
	v_pk_min_f16 v97, v10, v2
	v_pk_add_f16 v2, v7, v25
	v_pk_min_f16 v10, v75, s14 op_sel_hi:[1,0]
	s_nop 0
	v_pk_min_f16 v96, v10, v2
	v_pk_add_f16 v2, v1, v25
	v_pk_min_f16 v10, v76, s14 op_sel_hi:[1,0]
	s_nop 0
	v_pk_min_f16 v95, v10, v2
	v_pk_add_f16 v2, v3, v25
	v_pk_min_f16 v10, v24, s14 op_sel_hi:[1,0]
	s_nop 0
	v_pk_min_f16 v94, v10, v2
	v_pk_add_f16 v2, v17, v27
	v_pk_min_f16 v10, v77, s14 op_sel_hi:[1,0]
	s_nop 0
	v_pk_min_f16 v92, v10, v2
	v_pk_add_f16 v2, v19, v27
	v_pk_min_f16 v10, v78, s14 op_sel_hi:[1,0]
	s_nop 0
	v_pk_min_f16 v91, v10, v2
	v_pk_add_f16 v2, v13, v27
	v_pk_min_f16 v10, v79, s14 op_sel_hi:[1,0]
	s_nop 0
	v_pk_min_f16 v90, v10, v2
	v_pk_add_f16 v2, v15, v27
	v_pk_min_f16 v10, v80, s14 op_sel_hi:[1,0]
	s_nop 0
	v_pk_min_f16 v89, v10, v2
	v_pk_add_f16 v2, v5, v27
	v_pk_min_f16 v10, v81, s14 op_sel_hi:[1,0]
	s_nop 0
	v_pk_min_f16 v88, v10, v2
	v_pk_add_f16 v2, v7, v27
	v_pk_min_f16 v10, v82, s14 op_sel_hi:[1,0]
	s_nop 0
	v_pk_min_f16 v87, v10, v2
	v_pk_add_f16 v2, v1, v27
	v_pk_min_f16 v10, v83, s14 op_sel_hi:[1,0]
	s_nop 0
	v_pk_min_f16 v86, v10, v2
	v_pk_add_f16 v2, v3, v27
	v_pk_min_f16 v10, v26, s14 op_sel_hi:[1,0]
	s_nop 0
	v_pk_min_f16 v85, v10, v2
	v_pk_add_f16 v2, v17, v21
	v_pk_min_f16 v10, v84, s14 op_sel_hi:[1,0]
	s_nop 0
	v_pk_min_f16 v84, v10, v2
	v_pk_add_f16 v2, v19, v21
	v_pk_min_f16 v10, v118, s14 op_sel_hi:[1,0]
	s_nop 0
	v_pk_min_f16 v83, v10, v2
	v_pk_add_f16 v2, v13, v21
	v_pk_min_f16 v10, v119, s14 op_sel_hi:[1,0]
	s_nop 0
	v_pk_min_f16 v82, v10, v2
	v_pk_add_f16 v2, v15, v21
	v_pk_min_f16 v10, v120, s14 op_sel_hi:[1,0]
	s_nop 0
	v_pk_min_f16 v81, v10, v2
	v_pk_add_f16 v2, v5, v21
	v_pk_min_f16 v10, v121, s14 op_sel_hi:[1,0]
	s_nop 0
	v_pk_min_f16 v80, v10, v2
	v_pk_add_f16 v2, v7, v21
	v_pk_min_f16 v10, v122, s14 op_sel_hi:[1,0]
	s_nop 0
	v_pk_min_f16 v79, v10, v2
	v_pk_add_f16 v2, v1, v21
	v_pk_min_f16 v10, v123, s14 op_sel_hi:[1,0]
	s_nop 0
	v_pk_min_f16 v78, v10, v2
	v_pk_add_f16 v2, v3, v21
	v_pk_min_f16 v10, v20, s14 op_sel_hi:[1,0]
	s_nop 0
	v_pk_min_f16 v77, v10, v2
	v_pk_add_f16 v2, v17, v23
	v_pk_min_f16 v10, v124, s14 op_sel_hi:[1,0]
	s_nop 0
	v_pk_min_f16 v76, v10, v2
	v_pk_add_f16 v2, v19, v23
	v_pk_min_f16 v10, v125, s14 op_sel_hi:[1,0]
	s_nop 0
	v_pk_min_f16 v75, v10, v2
	v_pk_add_f16 v2, v13, v23
	v_pk_min_f16 v10, v126, s14 op_sel_hi:[1,0]
	s_nop 0
	v_pk_min_f16 v74, v10, v2
	v_pk_add_f16 v2, v15, v23
	v_pk_min_f16 v10, v127, s14 op_sel_hi:[1,0]
	s_nop 0
	v_pk_min_f16 v73, v10, v2
	v_pk_add_f16 v2, v5, v23
	v_pk_min_f16 v10, v128, s14 op_sel_hi:[1,0]
	s_nop 0
	v_pk_min_f16 v72, v10, v2
	v_pk_add_f16 v2, v7, v23
	v_pk_min_f16 v10, v129, s14 op_sel_hi:[1,0]
	s_nop 0
	v_pk_min_f16 v71, v10, v2
	v_pk_add_f16 v2, v1, v23
	v_pk_min_f16 v10, v130, s14 op_sel_hi:[1,0]
	s_nop 0
	v_pk_min_f16 v70, v10, v2
	v_pk_add_f16 v2, v3, v23
	v_pk_min_f16 v10, v22, s14 op_sel_hi:[1,0]
	s_nop 0
	v_pk_min_f16 v69, v10, v2
	v_pk_add_f16 v2, v17, v9
	v_pk_min_f16 v10, v131, s14 op_sel_hi:[1,0]
	s_nop 0
	v_pk_min_f16 v68, v10, v2
	v_pk_add_f16 v2, v19, v9
	v_pk_min_f16 v10, v132, s14 op_sel_hi:[1,0]
	s_nop 0
	v_pk_min_f16 v67, v10, v2
	v_pk_add_f16 v2, v13, v9
	v_pk_min_f16 v10, v133, s14 op_sel_hi:[1,0]
	s_nop 0
	v_pk_min_f16 v66, v10, v2
	v_pk_add_f16 v2, v15, v9
	v_pk_min_f16 v10, v134, s14 op_sel_hi:[1,0]
	s_nop 0
	v_pk_min_f16 v65, v10, v2
	v_pk_add_f16 v2, v5, v9
	v_pk_min_f16 v10, v135, s14 op_sel_hi:[1,0]
	s_nop 0
	v_pk_min_f16 v64, v10, v2
	v_pk_add_f16 v2, v7, v9
	v_pk_min_f16 v10, v136, s14 op_sel_hi:[1,0]
	s_nop 0
	v_pk_min_f16 v63, v10, v2
	v_pk_add_f16 v2, v1, v9
	v_pk_min_f16 v10, v137, s14 op_sel_hi:[1,0]
	v_pk_add_f16 v1, v1, v11
	v_pk_min_f16 v62, v10, v2
	v_pk_add_f16 v2, v3, v9
	s_nop 0
	v_pk_min_f16 v61, v8, v2
	v_pk_add_f16 v2, v17, v11
	v_pk_min_f16 v8, v16, s14 op_sel_hi:[1,0]
	s_nop 0
	v_pk_min_f16 v60, v8, v2
	v_pk_add_f16 v2, v19, v11
	v_pk_min_f16 v8, v18, s14 op_sel_hi:[1,0]
	;; [unrolled: 4-line block ×4, first 2 shown]
	s_nop 0
	v_pk_min_f16 v57, v8, v2
	v_pk_add_f16 v2, v5, v11
	s_nop 0
	v_pk_min_f16 v55, v4, v2
	v_pk_add_f16 v2, v7, v11
	v_pk_min_f16 v4, v6, s14 op_sel_hi:[1,0]
	s_nop 0
	v_pk_min_f16 v54, v4, v2
	v_pk_min_f16 v2, v138, s14 op_sel_hi:[1,0]
	s_nop 0
	v_pk_min_f16 v53, v2, v1
	v_pk_add_f16 v1, v3, v11
	s_nop 0
	v_pk_min_f16 v56, v0, v1
	s_cbranch_scc1 .LBB279_58
; %bb.32:
	v_mov_b32_e32 v0, 0x1200
	v_lshl_add_u32 v121, v44, 3, v0
	v_mov_b32_e32 v0, 0x800
	v_and_b32_e32 v2, 3, v44
	v_lshl_add_u32 v122, v45, 3, v0
	v_mad_i64_i32 v[0:1], s[2:3], s36, v28, 0
	v_lshlrev_b32_e32 v2, 1, v2
	v_mov_b32_e32 v3, 0
	v_lshl_add_u64 v[0:1], v[0:1], 1, v[2:3]
	v_lshl_add_u64 v[0:1], s[30:31], 0, v[0:1]
	v_add_u32_e32 v118, 0x1000, v42
	v_add_u32_e32 v119, 0x1200, v42
	;; [unrolled: 1-line block ×3, first 2 shown]
	s_add_i32 s34, s22, -8
	s_add_i32 s35, s22, -1
	v_lshl_add_u64 v[40:41], v[0:1], 0, 16
	s_mov_b32 s30, 0
	v_mov_b32_e32 v123, 0x7c00
	s_branch .LBB279_34
.LBB279_33:                             ;   in Loop: Header=BB279_34 Depth=1
	s_or_b64 exec, exec, s[2:3]
	v_pk_add_f16 v42, v12, v28
	v_pk_max_f16 v43, v117, v117
	v_pk_max_f16 v116, v116, v116
	v_pk_min_f16 v42, v43, v42
	v_pk_add_f16 v43, v14, v28
	v_pk_max_f16 v115, v115, v115
	v_pk_min_f16 v43, v116, v43
	v_pk_add_f16 v116, v8, v28
	v_pk_max_f16 v114, v114, v114
	v_pk_min_f16 v115, v115, v116
	v_pk_add_f16 v116, v10, v28
	v_pk_max_f16 v113, v113, v113
	v_pk_min_f16 v114, v114, v116
	v_pk_add_f16 v116, v4, v28
	v_pk_max_f16 v112, v112, v112
	v_pk_min_f16 v113, v113, v116
	v_pk_add_f16 v116, v6, v28
	v_pk_max_f16 v110, v110, v110
	v_pk_min_f16 v112, v112, v116
	v_pk_add_f16 v116, v0, v28
	v_pk_add_f16 v28, v2, v28
	v_pk_max_f16 v109, v109, v109
	v_pk_min_f16 v28, v110, v28
	v_pk_add_f16 v110, v12, v30
	v_pk_max_f16 v108, v108, v108
	v_pk_min_f16 v109, v109, v110
	v_pk_add_f16 v110, v14, v30
	v_pk_max_f16 v107, v107, v107
	v_pk_min_f16 v108, v108, v110
	v_pk_add_f16 v110, v8, v30
	v_pk_max_f16 v106, v106, v106
	v_pk_min_f16 v107, v107, v110
	v_pk_add_f16 v110, v10, v30
	v_pk_max_f16 v105, v105, v105
	v_pk_min_f16 v106, v106, v110
	v_pk_add_f16 v110, v4, v30
	v_pk_max_f16 v104, v104, v104
	v_pk_min_f16 v105, v105, v110
	v_pk_add_f16 v110, v6, v30
	v_pk_max_f16 v102, v102, v102
	v_pk_min_f16 v104, v104, v110
	v_pk_add_f16 v110, v0, v30
	v_pk_add_f16 v30, v2, v30
	v_pk_max_f16 v101, v101, v101
	v_pk_min_f16 v30, v102, v30
	v_pk_add_f16 v102, v12, v24
	;; [unrolled: 22-line block ×6, first 2 shown]
	v_pk_max_f16 v67, v67, v67
	v_pk_min_f16 v68, v68, v69
	v_pk_add_f16 v69, v14, v16
	v_pk_max_f16 v66, v66, v66
	v_pk_min_f16 v67, v67, v69
	v_pk_add_f16 v69, v8, v16
	v_pk_max_f16 v65, v65, v65
	v_pk_min_f16 v66, v66, v69
	v_pk_add_f16 v69, v10, v16
	v_pk_max_f16 v64, v64, v64
	v_pk_min_f16 v65, v65, v69
	v_pk_add_f16 v69, v4, v16
	v_pk_max_f16 v63, v63, v63
	v_pk_min_f16 v64, v64, v69
	v_pk_add_f16 v69, v6, v16
	v_pk_add_f16 v12, v12, v18
	v_pk_min_f16 v63, v63, v69
	v_pk_add_f16 v69, v0, v16
	v_pk_add_f16 v16, v2, v16
	;; [unrolled: 1-line block ×9, first 2 shown]
	v_pk_max_f16 v18, v56, v56
	v_pk_max_f16 v53, v53, v53
	v_pk_min_f16 v2, v18, v2
	v_pk_add_f16 v18, v13, v29
	v_pk_max_f16 v54, v54, v54
	v_pk_min_f16 v42, v42, v18
	v_pk_add_f16 v18, v15, v29
	v_pk_min_f16 v0, v53, v0
	v_pk_min_f16 v43, v43, v18
	v_pk_add_f16 v18, v9, v29
	v_pk_max_f16 v55, v55, v55
	v_pk_min_f16 v53, v115, v18
	v_pk_add_f16 v18, v11, v29
	v_pk_min_f16 v6, v54, v6
	v_pk_min_f16 v54, v114, v18
	v_pk_add_f16 v18, v5, v29
	v_pk_max_f16 v111, v111, v111
	v_pk_min_f16 v4, v55, v4
	v_pk_min_f16 v55, v113, v18
	v_pk_add_f16 v18, v7, v29
	v_pk_min_f16 v111, v111, v116
	v_pk_max_f16 v57, v57, v57
	v_pk_min_f16 v56, v112, v18
	v_pk_add_f16 v18, v1, v29
	v_pk_max_f16 v58, v58, v58
	v_pk_min_f16 v10, v57, v10
	v_pk_min_f16 v57, v111, v18
	v_pk_add_f16 v18, v3, v29
	v_pk_max_f16 v59, v59, v59
	v_pk_min_f16 v8, v58, v8
	;; [unrolled: 4-line block ×6, first 2 shown]
	v_pk_min_f16 v69, v106, v18
	v_pk_add_f16 v18, v5, v31
	v_pk_max_f16 v103, v103, v103
	v_pk_max_f16 v78, v78, v78
	v_pk_min_f16 v70, v70, v77
	v_pk_min_f16 v77, v105, v18
	v_pk_add_f16 v18, v7, v31
	v_pk_min_f16 v103, v103, v110
	v_pk_max_f16 v86, v86, v86
	v_pk_min_f16 v78, v78, v85
	v_pk_min_f16 v85, v104, v18
	v_pk_add_f16 v18, v1, v31
	v_pk_max_f16 v95, v95, v95
	v_pk_min_f16 v86, v86, v94
	v_pk_min_f16 v94, v103, v18
	v_pk_add_f16 v18, v3, v31
	v_pk_min_f16 v95, v95, v102
	v_pk_min_f16 v102, v30, v18
	v_pk_add_f16 v18, v13, v25
	v_pk_max_f16 v42, v42, v42
	v_pk_min_f16 v101, v101, v18
	v_pk_add_f16 v18, v15, v25
	v_pk_max_f16 v43, v43, v43
	;; [unrolled: 3-line block ×6, first 2 shown]
	v_pk_min_f16 v96, v96, v18
	v_pk_add_f16 v18, v1, v25
	s_add_i32 s30, s30, 8
	v_pk_min_f16 v95, v95, v18
	v_pk_add_f16 v18, v3, v25
	s_cmp_ge_i32 s30, s34
	v_pk_min_f16 v129, v24, v18
	v_pk_add_f16 v18, v13, v27
	v_lshl_add_u64 v[40:41], v[40:41], 0, 16
	v_pk_min_f16 v92, v92, v18
	v_pk_add_f16 v18, v15, v27
	s_nop 0
	v_pk_min_f16 v91, v91, v18
	v_pk_add_f16 v18, v9, v27
	s_nop 0
	;; [unrolled: 3-line block ×23, first 2 shown]
	v_pk_min_f16 v132, v22, v18
	v_pk_add_f16 v18, v13, v17
	v_pk_add_f16 v13, v13, v19
	v_pk_min_f16 v68, v68, v18
	v_pk_add_f16 v18, v15, v17
	v_pk_min_f16 v134, v12, v13
	v_pk_min_f16 v67, v67, v18
	v_pk_add_f16 v18, v9, v17
	v_pk_add_f16 v9, v9, v19
	v_pk_min_f16 v66, v66, v18
	v_pk_add_f16 v18, v11, v17
	v_pk_add_f16 v12, v15, v19
	;; [unrolled: 3-line block ×3, first 2 shown]
	v_pk_min_f16 v64, v64, v18
	v_pk_add_f16 v18, v7, v17
	v_pk_min_f16 v136, v8, v9
	v_pk_min_f16 v63, v63, v18
	v_pk_add_f16 v18, v1, v17
	v_pk_add_f16 v1, v1, v19
	;; [unrolled: 1-line block ×4, first 2 shown]
	v_pk_min_f16 v138, v4, v5
	v_pk_add_f16 v4, v7, v19
	v_pk_min_f16 v140, v0, v1
	v_pk_add_f16 v0, v3, v19
	v_pk_min_f16 v62, v62, v18
	v_pk_min_f16 v133, v16, v17
	;; [unrolled: 1-line block ×6, first 2 shown]
	ds_read2_b64 v[16:19], v93 offset1:8
	ds_read2_b64 v[8:11], v93 offset0:16 offset1:24
	ds_read2_b64 v[4:7], v93 offset0:32 offset1:40
	ds_read2_b64 v[24:27], v49 offset1:32
	ds_read2_b64 v[0:3], v93 offset0:48 offset1:56
	ds_read2_b64 v[28:31], v49 offset0:64 offset1:96
	;; [unrolled: 1-line block ×4, first 2 shown]
	s_waitcnt lgkmcnt(4)
	v_pk_add_f16 v103, v16, v24
	v_pk_add_f16 v104, v18, v24
	v_pk_min_f16 v42, v42, v103
	v_pk_add_f16 v103, v17, v25
	v_pk_add_f16 v105, v8, v24
	v_pk_min_f16 v117, v42, v103
	v_pk_min_f16 v43, v43, v104
	v_pk_add_f16 v103, v19, v25
	v_pk_add_f16 v106, v10, v24
	v_pk_min_f16 v116, v43, v103
	;; [unrolled: 4-line block ×4, first 2 shown]
	v_pk_min_f16 v55, v55, v107
	v_pk_add_f16 v103, v5, v25
	v_pk_min_f16 v56, v56, v108
	v_pk_min_f16 v113, v55, v103
	v_pk_add_f16 v103, v7, v25
	s_waitcnt lgkmcnt(3)
	v_pk_add_f16 v109, v0, v24
	v_pk_min_f16 v112, v56, v103
	v_pk_max_f16 v56, v57, v57
	v_pk_add_f16 v57, v1, v25
	v_pk_min_f16 v56, v56, v109
	v_pk_add_f16 v24, v2, v24
	v_pk_min_f16 v111, v56, v57
	v_pk_max_f16 v56, v58, v58
	v_pk_add_f16 v25, v3, v25
	v_pk_min_f16 v24, v56, v24
	;; [unrolled: 5-line block ×7, first 2 shown]
	v_pk_add_f16 v147, v6, v26
	v_pk_min_f16 v105, v24, v25
	v_pk_max_f16 v24, v85, v85
	v_pk_add_f16 v148, v0, v26
	v_pk_add_f16 v26, v2, v26
	s_waitcnt lgkmcnt(2)
	v_pk_add_f16 v149, v16, v28
	v_pk_add_f16 v150, v18, v28
	v_pk_add_f16 v151, v8, v28
	v_pk_add_f16 v152, v10, v28
	v_pk_add_f16 v153, v4, v28
	v_pk_add_f16 v154, v6, v28
	v_pk_add_f16 v155, v0, v28
	v_pk_add_f16 v28, v2, v28
	v_pk_add_f16 v156, v16, v30
	v_pk_add_f16 v157, v18, v30
	v_pk_add_f16 v158, v8, v30
	v_pk_add_f16 v159, v10, v30
	v_pk_add_f16 v160, v4, v30
	v_pk_add_f16 v161, v6, v30
	v_pk_add_f16 v162, v0, v30
	v_pk_add_f16 v30, v2, v30
	s_waitcnt lgkmcnt(1)
	v_pk_add_f16 v163, v16, v20
	v_pk_add_f16 v164, v18, v20
	v_pk_add_f16 v165, v8, v20
	v_pk_add_f16 v166, v10, v20
	v_pk_add_f16 v167, v4, v20
	v_pk_add_f16 v168, v6, v20
	v_pk_add_f16 v169, v0, v20
	v_pk_add_f16 v20, v2, v20
	v_pk_add_f16 v170, v16, v22
	v_pk_add_f16 v171, v18, v22
	v_pk_add_f16 v172, v8, v22
	v_pk_add_f16 v173, v10, v22
	v_pk_add_f16 v174, v4, v22
	v_pk_add_f16 v175, v6, v22
	;; [unrolled: 17-line block ×3, first 2 shown]
	v_pk_add_f16 v0, v0, v14
	v_pk_min_f16 v24, v24, v147
	v_pk_add_f16 v25, v7, v27
	v_pk_add_f16 v2, v2, v14
	v_pk_max_f16 v14, v94, v94
	v_pk_min_f16 v104, v24, v25
	v_pk_min_f16 v14, v14, v148
	v_pk_add_f16 v24, v1, v27
	ds_write_b16 v119, v124
	ds_write_b16 v120, v125
	ds_write_b16 v120, v126 offset:512
	ds_write_b16 v120, v127 offset:1024
	;; [unrolled: 1-line block ×3, first 2 shown]
	v_pk_min_f16 v103, v14, v24
	v_pk_max_f16 v24, v102, v102
	v_pk_add_f16 v14, v3, v27
	v_pk_min_f16 v24, v24, v26
	s_waitcnt lgkmcnt(0)
	v_pk_min_f16 v102, v24, v14
	v_pk_max_f16 v24, v101, v101
	v_pk_add_f16 v14, v17, v29
	v_pk_min_f16 v24, v24, v149
	s_barrier
	v_pk_min_f16 v101, v24, v14
	v_pk_max_f16 v24, v100, v100
	v_pk_add_f16 v14, v19, v29
	v_pk_min_f16 v24, v24, v150
	s_nop 0
	v_pk_min_f16 v100, v24, v14
	v_pk_max_f16 v24, v99, v99
	v_pk_add_f16 v14, v9, v29
	v_pk_min_f16 v24, v24, v151
	s_nop 0
	;; [unrolled: 5-line block ×22, first 2 shown]
	v_pk_min_f16 v78, v24, v14
	v_pk_add_f16 v14, v3, v21
	v_pk_max_f16 v21, v131, v131
	s_nop 0
	v_pk_min_f16 v20, v21, v20
	s_nop 0
	v_pk_min_f16 v77, v20, v14
	v_pk_max_f16 v20, v76, v76
	v_pk_add_f16 v14, v17, v23
	v_pk_min_f16 v20, v20, v170
	s_nop 0
	v_pk_min_f16 v76, v20, v14
	v_pk_max_f16 v20, v75, v75
	v_pk_add_f16 v14, v19, v23
	;; [unrolled: 5-line block ×11, first 2 shown]
	v_pk_min_f16 v20, v20, v42
	v_pk_add_f16 v9, v9, v15
	v_pk_min_f16 v66, v20, v14
	v_pk_max_f16 v20, v65, v65
	v_pk_add_f16 v14, v11, v13
	v_pk_min_f16 v20, v20, v43
	s_nop 0
	v_pk_min_f16 v65, v20, v14
	v_pk_max_f16 v20, v64, v64
	v_pk_add_f16 v14, v5, v13
	v_pk_min_f16 v20, v20, v53
	v_pk_add_f16 v5, v5, v15
	v_pk_min_f16 v64, v20, v14
	v_pk_max_f16 v20, v63, v63
	v_pk_add_f16 v14, v7, v13
	v_pk_min_f16 v20, v20, v54
	s_nop 0
	v_pk_min_f16 v63, v20, v14
	v_pk_max_f16 v20, v62, v62
	v_pk_add_f16 v14, v1, v13
	;; [unrolled: 10-line block ×3, first 2 shown]
	v_pk_min_f16 v13, v13, v16
	s_nop 0
	v_pk_min_f16 v60, v13, v12
	v_pk_max_f16 v13, v135, v135
	v_pk_add_f16 v12, v19, v15
	v_pk_min_f16 v13, v13, v18
	s_nop 0
	v_pk_min_f16 v59, v13, v12
	v_pk_max_f16 v12, v136, v136
	s_nop 0
	v_pk_min_f16 v8, v12, v8
	s_nop 0
	v_pk_min_f16 v58, v8, v9
	v_pk_max_f16 v9, v137, v137
	v_pk_add_f16 v8, v11, v15
	v_pk_min_f16 v9, v9, v10
	s_nop 0
	v_pk_min_f16 v57, v9, v8
	v_pk_max_f16 v8, v138, v138
	s_nop 0
	;; [unrolled: 10-line block ×3, first 2 shown]
	v_pk_min_f16 v0, v4, v0
	s_nop 0
	v_pk_min_f16 v53, v0, v1
	v_pk_max_f16 v1, v141, v141
	v_pk_add_f16 v0, v3, v15
	v_pk_min_f16 v1, v1, v2
	s_nop 0
	v_pk_min_f16 v56, v1, v0
	s_cbranch_scc1 .LBB279_58
.LBB279_34:                             ; =>This Inner Loop Header: Depth=1
	v_add_u32_e32 v42, s30, v47
	v_add_u32_e32 v0, 8, v42
	v_cmp_le_i32_e64 s[2:3], s22, v0
	s_or_b64 s[14:15], s[2:3], vcc
	s_nor_b64 s[2:3], s[4:5], s[14:15]
                                        ; implicit-def: $vgpr124
	s_and_saveexec_b64 s[36:37], s[2:3]
	s_xor_b64 s[2:3], exec, s[36:37]
	s_cbranch_execz .LBB279_36
; %bb.35:                               ;   in Loop: Header=BB279_34 Depth=1
	global_load_ushort v0, v[40:41], off
	s_waitcnt vmcnt(0)
	v_mul_f16_e32 v124, v46, v0
.LBB279_36:                             ;   in Loop: Header=BB279_34 Depth=1
	s_andn2_saveexec_b64 s[2:3], s[2:3]
; %bb.37:                               ;   in Loop: Header=BB279_34 Depth=1
	v_cndmask_b32_e64 v124, 0, v123, s[14:15]
; %bb.38:                               ;   in Loop: Header=BB279_34 Depth=1
	s_or_b64 exec, exec, s[2:3]
	v_add_u32_e32 v43, s30, v48
	v_add_u32_e32 v0, 8, v43
	v_cmp_le_i32_e64 s[14:15], s22, v0
	v_min_i32_e32 v0, s35, v0
	v_mad_i64_i32 v[0:1], s[2:3], v0, s23, 0
	s_or_b64 s[2:3], s[6:7], s[14:15]
	v_lshl_add_u64 v[0:1], v[0:1], 1, s[28:29]
	v_cndmask_b32_e64 v125, 0, v123, s[2:3]
	s_nor_b64 s[36:37], s[4:5], s[2:3]
	s_and_saveexec_b64 s[2:3], s[36:37]
	s_cbranch_execz .LBB279_40
; %bb.39:                               ;   in Loop: Header=BB279_34 Depth=1
	v_lshl_add_u64 v[2:3], v[32:33], 1, v[0:1]
	global_load_ushort v2, v[2:3], off
	s_waitcnt vmcnt(0)
	v_mul_f16_e32 v125, v46, v2
.LBB279_40:                             ;   in Loop: Header=BB279_34 Depth=1
	s_or_b64 exec, exec, s[2:3]
	s_or_b64 s[2:3], s[8:9], s[14:15]
	v_cndmask_b32_e64 v126, 0, v123, s[2:3]
	s_nor_b64 s[36:37], s[2:3], s[4:5]
	s_and_saveexec_b64 s[2:3], s[36:37]
	s_cbranch_execz .LBB279_42
; %bb.41:                               ;   in Loop: Header=BB279_34 Depth=1
	v_lshl_add_u64 v[2:3], v[34:35], 1, v[0:1]
	global_load_ushort v2, v[2:3], off
	s_waitcnt vmcnt(0)
	v_mul_f16_e32 v126, v46, v2
.LBB279_42:                             ;   in Loop: Header=BB279_34 Depth=1
	s_or_b64 exec, exec, s[2:3]
	s_or_b64 s[2:3], s[10:11], s[14:15]
	;; [unrolled: 12-line block ×3, first 2 shown]
	v_cndmask_b32_e64 v128, 0, v123, s[2:3]
	s_nor_b64 s[14:15], s[2:3], s[4:5]
	s_and_saveexec_b64 s[2:3], s[14:15]
	s_cbranch_execz .LBB279_46
; %bb.45:                               ;   in Loop: Header=BB279_34 Depth=1
	v_lshl_add_u64 v[0:1], v[38:39], 1, v[0:1]
	global_load_ushort v0, v[0:1], off
	s_waitcnt vmcnt(0)
	v_mul_f16_e32 v128, v46, v0
.LBB279_46:                             ;   in Loop: Header=BB279_34 Depth=1
	s_or_b64 exec, exec, s[2:3]
	ds_read2_b64 v[12:15], v121 offset1:8
	ds_read2_b64 v[8:11], v121 offset0:16 offset1:24
	ds_read2_b64 v[4:7], v121 offset0:32 offset1:40
	;; [unrolled: 1-line block ×3, first 2 shown]
	ds_read2_b64 v[28:31], v122 offset1:32
	ds_read2_b64 v[24:27], v122 offset0:64 offset1:96
	ds_read2_b64 v[20:23], v122 offset0:128 offset1:160
	;; [unrolled: 1-line block ×3, first 2 shown]
	v_add_u32_e32 v42, 12, v42
	v_cmp_le_i32_e64 s[2:3], s22, v42
	s_or_b64 s[14:15], s[2:3], vcc
	s_nor_b64 s[2:3], s[4:5], s[14:15]
	ds_write_b16 v118, v124
	ds_write_b16 v51, v125
	ds_write_b16 v51, v126 offset:512
	ds_write_b16 v51, v127 offset:1024
	;; [unrolled: 1-line block ×3, first 2 shown]
	s_waitcnt lgkmcnt(0)
	s_barrier
                                        ; implicit-def: $vgpr124
	s_and_saveexec_b64 s[36:37], s[2:3]
	s_xor_b64 s[2:3], exec, s[36:37]
	s_cbranch_execz .LBB279_48
; %bb.47:                               ;   in Loop: Header=BB279_34 Depth=1
	global_load_ushort v42, v[40:41], off offset:8
	s_waitcnt vmcnt(0)
	v_mul_f16_e32 v124, v46, v42
.LBB279_48:                             ;   in Loop: Header=BB279_34 Depth=1
	s_andn2_saveexec_b64 s[2:3], s[2:3]
; %bb.49:                               ;   in Loop: Header=BB279_34 Depth=1
	v_cndmask_b32_e64 v124, 0, v123, s[14:15]
; %bb.50:                               ;   in Loop: Header=BB279_34 Depth=1
	s_or_b64 exec, exec, s[2:3]
	v_add_u32_e32 v42, 12, v43
	v_cmp_le_i32_e64 s[14:15], s22, v42
	v_min_i32_e32 v42, s35, v42
	v_mad_i64_i32 v[42:43], s[2:3], v42, s23, 0
	s_or_b64 s[2:3], s[6:7], s[14:15]
	v_lshl_add_u64 v[42:43], v[42:43], 1, s[28:29]
	v_cndmask_b32_e64 v125, 0, v123, s[2:3]
	s_nor_b64 s[36:37], s[4:5], s[2:3]
	s_and_saveexec_b64 s[2:3], s[36:37]
	s_cbranch_execz .LBB279_52
; %bb.51:                               ;   in Loop: Header=BB279_34 Depth=1
	v_lshl_add_u64 v[126:127], v[32:33], 1, v[42:43]
	global_load_ushort v125, v[126:127], off
	s_waitcnt vmcnt(0)
	v_mul_f16_e32 v125, v46, v125
.LBB279_52:                             ;   in Loop: Header=BB279_34 Depth=1
	s_or_b64 exec, exec, s[2:3]
	s_or_b64 s[2:3], s[8:9], s[14:15]
	v_cndmask_b32_e64 v126, 0, v123, s[2:3]
	s_nor_b64 s[36:37], s[2:3], s[4:5]
	s_and_saveexec_b64 s[2:3], s[36:37]
	s_cbranch_execz .LBB279_54
; %bb.53:                               ;   in Loop: Header=BB279_34 Depth=1
	v_lshl_add_u64 v[126:127], v[34:35], 1, v[42:43]
	global_load_ushort v126, v[126:127], off
	s_waitcnt vmcnt(0)
	v_mul_f16_e32 v126, v46, v126
.LBB279_54:                             ;   in Loop: Header=BB279_34 Depth=1
	s_or_b64 exec, exec, s[2:3]
	s_or_b64 s[2:3], s[10:11], s[14:15]
	;; [unrolled: 12-line block ×3, first 2 shown]
	v_cndmask_b32_e64 v128, 0, v123, s[2:3]
	s_nor_b64 s[14:15], s[2:3], s[4:5]
	s_and_saveexec_b64 s[2:3], s[14:15]
	s_cbranch_execz .LBB279_33
; %bb.57:                               ;   in Loop: Header=BB279_34 Depth=1
	v_lshl_add_u64 v[42:43], v[38:39], 1, v[42:43]
	global_load_ushort v42, v[42:43], off
	s_waitcnt vmcnt(0)
	v_mul_f16_e32 v128, v46, v42
	s_branch .LBB279_33
.LBB279_58:
	s_load_dwordx2 s[2:3], s[0:1], 0x78
	s_load_dword s29, s[0:1], 0x58
	s_load_dword s28, s[0:1], 0x70
	v_add_u32_e32 v0, 0x1000, v50
	v_add_u32_e32 v4, 0x800, v49
	s_waitcnt lgkmcnt(0)
	s_mul_i32 s1, s3, s18
	s_mul_hi_u32 s3, s2, s18
	s_mul_i32 s0, s2, s18
	s_add_i32 s1, s3, s1
	ds_read2_b64 v[16:19], v0 offset0:64 offset1:72
	ds_read2_b64 v[12:15], v0 offset0:80 offset1:88
	;; [unrolled: 1-line block ×4, first 2 shown]
	ds_read2_b64 v[28:31], v4 offset1:32
	ds_read2_b64 v[24:27], v4 offset0:64 offset1:96
	ds_read2_b64 v[20:23], v4 offset0:128 offset1:160
	;; [unrolled: 1-line block ×3, first 2 shown]
	s_lshl_b64 s[0:1], s[0:1], 1
	s_add_u32 s22, s26, s0
	v_add_u32_e32 v93, s33, v45
	s_addc_u32 s23, s27, s1
	v_mad_i64_i32 v[34:35], s[0:1], v93, s29, 0
	v_add_u32_e32 v32, s19, v44
	v_lshl_add_u64 v[50:51], v[34:35], 1, s[24:25]
	v_mad_i64_i32 v[34:35], s[0:1], v93, s28, 0
	v_cmp_gt_i32_e64 s[4:5], s20, v32
	v_cmp_gt_i32_e64 s[18:19], s21, v93
	v_lshl_add_u64 v[48:49], v[34:35], 1, s[22:23]
	v_cndmask_b32_e64 v34, 0, 1, s[16:17]
	v_ashrrev_i32_e32 v33, 31, v32
	s_and_b64 s[6:7], s[4:5], s[18:19]
	v_cmp_ne_u32_e64 s[0:1], 1, v34
	s_and_saveexec_b64 s[2:3], s[6:7]
	s_cbranch_execz .LBB279_63
; %bb.59:
	s_and_b64 vcc, exec, s[0:1]
	s_cbranch_vccnz .LBB279_61
; %bb.60:
	v_lshl_add_u64 v[34:35], v[32:33], 1, v[50:51]
	global_load_ushort v34, v[34:35], off
	s_waitcnt vmcnt(0)
	v_mul_f16_e32 v34, v52, v34
	v_cvt_f32_f16_e32 v34, v34
	s_branch .LBB279_62
.LBB279_61:
	v_mov_b32_e32 v34, 0
.LBB279_62:
	s_waitcnt lgkmcnt(3)
	v_pk_add_f16 v35, v16, v28
	v_max_f16_e32 v36, v117, v117
	v_pk_add_f16 v38, v17, v29
	v_min_f16_e32 v36, v36, v35
	v_lshrrev_b32_e32 v37, 16, v117
	v_lshrrev_b32_e32 v35, 16, v35
	v_lshrrev_b32_e32 v39, 16, v38
	v_min3_f16 v35, v37, v35, v39
	v_min3_f16 v35, v36, v38, v35
	v_cvt_f32_f16_e32 v35, v35
	v_max_f32_e32 v34, v34, v34
	v_min_f32_e32 v34, v34, v35
	v_cvt_f16_f32_e32 v36, v34
	v_lshl_add_u64 v[34:35], v[32:33], 1, v[48:49]
	global_store_short v[34:35], v36, off
.LBB279_63:
	s_or_b64 exec, exec, s[2:3]
	v_add_u32_e32 v34, 8, v32
	v_cmp_gt_i32_e64 s[2:3], s20, v34
	v_ashrrev_i32_e32 v35, 31, v34
	s_and_b64 s[8:9], s[2:3], s[18:19]
	s_and_saveexec_b64 s[6:7], s[8:9]
	s_cbranch_execz .LBB279_68
; %bb.64:
	s_and_b64 vcc, exec, s[0:1]
	s_cbranch_vccnz .LBB279_66
; %bb.65:
	v_lshl_add_u64 v[36:37], v[34:35], 1, v[50:51]
	global_load_ushort v36, v[36:37], off
	s_waitcnt vmcnt(0)
	v_mul_f16_e32 v36, v52, v36
	v_cvt_f32_f16_e32 v36, v36
	s_branch .LBB279_67
.LBB279_66:
	v_mov_b32_e32 v36, 0
.LBB279_67:
	s_waitcnt lgkmcnt(3)
	v_pk_add_f16 v37, v18, v28
	v_max_f16_e32 v38, v116, v116
	v_pk_add_f16 v40, v19, v29
	v_min_f16_e32 v38, v38, v37
	v_lshrrev_b32_e32 v39, 16, v116
	v_lshrrev_b32_e32 v37, 16, v37
	v_lshrrev_b32_e32 v41, 16, v40
	v_min3_f16 v37, v39, v37, v41
	v_min3_f16 v37, v38, v40, v37
	v_cvt_f32_f16_e32 v37, v37
	v_max_f32_e32 v36, v36, v36
	v_min_f32_e32 v36, v36, v37
	v_cvt_f16_f32_e32 v38, v36
	v_lshl_add_u64 v[36:37], v[34:35], 1, v[48:49]
	global_store_short v[36:37], v38, off
.LBB279_68:
	s_or_b64 exec, exec, s[6:7]
	v_add_u32_e32 v36, 16, v32
	v_cmp_gt_i32_e64 s[6:7], s20, v36
	v_ashrrev_i32_e32 v37, 31, v36
	s_and_b64 s[10:11], s[6:7], s[18:19]
	s_and_saveexec_b64 s[8:9], s[10:11]
	s_cbranch_execz .LBB279_73
; %bb.69:
	s_and_b64 vcc, exec, s[0:1]
	s_cbranch_vccnz .LBB279_71
; %bb.70:
	v_lshl_add_u64 v[38:39], v[36:37], 1, v[50:51]
	global_load_ushort v38, v[38:39], off
	s_waitcnt vmcnt(0)
	v_mul_f16_e32 v38, v52, v38
	v_cvt_f32_f16_e32 v38, v38
	s_branch .LBB279_72
.LBB279_71:
	v_mov_b32_e32 v38, 0
.LBB279_72:
	s_waitcnt lgkmcnt(3)
	v_pk_add_f16 v39, v12, v28
	v_max_f16_e32 v40, v115, v115
	v_pk_add_f16 v42, v13, v29
	v_min_f16_e32 v40, v40, v39
	v_lshrrev_b32_e32 v41, 16, v115
	v_lshrrev_b32_e32 v39, 16, v39
	v_lshrrev_b32_e32 v43, 16, v42
	v_min3_f16 v39, v41, v39, v43
	v_min3_f16 v39, v40, v42, v39
	v_cvt_f32_f16_e32 v39, v39
	v_max_f32_e32 v38, v38, v38
	v_min_f32_e32 v38, v38, v39
	v_cvt_f16_f32_e32 v40, v38
	v_lshl_add_u64 v[38:39], v[36:37], 1, v[48:49]
	global_store_short v[38:39], v40, off
.LBB279_73:
	s_or_b64 exec, exec, s[8:9]
	v_add_u32_e32 v38, 24, v32
	v_cmp_gt_i32_e64 s[8:9], s20, v38
	v_ashrrev_i32_e32 v39, 31, v38
	s_and_b64 s[12:13], s[8:9], s[18:19]
	s_and_saveexec_b64 s[10:11], s[12:13]
	s_cbranch_execz .LBB279_78
; %bb.74:
	s_and_b64 vcc, exec, s[0:1]
	s_cbranch_vccnz .LBB279_76
; %bb.75:
	v_lshl_add_u64 v[40:41], v[38:39], 1, v[50:51]
	global_load_ushort v40, v[40:41], off
	s_waitcnt vmcnt(0)
	v_mul_f16_e32 v40, v52, v40
	v_cvt_f32_f16_e32 v40, v40
	s_branch .LBB279_77
.LBB279_76:
	v_mov_b32_e32 v40, 0
.LBB279_77:
	s_waitcnt lgkmcnt(3)
	v_pk_add_f16 v41, v14, v28
	v_max_f16_e32 v42, v114, v114
	v_pk_add_f16 v44, v15, v29
	v_min_f16_e32 v42, v42, v41
	v_lshrrev_b32_e32 v43, 16, v114
	v_lshrrev_b32_e32 v41, 16, v41
	v_lshrrev_b32_e32 v45, 16, v44
	v_min3_f16 v41, v43, v41, v45
	v_min3_f16 v41, v42, v44, v41
	v_cvt_f32_f16_e32 v41, v41
	v_max_f32_e32 v40, v40, v40
	v_min_f32_e32 v40, v40, v41
	v_cvt_f16_f32_e32 v42, v40
	v_lshl_add_u64 v[40:41], v[38:39], 1, v[48:49]
	global_store_short v[40:41], v42, off
.LBB279_78:
	s_or_b64 exec, exec, s[10:11]
	v_add_u32_e32 v40, 32, v32
	v_cmp_gt_i32_e64 s[10:11], s20, v40
	v_ashrrev_i32_e32 v41, 31, v40
	s_and_b64 s[14:15], s[10:11], s[18:19]
	s_and_saveexec_b64 s[12:13], s[14:15]
	s_cbranch_execz .LBB279_83
; %bb.79:
	s_and_b64 vcc, exec, s[0:1]
	s_cbranch_vccnz .LBB279_81
; %bb.80:
	v_lshl_add_u64 v[42:43], v[40:41], 1, v[50:51]
	global_load_ushort v42, v[42:43], off
	s_waitcnt vmcnt(0)
	v_mul_f16_e32 v42, v52, v42
	v_cvt_f32_f16_e32 v42, v42
	s_branch .LBB279_82
.LBB279_81:
	v_mov_b32_e32 v42, 0
.LBB279_82:
	s_waitcnt lgkmcnt(3)
	v_pk_add_f16 v43, v8, v28
	v_max_f16_e32 v44, v113, v113
	v_pk_add_f16 v46, v9, v29
	v_min_f16_e32 v44, v44, v43
	v_lshrrev_b32_e32 v45, 16, v113
	v_lshrrev_b32_e32 v43, 16, v43
	v_lshrrev_b32_e32 v47, 16, v46
	v_min3_f16 v43, v45, v43, v47
	v_min3_f16 v43, v44, v46, v43
	v_cvt_f32_f16_e32 v43, v43
	v_max_f32_e32 v42, v42, v42
	v_min_f32_e32 v42, v42, v43
	v_cvt_f16_f32_e32 v44, v42
	v_lshl_add_u64 v[42:43], v[40:41], 1, v[48:49]
	global_store_short v[42:43], v44, off
.LBB279_83:
	s_or_b64 exec, exec, s[12:13]
	v_add_u32_e32 v42, 40, v32
	v_cmp_gt_i32_e64 s[12:13], s20, v42
	v_ashrrev_i32_e32 v43, 31, v42
	s_and_b64 s[16:17], s[12:13], s[18:19]
	s_and_saveexec_b64 s[14:15], s[16:17]
	s_cbranch_execz .LBB279_88
; %bb.84:
	s_and_b64 vcc, exec, s[0:1]
	s_cbranch_vccnz .LBB279_86
; %bb.85:
	v_lshl_add_u64 v[44:45], v[42:43], 1, v[50:51]
	global_load_ushort v44, v[44:45], off
	s_waitcnt vmcnt(0)
	v_mul_f16_e32 v44, v52, v44
	v_cvt_f32_f16_e32 v44, v44
	s_branch .LBB279_87
.LBB279_86:
	v_mov_b32_e32 v44, 0
.LBB279_87:
	s_waitcnt lgkmcnt(3)
	v_pk_add_f16 v45, v10, v28
	v_max_f16_e32 v46, v112, v112
	v_lshrrev_b32_e32 v47, 16, v112
	v_pk_add_f16 v112, v11, v29
	v_min_f16_e32 v46, v46, v45
	v_lshrrev_b32_e32 v45, 16, v45
	v_lshrrev_b32_e32 v113, 16, v112
	v_min3_f16 v45, v47, v45, v113
	v_min3_f16 v45, v46, v112, v45
	v_cvt_f32_f16_e32 v45, v45
	v_max_f32_e32 v44, v44, v44
	v_min_f32_e32 v44, v44, v45
	v_cvt_f16_f32_e32 v46, v44
	v_lshl_add_u64 v[44:45], v[42:43], 1, v[48:49]
	global_store_short v[44:45], v46, off
.LBB279_88:
	s_or_b64 exec, exec, s[14:15]
	v_add_u32_e32 v44, 48, v32
	v_cmp_gt_i32_e64 s[14:15], s20, v44
	v_ashrrev_i32_e32 v45, 31, v44
	s_and_b64 s[26:27], s[14:15], s[18:19]
	s_and_saveexec_b64 s[16:17], s[26:27]
	s_cbranch_execz .LBB279_93
; %bb.89:
	s_and_b64 vcc, exec, s[0:1]
	s_cbranch_vccnz .LBB279_91
; %bb.90:
	v_lshl_add_u64 v[46:47], v[44:45], 1, v[50:51]
	global_load_ushort v46, v[46:47], off
	s_waitcnt vmcnt(0)
	v_mul_f16_e32 v46, v52, v46
	v_cvt_f32_f16_e32 v46, v46
	s_branch .LBB279_92
.LBB279_91:
	v_mov_b32_e32 v46, 0
.LBB279_92:
	s_waitcnt lgkmcnt(3)
	v_pk_add_f16 v47, v0, v28
	v_max_f16_e32 v112, v111, v111
	v_pk_add_f16 v113, v1, v29
	v_min_f16_e32 v112, v112, v47
	v_lshrrev_b32_e32 v111, 16, v111
	v_lshrrev_b32_e32 v47, 16, v47
	;; [unrolled: 1-line block ×3, first 2 shown]
	v_min3_f16 v47, v111, v47, v114
	v_min3_f16 v47, v112, v113, v47
	v_cvt_f32_f16_e32 v47, v47
	v_max_f32_e32 v46, v46, v46
	v_min_f32_e32 v46, v46, v47
	v_cvt_f16_f32_e32 v111, v46
	v_lshl_add_u64 v[46:47], v[44:45], 1, v[48:49]
	global_store_short v[46:47], v111, off
.LBB279_93:
	s_or_b64 exec, exec, s[16:17]
	v_add_u32_e32 v46, 56, v32
	v_cmp_gt_i32_e64 s[16:17], s20, v46
	v_ashrrev_i32_e32 v47, 31, v46
	s_and_b64 s[26:27], s[16:17], s[18:19]
	s_and_saveexec_b64 s[18:19], s[26:27]
	s_cbranch_execz .LBB279_98
; %bb.94:
	s_and_b64 vcc, exec, s[0:1]
	s_cbranch_vccnz .LBB279_96
; %bb.95:
	v_lshl_add_u64 v[50:51], v[46:47], 1, v[50:51]
	global_load_ushort v50, v[50:51], off
	s_waitcnt vmcnt(0)
	v_mul_f16_e32 v50, v52, v50
	v_cvt_f32_f16_e32 v50, v50
	s_branch .LBB279_97
.LBB279_96:
	v_mov_b32_e32 v50, 0
.LBB279_97:
	s_waitcnt lgkmcnt(3)
	v_pk_add_f16 v28, v2, v28
	v_max_f16_e32 v51, v110, v110
	v_pk_add_f16 v29, v3, v29
	v_min_f16_e32 v51, v51, v28
	v_lshrrev_b32_e32 v110, 16, v110
	v_lshrrev_b32_e32 v28, 16, v28
	;; [unrolled: 1-line block ×3, first 2 shown]
	v_min3_f16 v28, v110, v28, v111
	v_min3_f16 v28, v51, v29, v28
	v_cvt_f32_f16_e32 v28, v28
	v_max_f32_e32 v29, v50, v50
	v_min_f32_e32 v28, v29, v28
	v_cvt_f16_f32_e32 v50, v28
	v_lshl_add_u64 v[28:29], v[46:47], 1, v[48:49]
	global_store_short v[28:29], v50, off
.LBB279_98:
	s_or_b64 exec, exec, s[18:19]
	v_add_u32_e32 v50, 32, v93
	s_waitcnt lgkmcnt(3)
	v_mad_i64_i32 v[28:29], s[26:27], v50, s29, 0
	v_cmp_gt_i32_e64 s[18:19], s21, v50
	v_lshl_add_u64 v[48:49], v[28:29], 1, s[24:25]
	v_mad_i64_i32 v[28:29], s[26:27], v50, s28, 0
	v_lshl_add_u64 v[28:29], v[28:29], 1, s[22:23]
	s_and_b64 s[30:31], s[4:5], s[18:19]
	s_and_saveexec_b64 s[26:27], s[30:31]
	s_cbranch_execnz .LBB279_106
; %bb.99:
	s_or_b64 exec, exec, s[26:27]
	s_and_b64 s[30:31], s[2:3], s[18:19]
	s_and_saveexec_b64 s[26:27], s[30:31]
	s_cbranch_execnz .LBB279_110
.LBB279_100:
	s_or_b64 exec, exec, s[26:27]
	s_and_b64 s[30:31], s[6:7], s[18:19]
	s_and_saveexec_b64 s[26:27], s[30:31]
	s_cbranch_execnz .LBB279_114
.LBB279_101:
	s_or_b64 exec, exec, s[26:27]
	s_and_b64 s[30:31], s[8:9], s[18:19]
	s_and_saveexec_b64 s[26:27], s[30:31]
	s_cbranch_execnz .LBB279_118
.LBB279_102:
	s_or_b64 exec, exec, s[26:27]
	s_and_b64 s[30:31], s[10:11], s[18:19]
	s_and_saveexec_b64 s[26:27], s[30:31]
	s_cbranch_execnz .LBB279_122
.LBB279_103:
	s_or_b64 exec, exec, s[26:27]
	s_and_b64 s[30:31], s[12:13], s[18:19]
	s_and_saveexec_b64 s[26:27], s[30:31]
	s_cbranch_execnz .LBB279_126
.LBB279_104:
	s_or_b64 exec, exec, s[26:27]
	s_and_b64 s[30:31], s[14:15], s[18:19]
	s_and_saveexec_b64 s[26:27], s[30:31]
	s_cbranch_execnz .LBB279_130
.LBB279_105:
	s_or_b64 exec, exec, s[26:27]
	s_and_b64 s[26:27], s[16:17], s[18:19]
	s_and_saveexec_b64 s[18:19], s[26:27]
	s_cbranch_execnz .LBB279_134
	s_branch .LBB279_138
.LBB279_106:
	s_and_b64 vcc, exec, s[0:1]
	s_cbranch_vccnz .LBB279_108
; %bb.107:
	v_lshl_add_u64 v[50:51], v[32:33], 1, v[48:49]
	global_load_ushort v50, v[50:51], off
	s_waitcnt vmcnt(0)
	v_mul_f16_e32 v50, v52, v50
	v_cvt_f32_f16_e32 v50, v50
	s_branch .LBB279_109
.LBB279_108:
	v_mov_b32_e32 v50, 0
.LBB279_109:
	v_pk_add_f16 v51, v16, v30
	v_max_f16_e32 v110, v109, v109
	v_pk_add_f16 v111, v17, v31
	v_min_f16_e32 v110, v110, v51
	v_lshrrev_b32_e32 v109, 16, v109
	v_lshrrev_b32_e32 v51, 16, v51
	;; [unrolled: 1-line block ×3, first 2 shown]
	v_min3_f16 v51, v109, v51, v112
	v_min3_f16 v51, v110, v111, v51
	v_cvt_f32_f16_e32 v51, v51
	v_max_f32_e32 v50, v50, v50
	v_min_f32_e32 v50, v50, v51
	v_cvt_f16_f32_e32 v109, v50
	v_lshl_add_u64 v[50:51], v[32:33], 1, v[28:29]
	global_store_short v[50:51], v109, off
	s_or_b64 exec, exec, s[26:27]
	s_and_b64 s[30:31], s[2:3], s[18:19]
	s_and_saveexec_b64 s[26:27], s[30:31]
	s_cbranch_execz .LBB279_100
.LBB279_110:
	s_and_b64 vcc, exec, s[0:1]
	s_cbranch_vccnz .LBB279_112
; %bb.111:
	v_lshl_add_u64 v[50:51], v[34:35], 1, v[48:49]
	global_load_ushort v50, v[50:51], off
	s_waitcnt vmcnt(0)
	v_mul_f16_e32 v50, v52, v50
	v_cvt_f32_f16_e32 v50, v50
	s_branch .LBB279_113
.LBB279_112:
	v_mov_b32_e32 v50, 0
.LBB279_113:
	v_pk_add_f16 v51, v18, v30
	v_max_f16_e32 v109, v108, v108
	v_pk_add_f16 v110, v19, v31
	v_min_f16_e32 v109, v109, v51
	v_lshrrev_b32_e32 v108, 16, v108
	v_lshrrev_b32_e32 v51, 16, v51
	;; [unrolled: 1-line block ×3, first 2 shown]
	v_min3_f16 v51, v108, v51, v111
	v_min3_f16 v51, v109, v110, v51
	v_cvt_f32_f16_e32 v51, v51
	v_max_f32_e32 v50, v50, v50
	v_min_f32_e32 v50, v50, v51
	v_cvt_f16_f32_e32 v108, v50
	v_lshl_add_u64 v[50:51], v[34:35], 1, v[28:29]
	global_store_short v[50:51], v108, off
	s_or_b64 exec, exec, s[26:27]
	s_and_b64 s[30:31], s[6:7], s[18:19]
	s_and_saveexec_b64 s[26:27], s[30:31]
	s_cbranch_execz .LBB279_101
.LBB279_114:
	s_and_b64 vcc, exec, s[0:1]
	s_cbranch_vccnz .LBB279_116
; %bb.115:
	v_lshl_add_u64 v[50:51], v[36:37], 1, v[48:49]
	global_load_ushort v50, v[50:51], off
	s_waitcnt vmcnt(0)
	v_mul_f16_e32 v50, v52, v50
	v_cvt_f32_f16_e32 v50, v50
	s_branch .LBB279_117
.LBB279_116:
	v_mov_b32_e32 v50, 0
.LBB279_117:
	v_pk_add_f16 v51, v12, v30
	v_max_f16_e32 v108, v107, v107
	v_pk_add_f16 v109, v13, v31
	v_min_f16_e32 v108, v108, v51
	v_lshrrev_b32_e32 v107, 16, v107
	v_lshrrev_b32_e32 v51, 16, v51
	;; [unrolled: 1-line block ×3, first 2 shown]
	v_min3_f16 v51, v107, v51, v110
	v_min3_f16 v51, v108, v109, v51
	v_cvt_f32_f16_e32 v51, v51
	v_max_f32_e32 v50, v50, v50
	v_min_f32_e32 v50, v50, v51
	v_cvt_f16_f32_e32 v107, v50
	v_lshl_add_u64 v[50:51], v[36:37], 1, v[28:29]
	global_store_short v[50:51], v107, off
	s_or_b64 exec, exec, s[26:27]
	s_and_b64 s[30:31], s[8:9], s[18:19]
	s_and_saveexec_b64 s[26:27], s[30:31]
	s_cbranch_execz .LBB279_102
.LBB279_118:
	s_and_b64 vcc, exec, s[0:1]
	s_cbranch_vccnz .LBB279_120
; %bb.119:
	v_lshl_add_u64 v[50:51], v[38:39], 1, v[48:49]
	global_load_ushort v50, v[50:51], off
	s_waitcnt vmcnt(0)
	v_mul_f16_e32 v50, v52, v50
	v_cvt_f32_f16_e32 v50, v50
	s_branch .LBB279_121
.LBB279_120:
	v_mov_b32_e32 v50, 0
.LBB279_121:
	v_pk_add_f16 v51, v14, v30
	v_max_f16_e32 v107, v106, v106
	v_pk_add_f16 v108, v15, v31
	v_min_f16_e32 v107, v107, v51
	v_lshrrev_b32_e32 v106, 16, v106
	v_lshrrev_b32_e32 v51, 16, v51
	;; [unrolled: 1-line block ×3, first 2 shown]
	v_min3_f16 v51, v106, v51, v109
	v_min3_f16 v51, v107, v108, v51
	v_cvt_f32_f16_e32 v51, v51
	v_max_f32_e32 v50, v50, v50
	v_min_f32_e32 v50, v50, v51
	v_cvt_f16_f32_e32 v106, v50
	v_lshl_add_u64 v[50:51], v[38:39], 1, v[28:29]
	global_store_short v[50:51], v106, off
	s_or_b64 exec, exec, s[26:27]
	s_and_b64 s[30:31], s[10:11], s[18:19]
	s_and_saveexec_b64 s[26:27], s[30:31]
	s_cbranch_execz .LBB279_103
.LBB279_122:
	s_and_b64 vcc, exec, s[0:1]
	s_cbranch_vccnz .LBB279_124
; %bb.123:
	v_lshl_add_u64 v[50:51], v[40:41], 1, v[48:49]
	global_load_ushort v50, v[50:51], off
	s_waitcnt vmcnt(0)
	v_mul_f16_e32 v50, v52, v50
	v_cvt_f32_f16_e32 v50, v50
	s_branch .LBB279_125
.LBB279_124:
	v_mov_b32_e32 v50, 0
.LBB279_125:
	v_pk_add_f16 v51, v8, v30
	v_max_f16_e32 v106, v105, v105
	v_pk_add_f16 v107, v9, v31
	v_min_f16_e32 v106, v106, v51
	v_lshrrev_b32_e32 v105, 16, v105
	v_lshrrev_b32_e32 v51, 16, v51
	;; [unrolled: 1-line block ×3, first 2 shown]
	v_min3_f16 v51, v105, v51, v108
	v_min3_f16 v51, v106, v107, v51
	v_cvt_f32_f16_e32 v51, v51
	v_max_f32_e32 v50, v50, v50
	v_min_f32_e32 v50, v50, v51
	v_cvt_f16_f32_e32 v105, v50
	v_lshl_add_u64 v[50:51], v[40:41], 1, v[28:29]
	global_store_short v[50:51], v105, off
	s_or_b64 exec, exec, s[26:27]
	s_and_b64 s[30:31], s[12:13], s[18:19]
	s_and_saveexec_b64 s[26:27], s[30:31]
	s_cbranch_execz .LBB279_104
.LBB279_126:
	s_and_b64 vcc, exec, s[0:1]
	s_cbranch_vccnz .LBB279_128
; %bb.127:
	v_lshl_add_u64 v[50:51], v[42:43], 1, v[48:49]
	global_load_ushort v50, v[50:51], off
	s_waitcnt vmcnt(0)
	v_mul_f16_e32 v50, v52, v50
	v_cvt_f32_f16_e32 v50, v50
	s_branch .LBB279_129
.LBB279_128:
	v_mov_b32_e32 v50, 0
.LBB279_129:
	v_pk_add_f16 v51, v10, v30
	v_max_f16_e32 v105, v104, v104
	v_pk_add_f16 v106, v11, v31
	v_min_f16_e32 v105, v105, v51
	v_lshrrev_b32_e32 v104, 16, v104
	v_lshrrev_b32_e32 v51, 16, v51
	;; [unrolled: 1-line block ×3, first 2 shown]
	v_min3_f16 v51, v104, v51, v107
	v_min3_f16 v51, v105, v106, v51
	v_cvt_f32_f16_e32 v51, v51
	v_max_f32_e32 v50, v50, v50
	v_min_f32_e32 v50, v50, v51
	v_cvt_f16_f32_e32 v104, v50
	v_lshl_add_u64 v[50:51], v[42:43], 1, v[28:29]
	global_store_short v[50:51], v104, off
	s_or_b64 exec, exec, s[26:27]
	s_and_b64 s[30:31], s[14:15], s[18:19]
	s_and_saveexec_b64 s[26:27], s[30:31]
	s_cbranch_execz .LBB279_105
.LBB279_130:
	s_and_b64 vcc, exec, s[0:1]
	s_cbranch_vccnz .LBB279_132
; %bb.131:
	v_lshl_add_u64 v[50:51], v[44:45], 1, v[48:49]
	global_load_ushort v50, v[50:51], off
	s_waitcnt vmcnt(0)
	v_mul_f16_e32 v50, v52, v50
	v_cvt_f32_f16_e32 v50, v50
	s_branch .LBB279_133
.LBB279_132:
	v_mov_b32_e32 v50, 0
.LBB279_133:
	v_pk_add_f16 v51, v0, v30
	v_max_f16_e32 v104, v103, v103
	v_pk_add_f16 v105, v1, v31
	v_min_f16_e32 v104, v104, v51
	v_lshrrev_b32_e32 v103, 16, v103
	v_lshrrev_b32_e32 v51, 16, v51
	;; [unrolled: 1-line block ×3, first 2 shown]
	v_min3_f16 v51, v103, v51, v106
	v_min3_f16 v51, v104, v105, v51
	v_cvt_f32_f16_e32 v51, v51
	v_max_f32_e32 v50, v50, v50
	v_min_f32_e32 v50, v50, v51
	v_cvt_f16_f32_e32 v103, v50
	v_lshl_add_u64 v[50:51], v[44:45], 1, v[28:29]
	global_store_short v[50:51], v103, off
	s_or_b64 exec, exec, s[26:27]
	s_and_b64 s[26:27], s[16:17], s[18:19]
	s_and_saveexec_b64 s[18:19], s[26:27]
	s_cbranch_execz .LBB279_138
.LBB279_134:
	s_and_b64 vcc, exec, s[0:1]
	s_cbranch_vccnz .LBB279_136
; %bb.135:
	v_lshl_add_u64 v[48:49], v[46:47], 1, v[48:49]
	global_load_ushort v48, v[48:49], off
	s_waitcnt vmcnt(0)
	v_mul_f16_e32 v48, v52, v48
	v_cvt_f32_f16_e32 v48, v48
	s_branch .LBB279_137
.LBB279_136:
	v_mov_b32_e32 v48, 0
.LBB279_137:
	v_pk_add_f16 v30, v2, v30
	v_max_f16_e32 v49, v102, v102
	v_pk_add_f16 v31, v3, v31
	v_min_f16_e32 v49, v49, v30
	v_lshrrev_b32_e32 v50, 16, v102
	v_lshrrev_b32_e32 v30, 16, v30
	;; [unrolled: 1-line block ×3, first 2 shown]
	v_min3_f16 v30, v50, v30, v51
	v_min3_f16 v30, v49, v31, v30
	v_cvt_f32_f16_e32 v30, v30
	v_max_f32_e32 v31, v48, v48
	v_lshl_add_u64 v[28:29], v[46:47], 1, v[28:29]
	v_min_f32_e32 v30, v31, v30
	v_cvt_f16_f32_e32 v30, v30
	global_store_short v[28:29], v30, off
.LBB279_138:
	s_or_b64 exec, exec, s[18:19]
	v_add_u32_e32 v48, 64, v93
	v_mad_i64_i32 v[28:29], s[26:27], v48, s29, 0
	v_cmp_gt_i32_e64 s[18:19], s21, v48
	v_lshl_add_u64 v[30:31], v[28:29], 1, s[24:25]
	v_mad_i64_i32 v[28:29], s[26:27], v48, s28, 0
	v_lshl_add_u64 v[28:29], v[28:29], 1, s[22:23]
	s_and_b64 s[30:31], s[4:5], s[18:19]
	s_and_saveexec_b64 s[26:27], s[30:31]
	s_cbranch_execnz .LBB279_146
; %bb.139:
	s_or_b64 exec, exec, s[26:27]
	s_and_b64 s[30:31], s[2:3], s[18:19]
	s_and_saveexec_b64 s[26:27], s[30:31]
	s_cbranch_execnz .LBB279_150
.LBB279_140:
	s_or_b64 exec, exec, s[26:27]
	s_and_b64 s[30:31], s[6:7], s[18:19]
	s_and_saveexec_b64 s[26:27], s[30:31]
	s_cbranch_execnz .LBB279_154
.LBB279_141:
	s_or_b64 exec, exec, s[26:27]
	s_and_b64 s[30:31], s[8:9], s[18:19]
	s_and_saveexec_b64 s[26:27], s[30:31]
	s_cbranch_execnz .LBB279_158
.LBB279_142:
	s_or_b64 exec, exec, s[26:27]
	s_and_b64 s[30:31], s[10:11], s[18:19]
	s_and_saveexec_b64 s[26:27], s[30:31]
	s_cbranch_execnz .LBB279_162
.LBB279_143:
	s_or_b64 exec, exec, s[26:27]
	s_and_b64 s[30:31], s[12:13], s[18:19]
	s_and_saveexec_b64 s[26:27], s[30:31]
	s_cbranch_execnz .LBB279_166
.LBB279_144:
	s_or_b64 exec, exec, s[26:27]
	s_and_b64 s[30:31], s[14:15], s[18:19]
	s_and_saveexec_b64 s[26:27], s[30:31]
	s_cbranch_execnz .LBB279_170
.LBB279_145:
	s_or_b64 exec, exec, s[26:27]
	s_and_b64 s[26:27], s[16:17], s[18:19]
	s_and_saveexec_b64 s[18:19], s[26:27]
	s_cbranch_execnz .LBB279_174
	s_branch .LBB279_178
.LBB279_146:
	s_and_b64 vcc, exec, s[0:1]
	s_cbranch_vccnz .LBB279_148
; %bb.147:
	v_lshl_add_u64 v[48:49], v[32:33], 1, v[30:31]
	global_load_ushort v48, v[48:49], off
	s_waitcnt vmcnt(0)
	v_mul_f16_e32 v48, v52, v48
	v_cvt_f32_f16_e32 v48, v48
	s_branch .LBB279_149
.LBB279_148:
	v_mov_b32_e32 v48, 0
.LBB279_149:
	s_waitcnt lgkmcnt(2)
	v_pk_add_f16 v49, v16, v24
	v_max_f16_e32 v50, v101, v101
	v_lshrrev_b32_e32 v51, 16, v101
	v_pk_add_f16 v101, v17, v25
	v_min_f16_e32 v50, v50, v49
	v_lshrrev_b32_e32 v49, 16, v49
	v_lshrrev_b32_e32 v102, 16, v101
	v_min3_f16 v49, v51, v49, v102
	v_min3_f16 v49, v50, v101, v49
	v_cvt_f32_f16_e32 v49, v49
	v_max_f32_e32 v48, v48, v48
	v_min_f32_e32 v48, v48, v49
	v_cvt_f16_f32_e32 v50, v48
	v_lshl_add_u64 v[48:49], v[32:33], 1, v[28:29]
	global_store_short v[48:49], v50, off
	s_or_b64 exec, exec, s[26:27]
	s_and_b64 s[30:31], s[2:3], s[18:19]
	s_and_saveexec_b64 s[26:27], s[30:31]
	s_cbranch_execz .LBB279_140
.LBB279_150:
	s_and_b64 vcc, exec, s[0:1]
	s_cbranch_vccnz .LBB279_152
; %bb.151:
	v_lshl_add_u64 v[48:49], v[34:35], 1, v[30:31]
	global_load_ushort v48, v[48:49], off
	s_waitcnt vmcnt(0)
	v_mul_f16_e32 v48, v52, v48
	v_cvt_f32_f16_e32 v48, v48
	s_branch .LBB279_153
.LBB279_152:
	v_mov_b32_e32 v48, 0
.LBB279_153:
	s_waitcnt lgkmcnt(2)
	v_pk_add_f16 v49, v18, v24
	v_max_f16_e32 v50, v100, v100
	v_lshrrev_b32_e32 v51, 16, v100
	v_pk_add_f16 v100, v19, v25
	v_min_f16_e32 v50, v50, v49
	v_lshrrev_b32_e32 v49, 16, v49
	v_lshrrev_b32_e32 v101, 16, v100
	v_min3_f16 v49, v51, v49, v101
	v_min3_f16 v49, v50, v100, v49
	v_cvt_f32_f16_e32 v49, v49
	v_max_f32_e32 v48, v48, v48
	v_min_f32_e32 v48, v48, v49
	v_cvt_f16_f32_e32 v50, v48
	v_lshl_add_u64 v[48:49], v[34:35], 1, v[28:29]
	global_store_short v[48:49], v50, off
	s_or_b64 exec, exec, s[26:27]
	s_and_b64 s[30:31], s[6:7], s[18:19]
	s_and_saveexec_b64 s[26:27], s[30:31]
	s_cbranch_execz .LBB279_141
.LBB279_154:
	s_and_b64 vcc, exec, s[0:1]
	s_cbranch_vccnz .LBB279_156
; %bb.155:
	v_lshl_add_u64 v[48:49], v[36:37], 1, v[30:31]
	global_load_ushort v48, v[48:49], off
	s_waitcnt vmcnt(0)
	v_mul_f16_e32 v48, v52, v48
	v_cvt_f32_f16_e32 v48, v48
	s_branch .LBB279_157
.LBB279_156:
	v_mov_b32_e32 v48, 0
.LBB279_157:
	s_waitcnt lgkmcnt(2)
	v_pk_add_f16 v49, v12, v24
	v_max_f16_e32 v50, v99, v99
	v_lshrrev_b32_e32 v51, 16, v99
	v_pk_add_f16 v99, v13, v25
	v_min_f16_e32 v50, v50, v49
	v_lshrrev_b32_e32 v49, 16, v49
	v_lshrrev_b32_e32 v100, 16, v99
	v_min3_f16 v49, v51, v49, v100
	v_min3_f16 v49, v50, v99, v49
	v_cvt_f32_f16_e32 v49, v49
	v_max_f32_e32 v48, v48, v48
	v_min_f32_e32 v48, v48, v49
	v_cvt_f16_f32_e32 v50, v48
	v_lshl_add_u64 v[48:49], v[36:37], 1, v[28:29]
	global_store_short v[48:49], v50, off
	s_or_b64 exec, exec, s[26:27]
	s_and_b64 s[30:31], s[8:9], s[18:19]
	s_and_saveexec_b64 s[26:27], s[30:31]
	s_cbranch_execz .LBB279_142
.LBB279_158:
	s_and_b64 vcc, exec, s[0:1]
	s_cbranch_vccnz .LBB279_160
; %bb.159:
	v_lshl_add_u64 v[48:49], v[38:39], 1, v[30:31]
	global_load_ushort v48, v[48:49], off
	s_waitcnt vmcnt(0)
	v_mul_f16_e32 v48, v52, v48
	v_cvt_f32_f16_e32 v48, v48
	s_branch .LBB279_161
.LBB279_160:
	v_mov_b32_e32 v48, 0
.LBB279_161:
	s_waitcnt lgkmcnt(2)
	v_pk_add_f16 v49, v14, v24
	v_max_f16_e32 v50, v98, v98
	v_lshrrev_b32_e32 v51, 16, v98
	v_pk_add_f16 v98, v15, v25
	v_min_f16_e32 v50, v50, v49
	v_lshrrev_b32_e32 v49, 16, v49
	v_lshrrev_b32_e32 v99, 16, v98
	v_min3_f16 v49, v51, v49, v99
	v_min3_f16 v49, v50, v98, v49
	v_cvt_f32_f16_e32 v49, v49
	v_max_f32_e32 v48, v48, v48
	v_min_f32_e32 v48, v48, v49
	v_cvt_f16_f32_e32 v50, v48
	v_lshl_add_u64 v[48:49], v[38:39], 1, v[28:29]
	global_store_short v[48:49], v50, off
	s_or_b64 exec, exec, s[26:27]
	s_and_b64 s[30:31], s[10:11], s[18:19]
	s_and_saveexec_b64 s[26:27], s[30:31]
	s_cbranch_execz .LBB279_143
.LBB279_162:
	s_and_b64 vcc, exec, s[0:1]
	s_cbranch_vccnz .LBB279_164
; %bb.163:
	v_lshl_add_u64 v[48:49], v[40:41], 1, v[30:31]
	global_load_ushort v48, v[48:49], off
	s_waitcnt vmcnt(0)
	v_mul_f16_e32 v48, v52, v48
	v_cvt_f32_f16_e32 v48, v48
	s_branch .LBB279_165
.LBB279_164:
	v_mov_b32_e32 v48, 0
.LBB279_165:
	s_waitcnt lgkmcnt(2)
	v_pk_add_f16 v49, v8, v24
	v_max_f16_e32 v50, v97, v97
	v_lshrrev_b32_e32 v51, 16, v97
	v_pk_add_f16 v97, v9, v25
	v_min_f16_e32 v50, v50, v49
	v_lshrrev_b32_e32 v49, 16, v49
	v_lshrrev_b32_e32 v98, 16, v97
	v_min3_f16 v49, v51, v49, v98
	v_min3_f16 v49, v50, v97, v49
	v_cvt_f32_f16_e32 v49, v49
	v_max_f32_e32 v48, v48, v48
	v_min_f32_e32 v48, v48, v49
	v_cvt_f16_f32_e32 v50, v48
	v_lshl_add_u64 v[48:49], v[40:41], 1, v[28:29]
	global_store_short v[48:49], v50, off
	s_or_b64 exec, exec, s[26:27]
	s_and_b64 s[30:31], s[12:13], s[18:19]
	s_and_saveexec_b64 s[26:27], s[30:31]
	s_cbranch_execz .LBB279_144
.LBB279_166:
	s_and_b64 vcc, exec, s[0:1]
	s_cbranch_vccnz .LBB279_168
; %bb.167:
	v_lshl_add_u64 v[48:49], v[42:43], 1, v[30:31]
	global_load_ushort v48, v[48:49], off
	s_waitcnt vmcnt(0)
	v_mul_f16_e32 v48, v52, v48
	v_cvt_f32_f16_e32 v48, v48
	s_branch .LBB279_169
.LBB279_168:
	v_mov_b32_e32 v48, 0
.LBB279_169:
	s_waitcnt lgkmcnt(2)
	v_pk_add_f16 v49, v10, v24
	v_max_f16_e32 v50, v96, v96
	v_lshrrev_b32_e32 v51, 16, v96
	v_pk_add_f16 v96, v11, v25
	v_min_f16_e32 v50, v50, v49
	v_lshrrev_b32_e32 v49, 16, v49
	v_lshrrev_b32_e32 v97, 16, v96
	v_min3_f16 v49, v51, v49, v97
	v_min3_f16 v49, v50, v96, v49
	v_cvt_f32_f16_e32 v49, v49
	v_max_f32_e32 v48, v48, v48
	v_min_f32_e32 v48, v48, v49
	v_cvt_f16_f32_e32 v50, v48
	v_lshl_add_u64 v[48:49], v[42:43], 1, v[28:29]
	global_store_short v[48:49], v50, off
	s_or_b64 exec, exec, s[26:27]
	s_and_b64 s[30:31], s[14:15], s[18:19]
	s_and_saveexec_b64 s[26:27], s[30:31]
	s_cbranch_execz .LBB279_145
.LBB279_170:
	s_and_b64 vcc, exec, s[0:1]
	s_cbranch_vccnz .LBB279_172
; %bb.171:
	v_lshl_add_u64 v[48:49], v[44:45], 1, v[30:31]
	global_load_ushort v48, v[48:49], off
	s_waitcnt vmcnt(0)
	v_mul_f16_e32 v48, v52, v48
	v_cvt_f32_f16_e32 v48, v48
	s_branch .LBB279_173
.LBB279_172:
	v_mov_b32_e32 v48, 0
.LBB279_173:
	s_waitcnt lgkmcnt(2)
	v_pk_add_f16 v49, v0, v24
	v_max_f16_e32 v50, v95, v95
	v_lshrrev_b32_e32 v51, 16, v95
	v_pk_add_f16 v95, v1, v25
	v_min_f16_e32 v50, v50, v49
	v_lshrrev_b32_e32 v49, 16, v49
	v_lshrrev_b32_e32 v96, 16, v95
	v_min3_f16 v49, v51, v49, v96
	v_min3_f16 v49, v50, v95, v49
	v_cvt_f32_f16_e32 v49, v49
	v_max_f32_e32 v48, v48, v48
	v_min_f32_e32 v48, v48, v49
	v_cvt_f16_f32_e32 v50, v48
	v_lshl_add_u64 v[48:49], v[44:45], 1, v[28:29]
	global_store_short v[48:49], v50, off
	s_or_b64 exec, exec, s[26:27]
	s_and_b64 s[26:27], s[16:17], s[18:19]
	s_and_saveexec_b64 s[18:19], s[26:27]
	s_cbranch_execz .LBB279_178
.LBB279_174:
	s_and_b64 vcc, exec, s[0:1]
	s_cbranch_vccnz .LBB279_176
; %bb.175:
	v_lshl_add_u64 v[30:31], v[46:47], 1, v[30:31]
	global_load_ushort v30, v[30:31], off
	s_waitcnt vmcnt(0)
	v_mul_f16_e32 v30, v52, v30
	v_cvt_f32_f16_e32 v30, v30
	s_branch .LBB279_177
.LBB279_176:
	v_mov_b32_e32 v30, 0
.LBB279_177:
	s_waitcnt lgkmcnt(2)
	v_pk_add_f16 v24, v2, v24
	v_max_f16_e32 v31, v94, v94
	v_pk_add_f16 v25, v3, v25
	v_min_f16_e32 v31, v31, v24
	v_lshrrev_b32_e32 v48, 16, v94
	v_lshrrev_b32_e32 v24, 16, v24
	;; [unrolled: 1-line block ×3, first 2 shown]
	v_min3_f16 v24, v48, v24, v49
	v_min3_f16 v24, v31, v25, v24
	v_cvt_f32_f16_e32 v24, v24
	v_max_f32_e32 v25, v30, v30
	v_min_f32_e32 v24, v25, v24
	v_cvt_f16_f32_e32 v30, v24
	v_lshl_add_u64 v[24:25], v[46:47], 1, v[28:29]
	global_store_short v[24:25], v30, off
.LBB279_178:
	s_or_b64 exec, exec, s[18:19]
	v_add_u32_e32 v30, 0x60, v93
	s_waitcnt lgkmcnt(2)
	v_mad_i64_i32 v[24:25], s[26:27], v30, s29, 0
	v_cmp_gt_i32_e64 s[18:19], s21, v30
	v_lshl_add_u64 v[28:29], v[24:25], 1, s[24:25]
	v_mad_i64_i32 v[24:25], s[26:27], v30, s28, 0
	v_lshl_add_u64 v[24:25], v[24:25], 1, s[22:23]
	s_and_b64 s[30:31], s[4:5], s[18:19]
	s_and_saveexec_b64 s[26:27], s[30:31]
	s_cbranch_execnz .LBB279_186
; %bb.179:
	s_or_b64 exec, exec, s[26:27]
	s_and_b64 s[30:31], s[2:3], s[18:19]
	s_and_saveexec_b64 s[26:27], s[30:31]
	s_cbranch_execnz .LBB279_190
.LBB279_180:
	s_or_b64 exec, exec, s[26:27]
	s_and_b64 s[30:31], s[6:7], s[18:19]
	s_and_saveexec_b64 s[26:27], s[30:31]
	s_cbranch_execnz .LBB279_194
.LBB279_181:
	s_or_b64 exec, exec, s[26:27]
	s_and_b64 s[30:31], s[8:9], s[18:19]
	s_and_saveexec_b64 s[26:27], s[30:31]
	s_cbranch_execnz .LBB279_198
.LBB279_182:
	s_or_b64 exec, exec, s[26:27]
	s_and_b64 s[30:31], s[10:11], s[18:19]
	s_and_saveexec_b64 s[26:27], s[30:31]
	s_cbranch_execnz .LBB279_202
.LBB279_183:
	s_or_b64 exec, exec, s[26:27]
	s_and_b64 s[30:31], s[12:13], s[18:19]
	s_and_saveexec_b64 s[26:27], s[30:31]
	s_cbranch_execnz .LBB279_206
.LBB279_184:
	s_or_b64 exec, exec, s[26:27]
	s_and_b64 s[30:31], s[14:15], s[18:19]
	s_and_saveexec_b64 s[26:27], s[30:31]
	s_cbranch_execnz .LBB279_210
.LBB279_185:
	s_or_b64 exec, exec, s[26:27]
	s_and_b64 s[26:27], s[16:17], s[18:19]
	s_and_saveexec_b64 s[18:19], s[26:27]
	s_cbranch_execnz .LBB279_214
	s_branch .LBB279_218
.LBB279_186:
	s_and_b64 vcc, exec, s[0:1]
	s_cbranch_vccnz .LBB279_188
; %bb.187:
	v_lshl_add_u64 v[30:31], v[32:33], 1, v[28:29]
	global_load_ushort v30, v[30:31], off
	s_waitcnt vmcnt(0)
	v_mul_f16_e32 v30, v52, v30
	v_cvt_f32_f16_e32 v30, v30
	s_branch .LBB279_189
.LBB279_188:
	v_mov_b32_e32 v30, 0
.LBB279_189:
	v_pk_add_f16 v31, v16, v26
	v_max_f16_e32 v48, v92, v92
	v_pk_add_f16 v50, v17, v27
	v_min_f16_e32 v48, v48, v31
	v_lshrrev_b32_e32 v49, 16, v92
	v_lshrrev_b32_e32 v31, 16, v31
	;; [unrolled: 1-line block ×3, first 2 shown]
	v_min3_f16 v31, v49, v31, v51
	v_min3_f16 v31, v48, v50, v31
	v_cvt_f32_f16_e32 v31, v31
	v_max_f32_e32 v30, v30, v30
	v_min_f32_e32 v30, v30, v31
	v_cvt_f16_f32_e32 v48, v30
	v_lshl_add_u64 v[30:31], v[32:33], 1, v[24:25]
	global_store_short v[30:31], v48, off
	s_or_b64 exec, exec, s[26:27]
	s_and_b64 s[30:31], s[2:3], s[18:19]
	s_and_saveexec_b64 s[26:27], s[30:31]
	s_cbranch_execz .LBB279_180
.LBB279_190:
	s_and_b64 vcc, exec, s[0:1]
	s_cbranch_vccnz .LBB279_192
; %bb.191:
	v_lshl_add_u64 v[30:31], v[34:35], 1, v[28:29]
	global_load_ushort v30, v[30:31], off
	s_waitcnt vmcnt(0)
	v_mul_f16_e32 v30, v52, v30
	v_cvt_f32_f16_e32 v30, v30
	s_branch .LBB279_193
.LBB279_192:
	v_mov_b32_e32 v30, 0
.LBB279_193:
	v_pk_add_f16 v31, v18, v26
	v_max_f16_e32 v48, v91, v91
	v_pk_add_f16 v50, v19, v27
	v_min_f16_e32 v48, v48, v31
	v_lshrrev_b32_e32 v49, 16, v91
	v_lshrrev_b32_e32 v31, 16, v31
	;; [unrolled: 1-line block ×3, first 2 shown]
	v_min3_f16 v31, v49, v31, v51
	v_min3_f16 v31, v48, v50, v31
	v_cvt_f32_f16_e32 v31, v31
	v_max_f32_e32 v30, v30, v30
	v_min_f32_e32 v30, v30, v31
	v_cvt_f16_f32_e32 v48, v30
	v_lshl_add_u64 v[30:31], v[34:35], 1, v[24:25]
	global_store_short v[30:31], v48, off
	s_or_b64 exec, exec, s[26:27]
	s_and_b64 s[30:31], s[6:7], s[18:19]
	s_and_saveexec_b64 s[26:27], s[30:31]
	s_cbranch_execz .LBB279_181
.LBB279_194:
	s_and_b64 vcc, exec, s[0:1]
	s_cbranch_vccnz .LBB279_196
; %bb.195:
	v_lshl_add_u64 v[30:31], v[36:37], 1, v[28:29]
	global_load_ushort v30, v[30:31], off
	s_waitcnt vmcnt(0)
	v_mul_f16_e32 v30, v52, v30
	v_cvt_f32_f16_e32 v30, v30
	s_branch .LBB279_197
.LBB279_196:
	v_mov_b32_e32 v30, 0
.LBB279_197:
	v_pk_add_f16 v31, v12, v26
	v_max_f16_e32 v48, v90, v90
	v_pk_add_f16 v50, v13, v27
	v_min_f16_e32 v48, v48, v31
	v_lshrrev_b32_e32 v49, 16, v90
	v_lshrrev_b32_e32 v31, 16, v31
	;; [unrolled: 1-line block ×3, first 2 shown]
	v_min3_f16 v31, v49, v31, v51
	v_min3_f16 v31, v48, v50, v31
	v_cvt_f32_f16_e32 v31, v31
	v_max_f32_e32 v30, v30, v30
	v_min_f32_e32 v30, v30, v31
	v_cvt_f16_f32_e32 v48, v30
	v_lshl_add_u64 v[30:31], v[36:37], 1, v[24:25]
	global_store_short v[30:31], v48, off
	s_or_b64 exec, exec, s[26:27]
	s_and_b64 s[30:31], s[8:9], s[18:19]
	s_and_saveexec_b64 s[26:27], s[30:31]
	s_cbranch_execz .LBB279_182
.LBB279_198:
	s_and_b64 vcc, exec, s[0:1]
	s_cbranch_vccnz .LBB279_200
; %bb.199:
	v_lshl_add_u64 v[30:31], v[38:39], 1, v[28:29]
	global_load_ushort v30, v[30:31], off
	s_waitcnt vmcnt(0)
	v_mul_f16_e32 v30, v52, v30
	v_cvt_f32_f16_e32 v30, v30
	s_branch .LBB279_201
.LBB279_200:
	v_mov_b32_e32 v30, 0
.LBB279_201:
	v_pk_add_f16 v31, v14, v26
	v_max_f16_e32 v48, v89, v89
	v_pk_add_f16 v50, v15, v27
	v_min_f16_e32 v48, v48, v31
	v_lshrrev_b32_e32 v49, 16, v89
	v_lshrrev_b32_e32 v31, 16, v31
	;; [unrolled: 1-line block ×3, first 2 shown]
	v_min3_f16 v31, v49, v31, v51
	v_min3_f16 v31, v48, v50, v31
	v_cvt_f32_f16_e32 v31, v31
	v_max_f32_e32 v30, v30, v30
	v_min_f32_e32 v30, v30, v31
	v_cvt_f16_f32_e32 v48, v30
	v_lshl_add_u64 v[30:31], v[38:39], 1, v[24:25]
	global_store_short v[30:31], v48, off
	s_or_b64 exec, exec, s[26:27]
	s_and_b64 s[30:31], s[10:11], s[18:19]
	s_and_saveexec_b64 s[26:27], s[30:31]
	s_cbranch_execz .LBB279_183
.LBB279_202:
	s_and_b64 vcc, exec, s[0:1]
	s_cbranch_vccnz .LBB279_204
; %bb.203:
	v_lshl_add_u64 v[30:31], v[40:41], 1, v[28:29]
	global_load_ushort v30, v[30:31], off
	s_waitcnt vmcnt(0)
	v_mul_f16_e32 v30, v52, v30
	v_cvt_f32_f16_e32 v30, v30
	s_branch .LBB279_205
.LBB279_204:
	v_mov_b32_e32 v30, 0
.LBB279_205:
	v_pk_add_f16 v31, v8, v26
	v_max_f16_e32 v48, v88, v88
	v_pk_add_f16 v50, v9, v27
	v_min_f16_e32 v48, v48, v31
	v_lshrrev_b32_e32 v49, 16, v88
	v_lshrrev_b32_e32 v31, 16, v31
	;; [unrolled: 1-line block ×3, first 2 shown]
	v_min3_f16 v31, v49, v31, v51
	v_min3_f16 v31, v48, v50, v31
	v_cvt_f32_f16_e32 v31, v31
	v_max_f32_e32 v30, v30, v30
	v_min_f32_e32 v30, v30, v31
	v_cvt_f16_f32_e32 v48, v30
	v_lshl_add_u64 v[30:31], v[40:41], 1, v[24:25]
	global_store_short v[30:31], v48, off
	s_or_b64 exec, exec, s[26:27]
	s_and_b64 s[30:31], s[12:13], s[18:19]
	s_and_saveexec_b64 s[26:27], s[30:31]
	s_cbranch_execz .LBB279_184
.LBB279_206:
	s_and_b64 vcc, exec, s[0:1]
	s_cbranch_vccnz .LBB279_208
; %bb.207:
	v_lshl_add_u64 v[30:31], v[42:43], 1, v[28:29]
	global_load_ushort v30, v[30:31], off
	s_waitcnt vmcnt(0)
	v_mul_f16_e32 v30, v52, v30
	v_cvt_f32_f16_e32 v30, v30
	s_branch .LBB279_209
.LBB279_208:
	v_mov_b32_e32 v30, 0
.LBB279_209:
	v_pk_add_f16 v31, v10, v26
	v_max_f16_e32 v48, v87, v87
	v_pk_add_f16 v50, v11, v27
	v_min_f16_e32 v48, v48, v31
	v_lshrrev_b32_e32 v49, 16, v87
	v_lshrrev_b32_e32 v31, 16, v31
	;; [unrolled: 1-line block ×3, first 2 shown]
	v_min3_f16 v31, v49, v31, v51
	v_min3_f16 v31, v48, v50, v31
	v_cvt_f32_f16_e32 v31, v31
	v_max_f32_e32 v30, v30, v30
	v_min_f32_e32 v30, v30, v31
	v_cvt_f16_f32_e32 v48, v30
	v_lshl_add_u64 v[30:31], v[42:43], 1, v[24:25]
	global_store_short v[30:31], v48, off
	s_or_b64 exec, exec, s[26:27]
	s_and_b64 s[30:31], s[14:15], s[18:19]
	s_and_saveexec_b64 s[26:27], s[30:31]
	s_cbranch_execz .LBB279_185
.LBB279_210:
	s_and_b64 vcc, exec, s[0:1]
	s_cbranch_vccnz .LBB279_212
; %bb.211:
	v_lshl_add_u64 v[30:31], v[44:45], 1, v[28:29]
	global_load_ushort v30, v[30:31], off
	s_waitcnt vmcnt(0)
	v_mul_f16_e32 v30, v52, v30
	v_cvt_f32_f16_e32 v30, v30
	s_branch .LBB279_213
.LBB279_212:
	v_mov_b32_e32 v30, 0
.LBB279_213:
	v_pk_add_f16 v31, v0, v26
	v_max_f16_e32 v48, v86, v86
	v_pk_add_f16 v50, v1, v27
	v_min_f16_e32 v48, v48, v31
	v_lshrrev_b32_e32 v49, 16, v86
	v_lshrrev_b32_e32 v31, 16, v31
	v_lshrrev_b32_e32 v51, 16, v50
	v_min3_f16 v31, v49, v31, v51
	v_min3_f16 v31, v48, v50, v31
	v_cvt_f32_f16_e32 v31, v31
	v_max_f32_e32 v30, v30, v30
	v_min_f32_e32 v30, v30, v31
	v_cvt_f16_f32_e32 v48, v30
	v_lshl_add_u64 v[30:31], v[44:45], 1, v[24:25]
	global_store_short v[30:31], v48, off
	s_or_b64 exec, exec, s[26:27]
	s_and_b64 s[26:27], s[16:17], s[18:19]
	s_and_saveexec_b64 s[18:19], s[26:27]
	s_cbranch_execz .LBB279_218
.LBB279_214:
	s_and_b64 vcc, exec, s[0:1]
	s_cbranch_vccnz .LBB279_216
; %bb.215:
	v_lshl_add_u64 v[28:29], v[46:47], 1, v[28:29]
	global_load_ushort v28, v[28:29], off
	s_waitcnt vmcnt(0)
	v_mul_f16_e32 v28, v52, v28
	v_cvt_f32_f16_e32 v28, v28
	s_branch .LBB279_217
.LBB279_216:
	v_mov_b32_e32 v28, 0
.LBB279_217:
	v_pk_add_f16 v26, v2, v26
	v_max_f16_e32 v29, v85, v85
	v_pk_add_f16 v27, v3, v27
	v_min_f16_e32 v29, v29, v26
	v_lshrrev_b32_e32 v30, 16, v85
	v_lshrrev_b32_e32 v26, 16, v26
	;; [unrolled: 1-line block ×3, first 2 shown]
	v_min3_f16 v26, v30, v26, v31
	v_min3_f16 v26, v29, v27, v26
	v_cvt_f32_f16_e32 v26, v26
	v_max_f32_e32 v27, v28, v28
	v_lshl_add_u64 v[24:25], v[46:47], 1, v[24:25]
	v_min_f32_e32 v26, v27, v26
	v_cvt_f16_f32_e32 v26, v26
	global_store_short v[24:25], v26, off
.LBB279_218:
	s_or_b64 exec, exec, s[18:19]
	v_add_u32_e32 v28, 0x80, v93
	v_mad_i64_i32 v[24:25], s[26:27], v28, s29, 0
	v_cmp_gt_i32_e64 s[18:19], s21, v28
	v_lshl_add_u64 v[26:27], v[24:25], 1, s[24:25]
	v_mad_i64_i32 v[24:25], s[26:27], v28, s28, 0
	v_lshl_add_u64 v[24:25], v[24:25], 1, s[22:23]
	s_and_b64 s[30:31], s[4:5], s[18:19]
	s_and_saveexec_b64 s[26:27], s[30:31]
	s_cbranch_execnz .LBB279_226
; %bb.219:
	s_or_b64 exec, exec, s[26:27]
	s_and_b64 s[30:31], s[2:3], s[18:19]
	s_and_saveexec_b64 s[26:27], s[30:31]
	s_cbranch_execnz .LBB279_230
.LBB279_220:
	s_or_b64 exec, exec, s[26:27]
	s_and_b64 s[30:31], s[6:7], s[18:19]
	s_and_saveexec_b64 s[26:27], s[30:31]
	s_cbranch_execnz .LBB279_234
.LBB279_221:
	s_or_b64 exec, exec, s[26:27]
	s_and_b64 s[30:31], s[8:9], s[18:19]
	s_and_saveexec_b64 s[26:27], s[30:31]
	s_cbranch_execnz .LBB279_238
.LBB279_222:
	s_or_b64 exec, exec, s[26:27]
	s_and_b64 s[30:31], s[10:11], s[18:19]
	s_and_saveexec_b64 s[26:27], s[30:31]
	s_cbranch_execnz .LBB279_242
.LBB279_223:
	s_or_b64 exec, exec, s[26:27]
	s_and_b64 s[30:31], s[12:13], s[18:19]
	s_and_saveexec_b64 s[26:27], s[30:31]
	s_cbranch_execnz .LBB279_246
.LBB279_224:
	s_or_b64 exec, exec, s[26:27]
	s_and_b64 s[30:31], s[14:15], s[18:19]
	s_and_saveexec_b64 s[26:27], s[30:31]
	s_cbranch_execnz .LBB279_250
.LBB279_225:
	s_or_b64 exec, exec, s[26:27]
	s_and_b64 s[26:27], s[16:17], s[18:19]
	s_and_saveexec_b64 s[18:19], s[26:27]
	s_cbranch_execnz .LBB279_254
	s_branch .LBB279_258
.LBB279_226:
	s_and_b64 vcc, exec, s[0:1]
	s_cbranch_vccnz .LBB279_228
; %bb.227:
	v_lshl_add_u64 v[28:29], v[32:33], 1, v[26:27]
	global_load_ushort v28, v[28:29], off
	s_waitcnt vmcnt(0)
	v_mul_f16_e32 v28, v52, v28
	v_cvt_f32_f16_e32 v28, v28
	s_branch .LBB279_229
.LBB279_228:
	v_mov_b32_e32 v28, 0
.LBB279_229:
	s_waitcnt lgkmcnt(1)
	v_pk_add_f16 v29, v16, v20
	v_max_f16_e32 v30, v84, v84
	v_pk_add_f16 v48, v17, v21
	v_min_f16_e32 v30, v30, v29
	v_lshrrev_b32_e32 v31, 16, v84
	v_lshrrev_b32_e32 v29, 16, v29
	;; [unrolled: 1-line block ×3, first 2 shown]
	v_min3_f16 v29, v31, v29, v49
	v_min3_f16 v29, v30, v48, v29
	v_cvt_f32_f16_e32 v29, v29
	v_max_f32_e32 v28, v28, v28
	v_min_f32_e32 v28, v28, v29
	v_cvt_f16_f32_e32 v30, v28
	v_lshl_add_u64 v[28:29], v[32:33], 1, v[24:25]
	global_store_short v[28:29], v30, off
	s_or_b64 exec, exec, s[26:27]
	s_and_b64 s[30:31], s[2:3], s[18:19]
	s_and_saveexec_b64 s[26:27], s[30:31]
	s_cbranch_execz .LBB279_220
.LBB279_230:
	s_and_b64 vcc, exec, s[0:1]
	s_cbranch_vccnz .LBB279_232
; %bb.231:
	v_lshl_add_u64 v[28:29], v[34:35], 1, v[26:27]
	global_load_ushort v28, v[28:29], off
	s_waitcnt vmcnt(0)
	v_mul_f16_e32 v28, v52, v28
	v_cvt_f32_f16_e32 v28, v28
	s_branch .LBB279_233
.LBB279_232:
	v_mov_b32_e32 v28, 0
.LBB279_233:
	s_waitcnt lgkmcnt(1)
	v_pk_add_f16 v29, v18, v20
	v_max_f16_e32 v30, v83, v83
	v_pk_add_f16 v48, v19, v21
	v_min_f16_e32 v30, v30, v29
	v_lshrrev_b32_e32 v31, 16, v83
	v_lshrrev_b32_e32 v29, 16, v29
	;; [unrolled: 1-line block ×3, first 2 shown]
	v_min3_f16 v29, v31, v29, v49
	v_min3_f16 v29, v30, v48, v29
	v_cvt_f32_f16_e32 v29, v29
	v_max_f32_e32 v28, v28, v28
	v_min_f32_e32 v28, v28, v29
	v_cvt_f16_f32_e32 v30, v28
	v_lshl_add_u64 v[28:29], v[34:35], 1, v[24:25]
	global_store_short v[28:29], v30, off
	s_or_b64 exec, exec, s[26:27]
	s_and_b64 s[30:31], s[6:7], s[18:19]
	s_and_saveexec_b64 s[26:27], s[30:31]
	s_cbranch_execz .LBB279_221
.LBB279_234:
	s_and_b64 vcc, exec, s[0:1]
	s_cbranch_vccnz .LBB279_236
; %bb.235:
	v_lshl_add_u64 v[28:29], v[36:37], 1, v[26:27]
	global_load_ushort v28, v[28:29], off
	s_waitcnt vmcnt(0)
	v_mul_f16_e32 v28, v52, v28
	v_cvt_f32_f16_e32 v28, v28
	s_branch .LBB279_237
.LBB279_236:
	v_mov_b32_e32 v28, 0
.LBB279_237:
	s_waitcnt lgkmcnt(1)
	v_pk_add_f16 v29, v12, v20
	v_max_f16_e32 v30, v82, v82
	v_pk_add_f16 v48, v13, v21
	v_min_f16_e32 v30, v30, v29
	v_lshrrev_b32_e32 v31, 16, v82
	v_lshrrev_b32_e32 v29, 16, v29
	v_lshrrev_b32_e32 v49, 16, v48
	v_min3_f16 v29, v31, v29, v49
	v_min3_f16 v29, v30, v48, v29
	v_cvt_f32_f16_e32 v29, v29
	v_max_f32_e32 v28, v28, v28
	v_min_f32_e32 v28, v28, v29
	v_cvt_f16_f32_e32 v30, v28
	v_lshl_add_u64 v[28:29], v[36:37], 1, v[24:25]
	global_store_short v[28:29], v30, off
	s_or_b64 exec, exec, s[26:27]
	s_and_b64 s[30:31], s[8:9], s[18:19]
	s_and_saveexec_b64 s[26:27], s[30:31]
	s_cbranch_execz .LBB279_222
.LBB279_238:
	s_and_b64 vcc, exec, s[0:1]
	s_cbranch_vccnz .LBB279_240
; %bb.239:
	v_lshl_add_u64 v[28:29], v[38:39], 1, v[26:27]
	global_load_ushort v28, v[28:29], off
	s_waitcnt vmcnt(0)
	v_mul_f16_e32 v28, v52, v28
	v_cvt_f32_f16_e32 v28, v28
	s_branch .LBB279_241
.LBB279_240:
	v_mov_b32_e32 v28, 0
.LBB279_241:
	s_waitcnt lgkmcnt(1)
	v_pk_add_f16 v29, v14, v20
	v_max_f16_e32 v30, v81, v81
	v_pk_add_f16 v48, v15, v21
	v_min_f16_e32 v30, v30, v29
	v_lshrrev_b32_e32 v31, 16, v81
	v_lshrrev_b32_e32 v29, 16, v29
	;; [unrolled: 1-line block ×3, first 2 shown]
	v_min3_f16 v29, v31, v29, v49
	v_min3_f16 v29, v30, v48, v29
	v_cvt_f32_f16_e32 v29, v29
	v_max_f32_e32 v28, v28, v28
	v_min_f32_e32 v28, v28, v29
	v_cvt_f16_f32_e32 v30, v28
	v_lshl_add_u64 v[28:29], v[38:39], 1, v[24:25]
	global_store_short v[28:29], v30, off
	s_or_b64 exec, exec, s[26:27]
	s_and_b64 s[30:31], s[10:11], s[18:19]
	s_and_saveexec_b64 s[26:27], s[30:31]
	s_cbranch_execz .LBB279_223
.LBB279_242:
	s_and_b64 vcc, exec, s[0:1]
	s_cbranch_vccnz .LBB279_244
; %bb.243:
	v_lshl_add_u64 v[28:29], v[40:41], 1, v[26:27]
	global_load_ushort v28, v[28:29], off
	s_waitcnt vmcnt(0)
	v_mul_f16_e32 v28, v52, v28
	v_cvt_f32_f16_e32 v28, v28
	s_branch .LBB279_245
.LBB279_244:
	v_mov_b32_e32 v28, 0
.LBB279_245:
	s_waitcnt lgkmcnt(1)
	v_pk_add_f16 v29, v8, v20
	v_max_f16_e32 v30, v80, v80
	v_pk_add_f16 v48, v9, v21
	v_min_f16_e32 v30, v30, v29
	v_lshrrev_b32_e32 v31, 16, v80
	v_lshrrev_b32_e32 v29, 16, v29
	;; [unrolled: 1-line block ×3, first 2 shown]
	v_min3_f16 v29, v31, v29, v49
	v_min3_f16 v29, v30, v48, v29
	v_cvt_f32_f16_e32 v29, v29
	v_max_f32_e32 v28, v28, v28
	v_min_f32_e32 v28, v28, v29
	v_cvt_f16_f32_e32 v30, v28
	v_lshl_add_u64 v[28:29], v[40:41], 1, v[24:25]
	global_store_short v[28:29], v30, off
	s_or_b64 exec, exec, s[26:27]
	s_and_b64 s[30:31], s[12:13], s[18:19]
	s_and_saveexec_b64 s[26:27], s[30:31]
	s_cbranch_execz .LBB279_224
.LBB279_246:
	s_and_b64 vcc, exec, s[0:1]
	s_cbranch_vccnz .LBB279_248
; %bb.247:
	v_lshl_add_u64 v[28:29], v[42:43], 1, v[26:27]
	global_load_ushort v28, v[28:29], off
	s_waitcnt vmcnt(0)
	v_mul_f16_e32 v28, v52, v28
	v_cvt_f32_f16_e32 v28, v28
	s_branch .LBB279_249
.LBB279_248:
	v_mov_b32_e32 v28, 0
.LBB279_249:
	s_waitcnt lgkmcnt(1)
	v_pk_add_f16 v29, v10, v20
	v_max_f16_e32 v30, v79, v79
	v_pk_add_f16 v48, v11, v21
	v_min_f16_e32 v30, v30, v29
	v_lshrrev_b32_e32 v31, 16, v79
	v_lshrrev_b32_e32 v29, 16, v29
	;; [unrolled: 1-line block ×3, first 2 shown]
	v_min3_f16 v29, v31, v29, v49
	v_min3_f16 v29, v30, v48, v29
	v_cvt_f32_f16_e32 v29, v29
	v_max_f32_e32 v28, v28, v28
	v_min_f32_e32 v28, v28, v29
	v_cvt_f16_f32_e32 v30, v28
	v_lshl_add_u64 v[28:29], v[42:43], 1, v[24:25]
	global_store_short v[28:29], v30, off
	s_or_b64 exec, exec, s[26:27]
	s_and_b64 s[30:31], s[14:15], s[18:19]
	s_and_saveexec_b64 s[26:27], s[30:31]
	s_cbranch_execz .LBB279_225
.LBB279_250:
	s_and_b64 vcc, exec, s[0:1]
	s_cbranch_vccnz .LBB279_252
; %bb.251:
	v_lshl_add_u64 v[28:29], v[44:45], 1, v[26:27]
	global_load_ushort v28, v[28:29], off
	s_waitcnt vmcnt(0)
	v_mul_f16_e32 v28, v52, v28
	v_cvt_f32_f16_e32 v28, v28
	s_branch .LBB279_253
.LBB279_252:
	v_mov_b32_e32 v28, 0
.LBB279_253:
	s_waitcnt lgkmcnt(1)
	v_pk_add_f16 v29, v0, v20
	v_max_f16_e32 v30, v78, v78
	v_pk_add_f16 v48, v1, v21
	v_min_f16_e32 v30, v30, v29
	v_lshrrev_b32_e32 v31, 16, v78
	v_lshrrev_b32_e32 v29, 16, v29
	;; [unrolled: 1-line block ×3, first 2 shown]
	v_min3_f16 v29, v31, v29, v49
	v_min3_f16 v29, v30, v48, v29
	v_cvt_f32_f16_e32 v29, v29
	v_max_f32_e32 v28, v28, v28
	v_min_f32_e32 v28, v28, v29
	v_cvt_f16_f32_e32 v30, v28
	v_lshl_add_u64 v[28:29], v[44:45], 1, v[24:25]
	global_store_short v[28:29], v30, off
	s_or_b64 exec, exec, s[26:27]
	s_and_b64 s[26:27], s[16:17], s[18:19]
	s_and_saveexec_b64 s[18:19], s[26:27]
	s_cbranch_execz .LBB279_258
.LBB279_254:
	s_and_b64 vcc, exec, s[0:1]
	s_cbranch_vccnz .LBB279_256
; %bb.255:
	v_lshl_add_u64 v[26:27], v[46:47], 1, v[26:27]
	global_load_ushort v26, v[26:27], off
	s_waitcnt vmcnt(0)
	v_mul_f16_e32 v26, v52, v26
	v_cvt_f32_f16_e32 v26, v26
	s_branch .LBB279_257
.LBB279_256:
	v_mov_b32_e32 v26, 0
.LBB279_257:
	s_waitcnt lgkmcnt(1)
	v_pk_add_f16 v20, v2, v20
	v_max_f16_e32 v27, v77, v77
	v_pk_add_f16 v21, v3, v21
	v_min_f16_e32 v27, v27, v20
	v_lshrrev_b32_e32 v28, 16, v77
	v_lshrrev_b32_e32 v20, 16, v20
	;; [unrolled: 1-line block ×3, first 2 shown]
	v_min3_f16 v20, v28, v20, v29
	v_min3_f16 v20, v27, v21, v20
	v_cvt_f32_f16_e32 v20, v20
	v_max_f32_e32 v21, v26, v26
	v_min_f32_e32 v20, v21, v20
	v_cvt_f16_f32_e32 v26, v20
	v_lshl_add_u64 v[20:21], v[46:47], 1, v[24:25]
	global_store_short v[20:21], v26, off
.LBB279_258:
	s_or_b64 exec, exec, s[18:19]
	v_add_u32_e32 v26, 0xa0, v93
	s_waitcnt lgkmcnt(1)
	v_mad_i64_i32 v[20:21], s[26:27], v26, s29, 0
	v_cmp_gt_i32_e64 s[18:19], s21, v26
	v_lshl_add_u64 v[24:25], v[20:21], 1, s[24:25]
	v_mad_i64_i32 v[20:21], s[26:27], v26, s28, 0
	v_lshl_add_u64 v[20:21], v[20:21], 1, s[22:23]
	s_and_b64 s[30:31], s[4:5], s[18:19]
	s_and_saveexec_b64 s[26:27], s[30:31]
	s_cbranch_execnz .LBB279_266
; %bb.259:
	s_or_b64 exec, exec, s[26:27]
	s_and_b64 s[30:31], s[2:3], s[18:19]
	s_and_saveexec_b64 s[26:27], s[30:31]
	s_cbranch_execnz .LBB279_270
.LBB279_260:
	s_or_b64 exec, exec, s[26:27]
	s_and_b64 s[30:31], s[6:7], s[18:19]
	s_and_saveexec_b64 s[26:27], s[30:31]
	s_cbranch_execnz .LBB279_274
.LBB279_261:
	s_or_b64 exec, exec, s[26:27]
	s_and_b64 s[30:31], s[8:9], s[18:19]
	s_and_saveexec_b64 s[26:27], s[30:31]
	s_cbranch_execnz .LBB279_278
.LBB279_262:
	s_or_b64 exec, exec, s[26:27]
	s_and_b64 s[30:31], s[10:11], s[18:19]
	s_and_saveexec_b64 s[26:27], s[30:31]
	s_cbranch_execnz .LBB279_282
.LBB279_263:
	s_or_b64 exec, exec, s[26:27]
	s_and_b64 s[30:31], s[12:13], s[18:19]
	s_and_saveexec_b64 s[26:27], s[30:31]
	s_cbranch_execnz .LBB279_286
.LBB279_264:
	s_or_b64 exec, exec, s[26:27]
	s_and_b64 s[30:31], s[14:15], s[18:19]
	s_and_saveexec_b64 s[26:27], s[30:31]
	s_cbranch_execnz .LBB279_290
.LBB279_265:
	s_or_b64 exec, exec, s[26:27]
	s_and_b64 s[26:27], s[16:17], s[18:19]
	s_and_saveexec_b64 s[18:19], s[26:27]
	s_cbranch_execnz .LBB279_294
	s_branch .LBB279_298
.LBB279_266:
	s_and_b64 vcc, exec, s[0:1]
	s_cbranch_vccnz .LBB279_268
; %bb.267:
	v_lshl_add_u64 v[26:27], v[32:33], 1, v[24:25]
	global_load_ushort v26, v[26:27], off
	s_waitcnt vmcnt(0)
	v_mul_f16_e32 v26, v52, v26
	v_cvt_f32_f16_e32 v26, v26
	s_branch .LBB279_269
.LBB279_268:
	v_mov_b32_e32 v26, 0
.LBB279_269:
	v_pk_add_f16 v27, v16, v22
	v_max_f16_e32 v28, v76, v76
	v_pk_add_f16 v30, v17, v23
	v_min_f16_e32 v28, v28, v27
	v_lshrrev_b32_e32 v29, 16, v76
	v_lshrrev_b32_e32 v27, 16, v27
	;; [unrolled: 1-line block ×3, first 2 shown]
	v_min3_f16 v27, v29, v27, v31
	v_min3_f16 v27, v28, v30, v27
	v_cvt_f32_f16_e32 v27, v27
	v_max_f32_e32 v26, v26, v26
	v_min_f32_e32 v26, v26, v27
	v_cvt_f16_f32_e32 v28, v26
	v_lshl_add_u64 v[26:27], v[32:33], 1, v[20:21]
	global_store_short v[26:27], v28, off
	s_or_b64 exec, exec, s[26:27]
	s_and_b64 s[30:31], s[2:3], s[18:19]
	s_and_saveexec_b64 s[26:27], s[30:31]
	s_cbranch_execz .LBB279_260
.LBB279_270:
	s_and_b64 vcc, exec, s[0:1]
	s_cbranch_vccnz .LBB279_272
; %bb.271:
	v_lshl_add_u64 v[26:27], v[34:35], 1, v[24:25]
	global_load_ushort v26, v[26:27], off
	s_waitcnt vmcnt(0)
	v_mul_f16_e32 v26, v52, v26
	v_cvt_f32_f16_e32 v26, v26
	s_branch .LBB279_273
.LBB279_272:
	v_mov_b32_e32 v26, 0
.LBB279_273:
	v_pk_add_f16 v27, v18, v22
	v_max_f16_e32 v28, v75, v75
	v_pk_add_f16 v30, v19, v23
	v_min_f16_e32 v28, v28, v27
	v_lshrrev_b32_e32 v29, 16, v75
	v_lshrrev_b32_e32 v27, 16, v27
	;; [unrolled: 1-line block ×3, first 2 shown]
	v_min3_f16 v27, v29, v27, v31
	v_min3_f16 v27, v28, v30, v27
	v_cvt_f32_f16_e32 v27, v27
	v_max_f32_e32 v26, v26, v26
	v_min_f32_e32 v26, v26, v27
	v_cvt_f16_f32_e32 v28, v26
	v_lshl_add_u64 v[26:27], v[34:35], 1, v[20:21]
	global_store_short v[26:27], v28, off
	s_or_b64 exec, exec, s[26:27]
	s_and_b64 s[30:31], s[6:7], s[18:19]
	s_and_saveexec_b64 s[26:27], s[30:31]
	s_cbranch_execz .LBB279_261
.LBB279_274:
	s_and_b64 vcc, exec, s[0:1]
	s_cbranch_vccnz .LBB279_276
; %bb.275:
	v_lshl_add_u64 v[26:27], v[36:37], 1, v[24:25]
	global_load_ushort v26, v[26:27], off
	s_waitcnt vmcnt(0)
	v_mul_f16_e32 v26, v52, v26
	v_cvt_f32_f16_e32 v26, v26
	s_branch .LBB279_277
.LBB279_276:
	v_mov_b32_e32 v26, 0
.LBB279_277:
	v_pk_add_f16 v27, v12, v22
	v_max_f16_e32 v28, v74, v74
	v_pk_add_f16 v30, v13, v23
	v_min_f16_e32 v28, v28, v27
	v_lshrrev_b32_e32 v29, 16, v74
	v_lshrrev_b32_e32 v27, 16, v27
	;; [unrolled: 1-line block ×3, first 2 shown]
	v_min3_f16 v27, v29, v27, v31
	v_min3_f16 v27, v28, v30, v27
	v_cvt_f32_f16_e32 v27, v27
	v_max_f32_e32 v26, v26, v26
	v_min_f32_e32 v26, v26, v27
	v_cvt_f16_f32_e32 v28, v26
	v_lshl_add_u64 v[26:27], v[36:37], 1, v[20:21]
	global_store_short v[26:27], v28, off
	s_or_b64 exec, exec, s[26:27]
	s_and_b64 s[30:31], s[8:9], s[18:19]
	s_and_saveexec_b64 s[26:27], s[30:31]
	s_cbranch_execz .LBB279_262
.LBB279_278:
	s_and_b64 vcc, exec, s[0:1]
	s_cbranch_vccnz .LBB279_280
; %bb.279:
	v_lshl_add_u64 v[26:27], v[38:39], 1, v[24:25]
	global_load_ushort v26, v[26:27], off
	s_waitcnt vmcnt(0)
	v_mul_f16_e32 v26, v52, v26
	v_cvt_f32_f16_e32 v26, v26
	s_branch .LBB279_281
.LBB279_280:
	v_mov_b32_e32 v26, 0
.LBB279_281:
	v_pk_add_f16 v27, v14, v22
	v_max_f16_e32 v28, v73, v73
	v_pk_add_f16 v30, v15, v23
	v_min_f16_e32 v28, v28, v27
	v_lshrrev_b32_e32 v29, 16, v73
	v_lshrrev_b32_e32 v27, 16, v27
	;; [unrolled: 1-line block ×3, first 2 shown]
	v_min3_f16 v27, v29, v27, v31
	v_min3_f16 v27, v28, v30, v27
	v_cvt_f32_f16_e32 v27, v27
	v_max_f32_e32 v26, v26, v26
	v_min_f32_e32 v26, v26, v27
	v_cvt_f16_f32_e32 v28, v26
	v_lshl_add_u64 v[26:27], v[38:39], 1, v[20:21]
	global_store_short v[26:27], v28, off
	s_or_b64 exec, exec, s[26:27]
	s_and_b64 s[30:31], s[10:11], s[18:19]
	s_and_saveexec_b64 s[26:27], s[30:31]
	s_cbranch_execz .LBB279_263
.LBB279_282:
	s_and_b64 vcc, exec, s[0:1]
	s_cbranch_vccnz .LBB279_284
; %bb.283:
	v_lshl_add_u64 v[26:27], v[40:41], 1, v[24:25]
	global_load_ushort v26, v[26:27], off
	s_waitcnt vmcnt(0)
	v_mul_f16_e32 v26, v52, v26
	v_cvt_f32_f16_e32 v26, v26
	s_branch .LBB279_285
.LBB279_284:
	v_mov_b32_e32 v26, 0
.LBB279_285:
	v_pk_add_f16 v27, v8, v22
	v_max_f16_e32 v28, v72, v72
	v_pk_add_f16 v30, v9, v23
	v_min_f16_e32 v28, v28, v27
	v_lshrrev_b32_e32 v29, 16, v72
	v_lshrrev_b32_e32 v27, 16, v27
	;; [unrolled: 1-line block ×3, first 2 shown]
	v_min3_f16 v27, v29, v27, v31
	v_min3_f16 v27, v28, v30, v27
	v_cvt_f32_f16_e32 v27, v27
	v_max_f32_e32 v26, v26, v26
	v_min_f32_e32 v26, v26, v27
	v_cvt_f16_f32_e32 v28, v26
	v_lshl_add_u64 v[26:27], v[40:41], 1, v[20:21]
	global_store_short v[26:27], v28, off
	s_or_b64 exec, exec, s[26:27]
	s_and_b64 s[30:31], s[12:13], s[18:19]
	s_and_saveexec_b64 s[26:27], s[30:31]
	s_cbranch_execz .LBB279_264
.LBB279_286:
	s_and_b64 vcc, exec, s[0:1]
	s_cbranch_vccnz .LBB279_288
; %bb.287:
	v_lshl_add_u64 v[26:27], v[42:43], 1, v[24:25]
	global_load_ushort v26, v[26:27], off
	s_waitcnt vmcnt(0)
	v_mul_f16_e32 v26, v52, v26
	v_cvt_f32_f16_e32 v26, v26
	s_branch .LBB279_289
.LBB279_288:
	v_mov_b32_e32 v26, 0
.LBB279_289:
	v_pk_add_f16 v27, v10, v22
	v_max_f16_e32 v28, v71, v71
	v_pk_add_f16 v30, v11, v23
	v_min_f16_e32 v28, v28, v27
	v_lshrrev_b32_e32 v29, 16, v71
	v_lshrrev_b32_e32 v27, 16, v27
	;; [unrolled: 1-line block ×3, first 2 shown]
	v_min3_f16 v27, v29, v27, v31
	v_min3_f16 v27, v28, v30, v27
	v_cvt_f32_f16_e32 v27, v27
	v_max_f32_e32 v26, v26, v26
	v_min_f32_e32 v26, v26, v27
	v_cvt_f16_f32_e32 v28, v26
	v_lshl_add_u64 v[26:27], v[42:43], 1, v[20:21]
	global_store_short v[26:27], v28, off
	s_or_b64 exec, exec, s[26:27]
	s_and_b64 s[30:31], s[14:15], s[18:19]
	s_and_saveexec_b64 s[26:27], s[30:31]
	s_cbranch_execz .LBB279_265
.LBB279_290:
	s_and_b64 vcc, exec, s[0:1]
	s_cbranch_vccnz .LBB279_292
; %bb.291:
	v_lshl_add_u64 v[26:27], v[44:45], 1, v[24:25]
	global_load_ushort v26, v[26:27], off
	s_waitcnt vmcnt(0)
	v_mul_f16_e32 v26, v52, v26
	v_cvt_f32_f16_e32 v26, v26
	s_branch .LBB279_293
.LBB279_292:
	v_mov_b32_e32 v26, 0
.LBB279_293:
	v_pk_add_f16 v27, v0, v22
	v_max_f16_e32 v28, v70, v70
	v_pk_add_f16 v30, v1, v23
	v_min_f16_e32 v28, v28, v27
	v_lshrrev_b32_e32 v29, 16, v70
	v_lshrrev_b32_e32 v27, 16, v27
	;; [unrolled: 1-line block ×3, first 2 shown]
	v_min3_f16 v27, v29, v27, v31
	v_min3_f16 v27, v28, v30, v27
	v_cvt_f32_f16_e32 v27, v27
	v_max_f32_e32 v26, v26, v26
	v_min_f32_e32 v26, v26, v27
	v_cvt_f16_f32_e32 v28, v26
	v_lshl_add_u64 v[26:27], v[44:45], 1, v[20:21]
	global_store_short v[26:27], v28, off
	s_or_b64 exec, exec, s[26:27]
	s_and_b64 s[26:27], s[16:17], s[18:19]
	s_and_saveexec_b64 s[18:19], s[26:27]
	s_cbranch_execz .LBB279_298
.LBB279_294:
	s_and_b64 vcc, exec, s[0:1]
	s_cbranch_vccnz .LBB279_296
; %bb.295:
	v_lshl_add_u64 v[24:25], v[46:47], 1, v[24:25]
	global_load_ushort v24, v[24:25], off
	s_waitcnt vmcnt(0)
	v_mul_f16_e32 v24, v52, v24
	v_cvt_f32_f16_e32 v24, v24
	s_branch .LBB279_297
.LBB279_296:
	v_mov_b32_e32 v24, 0
.LBB279_297:
	v_pk_add_f16 v22, v2, v22
	v_max_f16_e32 v25, v69, v69
	v_pk_add_f16 v23, v3, v23
	v_min_f16_e32 v25, v25, v22
	v_lshrrev_b32_e32 v26, 16, v69
	v_lshrrev_b32_e32 v22, 16, v22
	v_lshrrev_b32_e32 v27, 16, v23
	v_min3_f16 v22, v26, v22, v27
	v_min3_f16 v22, v25, v23, v22
	v_cvt_f32_f16_e32 v22, v22
	v_max_f32_e32 v23, v24, v24
	v_lshl_add_u64 v[20:21], v[46:47], 1, v[20:21]
	v_min_f32_e32 v22, v23, v22
	v_cvt_f16_f32_e32 v22, v22
	global_store_short v[20:21], v22, off
.LBB279_298:
	s_or_b64 exec, exec, s[18:19]
	v_add_u32_e32 v24, 0xc0, v93
	v_mad_i64_i32 v[20:21], s[26:27], v24, s29, 0
	v_cmp_gt_i32_e64 s[18:19], s21, v24
	v_lshl_add_u64 v[22:23], v[20:21], 1, s[24:25]
	v_mad_i64_i32 v[20:21], s[26:27], v24, s28, 0
	v_lshl_add_u64 v[20:21], v[20:21], 1, s[22:23]
	s_and_b64 s[30:31], s[4:5], s[18:19]
	s_and_saveexec_b64 s[26:27], s[30:31]
	s_cbranch_execnz .LBB279_306
; %bb.299:
	s_or_b64 exec, exec, s[26:27]
	s_and_b64 s[30:31], s[2:3], s[18:19]
	s_and_saveexec_b64 s[26:27], s[30:31]
	s_cbranch_execnz .LBB279_310
.LBB279_300:
	s_or_b64 exec, exec, s[26:27]
	s_and_b64 s[30:31], s[6:7], s[18:19]
	s_and_saveexec_b64 s[26:27], s[30:31]
	s_cbranch_execnz .LBB279_314
.LBB279_301:
	s_or_b64 exec, exec, s[26:27]
	s_and_b64 s[30:31], s[8:9], s[18:19]
	s_and_saveexec_b64 s[26:27], s[30:31]
	s_cbranch_execnz .LBB279_318
.LBB279_302:
	s_or_b64 exec, exec, s[26:27]
	s_and_b64 s[30:31], s[10:11], s[18:19]
	s_and_saveexec_b64 s[26:27], s[30:31]
	s_cbranch_execnz .LBB279_322
.LBB279_303:
	s_or_b64 exec, exec, s[26:27]
	s_and_b64 s[30:31], s[12:13], s[18:19]
	s_and_saveexec_b64 s[26:27], s[30:31]
	s_cbranch_execnz .LBB279_326
.LBB279_304:
	s_or_b64 exec, exec, s[26:27]
	s_and_b64 s[30:31], s[14:15], s[18:19]
	s_and_saveexec_b64 s[26:27], s[30:31]
	s_cbranch_execnz .LBB279_330
.LBB279_305:
	s_or_b64 exec, exec, s[26:27]
	s_and_b64 s[26:27], s[16:17], s[18:19]
	s_and_saveexec_b64 s[18:19], s[26:27]
	s_cbranch_execnz .LBB279_334
	s_branch .LBB279_338
.LBB279_306:
	s_and_b64 vcc, exec, s[0:1]
	s_cbranch_vccnz .LBB279_308
; %bb.307:
	v_lshl_add_u64 v[24:25], v[32:33], 1, v[22:23]
	global_load_ushort v24, v[24:25], off
	s_waitcnt vmcnt(0)
	v_mul_f16_e32 v24, v52, v24
	v_cvt_f32_f16_e32 v24, v24
	s_branch .LBB279_309
.LBB279_308:
	v_mov_b32_e32 v24, 0
.LBB279_309:
	s_waitcnt lgkmcnt(0)
	v_pk_add_f16 v25, v16, v4
	v_max_f16_e32 v26, v68, v68
	v_pk_add_f16 v28, v17, v5
	v_min_f16_e32 v26, v26, v25
	v_lshrrev_b32_e32 v27, 16, v68
	v_lshrrev_b32_e32 v25, 16, v25
	;; [unrolled: 1-line block ×3, first 2 shown]
	v_min3_f16 v25, v27, v25, v29
	v_min3_f16 v25, v26, v28, v25
	v_cvt_f32_f16_e32 v25, v25
	v_max_f32_e32 v24, v24, v24
	v_min_f32_e32 v24, v24, v25
	v_cvt_f16_f32_e32 v26, v24
	v_lshl_add_u64 v[24:25], v[32:33], 1, v[20:21]
	global_store_short v[24:25], v26, off
	s_or_b64 exec, exec, s[26:27]
	s_and_b64 s[30:31], s[2:3], s[18:19]
	s_and_saveexec_b64 s[26:27], s[30:31]
	s_cbranch_execz .LBB279_300
.LBB279_310:
	s_and_b64 vcc, exec, s[0:1]
	s_cbranch_vccnz .LBB279_312
; %bb.311:
	v_lshl_add_u64 v[24:25], v[34:35], 1, v[22:23]
	global_load_ushort v24, v[24:25], off
	s_waitcnt vmcnt(0)
	v_mul_f16_e32 v24, v52, v24
	v_cvt_f32_f16_e32 v24, v24
	s_branch .LBB279_313
.LBB279_312:
	v_mov_b32_e32 v24, 0
.LBB279_313:
	s_waitcnt lgkmcnt(0)
	v_pk_add_f16 v25, v18, v4
	v_max_f16_e32 v26, v67, v67
	v_pk_add_f16 v28, v19, v5
	v_min_f16_e32 v26, v26, v25
	v_lshrrev_b32_e32 v27, 16, v67
	v_lshrrev_b32_e32 v25, 16, v25
	;; [unrolled: 1-line block ×3, first 2 shown]
	v_min3_f16 v25, v27, v25, v29
	v_min3_f16 v25, v26, v28, v25
	v_cvt_f32_f16_e32 v25, v25
	v_max_f32_e32 v24, v24, v24
	v_min_f32_e32 v24, v24, v25
	v_cvt_f16_f32_e32 v26, v24
	v_lshl_add_u64 v[24:25], v[34:35], 1, v[20:21]
	global_store_short v[24:25], v26, off
	s_or_b64 exec, exec, s[26:27]
	s_and_b64 s[30:31], s[6:7], s[18:19]
	s_and_saveexec_b64 s[26:27], s[30:31]
	s_cbranch_execz .LBB279_301
.LBB279_314:
	s_and_b64 vcc, exec, s[0:1]
	s_cbranch_vccnz .LBB279_316
; %bb.315:
	v_lshl_add_u64 v[24:25], v[36:37], 1, v[22:23]
	global_load_ushort v24, v[24:25], off
	s_waitcnt vmcnt(0)
	v_mul_f16_e32 v24, v52, v24
	v_cvt_f32_f16_e32 v24, v24
	s_branch .LBB279_317
.LBB279_316:
	v_mov_b32_e32 v24, 0
.LBB279_317:
	s_waitcnt lgkmcnt(0)
	v_pk_add_f16 v25, v12, v4
	v_max_f16_e32 v26, v66, v66
	v_pk_add_f16 v28, v13, v5
	v_min_f16_e32 v26, v26, v25
	v_lshrrev_b32_e32 v27, 16, v66
	v_lshrrev_b32_e32 v25, 16, v25
	;; [unrolled: 1-line block ×3, first 2 shown]
	v_min3_f16 v25, v27, v25, v29
	v_min3_f16 v25, v26, v28, v25
	v_cvt_f32_f16_e32 v25, v25
	v_max_f32_e32 v24, v24, v24
	v_min_f32_e32 v24, v24, v25
	v_cvt_f16_f32_e32 v26, v24
	v_lshl_add_u64 v[24:25], v[36:37], 1, v[20:21]
	global_store_short v[24:25], v26, off
	s_or_b64 exec, exec, s[26:27]
	s_and_b64 s[30:31], s[8:9], s[18:19]
	s_and_saveexec_b64 s[26:27], s[30:31]
	s_cbranch_execz .LBB279_302
.LBB279_318:
	s_and_b64 vcc, exec, s[0:1]
	s_cbranch_vccnz .LBB279_320
; %bb.319:
	v_lshl_add_u64 v[24:25], v[38:39], 1, v[22:23]
	global_load_ushort v24, v[24:25], off
	s_waitcnt vmcnt(0)
	v_mul_f16_e32 v24, v52, v24
	v_cvt_f32_f16_e32 v24, v24
	s_branch .LBB279_321
.LBB279_320:
	v_mov_b32_e32 v24, 0
.LBB279_321:
	s_waitcnt lgkmcnt(0)
	v_pk_add_f16 v25, v14, v4
	v_max_f16_e32 v26, v65, v65
	v_pk_add_f16 v28, v15, v5
	v_min_f16_e32 v26, v26, v25
	v_lshrrev_b32_e32 v27, 16, v65
	v_lshrrev_b32_e32 v25, 16, v25
	;; [unrolled: 1-line block ×3, first 2 shown]
	v_min3_f16 v25, v27, v25, v29
	v_min3_f16 v25, v26, v28, v25
	v_cvt_f32_f16_e32 v25, v25
	v_max_f32_e32 v24, v24, v24
	v_min_f32_e32 v24, v24, v25
	v_cvt_f16_f32_e32 v26, v24
	v_lshl_add_u64 v[24:25], v[38:39], 1, v[20:21]
	global_store_short v[24:25], v26, off
	s_or_b64 exec, exec, s[26:27]
	s_and_b64 s[30:31], s[10:11], s[18:19]
	s_and_saveexec_b64 s[26:27], s[30:31]
	s_cbranch_execz .LBB279_303
.LBB279_322:
	s_and_b64 vcc, exec, s[0:1]
	s_cbranch_vccnz .LBB279_324
; %bb.323:
	v_lshl_add_u64 v[24:25], v[40:41], 1, v[22:23]
	global_load_ushort v24, v[24:25], off
	s_waitcnt vmcnt(0)
	v_mul_f16_e32 v24, v52, v24
	v_cvt_f32_f16_e32 v24, v24
	s_branch .LBB279_325
.LBB279_324:
	v_mov_b32_e32 v24, 0
.LBB279_325:
	s_waitcnt lgkmcnt(0)
	v_pk_add_f16 v25, v8, v4
	v_max_f16_e32 v26, v64, v64
	v_pk_add_f16 v28, v9, v5
	v_min_f16_e32 v26, v26, v25
	v_lshrrev_b32_e32 v27, 16, v64
	v_lshrrev_b32_e32 v25, 16, v25
	;; [unrolled: 1-line block ×3, first 2 shown]
	v_min3_f16 v25, v27, v25, v29
	v_min3_f16 v25, v26, v28, v25
	v_cvt_f32_f16_e32 v25, v25
	v_max_f32_e32 v24, v24, v24
	v_min_f32_e32 v24, v24, v25
	v_cvt_f16_f32_e32 v26, v24
	v_lshl_add_u64 v[24:25], v[40:41], 1, v[20:21]
	global_store_short v[24:25], v26, off
	s_or_b64 exec, exec, s[26:27]
	s_and_b64 s[30:31], s[12:13], s[18:19]
	s_and_saveexec_b64 s[26:27], s[30:31]
	s_cbranch_execz .LBB279_304
.LBB279_326:
	s_and_b64 vcc, exec, s[0:1]
	s_cbranch_vccnz .LBB279_328
; %bb.327:
	v_lshl_add_u64 v[24:25], v[42:43], 1, v[22:23]
	global_load_ushort v24, v[24:25], off
	s_waitcnt vmcnt(0)
	v_mul_f16_e32 v24, v52, v24
	v_cvt_f32_f16_e32 v24, v24
	s_branch .LBB279_329
.LBB279_328:
	v_mov_b32_e32 v24, 0
.LBB279_329:
	s_waitcnt lgkmcnt(0)
	v_pk_add_f16 v25, v10, v4
	v_max_f16_e32 v26, v63, v63
	v_pk_add_f16 v28, v11, v5
	v_min_f16_e32 v26, v26, v25
	v_lshrrev_b32_e32 v27, 16, v63
	v_lshrrev_b32_e32 v25, 16, v25
	;; [unrolled: 1-line block ×3, first 2 shown]
	v_min3_f16 v25, v27, v25, v29
	v_min3_f16 v25, v26, v28, v25
	v_cvt_f32_f16_e32 v25, v25
	v_max_f32_e32 v24, v24, v24
	v_min_f32_e32 v24, v24, v25
	v_cvt_f16_f32_e32 v26, v24
	v_lshl_add_u64 v[24:25], v[42:43], 1, v[20:21]
	global_store_short v[24:25], v26, off
	s_or_b64 exec, exec, s[26:27]
	s_and_b64 s[30:31], s[14:15], s[18:19]
	s_and_saveexec_b64 s[26:27], s[30:31]
	s_cbranch_execz .LBB279_305
.LBB279_330:
	s_and_b64 vcc, exec, s[0:1]
	s_cbranch_vccnz .LBB279_332
; %bb.331:
	v_lshl_add_u64 v[24:25], v[44:45], 1, v[22:23]
	global_load_ushort v24, v[24:25], off
	s_waitcnt vmcnt(0)
	v_mul_f16_e32 v24, v52, v24
	v_cvt_f32_f16_e32 v24, v24
	s_branch .LBB279_333
.LBB279_332:
	v_mov_b32_e32 v24, 0
.LBB279_333:
	s_waitcnt lgkmcnt(0)
	v_pk_add_f16 v25, v0, v4
	v_max_f16_e32 v26, v62, v62
	v_pk_add_f16 v28, v1, v5
	v_min_f16_e32 v26, v26, v25
	v_lshrrev_b32_e32 v27, 16, v62
	v_lshrrev_b32_e32 v25, 16, v25
	;; [unrolled: 1-line block ×3, first 2 shown]
	v_min3_f16 v25, v27, v25, v29
	v_min3_f16 v25, v26, v28, v25
	v_cvt_f32_f16_e32 v25, v25
	v_max_f32_e32 v24, v24, v24
	v_min_f32_e32 v24, v24, v25
	v_cvt_f16_f32_e32 v26, v24
	v_lshl_add_u64 v[24:25], v[44:45], 1, v[20:21]
	global_store_short v[24:25], v26, off
	s_or_b64 exec, exec, s[26:27]
	s_and_b64 s[26:27], s[16:17], s[18:19]
	s_and_saveexec_b64 s[18:19], s[26:27]
	s_cbranch_execz .LBB279_338
.LBB279_334:
	s_and_b64 vcc, exec, s[0:1]
	s_cbranch_vccnz .LBB279_336
; %bb.335:
	v_lshl_add_u64 v[22:23], v[46:47], 1, v[22:23]
	global_load_ushort v22, v[22:23], off
	s_waitcnt vmcnt(0)
	v_mul_f16_e32 v22, v52, v22
	v_cvt_f32_f16_e32 v22, v22
	s_branch .LBB279_337
.LBB279_336:
	v_mov_b32_e32 v22, 0
.LBB279_337:
	s_waitcnt lgkmcnt(0)
	v_pk_add_f16 v4, v2, v4
	v_max_f16_e32 v23, v61, v61
	v_pk_add_f16 v5, v3, v5
	v_min_f16_e32 v23, v23, v4
	v_lshrrev_b32_e32 v24, 16, v61
	v_lshrrev_b32_e32 v4, 16, v4
	;; [unrolled: 1-line block ×3, first 2 shown]
	v_min3_f16 v4, v24, v4, v25
	v_min3_f16 v4, v23, v5, v4
	v_cvt_f32_f16_e32 v4, v4
	v_max_f32_e32 v5, v22, v22
	v_min_f32_e32 v4, v5, v4
	v_cvt_f16_f32_e32 v22, v4
	v_lshl_add_u64 v[4:5], v[46:47], 1, v[20:21]
	global_store_short v[4:5], v22, off
.LBB279_338:
	s_or_b64 exec, exec, s[18:19]
	v_add_u32_e32 v22, 0xe0, v93
	v_cmp_gt_i32_e64 s[18:19], s21, v22
	s_waitcnt lgkmcnt(0)
	v_mad_i64_i32 v[4:5], s[20:21], v22, s29, 0
	v_lshl_add_u64 v[20:21], v[4:5], 1, s[24:25]
	v_mad_i64_i32 v[4:5], s[20:21], v22, s28, 0
	v_lshl_add_u64 v[4:5], v[4:5], 1, s[22:23]
	s_and_b64 s[20:21], s[4:5], s[18:19]
	s_and_saveexec_b64 s[4:5], s[20:21]
	s_cbranch_execnz .LBB279_347
; %bb.339:
	s_or_b64 exec, exec, s[4:5]
	s_and_b64 s[4:5], s[2:3], s[18:19]
	s_and_saveexec_b64 s[2:3], s[4:5]
	s_cbranch_execnz .LBB279_351
.LBB279_340:
	s_or_b64 exec, exec, s[2:3]
	s_and_b64 s[4:5], s[6:7], s[18:19]
	s_and_saveexec_b64 s[2:3], s[4:5]
	s_cbranch_execnz .LBB279_355
.LBB279_341:
	s_or_b64 exec, exec, s[2:3]
	s_and_b64 s[4:5], s[8:9], s[18:19]
	s_and_saveexec_b64 s[2:3], s[4:5]
	s_cbranch_execnz .LBB279_359
.LBB279_342:
	s_or_b64 exec, exec, s[2:3]
	s_and_b64 s[4:5], s[10:11], s[18:19]
	s_and_saveexec_b64 s[2:3], s[4:5]
	s_cbranch_execnz .LBB279_363
.LBB279_343:
	s_or_b64 exec, exec, s[2:3]
	s_and_b64 s[4:5], s[12:13], s[18:19]
	s_and_saveexec_b64 s[2:3], s[4:5]
	s_cbranch_execnz .LBB279_367
.LBB279_344:
	s_or_b64 exec, exec, s[2:3]
	s_and_b64 s[4:5], s[14:15], s[18:19]
	s_and_saveexec_b64 s[2:3], s[4:5]
	s_cbranch_execnz .LBB279_371
.LBB279_345:
	s_or_b64 exec, exec, s[2:3]
	s_and_b64 s[2:3], s[16:17], s[18:19]
	s_and_saveexec_b64 s[4:5], s[2:3]
	s_cbranch_execnz .LBB279_375
.LBB279_346:
	s_endpgm
.LBB279_347:
	s_and_b64 vcc, exec, s[0:1]
	s_cbranch_vccnz .LBB279_349
; %bb.348:
	v_lshl_add_u64 v[22:23], v[32:33], 1, v[20:21]
	global_load_ushort v22, v[22:23], off
	s_waitcnt vmcnt(0)
	v_mul_f16_e32 v22, v52, v22
	v_cvt_f32_f16_e32 v22, v22
	s_branch .LBB279_350
.LBB279_349:
	v_mov_b32_e32 v22, 0
.LBB279_350:
	v_pk_add_f16 v16, v16, v6
	v_max_f16_e32 v23, v60, v60
	v_pk_add_f16 v17, v17, v7
	v_min_f16_e32 v23, v23, v16
	v_lshrrev_b32_e32 v24, 16, v60
	v_lshrrev_b32_e32 v16, 16, v16
	v_lshrrev_b32_e32 v25, 16, v17
	v_min3_f16 v16, v24, v16, v25
	v_min3_f16 v16, v23, v17, v16
	v_cvt_f32_f16_e32 v16, v16
	v_max_f32_e32 v17, v22, v22
	v_min_f32_e32 v16, v17, v16
	v_cvt_f16_f32_e32 v22, v16
	v_lshl_add_u64 v[16:17], v[32:33], 1, v[4:5]
	global_store_short v[16:17], v22, off
	s_or_b64 exec, exec, s[4:5]
	s_and_b64 s[4:5], s[2:3], s[18:19]
	s_and_saveexec_b64 s[2:3], s[4:5]
	s_cbranch_execz .LBB279_340
.LBB279_351:
	s_and_b64 vcc, exec, s[0:1]
	s_cbranch_vccnz .LBB279_353
; %bb.352:
	v_lshl_add_u64 v[16:17], v[34:35], 1, v[20:21]
	global_load_ushort v16, v[16:17], off
	s_waitcnt vmcnt(0)
	v_mul_f16_e32 v16, v52, v16
	v_cvt_f32_f16_e32 v16, v16
	s_branch .LBB279_354
.LBB279_353:
	v_mov_b32_e32 v16, 0
.LBB279_354:
	v_pk_add_f16 v17, v18, v6
	v_max_f16_e32 v18, v59, v59
	v_pk_add_f16 v19, v19, v7
	v_min_f16_e32 v18, v18, v17
	v_lshrrev_b32_e32 v22, 16, v59
	v_lshrrev_b32_e32 v17, 16, v17
	;; [unrolled: 1-line block ×3, first 2 shown]
	v_min3_f16 v17, v22, v17, v23
	v_min3_f16 v17, v18, v19, v17
	v_cvt_f32_f16_e32 v17, v17
	v_max_f32_e32 v16, v16, v16
	v_min_f32_e32 v16, v16, v17
	v_cvt_f16_f32_e32 v18, v16
	v_lshl_add_u64 v[16:17], v[34:35], 1, v[4:5]
	global_store_short v[16:17], v18, off
	s_or_b64 exec, exec, s[2:3]
	s_and_b64 s[4:5], s[6:7], s[18:19]
	s_and_saveexec_b64 s[2:3], s[4:5]
	s_cbranch_execz .LBB279_341
.LBB279_355:
	s_and_b64 vcc, exec, s[0:1]
	s_cbranch_vccnz .LBB279_357
; %bb.356:
	v_lshl_add_u64 v[16:17], v[36:37], 1, v[20:21]
	global_load_ushort v16, v[16:17], off
	s_waitcnt vmcnt(0)
	v_mul_f16_e32 v16, v52, v16
	v_cvt_f32_f16_e32 v16, v16
	s_branch .LBB279_358
.LBB279_357:
	v_mov_b32_e32 v16, 0
.LBB279_358:
	v_pk_add_f16 v12, v12, v6
	v_max_f16_e32 v17, v58, v58
	v_pk_add_f16 v13, v13, v7
	v_min_f16_e32 v17, v17, v12
	v_lshrrev_b32_e32 v18, 16, v58
	v_lshrrev_b32_e32 v12, 16, v12
	;; [unrolled: 1-line block ×3, first 2 shown]
	v_min3_f16 v12, v18, v12, v19
	v_min3_f16 v12, v17, v13, v12
	v_cvt_f32_f16_e32 v12, v12
	v_max_f32_e32 v13, v16, v16
	v_min_f32_e32 v12, v13, v12
	v_cvt_f16_f32_e32 v16, v12
	v_lshl_add_u64 v[12:13], v[36:37], 1, v[4:5]
	global_store_short v[12:13], v16, off
	s_or_b64 exec, exec, s[2:3]
	s_and_b64 s[4:5], s[8:9], s[18:19]
	s_and_saveexec_b64 s[2:3], s[4:5]
	s_cbranch_execz .LBB279_342
.LBB279_359:
	s_and_b64 vcc, exec, s[0:1]
	s_cbranch_vccnz .LBB279_361
; %bb.360:
	v_lshl_add_u64 v[12:13], v[38:39], 1, v[20:21]
	global_load_ushort v12, v[12:13], off
	s_waitcnt vmcnt(0)
	v_mul_f16_e32 v12, v52, v12
	v_cvt_f32_f16_e32 v12, v12
	s_branch .LBB279_362
.LBB279_361:
	v_mov_b32_e32 v12, 0
.LBB279_362:
	v_pk_add_f16 v13, v14, v6
	v_max_f16_e32 v14, v57, v57
	v_pk_add_f16 v15, v15, v7
	v_min_f16_e32 v14, v14, v13
	v_lshrrev_b32_e32 v16, 16, v57
	v_lshrrev_b32_e32 v13, 16, v13
	;; [unrolled: 1-line block ×3, first 2 shown]
	v_min3_f16 v13, v16, v13, v17
	v_min3_f16 v13, v14, v15, v13
	v_cvt_f32_f16_e32 v13, v13
	v_max_f32_e32 v12, v12, v12
	v_min_f32_e32 v12, v12, v13
	v_cvt_f16_f32_e32 v14, v12
	v_lshl_add_u64 v[12:13], v[38:39], 1, v[4:5]
	global_store_short v[12:13], v14, off
	s_or_b64 exec, exec, s[2:3]
	s_and_b64 s[4:5], s[10:11], s[18:19]
	s_and_saveexec_b64 s[2:3], s[4:5]
	s_cbranch_execz .LBB279_343
.LBB279_363:
	s_and_b64 vcc, exec, s[0:1]
	s_cbranch_vccnz .LBB279_365
; %bb.364:
	v_lshl_add_u64 v[12:13], v[40:41], 1, v[20:21]
	global_load_ushort v12, v[12:13], off
	s_waitcnt vmcnt(0)
	v_mul_f16_e32 v12, v52, v12
	v_cvt_f32_f16_e32 v12, v12
	s_branch .LBB279_366
.LBB279_365:
	v_mov_b32_e32 v12, 0
.LBB279_366:
	v_pk_add_f16 v8, v8, v6
	v_max_f16_e32 v13, v55, v55
	v_pk_add_f16 v9, v9, v7
	v_min_f16_e32 v13, v13, v8
	v_lshrrev_b32_e32 v14, 16, v55
	v_lshrrev_b32_e32 v8, 16, v8
	;; [unrolled: 1-line block ×3, first 2 shown]
	v_min3_f16 v8, v14, v8, v15
	v_min3_f16 v8, v13, v9, v8
	v_cvt_f32_f16_e32 v8, v8
	v_max_f32_e32 v9, v12, v12
	v_min_f32_e32 v8, v9, v8
	v_cvt_f16_f32_e32 v12, v8
	v_lshl_add_u64 v[8:9], v[40:41], 1, v[4:5]
	global_store_short v[8:9], v12, off
	s_or_b64 exec, exec, s[2:3]
	s_and_b64 s[4:5], s[12:13], s[18:19]
	s_and_saveexec_b64 s[2:3], s[4:5]
	s_cbranch_execz .LBB279_344
.LBB279_367:
	s_and_b64 vcc, exec, s[0:1]
	s_cbranch_vccnz .LBB279_369
; %bb.368:
	v_lshl_add_u64 v[8:9], v[42:43], 1, v[20:21]
	global_load_ushort v8, v[8:9], off
	s_waitcnt vmcnt(0)
	v_mul_f16_e32 v8, v52, v8
	v_cvt_f32_f16_e32 v8, v8
	s_branch .LBB279_370
.LBB279_369:
	v_mov_b32_e32 v8, 0
.LBB279_370:
	v_pk_add_f16 v9, v10, v6
	v_max_f16_e32 v10, v54, v54
	v_pk_add_f16 v11, v11, v7
	v_min_f16_e32 v10, v10, v9
	v_lshrrev_b32_e32 v12, 16, v54
	v_lshrrev_b32_e32 v9, 16, v9
	;; [unrolled: 1-line block ×3, first 2 shown]
	v_min3_f16 v9, v12, v9, v13
	v_min3_f16 v9, v10, v11, v9
	v_cvt_f32_f16_e32 v9, v9
	v_max_f32_e32 v8, v8, v8
	v_min_f32_e32 v8, v8, v9
	v_cvt_f16_f32_e32 v10, v8
	v_lshl_add_u64 v[8:9], v[42:43], 1, v[4:5]
	global_store_short v[8:9], v10, off
	s_or_b64 exec, exec, s[2:3]
	s_and_b64 s[4:5], s[14:15], s[18:19]
	s_and_saveexec_b64 s[2:3], s[4:5]
	s_cbranch_execz .LBB279_345
.LBB279_371:
	s_and_b64 vcc, exec, s[0:1]
	s_cbranch_vccnz .LBB279_373
; %bb.372:
	v_lshl_add_u64 v[8:9], v[44:45], 1, v[20:21]
	global_load_ushort v8, v[8:9], off
	s_waitcnt vmcnt(0)
	v_mul_f16_e32 v8, v52, v8
	v_cvt_f32_f16_e32 v8, v8
	s_branch .LBB279_374
.LBB279_373:
	v_mov_b32_e32 v8, 0
.LBB279_374:
	v_pk_add_f16 v0, v0, v6
	v_max_f16_e32 v9, v53, v53
	v_pk_add_f16 v1, v1, v7
	v_min_f16_e32 v9, v9, v0
	v_lshrrev_b32_e32 v10, 16, v53
	v_lshrrev_b32_e32 v0, 16, v0
	;; [unrolled: 1-line block ×3, first 2 shown]
	v_min3_f16 v0, v10, v0, v11
	v_min3_f16 v0, v9, v1, v0
	v_cvt_f32_f16_e32 v0, v0
	v_max_f32_e32 v1, v8, v8
	v_min_f32_e32 v0, v1, v0
	v_cvt_f16_f32_e32 v8, v0
	v_lshl_add_u64 v[0:1], v[44:45], 1, v[4:5]
	global_store_short v[0:1], v8, off
	s_or_b64 exec, exec, s[2:3]
	s_and_b64 s[2:3], s[16:17], s[18:19]
	s_and_saveexec_b64 s[4:5], s[2:3]
	s_cbranch_execz .LBB279_346
.LBB279_375:
	s_and_b64 vcc, exec, s[0:1]
	s_cbranch_vccnz .LBB279_377
; %bb.376:
	v_lshl_add_u64 v[0:1], v[46:47], 1, v[20:21]
	global_load_ushort v0, v[0:1], off
	s_waitcnt vmcnt(0)
	v_mul_f16_e32 v0, v52, v0
	v_cvt_f32_f16_e32 v0, v0
	s_branch .LBB279_378
.LBB279_377:
	v_mov_b32_e32 v0, 0
.LBB279_378:
	v_pk_add_f16 v1, v2, v6
	v_max_f16_e32 v2, v56, v56
	v_pk_add_f16 v3, v3, v7
	v_min_f16_e32 v2, v2, v1
	v_lshrrev_b32_e32 v6, 16, v56
	v_lshrrev_b32_e32 v1, 16, v1
	;; [unrolled: 1-line block ×3, first 2 shown]
	v_min3_f16 v1, v6, v1, v7
	v_min3_f16 v1, v2, v3, v1
	v_cvt_f32_f16_e32 v1, v1
	v_max_f32_e32 v0, v0, v0
	v_min_f32_e32 v0, v0, v1
	v_cvt_f16_f32_e32 v2, v0
	v_lshl_add_u64 v[0:1], v[46:47], 1, v[4:5]
	global_store_short v[0:1], v2, off
	s_endpgm
	.section	.rodata,"a",@progbits
	.p2align	6, 0x0
	.amdhsa_kernel _ZN12_GLOBAL__N_120geam_min_plus_kernelIDF16_Dv2_DF16_S1_Li8ELi32ELi64ELi256ELi4ELi4ELi64ELi64ELi4ELc84ELc84ELb0ELb1ELb1EPKDF16_S2_DF16_EEviiiT16_PT17_ilS6_ilS4_S6_ilPT18_ili26rocblas_geam_ex_operation_
		.amdhsa_group_segment_fixed_size 5120
		.amdhsa_private_segment_fixed_size 0
		.amdhsa_kernarg_size 136
		.amdhsa_user_sgpr_count 2
		.amdhsa_user_sgpr_dispatch_ptr 0
		.amdhsa_user_sgpr_queue_ptr 0
		.amdhsa_user_sgpr_kernarg_segment_ptr 1
		.amdhsa_user_sgpr_dispatch_id 0
		.amdhsa_user_sgpr_kernarg_preload_length 0
		.amdhsa_user_sgpr_kernarg_preload_offset 0
		.amdhsa_user_sgpr_private_segment_size 0
		.amdhsa_uses_dynamic_stack 0
		.amdhsa_enable_private_segment 0
		.amdhsa_system_sgpr_workgroup_id_x 1
		.amdhsa_system_sgpr_workgroup_id_y 0
		.amdhsa_system_sgpr_workgroup_id_z 1
		.amdhsa_system_sgpr_workgroup_info 0
		.amdhsa_system_vgpr_workitem_id 1
		.amdhsa_next_free_vgpr 179
		.amdhsa_next_free_sgpr 40
		.amdhsa_accum_offset 180
		.amdhsa_reserve_vcc 1
		.amdhsa_float_round_mode_32 0
		.amdhsa_float_round_mode_16_64 0
		.amdhsa_float_denorm_mode_32 3
		.amdhsa_float_denorm_mode_16_64 3
		.amdhsa_dx10_clamp 1
		.amdhsa_ieee_mode 1
		.amdhsa_fp16_overflow 0
		.amdhsa_tg_split 0
		.amdhsa_exception_fp_ieee_invalid_op 0
		.amdhsa_exception_fp_denorm_src 0
		.amdhsa_exception_fp_ieee_div_zero 0
		.amdhsa_exception_fp_ieee_overflow 0
		.amdhsa_exception_fp_ieee_underflow 0
		.amdhsa_exception_fp_ieee_inexact 0
		.amdhsa_exception_int_div_zero 0
	.end_amdhsa_kernel
	.section	.text._ZN12_GLOBAL__N_120geam_min_plus_kernelIDF16_Dv2_DF16_S1_Li8ELi32ELi64ELi256ELi4ELi4ELi64ELi64ELi4ELc84ELc84ELb0ELb1ELb1EPKDF16_S2_DF16_EEviiiT16_PT17_ilS6_ilS4_S6_ilPT18_ili26rocblas_geam_ex_operation_,"axG",@progbits,_ZN12_GLOBAL__N_120geam_min_plus_kernelIDF16_Dv2_DF16_S1_Li8ELi32ELi64ELi256ELi4ELi4ELi64ELi64ELi4ELc84ELc84ELb0ELb1ELb1EPKDF16_S2_DF16_EEviiiT16_PT17_ilS6_ilS4_S6_ilPT18_ili26rocblas_geam_ex_operation_,comdat
.Lfunc_end279:
	.size	_ZN12_GLOBAL__N_120geam_min_plus_kernelIDF16_Dv2_DF16_S1_Li8ELi32ELi64ELi256ELi4ELi4ELi64ELi64ELi4ELc84ELc84ELb0ELb1ELb1EPKDF16_S2_DF16_EEviiiT16_PT17_ilS6_ilS4_S6_ilPT18_ili26rocblas_geam_ex_operation_, .Lfunc_end279-_ZN12_GLOBAL__N_120geam_min_plus_kernelIDF16_Dv2_DF16_S1_Li8ELi32ELi64ELi256ELi4ELi4ELi64ELi64ELi4ELc84ELc84ELb0ELb1ELb1EPKDF16_S2_DF16_EEviiiT16_PT17_ilS6_ilS4_S6_ilPT18_ili26rocblas_geam_ex_operation_
                                        ; -- End function
	.set _ZN12_GLOBAL__N_120geam_min_plus_kernelIDF16_Dv2_DF16_S1_Li8ELi32ELi64ELi256ELi4ELi4ELi64ELi64ELi4ELc84ELc84ELb0ELb1ELb1EPKDF16_S2_DF16_EEviiiT16_PT17_ilS6_ilS4_S6_ilPT18_ili26rocblas_geam_ex_operation_.num_vgpr, 179
	.set _ZN12_GLOBAL__N_120geam_min_plus_kernelIDF16_Dv2_DF16_S1_Li8ELi32ELi64ELi256ELi4ELi4ELi64ELi64ELi4ELc84ELc84ELb0ELb1ELb1EPKDF16_S2_DF16_EEviiiT16_PT17_ilS6_ilS4_S6_ilPT18_ili26rocblas_geam_ex_operation_.num_agpr, 0
	.set _ZN12_GLOBAL__N_120geam_min_plus_kernelIDF16_Dv2_DF16_S1_Li8ELi32ELi64ELi256ELi4ELi4ELi64ELi64ELi4ELc84ELc84ELb0ELb1ELb1EPKDF16_S2_DF16_EEviiiT16_PT17_ilS6_ilS4_S6_ilPT18_ili26rocblas_geam_ex_operation_.numbered_sgpr, 40
	.set _ZN12_GLOBAL__N_120geam_min_plus_kernelIDF16_Dv2_DF16_S1_Li8ELi32ELi64ELi256ELi4ELi4ELi64ELi64ELi4ELc84ELc84ELb0ELb1ELb1EPKDF16_S2_DF16_EEviiiT16_PT17_ilS6_ilS4_S6_ilPT18_ili26rocblas_geam_ex_operation_.num_named_barrier, 0
	.set _ZN12_GLOBAL__N_120geam_min_plus_kernelIDF16_Dv2_DF16_S1_Li8ELi32ELi64ELi256ELi4ELi4ELi64ELi64ELi4ELc84ELc84ELb0ELb1ELb1EPKDF16_S2_DF16_EEviiiT16_PT17_ilS6_ilS4_S6_ilPT18_ili26rocblas_geam_ex_operation_.private_seg_size, 0
	.set _ZN12_GLOBAL__N_120geam_min_plus_kernelIDF16_Dv2_DF16_S1_Li8ELi32ELi64ELi256ELi4ELi4ELi64ELi64ELi4ELc84ELc84ELb0ELb1ELb1EPKDF16_S2_DF16_EEviiiT16_PT17_ilS6_ilS4_S6_ilPT18_ili26rocblas_geam_ex_operation_.uses_vcc, 1
	.set _ZN12_GLOBAL__N_120geam_min_plus_kernelIDF16_Dv2_DF16_S1_Li8ELi32ELi64ELi256ELi4ELi4ELi64ELi64ELi4ELc84ELc84ELb0ELb1ELb1EPKDF16_S2_DF16_EEviiiT16_PT17_ilS6_ilS4_S6_ilPT18_ili26rocblas_geam_ex_operation_.uses_flat_scratch, 0
	.set _ZN12_GLOBAL__N_120geam_min_plus_kernelIDF16_Dv2_DF16_S1_Li8ELi32ELi64ELi256ELi4ELi4ELi64ELi64ELi4ELc84ELc84ELb0ELb1ELb1EPKDF16_S2_DF16_EEviiiT16_PT17_ilS6_ilS4_S6_ilPT18_ili26rocblas_geam_ex_operation_.has_dyn_sized_stack, 0
	.set _ZN12_GLOBAL__N_120geam_min_plus_kernelIDF16_Dv2_DF16_S1_Li8ELi32ELi64ELi256ELi4ELi4ELi64ELi64ELi4ELc84ELc84ELb0ELb1ELb1EPKDF16_S2_DF16_EEviiiT16_PT17_ilS6_ilS4_S6_ilPT18_ili26rocblas_geam_ex_operation_.has_recursion, 0
	.set _ZN12_GLOBAL__N_120geam_min_plus_kernelIDF16_Dv2_DF16_S1_Li8ELi32ELi64ELi256ELi4ELi4ELi64ELi64ELi4ELc84ELc84ELb0ELb1ELb1EPKDF16_S2_DF16_EEviiiT16_PT17_ilS6_ilS4_S6_ilPT18_ili26rocblas_geam_ex_operation_.has_indirect_call, 0
	.section	.AMDGPU.csdata,"",@progbits
; Kernel info:
; codeLenInByte = 21056
; TotalNumSgprs: 46
; NumVgprs: 179
; NumAgprs: 0
; TotalNumVgprs: 179
; ScratchSize: 0
; MemoryBound: 0
; FloatMode: 240
; IeeeMode: 1
; LDSByteSize: 5120 bytes/workgroup (compile time only)
; SGPRBlocks: 5
; VGPRBlocks: 22
; NumSGPRsForWavesPerEU: 46
; NumVGPRsForWavesPerEU: 179
; AccumOffset: 180
; Occupancy: 2
; WaveLimiterHint : 0
; COMPUTE_PGM_RSRC2:SCRATCH_EN: 0
; COMPUTE_PGM_RSRC2:USER_SGPR: 2
; COMPUTE_PGM_RSRC2:TRAP_HANDLER: 0
; COMPUTE_PGM_RSRC2:TGID_X_EN: 1
; COMPUTE_PGM_RSRC2:TGID_Y_EN: 0
; COMPUTE_PGM_RSRC2:TGID_Z_EN: 1
; COMPUTE_PGM_RSRC2:TIDIG_COMP_CNT: 1
; COMPUTE_PGM_RSRC3_GFX90A:ACCUM_OFFSET: 44
; COMPUTE_PGM_RSRC3_GFX90A:TG_SPLIT: 0
	.section	.text._ZN12_GLOBAL__N_120geam_min_plus_kernelIDF16_Dv2_DF16_S1_Li8ELi32ELi64ELi256ELi4ELi4ELi64ELi64ELi4ELc84ELc84ELb1ELb1ELb1EDF16_KDF16_DF16_EEviiiT16_PT17_ilS5_ilS3_S5_ilPT18_ili26rocblas_geam_ex_operation_,"axG",@progbits,_ZN12_GLOBAL__N_120geam_min_plus_kernelIDF16_Dv2_DF16_S1_Li8ELi32ELi64ELi256ELi4ELi4ELi64ELi64ELi4ELc84ELc84ELb1ELb1ELb1EDF16_KDF16_DF16_EEviiiT16_PT17_ilS5_ilS3_S5_ilPT18_ili26rocblas_geam_ex_operation_,comdat
	.globl	_ZN12_GLOBAL__N_120geam_min_plus_kernelIDF16_Dv2_DF16_S1_Li8ELi32ELi64ELi256ELi4ELi4ELi64ELi64ELi4ELc84ELc84ELb1ELb1ELb1EDF16_KDF16_DF16_EEviiiT16_PT17_ilS5_ilS3_S5_ilPT18_ili26rocblas_geam_ex_operation_ ; -- Begin function _ZN12_GLOBAL__N_120geam_min_plus_kernelIDF16_Dv2_DF16_S1_Li8ELi32ELi64ELi256ELi4ELi4ELi64ELi64ELi4ELc84ELc84ELb1ELb1ELb1EDF16_KDF16_DF16_EEviiiT16_PT17_ilS5_ilS3_S5_ilPT18_ili26rocblas_geam_ex_operation_
	.p2align	8
	.type	_ZN12_GLOBAL__N_120geam_min_plus_kernelIDF16_Dv2_DF16_S1_Li8ELi32ELi64ELi256ELi4ELi4ELi64ELi64ELi4ELc84ELc84ELb1ELb1ELb1EDF16_KDF16_DF16_EEviiiT16_PT17_ilS5_ilS3_S5_ilPT18_ili26rocblas_geam_ex_operation_,@function
_ZN12_GLOBAL__N_120geam_min_plus_kernelIDF16_Dv2_DF16_S1_Li8ELi32ELi64ELi256ELi4ELi4ELi64ELi64ELi4ELc84ELc84ELb1ELb1ELb1EDF16_KDF16_DF16_EEviiiT16_PT17_ilS5_ilS3_S5_ilPT18_ili26rocblas_geam_ex_operation_: ; @_ZN12_GLOBAL__N_120geam_min_plus_kernelIDF16_Dv2_DF16_S1_Li8ELi32ELi64ELi256ELi4ELi4ELi64ELi64ELi4ELc84ELc84ELb1ELb1ELb1EDF16_KDF16_DF16_EEviiiT16_PT17_ilS5_ilS3_S5_ilPT18_ili26rocblas_geam_ex_operation_
; %bb.0:
	s_load_dwordx4 s[20:23], s[0:1], 0x0
	s_load_dwordx4 s[4:7], s[0:1], 0x20
	s_waitcnt lgkmcnt(0)
	v_cmp_eq_f16_e64 s[8:9], s23, 0
	s_and_b64 vcc, exec, s[8:9]
	s_cbranch_vccnz .LBB280_53
; %bb.1:
	s_load_dwordx2 s[10:11], s[0:1], 0x10
	s_mul_i32 s5, s5, s3
	s_mul_hi_u32 s12, s4, s3
	s_add_i32 s5, s12, s5
	s_mul_i32 s4, s4, s3
	s_lshl_b64 s[4:5], s[4:5], 1
	s_waitcnt lgkmcnt(0)
	s_add_u32 s26, s10, s4
	s_addc_u32 s27, s11, s5
	s_andn2_b64 vcc, exec, s[8:9]
	s_mov_b64 s[4:5], -1
	s_cbranch_vccnz .LBB280_3
.LBB280_2:
	s_mov_b64 s[4:5], 0
.LBB280_3:
	s_mov_b64 s[24:25], 0
	s_andn2_b64 vcc, exec, s[4:5]
	s_mov_b64 s[28:29], 0
	s_cbranch_vccnz .LBB280_5
; %bb.4:
	s_load_dwordx2 s[4:5], s[0:1], 0x38
	s_waitcnt lgkmcnt(0)
	s_mul_i32 s5, s5, s3
	s_mul_hi_u32 s8, s4, s3
	s_add_i32 s5, s8, s5
	s_mul_i32 s4, s4, s3
	s_lshl_b64 s[4:5], s[4:5], 1
	s_add_u32 s28, s6, s4
	s_addc_u32 s29, s7, s5
.LBB280_5:
	s_load_dword s33, s[0:1], 0x40
	s_load_dwordx4 s[12:15], s[0:1], 0x58
	s_waitcnt lgkmcnt(0)
	v_cmp_eq_f16_e64 s[4:5], s33, 0
	v_cmp_neq_f16_e64 s[16:17], s33, 0
	s_and_b64 vcc, exec, s[4:5]
	s_cbranch_vccnz .LBB280_7
; %bb.6:
	s_load_dwordx2 s[4:5], s[0:1], 0x48
	s_mul_i32 s6, s13, s3
	s_mul_hi_u32 s7, s12, s3
	s_add_i32 s7, s7, s6
	s_mul_i32 s6, s12, s3
	s_lshl_b64 s[6:7], s[6:7], 1
	s_waitcnt lgkmcnt(0)
	s_add_u32 s24, s4, s6
	s_addc_u32 s25, s5, s7
.LBB280_7:
	s_add_i32 s4, s20, -1
	s_ashr_i32 s5, s4, 31
	s_lshr_b32 s5, s5, 26
	s_add_i32 s4, s4, s5
	s_ashr_i32 s4, s4, 6
	s_add_i32 s5, s4, 1
	v_cvt_f32_u32_e32 v1, s5
	v_and_b32_e32 v42, 0x3ff, v0
	v_bfe_u32 v43, v0, 10, 10
	v_and_b32_e32 v44, 3, v0
	v_rcp_iflag_f32_e32 v1, v1
	s_not_b32 s4, s4
	s_load_dword s36, s[0:1], 0x18
	v_lshl_add_u32 v2, v43, 3, v42
	v_mul_f32_e32 v0, 0x4f7ffffe, v1
	v_cvt_u32_f32_e32 v0, v0
	v_lshrrev_b32_e32 v30, 2, v2
	v_cmp_gt_i32_e32 vcc, s22, v44
	v_mov_b32_e32 v4, 0x7c00
	v_readfirstlane_b32 s6, v0
	s_mul_i32 s4, s4, s6
	s_mul_hi_u32 s4, s6, s4
	s_add_i32 s6, s6, s4
	s_mul_hi_u32 s4, s2, s6
	s_mul_i32 s6, s4, s5
	s_sub_i32 s6, s2, s6
	s_add_i32 s7, s4, 1
	s_sub_i32 s8, s6, s5
	s_cmp_ge_u32 s6, s5
	s_cselect_b32 s4, s7, s4
	s_cselect_b32 s6, s8, s6
	s_add_i32 s7, s4, 1
	s_cmp_ge_u32 s6, s5
	s_cselect_b32 s6, s7, s4
	s_mul_i32 s37, s6, s5
	s_sub_i32 s4, s2, s37
	s_lshl_b32 s34, s4, 6
	v_add_u32_e32 v9, s34, v30
	v_cmp_gt_i32_e64 s[4:5], s20, v9
	v_cmp_le_i32_e64 s[8:9], s20, v9
	s_and_b64 s[10:11], vcc, s[4:5]
	v_lshlrev_b32_e32 v0, 1, v44
	v_mov_b32_e32 v5, 0x7c00
	s_and_saveexec_b64 s[4:5], s[10:11]
	s_cbranch_execz .LBB280_9
; %bb.8:
	s_waitcnt lgkmcnt(0)
	v_mad_i64_i32 v[6:7], s[10:11], v9, s36, 0
	v_lshl_add_u64 v[6:7], v[6:7], 1, s[26:27]
	v_mov_b32_e32 v1, 0
	v_lshl_add_u64 v[6:7], v[6:7], 0, v[0:1]
	global_load_ushort v5, v[6:7], off
.LBB280_9:
	s_or_b64 exec, exec, s[4:5]
	s_load_dword s30, s[0:1], 0x30
	v_and_b32_e32 v6, 63, v2
	s_lshl_b32 s35, s6, 8
	v_lshrrev_b32_e32 v47, 6, v2
	v_or_b32_e32 v28, s35, v6
	v_cmp_le_i32_e64 s[10:11], s22, v47
	s_waitcnt lgkmcnt(0)
	v_mad_i64_i32 v[2:3], s[4:5], s30, v47, 0
	v_cmp_le_i32_e32 vcc, s21, v28
	v_lshl_add_u64 v[2:3], v[2:3], 1, s[28:29]
	s_nor_b64 s[6:7], vcc, s[10:11]
	v_ashrrev_i32_e32 v29, 31, v28
	s_and_saveexec_b64 s[4:5], s[6:7]
	s_cbranch_execz .LBB280_11
; %bb.10:
	v_lshl_add_u64 v[10:11], v[28:29], 1, v[2:3]
	global_load_ushort v4, v[10:11], off
.LBB280_11:
	s_or_b64 exec, exec, s[4:5]
	v_or_b32_e32 v1, 64, v28
	v_cmp_le_i32_e64 s[12:13], s21, v1
	s_nor_b64 s[6:7], s[12:13], s[10:11]
	v_mov_b32_e32 v7, 0x7c00
	v_mov_b32_e32 v8, 0x7c00
	s_and_saveexec_b64 s[4:5], s[6:7]
	s_cbranch_execz .LBB280_13
; %bb.12:
	v_lshl_add_u64 v[10:11], v[28:29], 1, v[2:3]
	global_load_ushort v8, v[10:11], off offset:128
.LBB280_13:
	s_or_b64 exec, exec, s[4:5]
	v_or_b32_e32 v1, 0x80, v28
	v_cmp_le_i32_e64 s[4:5], s21, v1
	s_ashr_i32 s31, s30, 31
	s_nor_b64 s[18:19], s[4:5], s[10:11]
	s_and_saveexec_b64 s[6:7], s[18:19]
	s_cbranch_execz .LBB280_15
; %bb.14:
	v_lshl_add_u64 v[10:11], v[28:29], 1, v[2:3]
	global_load_ushort v7, v[10:11], off offset:256
.LBB280_15:
	s_or_b64 exec, exec, s[6:7]
	v_or_b32_e32 v1, 0xc0, v28
	v_cmp_le_i32_e64 s[6:7], s21, v1
	s_nor_b64 s[18:19], s[6:7], s[10:11]
	v_mov_b32_e32 v31, 0x7c00
	v_mov_b32_e32 v10, 0x7c00
	s_and_saveexec_b64 s[10:11], s[18:19]
	s_cbranch_execz .LBB280_17
; %bb.16:
	v_lshl_add_u64 v[2:3], v[28:29], 1, v[2:3]
	global_load_ushort v10, v[2:3], off offset:384
.LBB280_17:
	s_or_b64 exec, exec, s[10:11]
	v_or_b32_e32 v1, 4, v44
	v_cmp_gt_i32_e64 s[10:11], s22, v1
	s_xor_b64 s[18:19], s[8:9], -1
	s_and_b64 s[10:11], s[10:11], s[18:19]
	s_and_saveexec_b64 s[8:9], s[10:11]
	s_cbranch_execz .LBB280_19
; %bb.18:
	v_mad_i64_i32 v[2:3], s[10:11], v9, s36, 0
	v_lshl_add_u64 v[2:3], v[2:3], 1, s[26:27]
	v_mov_b32_e32 v1, 0
	v_lshl_add_u64 v[2:3], v[2:3], 0, v[0:1]
	global_load_ushort v31, v[2:3], off offset:8
.LBB280_19:
	s_or_b64 exec, exec, s[8:9]
	v_add_u32_e32 v1, 4, v47
	v_mad_u64_u32 v[2:3], s[10:11], s30, v1, 0
	v_mov_b32_e32 v12, v3
	v_mad_u64_u32 v[12:13], s[10:11], s31, v1, v[12:13]
	v_cmp_le_i32_e64 s[8:9], s22, v1
	v_mov_b32_e32 v3, v12
	v_lshl_add_u64 v[2:3], v[2:3], 1, s[28:29]
	s_nor_b64 s[38:39], vcc, s[8:9]
	v_mov_b32_e32 v32, 0x7c00
	v_mov_b32_e32 v33, 0x7c00
	s_and_saveexec_b64 s[10:11], s[38:39]
	s_cbranch_execz .LBB280_21
; %bb.20:
	v_lshl_add_u64 v[12:13], v[28:29], 1, v[2:3]
	global_load_ushort v33, v[12:13], off
.LBB280_21:
	s_or_b64 exec, exec, s[10:11]
	s_nor_b64 s[38:39], s[12:13], s[8:9]
	s_and_saveexec_b64 s[10:11], s[38:39]
	s_cbranch_execz .LBB280_23
; %bb.22:
	v_lshl_add_u64 v[12:13], v[28:29], 1, v[2:3]
	global_load_ushort v32, v[12:13], off offset:128
.LBB280_23:
	s_or_b64 exec, exec, s[10:11]
	s_nor_b64 s[38:39], s[4:5], s[8:9]
	v_mov_b32_e32 v34, 0x7c00
	v_mov_b32_e32 v35, 0x7c00
	s_and_saveexec_b64 s[10:11], s[38:39]
	s_cbranch_execz .LBB280_25
; %bb.24:
	v_lshl_add_u64 v[12:13], v[28:29], 1, v[2:3]
	global_load_ushort v35, v[12:13], off offset:256
.LBB280_25:
	s_or_b64 exec, exec, s[10:11]
	s_nor_b64 s[10:11], s[6:7], s[8:9]
	s_and_saveexec_b64 s[8:9], s[10:11]
	s_cbranch_execz .LBB280_27
; %bb.26:
	v_lshl_add_u64 v[2:3], v[28:29], 1, v[2:3]
	global_load_ushort v34, v[2:3], off offset:384
.LBB280_27:
	s_or_b64 exec, exec, s[8:9]
	v_lshl_or_b32 v36, v30, 3, v0
	v_lshlrev_b32_e32 v0, 3, v6
	v_lshlrev_b32_e32 v46, 3, v42
	v_lshl_add_u32 v48, v47, 1, v0
	v_add_u32_e32 v49, 0x1000, v46
	s_waitcnt vmcnt(0)
	ds_write_b16 v36, v5 offset:4096
	ds_write_b16 v48, v4
	ds_write_b16 v48, v8 offset:512
	ds_write_b16 v48, v7 offset:1024
	;; [unrolled: 1-line block ×3, first 2 shown]
	s_waitcnt lgkmcnt(0)
	s_barrier
	v_lshlrev_b32_e32 v45, 3, v43
	ds_read2_b64 v[16:19], v49 offset1:8
	ds_read2_b64 v[12:15], v49 offset0:16 offset1:24
	ds_read2_b64 v[4:7], v49 offset0:32 offset1:40
	ds_read2_b64 v[38:41], v45 offset1:32
	ds_read2_b64 v[0:3], v49 offset0:48 offset1:56
	ds_read2_b64 v[24:27], v45 offset0:64 offset1:96
	;; [unrolled: 1-line block ×4, first 2 shown]
	s_waitcnt lgkmcnt(4)
	v_pk_add_f16 v37, v16, v38
	s_movk_i32 s8, 0x7c00
	v_pk_add_f16 v50, v18, v38
	v_pk_add_f16 v51, v12, v38
	;; [unrolled: 1-line block ×5, first 2 shown]
	s_waitcnt lgkmcnt(3)
	v_pk_add_f16 v55, v0, v38
	v_pk_add_f16 v38, v2, v38
	v_pk_add_f16 v56, v16, v40
	v_pk_add_f16 v57, v18, v40
	v_pk_add_f16 v58, v12, v40
	v_pk_add_f16 v59, v14, v40
	v_pk_add_f16 v60, v4, v40
	v_pk_add_f16 v61, v6, v40
	v_pk_add_f16 v62, v0, v40
	v_pk_add_f16 v40, v2, v40
	s_waitcnt lgkmcnt(2)
	v_pk_add_f16 v63, v16, v24
	v_pk_add_f16 v64, v18, v24
	v_pk_add_f16 v65, v12, v24
	v_pk_add_f16 v66, v14, v24
	v_pk_add_f16 v67, v4, v24
	v_pk_add_f16 v68, v6, v24
	v_pk_add_f16 v69, v0, v24
	v_pk_add_f16 v24, v2, v24
	v_pk_add_f16 v70, v16, v26
	v_pk_add_f16 v71, v18, v26
	v_pk_add_f16 v72, v12, v26
	v_pk_add_f16 v73, v14, v26
	v_pk_add_f16 v74, v4, v26
	v_pk_add_f16 v75, v6, v26
	v_pk_add_f16 v76, v0, v26
	v_pk_add_f16 v26, v2, v26
	s_waitcnt lgkmcnt(1)
	v_pk_add_f16 v77, v16, v20
	v_pk_add_f16 v78, v18, v20
	v_pk_add_f16 v79, v12, v20
	v_pk_add_f16 v80, v14, v20
	v_pk_add_f16 v103, v4, v20
	v_pk_add_f16 v117, v6, v20
	;; [unrolled: 17-line block ×3, first 2 shown]
	v_pk_add_f16 v132, v0, v8
	v_pk_add_f16 v8, v2, v8
	;; [unrolled: 1-line block ×11, first 2 shown]
	v_pk_min_f16 v10, v37, s8 op_sel_hi:[1,0]
	v_pk_min_f16 v8, v8, s8 op_sel_hi:[1,0]
	v_pk_min_f16 v116, v10, v2
	v_pk_add_f16 v2, v19, v39
	v_pk_min_f16 v10, v50, s8 op_sel_hi:[1,0]
	v_pk_min_f16 v4, v4, s8 op_sel_hi:[1,0]
	v_pk_min_f16 v115, v10, v2
	v_pk_add_f16 v2, v13, v39
	;; [unrolled: 4-line block ×3, first 2 shown]
	v_pk_min_f16 v10, v52, s8 op_sel_hi:[1,0]
	s_cmp_lt_i32 s22, 9
	v_pk_min_f16 v113, v10, v2
	v_pk_add_f16 v2, v5, v39
	v_pk_min_f16 v10, v53, s8 op_sel_hi:[1,0]
	ds_write_b16 v36, v31 offset:4608
	ds_write_b16 v48, v33 offset:2048
	ds_write_b16 v48, v32 offset:2560
	ds_write_b16 v48, v35 offset:3072
	ds_write_b16 v48, v34 offset:3584
	v_pk_min_f16 v112, v10, v2
	v_pk_add_f16 v2, v7, v39
	v_pk_min_f16 v10, v54, s8 op_sel_hi:[1,0]
	s_waitcnt lgkmcnt(0)
	v_pk_min_f16 v111, v10, v2
	v_pk_add_f16 v2, v1, v39
	v_pk_min_f16 v10, v55, s8 op_sel_hi:[1,0]
	s_barrier
	v_pk_min_f16 v110, v10, v2
	v_pk_add_f16 v2, v3, v39
	v_pk_min_f16 v10, v38, s8 op_sel_hi:[1,0]
	s_nop 0
	v_pk_min_f16 v109, v10, v2
	v_pk_add_f16 v2, v17, v41
	v_pk_min_f16 v10, v56, s8 op_sel_hi:[1,0]
	s_nop 0
	;; [unrolled: 4-line block ×47, first 2 shown]
	v_pk_min_f16 v62, v10, v2
	v_pk_add_f16 v2, v1, v9
	v_pk_min_f16 v10, v132, s8 op_sel_hi:[1,0]
	v_pk_add_f16 v1, v1, v11
	v_pk_min_f16 v61, v10, v2
	v_pk_add_f16 v2, v3, v9
	s_nop 0
	v_pk_min_f16 v60, v8, v2
	v_pk_add_f16 v2, v17, v11
	v_pk_min_f16 v8, v16, s8 op_sel_hi:[1,0]
	s_nop 0
	v_pk_min_f16 v59, v8, v2
	v_pk_add_f16 v2, v19, v11
	v_pk_min_f16 v8, v18, s8 op_sel_hi:[1,0]
	;; [unrolled: 4-line block ×4, first 2 shown]
	s_nop 0
	v_pk_min_f16 v56, v8, v2
	v_pk_add_f16 v2, v5, v11
	s_nop 0
	v_pk_min_f16 v54, v4, v2
	v_pk_add_f16 v2, v7, v11
	v_pk_min_f16 v4, v6, s8 op_sel_hi:[1,0]
	s_nop 0
	v_pk_min_f16 v53, v4, v2
	v_pk_min_f16 v2, v133, s8 op_sel_hi:[1,0]
	s_nop 0
	v_pk_min_f16 v52, v2, v1
	v_pk_add_f16 v1, v3, v11
	s_nop 0
	v_pk_min_f16 v55, v0, v1
	s_cbranch_scc1 .LBB280_50
; %bb.28:
	v_mov_b32_e32 v0, 0x1200
	v_lshl_add_u32 v117, v42, 3, v0
	v_mov_b32_e32 v0, 0x800
	v_lshl_add_u32 v118, v43, 3, v0
	v_lshl_add_u32 v0, s2, 6, v30
	s_lshl_b32 s2, s37, 6
	v_subrev_u32_e32 v0, s2, v0
	v_and_b32_e32 v2, 3, v42
	v_mad_i64_i32 v[0:1], s[8:9], s36, v0, 0
	v_lshlrev_b32_e32 v2, 1, v2
	v_mov_b32_e32 v3, 0
	v_lshl_add_u64 v[0:1], v[0:1], 1, v[2:3]
	v_lshl_add_u64 v[0:1], s[26:27], 0, v[0:1]
	;; [unrolled: 1-line block ×3, first 2 shown]
	v_add_u32_e32 v0, 8, v47
	v_mad_i64_i32 v[0:1], s[8:9], v0, s30, 0
	v_lshlrev_b64 v[34:35], 1, v[0:1]
	v_add_u32_e32 v0, 12, v47
	v_mad_i64_i32 v[0:1], s[8:9], v0, s30, 0
	v_add_u32_e32 v50, 0x1000, v36
	v_add_u32_e32 v51, 0x1200, v36
	;; [unrolled: 1-line block ×3, first 2 shown]
	s_add_i32 s23, s22, -8
	v_lshl_add_u64 v[36:37], v[28:29], 1, s[28:29]
	s_lshl_b64 s[10:11], s[30:31], 4
	v_lshlrev_b64 v[38:39], 1, v[0:1]
	s_mov_b32 s2, 0
	s_branch .LBB280_30
.LBB280_29:                             ;   in Loop: Header=BB280_30 Depth=1
	s_or_b64 exec, exec, s[8:9]
	v_pk_add_f16 v40, v16, v28
	v_pk_max_f16 v41, v116, v116
	v_pk_max_f16 v115, v115, v115
	v_pk_min_f16 v40, v41, v40
	v_pk_add_f16 v41, v18, v28
	v_pk_max_f16 v114, v114, v114
	v_pk_min_f16 v41, v115, v41
	v_pk_add_f16 v115, v12, v28
	v_pk_max_f16 v113, v113, v113
	v_pk_min_f16 v114, v114, v115
	v_pk_add_f16 v115, v14, v28
	v_pk_max_f16 v112, v112, v112
	v_pk_min_f16 v113, v113, v115
	v_pk_add_f16 v115, v4, v28
	v_pk_max_f16 v111, v111, v111
	v_pk_min_f16 v112, v112, v115
	v_pk_add_f16 v115, v6, v28
	v_pk_max_f16 v109, v109, v109
	v_pk_min_f16 v111, v111, v115
	v_pk_add_f16 v115, v0, v28
	v_pk_add_f16 v28, v2, v28
	v_pk_max_f16 v108, v108, v108
	v_pk_min_f16 v28, v109, v28
	v_pk_add_f16 v109, v16, v30
	v_pk_max_f16 v107, v107, v107
	v_pk_min_f16 v108, v108, v109
	v_pk_add_f16 v109, v18, v30
	v_pk_max_f16 v106, v106, v106
	v_pk_min_f16 v107, v107, v109
	v_pk_add_f16 v109, v12, v30
	v_pk_max_f16 v104, v104, v104
	v_pk_min_f16 v106, v106, v109
	v_pk_add_f16 v109, v14, v30
	v_pk_max_f16 v101, v101, v101
	v_pk_min_f16 v104, v104, v109
	v_pk_add_f16 v109, v4, v30
	v_pk_max_f16 v99, v99, v99
	v_pk_min_f16 v101, v101, v109
	v_pk_add_f16 v109, v6, v30
	v_pk_max_f16 v95, v95, v95
	v_pk_min_f16 v99, v99, v109
	v_pk_add_f16 v109, v0, v30
	v_pk_add_f16 v30, v2, v30
	v_pk_max_f16 v93, v93, v93
	v_pk_min_f16 v30, v95, v30
	v_pk_add_f16 v95, v16, v24
	;; [unrolled: 22-line block ×4, first 2 shown]
	v_pk_max_f16 v82, v82, v82
	v_pk_min_f16 v83, v83, v84
	v_pk_add_f16 v84, v18, v20
	v_pk_max_f16 v81, v81, v81
	v_pk_min_f16 v82, v82, v84
	v_pk_add_f16 v84, v12, v20
	;; [unrolled: 3-line block ×3, first 2 shown]
	v_pk_max_f16 v80, v80, v80
	v_pk_max_f16 v100, v100, v100
	v_pk_min_f16 v85, v85, v98
	v_pk_min_f16 v98, v80, v81
	v_pk_add_f16 v80, v4, v20
	v_pk_max_f16 v79, v79, v79
	v_pk_max_f16 v97, v97, v97
	v_pk_min_f16 v100, v100, v105
	v_pk_min_f16 v105, v79, v80
	v_pk_add_f16 v79, v6, v20
	v_pk_max_f16 v78, v78, v78
	v_pk_min_f16 v97, v97, v109
	v_pk_min_f16 v109, v78, v79
	v_pk_add_f16 v78, v0, v20
	v_pk_add_f16 v20, v2, v20
	v_pk_max_f16 v76, v76, v76
	v_pk_max_f16 v75, v75, v75
	v_pk_min_f16 v20, v76, v20
	v_pk_add_f16 v76, v16, v22
	v_pk_max_f16 v74, v74, v74
	v_pk_min_f16 v116, v75, v76
	v_pk_add_f16 v75, v18, v22
	;; [unrolled: 3-line block ×7, first 2 shown]
	v_pk_add_f16 v22, v2, v22
	v_pk_min_f16 v129, v68, v70
	v_pk_max_f16 v68, v69, v69
	v_pk_max_f16 v67, v67, v67
	v_pk_min_f16 v22, v68, v22
	v_pk_add_f16 v68, v16, v8
	v_pk_max_f16 v66, v66, v66
	v_pk_min_f16 v130, v67, v68
	v_pk_add_f16 v67, v18, v8
	;; [unrolled: 3-line block ×6, first 2 shown]
	v_pk_add_f16 v16, v16, v10
	v_pk_min_f16 v135, v62, v63
	v_pk_add_f16 v62, v0, v8
	v_pk_add_f16 v8, v2, v8
	;; [unrolled: 1-line block ×9, first 2 shown]
	v_pk_max_f16 v10, v55, v55
	v_pk_max_f16 v110, v110, v110
	v_pk_min_f16 v2, v10, v2
	v_pk_add_f16 v10, v17, v29
	v_pk_min_f16 v110, v110, v115
	v_pk_min_f16 v137, v40, v10
	v_pk_add_f16 v10, v19, v29
	v_pk_max_f16 v77, v77, v77
	v_pk_min_f16 v138, v41, v10
	v_pk_add_f16 v10, v13, v29
	v_pk_min_f16 v115, v77, v78
	v_pk_min_f16 v114, v114, v10
	v_pk_add_f16 v10, v15, v29
	;; [unrolled: 6-line block ×11, first 2 shown]
	s_add_i32 s2, s2, 8
	v_pk_min_f16 v81, v102, v10
	v_pk_add_f16 v10, v1, v25
	v_pk_max_f16 v81, v81, v81
	v_pk_min_f16 v80, v100, v10
	v_pk_add_f16 v10, v3, v25
	v_pk_max_f16 v80, v80, v80
	;; [unrolled: 3-line block ×11, first 2 shown]
	v_pk_min_f16 v73, v83, v10
	v_pk_add_f16 v10, v19, v21
	v_lshl_add_u64 v[32:33], v[32:33], 0, 16
	v_pk_min_f16 v71, v82, v10
	v_pk_add_f16 v10, v13, v21
	s_cmp_ge_i32 s2, s23
	v_pk_min_f16 v69, v84, v10
	v_pk_add_f16 v10, v15, v21
	v_lshl_add_u64 v[36:37], v[36:37], 0, s[10:11]
	v_pk_min_f16 v67, v98, v10
	v_pk_add_f16 v10, v5, v21
	v_pk_max_f16 v67, v67, v67
	v_pk_min_f16 v66, v105, v10
	v_pk_add_f16 v10, v7, v21
	v_pk_max_f16 v66, v66, v66
	;; [unrolled: 3-line block ×6, first 2 shown]
	v_pk_min_f16 v61, v124, v10
	v_pk_add_f16 v10, v13, v23
	s_nop 0
	v_pk_min_f16 v60, v125, v10
	v_pk_add_f16 v10, v15, v23
	s_nop 0
	;; [unrolled: 3-line block ×10, first 2 shown]
	v_pk_min_f16 v28, v133, v10
	v_pk_add_f16 v10, v5, v9
	v_pk_add_f16 v5, v5, v11
	v_pk_min_f16 v27, v134, v10
	v_pk_add_f16 v10, v7, v9
	v_pk_min_f16 v124, v4, v5
	v_pk_min_f16 v26, v135, v10
	v_pk_add_f16 v10, v1, v9
	v_pk_add_f16 v9, v3, v9
	;; [unrolled: 1-line block ×3, first 2 shown]
	v_pk_min_f16 v24, v8, v9
	v_pk_add_f16 v8, v17, v11
	v_pk_add_f16 v4, v7, v11
	v_pk_min_f16 v40, v16, v8
	v_pk_add_f16 v8, v19, v11
	v_pk_min_f16 v126, v0, v1
	v_pk_min_f16 v31, v18, v8
	v_pk_add_f16 v8, v13, v11
	v_pk_add_f16 v0, v3, v11
	v_pk_min_f16 v54, v12, v8
	v_pk_add_f16 v8, v15, v11
	v_pk_min_f16 v25, v136, v10
	v_pk_min_f16 v53, v14, v8
	;; [unrolled: 1-line block ×4, first 2 shown]
	ds_read2_b64 v[12:15], v49 offset1:8
	ds_read2_b64 v[4:7], v49 offset0:16 offset1:24
	ds_read2_b64 v[82:85], v45 offset1:32
	ds_read2_b64 v[8:11], v49 offset0:32 offset1:40
	ds_read2_b64 v[0:3], v49 offset0:48 offset1:56
	;; [unrolled: 1-line block ×4, first 2 shown]
	s_waitcnt lgkmcnt(4)
	v_pk_add_f16 v86, v12, v82
	v_pk_add_f16 v88, v14, v82
	v_pk_min_f16 v86, v109, v86
	v_pk_add_f16 v109, v13, v83
	v_pk_add_f16 v90, v4, v82
	v_pk_min_f16 v116, v86, v109
	v_pk_max_f16 v109, v138, v138
	v_pk_add_f16 v92, v6, v82
	v_pk_min_f16 v88, v109, v88
	v_pk_add_f16 v109, v15, v83
	s_waitcnt lgkmcnt(3)
	v_pk_add_f16 v94, v8, v82
	v_pk_min_f16 v115, v88, v109
	v_pk_max_f16 v109, v114, v114
	v_pk_add_f16 v95, v10, v82
	v_pk_min_f16 v90, v109, v90
	v_pk_add_f16 v109, v5, v83
	s_waitcnt lgkmcnt(1)
	v_pk_add_f16 v130, v12, v20
	v_pk_min_f16 v114, v90, v109
	v_pk_max_f16 v109, v113, v113
	v_pk_add_f16 v131, v14, v20
	v_pk_min_f16 v92, v109, v92
	v_pk_add_f16 v109, v7, v83
	v_pk_add_f16 v132, v4, v20
	v_pk_min_f16 v113, v92, v109
	v_pk_max_f16 v109, v112, v112
	v_pk_add_f16 v86, v6, v20
	v_pk_min_f16 v94, v109, v94
	v_pk_add_f16 v109, v9, v83
	v_pk_add_f16 v88, v8, v20
	;; [unrolled: 1-line block ×4, first 2 shown]
	v_pk_min_f16 v112, v94, v109
	v_pk_add_f16 v94, v2, v20
	v_pk_max_f16 v20, v111, v111
	v_pk_add_f16 v96, v0, v82
	v_pk_min_f16 v20, v20, v95
	v_pk_add_f16 v95, v11, v83
	v_pk_add_f16 v82, v2, v82
	v_pk_min_f16 v111, v20, v95
	v_pk_max_f16 v20, v110, v110
	v_pk_add_f16 v95, v1, v83
	v_pk_min_f16 v20, v20, v96
	v_pk_add_f16 v98, v12, v84
	v_pk_min_f16 v110, v20, v95
	v_pk_max_f16 v20, v139, v139
	v_pk_add_f16 v100, v14, v84
	v_pk_min_f16 v20, v20, v82
	v_pk_add_f16 v82, v3, v83
	v_pk_add_f16 v83, v13, v85
	v_pk_min_f16 v109, v20, v82
	v_pk_max_f16 v20, v108, v108
	v_pk_add_f16 v95, v15, v85
	v_pk_min_f16 v20, v20, v98
	v_pk_add_f16 v102, v4, v84
	v_pk_min_f16 v108, v20, v83
	v_pk_max_f16 v20, v107, v107
	v_pk_add_f16 v105, v6, v84
	v_pk_min_f16 v20, v20, v100
	;; [unrolled: 5-line block ×5, first 2 shown]
	v_pk_add_f16 v134, v14, v22
	v_pk_min_f16 v101, v20, v95
	v_pk_max_f16 v20, v99, v99
	v_pk_add_f16 v82, v4, v22
	v_pk_add_f16 v83, v6, v22
	;; [unrolled: 1-line block ×6, first 2 shown]
	v_pk_min_f16 v20, v20, v128
	v_pk_add_f16 v22, v11, v85
	v_pk_add_f16 v129, v0, v84
	v_pk_min_f16 v99, v20, v22
	v_pk_max_f16 v22, v97, v97
	v_pk_add_f16 v20, v1, v85
	v_pk_min_f16 v22, v22, v129
	v_pk_add_f16 v84, v2, v84
	v_pk_min_f16 v97, v22, v20
	v_pk_max_f16 v22, v140, v140
	v_pk_add_f16 v20, v3, v85
	v_pk_min_f16 v22, v22, v84
	;; [unrolled: 5-line block ×4, first 2 shown]
	v_pk_min_f16 v68, v68, v127
	v_pk_min_f16 v91, v22, v20
	v_pk_max_f16 v22, v89, v89
	v_pk_add_f16 v20, v5, v21
	v_pk_min_f16 v22, v22, v132
	v_pk_add_f16 v139, v1, v23
	v_pk_min_f16 v89, v22, v20
	v_pk_max_f16 v22, v87, v87
	v_pk_add_f16 v20, v7, v21
	v_pk_min_f16 v22, v22, v86
	v_pk_min_f16 v70, v70, v137
	;; [unrolled: 1-line block ×3, first 2 shown]
	v_pk_max_f16 v20, v141, v141
	s_waitcnt lgkmcnt(0)
	v_pk_add_f16 v141, v12, v16
	v_pk_min_f16 v85, v20, v88
	v_pk_add_f16 v142, v14, v16
	v_pk_min_f16 v105, v85, v84
	v_pk_min_f16 v84, v68, v140
	v_pk_max_f16 v68, v73, v73
	v_pk_min_f16 v85, v70, v139
	v_pk_min_f16 v68, v68, v141
	v_pk_add_f16 v70, v13, v17
	v_pk_min_f16 v75, v75, v83
	v_pk_min_f16 v83, v68, v70
	v_pk_max_f16 v68, v71, v71
	v_pk_add_f16 v86, v11, v21
	v_pk_min_f16 v81, v81, v90
	v_pk_min_f16 v68, v68, v142
	v_pk_add_f16 v70, v15, v17
	v_pk_min_f16 v102, v81, v86
	v_pk_add_f16 v81, v4, v16
	v_pk_min_f16 v76, v76, v82
	v_pk_min_f16 v82, v68, v70
	v_pk_max_f16 v68, v69, v69
	v_pk_add_f16 v143, v6, v16
	v_pk_min_f16 v68, v68, v81
	v_pk_add_f16 v69, v5, v17
	v_pk_add_f16 v88, v1, v21
	v_pk_min_f16 v80, v80, v92
	v_pk_add_f16 v144, v8, v16
	v_pk_min_f16 v81, v68, v69
	v_pk_min_f16 v67, v67, v143
	v_pk_add_f16 v68, v7, v17
	v_pk_add_f16 v96, v3, v21
	v_pk_min_f16 v100, v80, v88
	v_pk_min_f16 v79, v79, v94
	v_pk_add_f16 v145, v10, v16
	v_pk_min_f16 v80, v67, v68
	v_pk_min_f16 v66, v66, v144
	v_pk_add_f16 v67, v9, v17
	v_pk_add_f16 v128, v13, v23
	v_pk_min_f16 v98, v79, v96
	v_pk_add_f16 v146, v0, v16
	v_pk_min_f16 v78, v78, v133
	;; [unrolled: 2-line block ×3, first 2 shown]
	v_pk_min_f16 v65, v65, v145
	v_pk_add_f16 v66, v11, v17
	v_pk_add_f16 v130, v5, v23
	v_pk_min_f16 v96, v78, v128
	v_pk_min_f16 v78, v65, v66
	v_pk_add_f16 v65, v1, v17
	v_pk_min_f16 v16, v63, v16
	v_pk_add_f16 v17, v3, v17
	v_pk_add_f16 v128, v12, v18
	v_pk_min_f16 v92, v76, v130
	v_pk_min_f16 v76, v16, v17
	v_pk_max_f16 v16, v62, v62
	v_pk_add_f16 v131, v7, v23
	v_pk_min_f16 v16, v16, v128
	v_pk_add_f16 v17, v13, v19
	v_pk_add_f16 v133, v14, v18
	v_pk_min_f16 v90, v75, v131
	v_pk_min_f16 v75, v16, v17
	v_pk_max_f16 v16, v61, v61
	v_pk_add_f16 v129, v15, v23
	v_pk_add_f16 v132, v9, v23
	v_pk_min_f16 v77, v77, v134
	v_pk_min_f16 v74, v74, v135
	;; [unrolled: 1-line block ×3, first 2 shown]
	v_pk_add_f16 v17, v15, v19
	v_pk_min_f16 v94, v77, v129
	v_pk_add_f16 v129, v4, v18
	v_pk_min_f16 v88, v74, v132
	v_pk_min_f16 v74, v16, v17
	v_pk_max_f16 v17, v60, v60
	v_pk_add_f16 v16, v5, v19
	v_pk_min_f16 v17, v17, v129
	v_pk_add_f16 v134, v6, v18
	v_pk_min_f16 v73, v17, v16
	v_pk_max_f16 v17, v59, v59
	v_pk_add_f16 v138, v11, v23
	v_pk_min_f16 v72, v72, v136
	v_pk_add_f16 v16, v7, v19
	v_pk_min_f16 v17, v17, v134
	;; [unrolled: 2-line block ×3, first 2 shown]
	v_pk_min_f16 v72, v17, v16
	v_pk_max_f16 v17, v58, v58
	v_pk_add_f16 v16, v9, v19
	v_pk_min_f16 v17, v17, v130
	v_pk_add_f16 v147, v10, v18
	v_pk_min_f16 v71, v17, v16
	v_pk_max_f16 v17, v57, v57
	ds_read2_b64 v[20:23], v45 offset0:192 offset1:224
	v_pk_add_f16 v16, v11, v19
	v_pk_min_f16 v17, v17, v147
	v_pk_add_f16 v131, v0, v18
	v_pk_min_f16 v70, v17, v16
	v_pk_max_f16 v17, v56, v56
	v_pk_add_f16 v16, v1, v19
	v_pk_min_f16 v17, v17, v131
	v_pk_add_f16 v18, v2, v18
	v_pk_min_f16 v68, v17, v16
	v_pk_max_f16 v17, v29, v29
	v_pk_add_f16 v16, v3, v19
	v_pk_min_f16 v17, v17, v18
	s_waitcnt lgkmcnt(0)
	v_pk_add_f16 v132, v12, v20
	v_pk_min_f16 v69, v17, v16
	v_pk_max_f16 v17, v52, v52
	v_pk_add_f16 v16, v13, v21
	v_pk_min_f16 v17, v17, v132
	v_pk_add_f16 v135, v14, v20
	v_pk_min_f16 v67, v17, v16
	v_pk_max_f16 v17, v41, v41
	v_pk_add_f16 v16, v15, v21
	v_pk_min_f16 v17, v17, v135
	v_pk_add_f16 v136, v4, v20
	v_pk_min_f16 v66, v17, v16
	v_pk_max_f16 v17, v30, v30
	v_pk_min_f16 v64, v64, v146
	v_pk_add_f16 v16, v5, v21
	v_pk_min_f16 v17, v17, v136
	v_pk_add_f16 v137, v6, v20
	v_pk_min_f16 v77, v64, v65
	v_pk_min_f16 v65, v17, v16
	v_pk_max_f16 v17, v28, v28
	v_pk_add_f16 v16, v7, v21
	v_pk_min_f16 v17, v17, v137
	v_pk_add_f16 v138, v8, v20
	v_pk_min_f16 v64, v17, v16
	v_pk_max_f16 v17, v27, v27
	v_pk_add_f16 v16, v9, v21
	v_pk_min_f16 v17, v17, v138
	v_pk_add_f16 v127, v10, v20
	;; [unrolled: 5-line block ×12, first 2 shown]
	v_pk_min_f16 v52, v0, v1
	v_pk_max_f16 v1, v125, v125
	v_pk_add_f16 v0, v3, v23
	v_pk_min_f16 v1, v1, v2
	s_waitcnt vmcnt(0)
	ds_write_b16 v51, v119
	ds_write_b16 v103, v121
	ds_write_b16 v103, v120 offset:512
	ds_write_b16 v103, v123 offset:1024
	;; [unrolled: 1-line block ×3, first 2 shown]
	v_pk_min_f16 v55, v1, v0
	s_waitcnt lgkmcnt(0)
	s_barrier
	s_cbranch_scc1 .LBB280_50
.LBB280_30:                             ; =>This Inner Loop Header: Depth=1
	v_add_u32_e32 v40, s2, v44
	v_add_u32_e32 v0, 8, v40
	v_cmp_gt_i32_e64 s[8:9], s22, v0
	s_and_b64 s[26:27], s[8:9], s[18:19]
	v_mov_b32_e32 v120, 0x7c00
	v_mov_b32_e32 v121, 0x7c00
	s_and_saveexec_b64 s[8:9], s[26:27]
	s_cbranch_execz .LBB280_32
; %bb.31:                               ;   in Loop: Header=BB280_30 Depth=1
	global_load_ushort v121, v[32:33], off
.LBB280_32:                             ;   in Loop: Header=BB280_30 Depth=1
	s_or_b64 exec, exec, s[8:9]
	v_add_u32_e32 v41, s2, v47
	v_add_u32_e32 v0, 8, v41
	v_cmp_le_i32_e64 s[8:9], s22, v0
	s_nor_b64 s[28:29], vcc, s[8:9]
	v_lshl_add_u64 v[0:1], v[36:37], 0, v[34:35]
	s_and_saveexec_b64 s[26:27], s[28:29]
	s_cbranch_execz .LBB280_34
; %bb.33:                               ;   in Loop: Header=BB280_30 Depth=1
	global_load_ushort v120, v[0:1], off
.LBB280_34:                             ;   in Loop: Header=BB280_30 Depth=1
	s_or_b64 exec, exec, s[26:27]
	s_nor_b64 s[28:29], s[12:13], s[8:9]
	v_mov_b32_e32 v122, 0x7c00
	v_mov_b32_e32 v123, 0x7c00
	s_and_saveexec_b64 s[26:27], s[28:29]
	s_cbranch_execz .LBB280_36
; %bb.35:                               ;   in Loop: Header=BB280_30 Depth=1
	global_load_ushort v123, v[0:1], off offset:128
.LBB280_36:                             ;   in Loop: Header=BB280_30 Depth=1
	s_or_b64 exec, exec, s[26:27]
	s_nor_b64 s[28:29], s[4:5], s[8:9]
	s_and_saveexec_b64 s[26:27], s[28:29]
	s_cbranch_execz .LBB280_38
; %bb.37:                               ;   in Loop: Header=BB280_30 Depth=1
	global_load_ushort v122, v[0:1], off offset:256
.LBB280_38:                             ;   in Loop: Header=BB280_30 Depth=1
	s_or_b64 exec, exec, s[26:27]
	s_nor_b64 s[26:27], s[6:7], s[8:9]
	v_mov_b32_e32 v119, 0x7c00
	v_mov_b32_e32 v124, 0x7c00
	s_and_saveexec_b64 s[8:9], s[26:27]
	s_cbranch_execz .LBB280_40
; %bb.39:                               ;   in Loop: Header=BB280_30 Depth=1
	global_load_ushort v124, v[0:1], off offset:384
.LBB280_40:                             ;   in Loop: Header=BB280_30 Depth=1
	s_or_b64 exec, exec, s[8:9]
	ds_read2_b64 v[16:19], v117 offset1:8
	ds_read2_b64 v[12:15], v117 offset0:16 offset1:24
	ds_read2_b64 v[4:7], v117 offset0:32 offset1:40
	;; [unrolled: 1-line block ×3, first 2 shown]
	ds_read2_b64 v[28:31], v118 offset1:32
	ds_read2_b64 v[24:27], v118 offset0:64 offset1:96
	ds_read2_b64 v[20:23], v118 offset0:128 offset1:160
	;; [unrolled: 1-line block ×3, first 2 shown]
	v_add_u32_e32 v40, 12, v40
	v_cmp_gt_i32_e64 s[8:9], s22, v40
	s_and_b64 s[26:27], s[8:9], s[18:19]
	s_waitcnt vmcnt(0)
	ds_write_b16 v50, v121
	ds_write_b16 v48, v120
	ds_write_b16 v48, v123 offset:512
	ds_write_b16 v48, v122 offset:1024
	;; [unrolled: 1-line block ×3, first 2 shown]
	s_waitcnt lgkmcnt(0)
	s_barrier
	s_and_saveexec_b64 s[8:9], s[26:27]
	s_cbranch_execz .LBB280_42
; %bb.41:                               ;   in Loop: Header=BB280_30 Depth=1
	global_load_ushort v119, v[32:33], off offset:8
.LBB280_42:                             ;   in Loop: Header=BB280_30 Depth=1
	s_or_b64 exec, exec, s[8:9]
	v_add_u32_e32 v40, 12, v41
	v_cmp_le_i32_e64 s[8:9], s22, v40
	s_nor_b64 s[28:29], vcc, s[8:9]
	v_mov_b32_e32 v120, 0x7c00
	v_lshl_add_u64 v[40:41], v[36:37], 0, v[38:39]
	v_mov_b32_e32 v121, 0x7c00
	s_and_saveexec_b64 s[26:27], s[28:29]
	s_cbranch_execz .LBB280_44
; %bb.43:                               ;   in Loop: Header=BB280_30 Depth=1
	global_load_ushort v121, v[40:41], off
.LBB280_44:                             ;   in Loop: Header=BB280_30 Depth=1
	s_or_b64 exec, exec, s[26:27]
	s_nor_b64 s[28:29], s[12:13], s[8:9]
	s_and_saveexec_b64 s[26:27], s[28:29]
	s_cbranch_execz .LBB280_46
; %bb.45:                               ;   in Loop: Header=BB280_30 Depth=1
	global_load_ushort v120, v[40:41], off offset:128
.LBB280_46:                             ;   in Loop: Header=BB280_30 Depth=1
	s_or_b64 exec, exec, s[26:27]
	s_nor_b64 s[28:29], s[4:5], s[8:9]
	v_mov_b32_e32 v122, 0x7c00
	v_mov_b32_e32 v123, 0x7c00
	s_and_saveexec_b64 s[26:27], s[28:29]
	s_cbranch_execz .LBB280_48
; %bb.47:                               ;   in Loop: Header=BB280_30 Depth=1
	global_load_ushort v123, v[40:41], off offset:256
.LBB280_48:                             ;   in Loop: Header=BB280_30 Depth=1
	s_or_b64 exec, exec, s[26:27]
	s_nor_b64 s[26:27], s[6:7], s[8:9]
	s_and_saveexec_b64 s[8:9], s[26:27]
	s_cbranch_execz .LBB280_29
; %bb.49:                               ;   in Loop: Header=BB280_30 Depth=1
	global_load_ushort v122, v[40:41], off offset:384
	s_branch .LBB280_29
.LBB280_50:
	s_load_dwordx2 s[4:5], s[0:1], 0x70
	s_load_dword s29, s[0:1], 0x50
	s_load_dword s28, s[0:1], 0x68
	v_add_u32_e32 v0, 0x1000, v46
	v_add_u32_e32 v4, 0x800, v45
	s_waitcnt lgkmcnt(0)
	s_mul_i32 s1, s5, s3
	s_mul_hi_u32 s2, s4, s3
	s_mul_i32 s0, s4, s3
	s_add_i32 s1, s2, s1
	ds_read2_b64 v[16:19], v0 offset0:64 offset1:72
	ds_read2_b64 v[12:15], v0 offset0:80 offset1:88
	;; [unrolled: 1-line block ×4, first 2 shown]
	ds_read2_b64 v[28:31], v4 offset1:32
	ds_read2_b64 v[24:27], v4 offset0:64 offset1:96
	ds_read2_b64 v[20:23], v4 offset0:128 offset1:160
	;; [unrolled: 1-line block ×3, first 2 shown]
	s_lshl_b64 s[0:1], s[0:1], 1
	s_add_u32 s22, s14, s0
	v_add_u32_e32 v103, s35, v43
	s_addc_u32 s23, s15, s1
	v_mad_i64_i32 v[34:35], s[0:1], v103, s29, 0
	v_add_u32_e32 v32, s34, v42
	v_lshl_add_u64 v[50:51], v[34:35], 1, s[24:25]
	v_mad_i64_i32 v[34:35], s[0:1], v103, s28, 0
	v_cmp_gt_i32_e64 s[2:3], s20, v32
	v_cmp_gt_i32_e64 s[18:19], s21, v103
	v_lshl_add_u64 v[48:49], v[34:35], 1, s[22:23]
	v_cndmask_b32_e64 v34, 0, 1, s[16:17]
	v_ashrrev_i32_e32 v33, 31, v32
	s_and_b64 s[6:7], s[2:3], s[18:19]
	v_cmp_ne_u32_e64 s[0:1], 1, v34
	s_and_saveexec_b64 s[4:5], s[6:7]
	s_cbranch_execz .LBB280_56
; %bb.51:
	s_and_b64 vcc, exec, s[0:1]
	s_cbranch_vccnz .LBB280_54
; %bb.52:
	v_lshl_add_u64 v[34:35], v[32:33], 1, v[50:51]
	global_load_ushort v34, v[34:35], off
	s_waitcnt vmcnt(0)
	v_mul_f16_e32 v34, s33, v34
	v_cvt_f32_f16_e32 v34, v34
	s_branch .LBB280_55
.LBB280_53:
	s_mov_b64 s[26:27], 0
	s_andn2_b64 vcc, exec, s[8:9]
	s_mov_b64 s[4:5], -1
	s_cbranch_vccz .LBB280_2
	s_branch .LBB280_3
.LBB280_54:
	v_mov_b32_e32 v34, 0
.LBB280_55:
	s_waitcnt lgkmcnt(3)
	v_pk_add_f16 v35, v16, v28
	v_max_f16_e32 v36, v116, v116
	v_pk_add_f16 v38, v17, v29
	v_min_f16_e32 v36, v36, v35
	v_lshrrev_b32_e32 v37, 16, v116
	v_lshrrev_b32_e32 v35, 16, v35
	;; [unrolled: 1-line block ×3, first 2 shown]
	v_min3_f16 v35, v37, v35, v39
	v_min3_f16 v35, v36, v38, v35
	v_cvt_f32_f16_e32 v35, v35
	v_max_f32_e32 v34, v34, v34
	v_min_f32_e32 v34, v34, v35
	v_cvt_f16_f32_e32 v36, v34
	v_lshl_add_u64 v[34:35], v[32:33], 1, v[48:49]
	global_store_short v[34:35], v36, off
.LBB280_56:
	s_or_b64 exec, exec, s[4:5]
	v_add_u32_e32 v34, 8, v32
	v_cmp_gt_i32_e64 s[4:5], s20, v34
	v_ashrrev_i32_e32 v35, 31, v34
	s_and_b64 s[8:9], s[4:5], s[18:19]
	s_and_saveexec_b64 s[6:7], s[8:9]
	s_cbranch_execz .LBB280_61
; %bb.57:
	s_and_b64 vcc, exec, s[0:1]
	s_cbranch_vccnz .LBB280_59
; %bb.58:
	v_lshl_add_u64 v[36:37], v[34:35], 1, v[50:51]
	global_load_ushort v36, v[36:37], off
	s_waitcnt vmcnt(0)
	v_mul_f16_e32 v36, s33, v36
	v_cvt_f32_f16_e32 v36, v36
	s_branch .LBB280_60
.LBB280_59:
	v_mov_b32_e32 v36, 0
.LBB280_60:
	s_waitcnt lgkmcnt(3)
	v_pk_add_f16 v37, v18, v28
	v_max_f16_e32 v38, v115, v115
	v_pk_add_f16 v40, v19, v29
	v_min_f16_e32 v38, v38, v37
	v_lshrrev_b32_e32 v39, 16, v115
	v_lshrrev_b32_e32 v37, 16, v37
	v_lshrrev_b32_e32 v41, 16, v40
	v_min3_f16 v37, v39, v37, v41
	v_min3_f16 v37, v38, v40, v37
	v_cvt_f32_f16_e32 v37, v37
	v_max_f32_e32 v36, v36, v36
	v_min_f32_e32 v36, v36, v37
	v_cvt_f16_f32_e32 v38, v36
	v_lshl_add_u64 v[36:37], v[34:35], 1, v[48:49]
	global_store_short v[36:37], v38, off
.LBB280_61:
	s_or_b64 exec, exec, s[6:7]
	v_add_u32_e32 v36, 16, v32
	v_cmp_gt_i32_e64 s[6:7], s20, v36
	v_ashrrev_i32_e32 v37, 31, v36
	s_and_b64 s[10:11], s[6:7], s[18:19]
	s_and_saveexec_b64 s[8:9], s[10:11]
	s_cbranch_execz .LBB280_66
; %bb.62:
	s_and_b64 vcc, exec, s[0:1]
	s_cbranch_vccnz .LBB280_64
; %bb.63:
	v_lshl_add_u64 v[38:39], v[36:37], 1, v[50:51]
	global_load_ushort v38, v[38:39], off
	s_waitcnt vmcnt(0)
	v_mul_f16_e32 v38, s33, v38
	v_cvt_f32_f16_e32 v38, v38
	s_branch .LBB280_65
.LBB280_64:
	v_mov_b32_e32 v38, 0
.LBB280_65:
	s_waitcnt lgkmcnt(3)
	v_pk_add_f16 v39, v12, v28
	v_max_f16_e32 v40, v114, v114
	v_pk_add_f16 v42, v13, v29
	v_min_f16_e32 v40, v40, v39
	v_lshrrev_b32_e32 v41, 16, v114
	v_lshrrev_b32_e32 v39, 16, v39
	v_lshrrev_b32_e32 v43, 16, v42
	v_min3_f16 v39, v41, v39, v43
	v_min3_f16 v39, v40, v42, v39
	v_cvt_f32_f16_e32 v39, v39
	v_max_f32_e32 v38, v38, v38
	v_min_f32_e32 v38, v38, v39
	v_cvt_f16_f32_e32 v40, v38
	v_lshl_add_u64 v[38:39], v[36:37], 1, v[48:49]
	global_store_short v[38:39], v40, off
.LBB280_66:
	;; [unrolled: 37-line block ×4, first 2 shown]
	s_or_b64 exec, exec, s[12:13]
	v_add_u32_e32 v42, 40, v32
	v_cmp_gt_i32_e64 s[12:13], s20, v42
	v_ashrrev_i32_e32 v43, 31, v42
	s_and_b64 s[16:17], s[12:13], s[18:19]
	s_and_saveexec_b64 s[14:15], s[16:17]
	s_cbranch_execz .LBB280_81
; %bb.77:
	s_and_b64 vcc, exec, s[0:1]
	s_cbranch_vccnz .LBB280_79
; %bb.78:
	v_lshl_add_u64 v[44:45], v[42:43], 1, v[50:51]
	global_load_ushort v44, v[44:45], off
	s_waitcnt vmcnt(0)
	v_mul_f16_e32 v44, s33, v44
	v_cvt_f32_f16_e32 v44, v44
	s_branch .LBB280_80
.LBB280_79:
	v_mov_b32_e32 v44, 0
.LBB280_80:
	s_waitcnt lgkmcnt(3)
	v_pk_add_f16 v45, v10, v28
	v_max_f16_e32 v46, v111, v111
	v_lshrrev_b32_e32 v47, 16, v111
	v_pk_add_f16 v111, v11, v29
	v_min_f16_e32 v46, v46, v45
	v_lshrrev_b32_e32 v45, 16, v45
	v_lshrrev_b32_e32 v112, 16, v111
	v_min3_f16 v45, v47, v45, v112
	v_min3_f16 v45, v46, v111, v45
	v_cvt_f32_f16_e32 v45, v45
	v_max_f32_e32 v44, v44, v44
	v_min_f32_e32 v44, v44, v45
	v_cvt_f16_f32_e32 v46, v44
	v_lshl_add_u64 v[44:45], v[42:43], 1, v[48:49]
	global_store_short v[44:45], v46, off
.LBB280_81:
	s_or_b64 exec, exec, s[14:15]
	v_add_u32_e32 v44, 48, v32
	v_cmp_gt_i32_e64 s[14:15], s20, v44
	v_ashrrev_i32_e32 v45, 31, v44
	s_and_b64 s[26:27], s[14:15], s[18:19]
	s_and_saveexec_b64 s[16:17], s[26:27]
	s_cbranch_execz .LBB280_86
; %bb.82:
	s_and_b64 vcc, exec, s[0:1]
	s_cbranch_vccnz .LBB280_84
; %bb.83:
	v_lshl_add_u64 v[46:47], v[44:45], 1, v[50:51]
	global_load_ushort v46, v[46:47], off
	s_waitcnt vmcnt(0)
	v_mul_f16_e32 v46, s33, v46
	v_cvt_f32_f16_e32 v46, v46
	s_branch .LBB280_85
.LBB280_84:
	v_mov_b32_e32 v46, 0
.LBB280_85:
	s_waitcnt lgkmcnt(3)
	v_pk_add_f16 v47, v0, v28
	v_max_f16_e32 v111, v110, v110
	v_pk_add_f16 v112, v1, v29
	v_min_f16_e32 v111, v111, v47
	v_lshrrev_b32_e32 v110, 16, v110
	v_lshrrev_b32_e32 v47, 16, v47
	;; [unrolled: 1-line block ×3, first 2 shown]
	v_min3_f16 v47, v110, v47, v113
	v_min3_f16 v47, v111, v112, v47
	v_cvt_f32_f16_e32 v47, v47
	v_max_f32_e32 v46, v46, v46
	v_min_f32_e32 v46, v46, v47
	v_cvt_f16_f32_e32 v110, v46
	v_lshl_add_u64 v[46:47], v[44:45], 1, v[48:49]
	global_store_short v[46:47], v110, off
.LBB280_86:
	s_or_b64 exec, exec, s[16:17]
	v_add_u32_e32 v46, 56, v32
	v_cmp_gt_i32_e64 s[16:17], s20, v46
	v_ashrrev_i32_e32 v47, 31, v46
	s_and_b64 s[26:27], s[16:17], s[18:19]
	s_and_saveexec_b64 s[18:19], s[26:27]
	s_cbranch_execz .LBB280_91
; %bb.87:
	s_and_b64 vcc, exec, s[0:1]
	s_cbranch_vccnz .LBB280_89
; %bb.88:
	v_lshl_add_u64 v[50:51], v[46:47], 1, v[50:51]
	global_load_ushort v50, v[50:51], off
	s_waitcnt vmcnt(0)
	v_mul_f16_e32 v50, s33, v50
	v_cvt_f32_f16_e32 v50, v50
	s_branch .LBB280_90
.LBB280_89:
	v_mov_b32_e32 v50, 0
.LBB280_90:
	s_waitcnt lgkmcnt(3)
	v_pk_add_f16 v28, v2, v28
	v_max_f16_e32 v51, v109, v109
	v_pk_add_f16 v29, v3, v29
	v_min_f16_e32 v51, v51, v28
	v_lshrrev_b32_e32 v109, 16, v109
	v_lshrrev_b32_e32 v28, 16, v28
	;; [unrolled: 1-line block ×3, first 2 shown]
	v_min3_f16 v28, v109, v28, v110
	v_min3_f16 v28, v51, v29, v28
	v_cvt_f32_f16_e32 v28, v28
	v_max_f32_e32 v29, v50, v50
	v_min_f32_e32 v28, v29, v28
	v_cvt_f16_f32_e32 v50, v28
	v_lshl_add_u64 v[28:29], v[46:47], 1, v[48:49]
	global_store_short v[28:29], v50, off
.LBB280_91:
	s_or_b64 exec, exec, s[18:19]
	v_add_u32_e32 v50, 32, v103
	s_waitcnt lgkmcnt(3)
	v_mad_i64_i32 v[28:29], s[26:27], v50, s29, 0
	v_cmp_gt_i32_e64 s[18:19], s21, v50
	v_lshl_add_u64 v[48:49], v[28:29], 1, s[24:25]
	v_mad_i64_i32 v[28:29], s[26:27], v50, s28, 0
	v_lshl_add_u64 v[28:29], v[28:29], 1, s[22:23]
	s_and_b64 s[30:31], s[2:3], s[18:19]
	s_and_saveexec_b64 s[26:27], s[30:31]
	s_cbranch_execnz .LBB280_99
; %bb.92:
	s_or_b64 exec, exec, s[26:27]
	s_and_b64 s[30:31], s[4:5], s[18:19]
	s_and_saveexec_b64 s[26:27], s[30:31]
	s_cbranch_execnz .LBB280_103
.LBB280_93:
	s_or_b64 exec, exec, s[26:27]
	s_and_b64 s[30:31], s[6:7], s[18:19]
	s_and_saveexec_b64 s[26:27], s[30:31]
	s_cbranch_execnz .LBB280_107
.LBB280_94:
	s_or_b64 exec, exec, s[26:27]
	s_and_b64 s[30:31], s[8:9], s[18:19]
	s_and_saveexec_b64 s[26:27], s[30:31]
	s_cbranch_execnz .LBB280_111
.LBB280_95:
	s_or_b64 exec, exec, s[26:27]
	s_and_b64 s[30:31], s[10:11], s[18:19]
	s_and_saveexec_b64 s[26:27], s[30:31]
	s_cbranch_execnz .LBB280_115
.LBB280_96:
	s_or_b64 exec, exec, s[26:27]
	s_and_b64 s[30:31], s[12:13], s[18:19]
	s_and_saveexec_b64 s[26:27], s[30:31]
	s_cbranch_execnz .LBB280_119
.LBB280_97:
	s_or_b64 exec, exec, s[26:27]
	s_and_b64 s[30:31], s[14:15], s[18:19]
	s_and_saveexec_b64 s[26:27], s[30:31]
	s_cbranch_execnz .LBB280_123
.LBB280_98:
	s_or_b64 exec, exec, s[26:27]
	s_and_b64 s[26:27], s[16:17], s[18:19]
	s_and_saveexec_b64 s[18:19], s[26:27]
	s_cbranch_execnz .LBB280_127
	s_branch .LBB280_131
.LBB280_99:
	s_and_b64 vcc, exec, s[0:1]
	s_cbranch_vccnz .LBB280_101
; %bb.100:
	v_lshl_add_u64 v[50:51], v[32:33], 1, v[48:49]
	global_load_ushort v50, v[50:51], off
	s_waitcnt vmcnt(0)
	v_mul_f16_e32 v50, s33, v50
	v_cvt_f32_f16_e32 v50, v50
	s_branch .LBB280_102
.LBB280_101:
	v_mov_b32_e32 v50, 0
.LBB280_102:
	v_pk_add_f16 v51, v16, v30
	v_max_f16_e32 v109, v108, v108
	v_pk_add_f16 v110, v17, v31
	v_min_f16_e32 v109, v109, v51
	v_lshrrev_b32_e32 v108, 16, v108
	v_lshrrev_b32_e32 v51, 16, v51
	;; [unrolled: 1-line block ×3, first 2 shown]
	v_min3_f16 v51, v108, v51, v111
	v_min3_f16 v51, v109, v110, v51
	v_cvt_f32_f16_e32 v51, v51
	v_max_f32_e32 v50, v50, v50
	v_min_f32_e32 v50, v50, v51
	v_cvt_f16_f32_e32 v108, v50
	v_lshl_add_u64 v[50:51], v[32:33], 1, v[28:29]
	global_store_short v[50:51], v108, off
	s_or_b64 exec, exec, s[26:27]
	s_and_b64 s[30:31], s[4:5], s[18:19]
	s_and_saveexec_b64 s[26:27], s[30:31]
	s_cbranch_execz .LBB280_93
.LBB280_103:
	s_and_b64 vcc, exec, s[0:1]
	s_cbranch_vccnz .LBB280_105
; %bb.104:
	v_lshl_add_u64 v[50:51], v[34:35], 1, v[48:49]
	global_load_ushort v50, v[50:51], off
	s_waitcnt vmcnt(0)
	v_mul_f16_e32 v50, s33, v50
	v_cvt_f32_f16_e32 v50, v50
	s_branch .LBB280_106
.LBB280_105:
	v_mov_b32_e32 v50, 0
.LBB280_106:
	v_pk_add_f16 v51, v18, v30
	v_max_f16_e32 v108, v107, v107
	v_pk_add_f16 v109, v19, v31
	v_min_f16_e32 v108, v108, v51
	v_lshrrev_b32_e32 v107, 16, v107
	v_lshrrev_b32_e32 v51, 16, v51
	;; [unrolled: 1-line block ×3, first 2 shown]
	v_min3_f16 v51, v107, v51, v110
	v_min3_f16 v51, v108, v109, v51
	v_cvt_f32_f16_e32 v51, v51
	v_max_f32_e32 v50, v50, v50
	v_min_f32_e32 v50, v50, v51
	v_cvt_f16_f32_e32 v107, v50
	v_lshl_add_u64 v[50:51], v[34:35], 1, v[28:29]
	global_store_short v[50:51], v107, off
	s_or_b64 exec, exec, s[26:27]
	s_and_b64 s[30:31], s[6:7], s[18:19]
	s_and_saveexec_b64 s[26:27], s[30:31]
	s_cbranch_execz .LBB280_94
.LBB280_107:
	s_and_b64 vcc, exec, s[0:1]
	s_cbranch_vccnz .LBB280_109
; %bb.108:
	v_lshl_add_u64 v[50:51], v[36:37], 1, v[48:49]
	global_load_ushort v50, v[50:51], off
	s_waitcnt vmcnt(0)
	v_mul_f16_e32 v50, s33, v50
	v_cvt_f32_f16_e32 v50, v50
	s_branch .LBB280_110
.LBB280_109:
	v_mov_b32_e32 v50, 0
.LBB280_110:
	v_pk_add_f16 v51, v12, v30
	v_max_f16_e32 v107, v106, v106
	v_pk_add_f16 v108, v13, v31
	v_min_f16_e32 v107, v107, v51
	v_lshrrev_b32_e32 v106, 16, v106
	v_lshrrev_b32_e32 v51, 16, v51
	;; [unrolled: 1-line block ×3, first 2 shown]
	v_min3_f16 v51, v106, v51, v109
	v_min3_f16 v51, v107, v108, v51
	v_cvt_f32_f16_e32 v51, v51
	v_max_f32_e32 v50, v50, v50
	v_min_f32_e32 v50, v50, v51
	v_cvt_f16_f32_e32 v106, v50
	v_lshl_add_u64 v[50:51], v[36:37], 1, v[28:29]
	global_store_short v[50:51], v106, off
	s_or_b64 exec, exec, s[26:27]
	s_and_b64 s[30:31], s[8:9], s[18:19]
	s_and_saveexec_b64 s[26:27], s[30:31]
	s_cbranch_execz .LBB280_95
.LBB280_111:
	s_and_b64 vcc, exec, s[0:1]
	s_cbranch_vccnz .LBB280_113
; %bb.112:
	v_lshl_add_u64 v[50:51], v[38:39], 1, v[48:49]
	global_load_ushort v50, v[50:51], off
	s_waitcnt vmcnt(0)
	v_mul_f16_e32 v50, s33, v50
	v_cvt_f32_f16_e32 v50, v50
	s_branch .LBB280_114
.LBB280_113:
	v_mov_b32_e32 v50, 0
.LBB280_114:
	v_pk_add_f16 v51, v14, v30
	v_max_f16_e32 v106, v104, v104
	v_pk_add_f16 v107, v15, v31
	v_min_f16_e32 v106, v106, v51
	v_lshrrev_b32_e32 v104, 16, v104
	v_lshrrev_b32_e32 v51, 16, v51
	;; [unrolled: 1-line block ×3, first 2 shown]
	v_min3_f16 v51, v104, v51, v108
	v_min3_f16 v51, v106, v107, v51
	v_cvt_f32_f16_e32 v51, v51
	v_max_f32_e32 v50, v50, v50
	v_min_f32_e32 v50, v50, v51
	v_cvt_f16_f32_e32 v104, v50
	v_lshl_add_u64 v[50:51], v[38:39], 1, v[28:29]
	global_store_short v[50:51], v104, off
	s_or_b64 exec, exec, s[26:27]
	s_and_b64 s[30:31], s[10:11], s[18:19]
	s_and_saveexec_b64 s[26:27], s[30:31]
	s_cbranch_execz .LBB280_96
.LBB280_115:
	s_and_b64 vcc, exec, s[0:1]
	s_cbranch_vccnz .LBB280_117
; %bb.116:
	v_lshl_add_u64 v[50:51], v[40:41], 1, v[48:49]
	global_load_ushort v50, v[50:51], off
	s_waitcnt vmcnt(0)
	v_mul_f16_e32 v50, s33, v50
	v_cvt_f32_f16_e32 v50, v50
	s_branch .LBB280_118
.LBB280_117:
	v_mov_b32_e32 v50, 0
.LBB280_118:
	v_pk_add_f16 v51, v8, v30
	v_max_f16_e32 v104, v101, v101
	v_pk_add_f16 v106, v9, v31
	v_min_f16_e32 v104, v104, v51
	v_lshrrev_b32_e32 v101, 16, v101
	v_lshrrev_b32_e32 v51, 16, v51
	;; [unrolled: 1-line block ×3, first 2 shown]
	v_min3_f16 v51, v101, v51, v107
	v_min3_f16 v51, v104, v106, v51
	v_cvt_f32_f16_e32 v51, v51
	v_max_f32_e32 v50, v50, v50
	v_min_f32_e32 v50, v50, v51
	v_cvt_f16_f32_e32 v101, v50
	v_lshl_add_u64 v[50:51], v[40:41], 1, v[28:29]
	global_store_short v[50:51], v101, off
	s_or_b64 exec, exec, s[26:27]
	s_and_b64 s[30:31], s[12:13], s[18:19]
	s_and_saveexec_b64 s[26:27], s[30:31]
	s_cbranch_execz .LBB280_97
.LBB280_119:
	s_and_b64 vcc, exec, s[0:1]
	s_cbranch_vccnz .LBB280_121
; %bb.120:
	v_lshl_add_u64 v[50:51], v[42:43], 1, v[48:49]
	global_load_ushort v50, v[50:51], off
	s_waitcnt vmcnt(0)
	v_mul_f16_e32 v50, s33, v50
	v_cvt_f32_f16_e32 v50, v50
	s_branch .LBB280_122
.LBB280_121:
	v_mov_b32_e32 v50, 0
.LBB280_122:
	v_pk_add_f16 v51, v10, v30
	v_max_f16_e32 v101, v99, v99
	v_pk_add_f16 v104, v11, v31
	v_min_f16_e32 v101, v101, v51
	v_lshrrev_b32_e32 v99, 16, v99
	v_lshrrev_b32_e32 v51, 16, v51
	;; [unrolled: 1-line block ×3, first 2 shown]
	v_min3_f16 v51, v99, v51, v106
	v_min3_f16 v51, v101, v104, v51
	v_cvt_f32_f16_e32 v51, v51
	v_max_f32_e32 v50, v50, v50
	v_min_f32_e32 v50, v50, v51
	v_cvt_f16_f32_e32 v99, v50
	v_lshl_add_u64 v[50:51], v[42:43], 1, v[28:29]
	global_store_short v[50:51], v99, off
	s_or_b64 exec, exec, s[26:27]
	s_and_b64 s[30:31], s[14:15], s[18:19]
	s_and_saveexec_b64 s[26:27], s[30:31]
	s_cbranch_execz .LBB280_98
.LBB280_123:
	s_and_b64 vcc, exec, s[0:1]
	s_cbranch_vccnz .LBB280_125
; %bb.124:
	v_lshl_add_u64 v[50:51], v[44:45], 1, v[48:49]
	global_load_ushort v50, v[50:51], off
	s_waitcnt vmcnt(0)
	v_mul_f16_e32 v50, s33, v50
	v_cvt_f32_f16_e32 v50, v50
	s_branch .LBB280_126
.LBB280_125:
	v_mov_b32_e32 v50, 0
.LBB280_126:
	v_pk_add_f16 v51, v0, v30
	v_max_f16_e32 v99, v97, v97
	v_pk_add_f16 v101, v1, v31
	v_min_f16_e32 v99, v99, v51
	v_lshrrev_b32_e32 v97, 16, v97
	v_lshrrev_b32_e32 v51, 16, v51
	;; [unrolled: 1-line block ×3, first 2 shown]
	v_min3_f16 v51, v97, v51, v104
	v_min3_f16 v51, v99, v101, v51
	v_cvt_f32_f16_e32 v51, v51
	v_max_f32_e32 v50, v50, v50
	v_min_f32_e32 v50, v50, v51
	v_cvt_f16_f32_e32 v97, v50
	v_lshl_add_u64 v[50:51], v[44:45], 1, v[28:29]
	global_store_short v[50:51], v97, off
	s_or_b64 exec, exec, s[26:27]
	s_and_b64 s[26:27], s[16:17], s[18:19]
	s_and_saveexec_b64 s[18:19], s[26:27]
	s_cbranch_execz .LBB280_131
.LBB280_127:
	s_and_b64 vcc, exec, s[0:1]
	s_cbranch_vccnz .LBB280_129
; %bb.128:
	v_lshl_add_u64 v[48:49], v[46:47], 1, v[48:49]
	global_load_ushort v48, v[48:49], off
	s_waitcnt vmcnt(0)
	v_mul_f16_e32 v48, s33, v48
	v_cvt_f32_f16_e32 v48, v48
	s_branch .LBB280_130
.LBB280_129:
	v_mov_b32_e32 v48, 0
.LBB280_130:
	v_pk_add_f16 v30, v2, v30
	v_max_f16_e32 v49, v95, v95
	v_pk_add_f16 v31, v3, v31
	v_min_f16_e32 v49, v49, v30
	v_lshrrev_b32_e32 v50, 16, v95
	v_lshrrev_b32_e32 v30, 16, v30
	;; [unrolled: 1-line block ×3, first 2 shown]
	v_min3_f16 v30, v50, v30, v51
	v_min3_f16 v30, v49, v31, v30
	v_cvt_f32_f16_e32 v30, v30
	v_max_f32_e32 v31, v48, v48
	v_lshl_add_u64 v[28:29], v[46:47], 1, v[28:29]
	v_min_f32_e32 v30, v31, v30
	v_cvt_f16_f32_e32 v30, v30
	global_store_short v[28:29], v30, off
.LBB280_131:
	s_or_b64 exec, exec, s[18:19]
	v_add_u32_e32 v48, 64, v103
	v_mad_i64_i32 v[28:29], s[26:27], v48, s29, 0
	v_cmp_gt_i32_e64 s[18:19], s21, v48
	v_lshl_add_u64 v[30:31], v[28:29], 1, s[24:25]
	v_mad_i64_i32 v[28:29], s[26:27], v48, s28, 0
	v_lshl_add_u64 v[28:29], v[28:29], 1, s[22:23]
	s_and_b64 s[30:31], s[2:3], s[18:19]
	s_and_saveexec_b64 s[26:27], s[30:31]
	s_cbranch_execnz .LBB280_139
; %bb.132:
	s_or_b64 exec, exec, s[26:27]
	s_and_b64 s[30:31], s[4:5], s[18:19]
	s_and_saveexec_b64 s[26:27], s[30:31]
	s_cbranch_execnz .LBB280_143
.LBB280_133:
	s_or_b64 exec, exec, s[26:27]
	s_and_b64 s[30:31], s[6:7], s[18:19]
	s_and_saveexec_b64 s[26:27], s[30:31]
	s_cbranch_execnz .LBB280_147
.LBB280_134:
	s_or_b64 exec, exec, s[26:27]
	s_and_b64 s[30:31], s[8:9], s[18:19]
	s_and_saveexec_b64 s[26:27], s[30:31]
	s_cbranch_execnz .LBB280_151
.LBB280_135:
	s_or_b64 exec, exec, s[26:27]
	s_and_b64 s[30:31], s[10:11], s[18:19]
	s_and_saveexec_b64 s[26:27], s[30:31]
	s_cbranch_execnz .LBB280_155
.LBB280_136:
	s_or_b64 exec, exec, s[26:27]
	s_and_b64 s[30:31], s[12:13], s[18:19]
	s_and_saveexec_b64 s[26:27], s[30:31]
	s_cbranch_execnz .LBB280_159
.LBB280_137:
	s_or_b64 exec, exec, s[26:27]
	s_and_b64 s[30:31], s[14:15], s[18:19]
	s_and_saveexec_b64 s[26:27], s[30:31]
	s_cbranch_execnz .LBB280_163
.LBB280_138:
	s_or_b64 exec, exec, s[26:27]
	s_and_b64 s[26:27], s[16:17], s[18:19]
	s_and_saveexec_b64 s[18:19], s[26:27]
	s_cbranch_execnz .LBB280_167
	s_branch .LBB280_171
.LBB280_139:
	s_and_b64 vcc, exec, s[0:1]
	s_cbranch_vccnz .LBB280_141
; %bb.140:
	v_lshl_add_u64 v[48:49], v[32:33], 1, v[30:31]
	global_load_ushort v48, v[48:49], off
	s_waitcnt vmcnt(0)
	v_mul_f16_e32 v48, s33, v48
	v_cvt_f32_f16_e32 v48, v48
	s_branch .LBB280_142
.LBB280_141:
	v_mov_b32_e32 v48, 0
.LBB280_142:
	s_waitcnt lgkmcnt(2)
	v_pk_add_f16 v49, v16, v24
	v_max_f16_e32 v50, v93, v93
	v_lshrrev_b32_e32 v51, 16, v93
	v_pk_add_f16 v93, v17, v25
	v_min_f16_e32 v50, v50, v49
	v_lshrrev_b32_e32 v49, 16, v49
	v_lshrrev_b32_e32 v95, 16, v93
	v_min3_f16 v49, v51, v49, v95
	v_min3_f16 v49, v50, v93, v49
	v_cvt_f32_f16_e32 v49, v49
	v_max_f32_e32 v48, v48, v48
	v_min_f32_e32 v48, v48, v49
	v_cvt_f16_f32_e32 v50, v48
	v_lshl_add_u64 v[48:49], v[32:33], 1, v[28:29]
	global_store_short v[48:49], v50, off
	s_or_b64 exec, exec, s[26:27]
	s_and_b64 s[30:31], s[4:5], s[18:19]
	s_and_saveexec_b64 s[26:27], s[30:31]
	s_cbranch_execz .LBB280_133
.LBB280_143:
	s_and_b64 vcc, exec, s[0:1]
	s_cbranch_vccnz .LBB280_145
; %bb.144:
	v_lshl_add_u64 v[48:49], v[34:35], 1, v[30:31]
	global_load_ushort v48, v[48:49], off
	s_waitcnt vmcnt(0)
	v_mul_f16_e32 v48, s33, v48
	v_cvt_f32_f16_e32 v48, v48
	s_branch .LBB280_146
.LBB280_145:
	v_mov_b32_e32 v48, 0
.LBB280_146:
	s_waitcnt lgkmcnt(2)
	v_pk_add_f16 v49, v18, v24
	v_max_f16_e32 v50, v91, v91
	v_lshrrev_b32_e32 v51, 16, v91
	v_pk_add_f16 v91, v19, v25
	v_min_f16_e32 v50, v50, v49
	v_lshrrev_b32_e32 v49, 16, v49
	v_lshrrev_b32_e32 v93, 16, v91
	v_min3_f16 v49, v51, v49, v93
	v_min3_f16 v49, v50, v91, v49
	v_cvt_f32_f16_e32 v49, v49
	v_max_f32_e32 v48, v48, v48
	v_min_f32_e32 v48, v48, v49
	v_cvt_f16_f32_e32 v50, v48
	v_lshl_add_u64 v[48:49], v[34:35], 1, v[28:29]
	global_store_short v[48:49], v50, off
	s_or_b64 exec, exec, s[26:27]
	s_and_b64 s[30:31], s[6:7], s[18:19]
	s_and_saveexec_b64 s[26:27], s[30:31]
	s_cbranch_execz .LBB280_134
.LBB280_147:
	s_and_b64 vcc, exec, s[0:1]
	s_cbranch_vccnz .LBB280_149
; %bb.148:
	v_lshl_add_u64 v[48:49], v[36:37], 1, v[30:31]
	global_load_ushort v48, v[48:49], off
	s_waitcnt vmcnt(0)
	v_mul_f16_e32 v48, s33, v48
	v_cvt_f32_f16_e32 v48, v48
	s_branch .LBB280_150
.LBB280_149:
	v_mov_b32_e32 v48, 0
.LBB280_150:
	s_waitcnt lgkmcnt(2)
	v_pk_add_f16 v49, v12, v24
	v_max_f16_e32 v50, v89, v89
	v_lshrrev_b32_e32 v51, 16, v89
	v_pk_add_f16 v89, v13, v25
	v_min_f16_e32 v50, v50, v49
	v_lshrrev_b32_e32 v49, 16, v49
	v_lshrrev_b32_e32 v91, 16, v89
	v_min3_f16 v49, v51, v49, v91
	v_min3_f16 v49, v50, v89, v49
	v_cvt_f32_f16_e32 v49, v49
	v_max_f32_e32 v48, v48, v48
	v_min_f32_e32 v48, v48, v49
	v_cvt_f16_f32_e32 v50, v48
	v_lshl_add_u64 v[48:49], v[36:37], 1, v[28:29]
	global_store_short v[48:49], v50, off
	s_or_b64 exec, exec, s[26:27]
	s_and_b64 s[30:31], s[8:9], s[18:19]
	s_and_saveexec_b64 s[26:27], s[30:31]
	s_cbranch_execz .LBB280_135
.LBB280_151:
	s_and_b64 vcc, exec, s[0:1]
	s_cbranch_vccnz .LBB280_153
; %bb.152:
	v_lshl_add_u64 v[48:49], v[38:39], 1, v[30:31]
	global_load_ushort v48, v[48:49], off
	s_waitcnt vmcnt(0)
	v_mul_f16_e32 v48, s33, v48
	v_cvt_f32_f16_e32 v48, v48
	s_branch .LBB280_154
.LBB280_153:
	v_mov_b32_e32 v48, 0
.LBB280_154:
	s_waitcnt lgkmcnt(2)
	v_pk_add_f16 v49, v14, v24
	v_max_f16_e32 v50, v87, v87
	v_lshrrev_b32_e32 v51, 16, v87
	v_pk_add_f16 v87, v15, v25
	v_min_f16_e32 v50, v50, v49
	v_lshrrev_b32_e32 v49, 16, v49
	v_lshrrev_b32_e32 v89, 16, v87
	v_min3_f16 v49, v51, v49, v89
	v_min3_f16 v49, v50, v87, v49
	v_cvt_f32_f16_e32 v49, v49
	v_max_f32_e32 v48, v48, v48
	v_min_f32_e32 v48, v48, v49
	v_cvt_f16_f32_e32 v50, v48
	v_lshl_add_u64 v[48:49], v[38:39], 1, v[28:29]
	global_store_short v[48:49], v50, off
	s_or_b64 exec, exec, s[26:27]
	s_and_b64 s[30:31], s[10:11], s[18:19]
	s_and_saveexec_b64 s[26:27], s[30:31]
	s_cbranch_execz .LBB280_136
.LBB280_155:
	s_and_b64 vcc, exec, s[0:1]
	s_cbranch_vccnz .LBB280_157
; %bb.156:
	v_lshl_add_u64 v[48:49], v[40:41], 1, v[30:31]
	global_load_ushort v48, v[48:49], off
	s_waitcnt vmcnt(0)
	v_mul_f16_e32 v48, s33, v48
	v_cvt_f32_f16_e32 v48, v48
	s_branch .LBB280_158
.LBB280_157:
	v_mov_b32_e32 v48, 0
.LBB280_158:
	s_waitcnt lgkmcnt(2)
	v_pk_add_f16 v49, v8, v24
	v_max_f16_e32 v50, v105, v105
	v_pk_add_f16 v87, v9, v25
	v_min_f16_e32 v50, v50, v49
	v_lshrrev_b32_e32 v51, 16, v105
	v_lshrrev_b32_e32 v49, 16, v49
	;; [unrolled: 1-line block ×3, first 2 shown]
	v_min3_f16 v49, v51, v49, v89
	v_min3_f16 v49, v50, v87, v49
	v_cvt_f32_f16_e32 v49, v49
	v_max_f32_e32 v48, v48, v48
	v_min_f32_e32 v48, v48, v49
	v_cvt_f16_f32_e32 v50, v48
	v_lshl_add_u64 v[48:49], v[40:41], 1, v[28:29]
	global_store_short v[48:49], v50, off
	s_or_b64 exec, exec, s[26:27]
	s_and_b64 s[30:31], s[12:13], s[18:19]
	s_and_saveexec_b64 s[26:27], s[30:31]
	s_cbranch_execz .LBB280_137
.LBB280_159:
	s_and_b64 vcc, exec, s[0:1]
	s_cbranch_vccnz .LBB280_161
; %bb.160:
	v_lshl_add_u64 v[48:49], v[42:43], 1, v[30:31]
	global_load_ushort v48, v[48:49], off
	s_waitcnt vmcnt(0)
	v_mul_f16_e32 v48, s33, v48
	v_cvt_f32_f16_e32 v48, v48
	s_branch .LBB280_162
.LBB280_161:
	v_mov_b32_e32 v48, 0
.LBB280_162:
	s_waitcnt lgkmcnt(2)
	v_pk_add_f16 v49, v10, v24
	v_max_f16_e32 v50, v102, v102
	v_pk_add_f16 v87, v11, v25
	v_min_f16_e32 v50, v50, v49
	v_lshrrev_b32_e32 v51, 16, v102
	v_lshrrev_b32_e32 v49, 16, v49
	;; [unrolled: 1-line block ×3, first 2 shown]
	v_min3_f16 v49, v51, v49, v89
	v_min3_f16 v49, v50, v87, v49
	v_cvt_f32_f16_e32 v49, v49
	v_max_f32_e32 v48, v48, v48
	v_min_f32_e32 v48, v48, v49
	v_cvt_f16_f32_e32 v50, v48
	v_lshl_add_u64 v[48:49], v[42:43], 1, v[28:29]
	global_store_short v[48:49], v50, off
	s_or_b64 exec, exec, s[26:27]
	s_and_b64 s[30:31], s[14:15], s[18:19]
	s_and_saveexec_b64 s[26:27], s[30:31]
	s_cbranch_execz .LBB280_138
.LBB280_163:
	s_and_b64 vcc, exec, s[0:1]
	s_cbranch_vccnz .LBB280_165
; %bb.164:
	v_lshl_add_u64 v[48:49], v[44:45], 1, v[30:31]
	global_load_ushort v48, v[48:49], off
	s_waitcnt vmcnt(0)
	v_mul_f16_e32 v48, s33, v48
	v_cvt_f32_f16_e32 v48, v48
	s_branch .LBB280_166
.LBB280_165:
	v_mov_b32_e32 v48, 0
.LBB280_166:
	s_waitcnt lgkmcnt(2)
	v_pk_add_f16 v49, v0, v24
	v_max_f16_e32 v50, v100, v100
	v_pk_add_f16 v87, v1, v25
	v_min_f16_e32 v50, v50, v49
	v_lshrrev_b32_e32 v51, 16, v100
	v_lshrrev_b32_e32 v49, 16, v49
	;; [unrolled: 1-line block ×3, first 2 shown]
	v_min3_f16 v49, v51, v49, v89
	v_min3_f16 v49, v50, v87, v49
	v_cvt_f32_f16_e32 v49, v49
	v_max_f32_e32 v48, v48, v48
	v_min_f32_e32 v48, v48, v49
	v_cvt_f16_f32_e32 v50, v48
	v_lshl_add_u64 v[48:49], v[44:45], 1, v[28:29]
	global_store_short v[48:49], v50, off
	s_or_b64 exec, exec, s[26:27]
	s_and_b64 s[26:27], s[16:17], s[18:19]
	s_and_saveexec_b64 s[18:19], s[26:27]
	s_cbranch_execz .LBB280_171
.LBB280_167:
	s_and_b64 vcc, exec, s[0:1]
	s_cbranch_vccnz .LBB280_169
; %bb.168:
	v_lshl_add_u64 v[30:31], v[46:47], 1, v[30:31]
	global_load_ushort v30, v[30:31], off
	s_waitcnt vmcnt(0)
	v_mul_f16_e32 v30, s33, v30
	v_cvt_f32_f16_e32 v30, v30
	s_branch .LBB280_170
.LBB280_169:
	v_mov_b32_e32 v30, 0
.LBB280_170:
	s_waitcnt lgkmcnt(2)
	v_pk_add_f16 v24, v2, v24
	v_max_f16_e32 v31, v98, v98
	v_pk_add_f16 v25, v3, v25
	v_min_f16_e32 v31, v31, v24
	v_lshrrev_b32_e32 v48, 16, v98
	v_lshrrev_b32_e32 v24, 16, v24
	;; [unrolled: 1-line block ×3, first 2 shown]
	v_min3_f16 v24, v48, v24, v49
	v_min3_f16 v24, v31, v25, v24
	v_cvt_f32_f16_e32 v24, v24
	v_max_f32_e32 v25, v30, v30
	v_min_f32_e32 v24, v25, v24
	v_cvt_f16_f32_e32 v30, v24
	v_lshl_add_u64 v[24:25], v[46:47], 1, v[28:29]
	global_store_short v[24:25], v30, off
.LBB280_171:
	s_or_b64 exec, exec, s[18:19]
	v_add_u32_e32 v30, 0x60, v103
	s_waitcnt lgkmcnt(2)
	v_mad_i64_i32 v[24:25], s[26:27], v30, s29, 0
	v_cmp_gt_i32_e64 s[18:19], s21, v30
	v_lshl_add_u64 v[28:29], v[24:25], 1, s[24:25]
	v_mad_i64_i32 v[24:25], s[26:27], v30, s28, 0
	v_lshl_add_u64 v[24:25], v[24:25], 1, s[22:23]
	s_and_b64 s[30:31], s[2:3], s[18:19]
	s_and_saveexec_b64 s[26:27], s[30:31]
	s_cbranch_execnz .LBB280_179
; %bb.172:
	s_or_b64 exec, exec, s[26:27]
	s_and_b64 s[30:31], s[4:5], s[18:19]
	s_and_saveexec_b64 s[26:27], s[30:31]
	s_cbranch_execnz .LBB280_183
.LBB280_173:
	s_or_b64 exec, exec, s[26:27]
	s_and_b64 s[30:31], s[6:7], s[18:19]
	s_and_saveexec_b64 s[26:27], s[30:31]
	s_cbranch_execnz .LBB280_187
.LBB280_174:
	s_or_b64 exec, exec, s[26:27]
	s_and_b64 s[30:31], s[8:9], s[18:19]
	s_and_saveexec_b64 s[26:27], s[30:31]
	s_cbranch_execnz .LBB280_191
.LBB280_175:
	s_or_b64 exec, exec, s[26:27]
	s_and_b64 s[30:31], s[10:11], s[18:19]
	s_and_saveexec_b64 s[26:27], s[30:31]
	s_cbranch_execnz .LBB280_195
.LBB280_176:
	s_or_b64 exec, exec, s[26:27]
	s_and_b64 s[30:31], s[12:13], s[18:19]
	s_and_saveexec_b64 s[26:27], s[30:31]
	s_cbranch_execnz .LBB280_199
.LBB280_177:
	s_or_b64 exec, exec, s[26:27]
	s_and_b64 s[30:31], s[14:15], s[18:19]
	s_and_saveexec_b64 s[26:27], s[30:31]
	s_cbranch_execnz .LBB280_203
.LBB280_178:
	s_or_b64 exec, exec, s[26:27]
	s_and_b64 s[26:27], s[16:17], s[18:19]
	s_and_saveexec_b64 s[18:19], s[26:27]
	s_cbranch_execnz .LBB280_207
	s_branch .LBB280_211
.LBB280_179:
	s_and_b64 vcc, exec, s[0:1]
	s_cbranch_vccnz .LBB280_181
; %bb.180:
	v_lshl_add_u64 v[30:31], v[32:33], 1, v[28:29]
	global_load_ushort v30, v[30:31], off
	s_waitcnt vmcnt(0)
	v_mul_f16_e32 v30, s33, v30
	v_cvt_f32_f16_e32 v30, v30
	s_branch .LBB280_182
.LBB280_181:
	v_mov_b32_e32 v30, 0
.LBB280_182:
	v_pk_add_f16 v31, v16, v26
	v_max_f16_e32 v48, v96, v96
	v_pk_add_f16 v50, v17, v27
	v_min_f16_e32 v48, v48, v31
	v_lshrrev_b32_e32 v49, 16, v96
	v_lshrrev_b32_e32 v31, 16, v31
	;; [unrolled: 1-line block ×3, first 2 shown]
	v_min3_f16 v31, v49, v31, v51
	v_min3_f16 v31, v48, v50, v31
	v_cvt_f32_f16_e32 v31, v31
	v_max_f32_e32 v30, v30, v30
	v_min_f32_e32 v30, v30, v31
	v_cvt_f16_f32_e32 v48, v30
	v_lshl_add_u64 v[30:31], v[32:33], 1, v[24:25]
	global_store_short v[30:31], v48, off
	s_or_b64 exec, exec, s[26:27]
	s_and_b64 s[30:31], s[4:5], s[18:19]
	s_and_saveexec_b64 s[26:27], s[30:31]
	s_cbranch_execz .LBB280_173
.LBB280_183:
	s_and_b64 vcc, exec, s[0:1]
	s_cbranch_vccnz .LBB280_185
; %bb.184:
	v_lshl_add_u64 v[30:31], v[34:35], 1, v[28:29]
	global_load_ushort v30, v[30:31], off
	s_waitcnt vmcnt(0)
	v_mul_f16_e32 v30, s33, v30
	v_cvt_f32_f16_e32 v30, v30
	s_branch .LBB280_186
.LBB280_185:
	v_mov_b32_e32 v30, 0
.LBB280_186:
	v_pk_add_f16 v31, v18, v26
	v_max_f16_e32 v48, v94, v94
	v_pk_add_f16 v50, v19, v27
	v_min_f16_e32 v48, v48, v31
	v_lshrrev_b32_e32 v49, 16, v94
	v_lshrrev_b32_e32 v31, 16, v31
	;; [unrolled: 1-line block ×3, first 2 shown]
	v_min3_f16 v31, v49, v31, v51
	v_min3_f16 v31, v48, v50, v31
	v_cvt_f32_f16_e32 v31, v31
	v_max_f32_e32 v30, v30, v30
	v_min_f32_e32 v30, v30, v31
	v_cvt_f16_f32_e32 v48, v30
	v_lshl_add_u64 v[30:31], v[34:35], 1, v[24:25]
	global_store_short v[30:31], v48, off
	s_or_b64 exec, exec, s[26:27]
	s_and_b64 s[30:31], s[6:7], s[18:19]
	s_and_saveexec_b64 s[26:27], s[30:31]
	s_cbranch_execz .LBB280_174
.LBB280_187:
	s_and_b64 vcc, exec, s[0:1]
	s_cbranch_vccnz .LBB280_189
; %bb.188:
	v_lshl_add_u64 v[30:31], v[36:37], 1, v[28:29]
	global_load_ushort v30, v[30:31], off
	s_waitcnt vmcnt(0)
	v_mul_f16_e32 v30, s33, v30
	v_cvt_f32_f16_e32 v30, v30
	s_branch .LBB280_190
.LBB280_189:
	v_mov_b32_e32 v30, 0
.LBB280_190:
	v_pk_add_f16 v31, v12, v26
	v_max_f16_e32 v48, v92, v92
	v_pk_add_f16 v50, v13, v27
	v_min_f16_e32 v48, v48, v31
	v_lshrrev_b32_e32 v49, 16, v92
	v_lshrrev_b32_e32 v31, 16, v31
	;; [unrolled: 1-line block ×3, first 2 shown]
	v_min3_f16 v31, v49, v31, v51
	v_min3_f16 v31, v48, v50, v31
	v_cvt_f32_f16_e32 v31, v31
	v_max_f32_e32 v30, v30, v30
	v_min_f32_e32 v30, v30, v31
	v_cvt_f16_f32_e32 v48, v30
	v_lshl_add_u64 v[30:31], v[36:37], 1, v[24:25]
	global_store_short v[30:31], v48, off
	s_or_b64 exec, exec, s[26:27]
	s_and_b64 s[30:31], s[8:9], s[18:19]
	s_and_saveexec_b64 s[26:27], s[30:31]
	s_cbranch_execz .LBB280_175
.LBB280_191:
	s_and_b64 vcc, exec, s[0:1]
	s_cbranch_vccnz .LBB280_193
; %bb.192:
	v_lshl_add_u64 v[30:31], v[38:39], 1, v[28:29]
	global_load_ushort v30, v[30:31], off
	s_waitcnt vmcnt(0)
	v_mul_f16_e32 v30, s33, v30
	v_cvt_f32_f16_e32 v30, v30
	s_branch .LBB280_194
.LBB280_193:
	v_mov_b32_e32 v30, 0
.LBB280_194:
	v_pk_add_f16 v31, v14, v26
	v_max_f16_e32 v48, v90, v90
	v_pk_add_f16 v50, v15, v27
	v_min_f16_e32 v48, v48, v31
	v_lshrrev_b32_e32 v49, 16, v90
	v_lshrrev_b32_e32 v31, 16, v31
	;; [unrolled: 1-line block ×3, first 2 shown]
	v_min3_f16 v31, v49, v31, v51
	v_min3_f16 v31, v48, v50, v31
	v_cvt_f32_f16_e32 v31, v31
	v_max_f32_e32 v30, v30, v30
	v_min_f32_e32 v30, v30, v31
	v_cvt_f16_f32_e32 v48, v30
	v_lshl_add_u64 v[30:31], v[38:39], 1, v[24:25]
	global_store_short v[30:31], v48, off
	s_or_b64 exec, exec, s[26:27]
	s_and_b64 s[30:31], s[10:11], s[18:19]
	s_and_saveexec_b64 s[26:27], s[30:31]
	s_cbranch_execz .LBB280_176
.LBB280_195:
	s_and_b64 vcc, exec, s[0:1]
	s_cbranch_vccnz .LBB280_197
; %bb.196:
	v_lshl_add_u64 v[30:31], v[40:41], 1, v[28:29]
	global_load_ushort v30, v[30:31], off
	s_waitcnt vmcnt(0)
	v_mul_f16_e32 v30, s33, v30
	v_cvt_f32_f16_e32 v30, v30
	s_branch .LBB280_198
.LBB280_197:
	v_mov_b32_e32 v30, 0
.LBB280_198:
	v_pk_add_f16 v31, v8, v26
	v_max_f16_e32 v48, v88, v88
	v_pk_add_f16 v50, v9, v27
	v_min_f16_e32 v48, v48, v31
	v_lshrrev_b32_e32 v49, 16, v88
	v_lshrrev_b32_e32 v31, 16, v31
	;; [unrolled: 1-line block ×3, first 2 shown]
	v_min3_f16 v31, v49, v31, v51
	v_min3_f16 v31, v48, v50, v31
	v_cvt_f32_f16_e32 v31, v31
	v_max_f32_e32 v30, v30, v30
	v_min_f32_e32 v30, v30, v31
	v_cvt_f16_f32_e32 v48, v30
	v_lshl_add_u64 v[30:31], v[40:41], 1, v[24:25]
	global_store_short v[30:31], v48, off
	s_or_b64 exec, exec, s[26:27]
	s_and_b64 s[30:31], s[12:13], s[18:19]
	s_and_saveexec_b64 s[26:27], s[30:31]
	s_cbranch_execz .LBB280_177
.LBB280_199:
	s_and_b64 vcc, exec, s[0:1]
	s_cbranch_vccnz .LBB280_201
; %bb.200:
	v_lshl_add_u64 v[30:31], v[42:43], 1, v[28:29]
	global_load_ushort v30, v[30:31], off
	s_waitcnt vmcnt(0)
	v_mul_f16_e32 v30, s33, v30
	v_cvt_f32_f16_e32 v30, v30
	s_branch .LBB280_202
.LBB280_201:
	v_mov_b32_e32 v30, 0
.LBB280_202:
	v_pk_add_f16 v31, v10, v26
	v_max_f16_e32 v48, v86, v86
	v_pk_add_f16 v50, v11, v27
	v_min_f16_e32 v48, v48, v31
	v_lshrrev_b32_e32 v49, 16, v86
	v_lshrrev_b32_e32 v31, 16, v31
	;; [unrolled: 1-line block ×3, first 2 shown]
	v_min3_f16 v31, v49, v31, v51
	v_min3_f16 v31, v48, v50, v31
	v_cvt_f32_f16_e32 v31, v31
	v_max_f32_e32 v30, v30, v30
	v_min_f32_e32 v30, v30, v31
	v_cvt_f16_f32_e32 v48, v30
	v_lshl_add_u64 v[30:31], v[42:43], 1, v[24:25]
	global_store_short v[30:31], v48, off
	s_or_b64 exec, exec, s[26:27]
	s_and_b64 s[30:31], s[14:15], s[18:19]
	s_and_saveexec_b64 s[26:27], s[30:31]
	s_cbranch_execz .LBB280_178
.LBB280_203:
	s_and_b64 vcc, exec, s[0:1]
	s_cbranch_vccnz .LBB280_205
; %bb.204:
	v_lshl_add_u64 v[30:31], v[44:45], 1, v[28:29]
	global_load_ushort v30, v[30:31], off
	s_waitcnt vmcnt(0)
	v_mul_f16_e32 v30, s33, v30
	v_cvt_f32_f16_e32 v30, v30
	s_branch .LBB280_206
.LBB280_205:
	v_mov_b32_e32 v30, 0
.LBB280_206:
	v_pk_add_f16 v31, v0, v26
	v_max_f16_e32 v48, v85, v85
	v_pk_add_f16 v50, v1, v27
	v_min_f16_e32 v48, v48, v31
	v_lshrrev_b32_e32 v49, 16, v85
	v_lshrrev_b32_e32 v31, 16, v31
	;; [unrolled: 1-line block ×3, first 2 shown]
	v_min3_f16 v31, v49, v31, v51
	v_min3_f16 v31, v48, v50, v31
	v_cvt_f32_f16_e32 v31, v31
	v_max_f32_e32 v30, v30, v30
	v_min_f32_e32 v30, v30, v31
	v_cvt_f16_f32_e32 v48, v30
	v_lshl_add_u64 v[30:31], v[44:45], 1, v[24:25]
	global_store_short v[30:31], v48, off
	s_or_b64 exec, exec, s[26:27]
	s_and_b64 s[26:27], s[16:17], s[18:19]
	s_and_saveexec_b64 s[18:19], s[26:27]
	s_cbranch_execz .LBB280_211
.LBB280_207:
	s_and_b64 vcc, exec, s[0:1]
	s_cbranch_vccnz .LBB280_209
; %bb.208:
	v_lshl_add_u64 v[28:29], v[46:47], 1, v[28:29]
	global_load_ushort v28, v[28:29], off
	s_waitcnt vmcnt(0)
	v_mul_f16_e32 v28, s33, v28
	v_cvt_f32_f16_e32 v28, v28
	s_branch .LBB280_210
.LBB280_209:
	v_mov_b32_e32 v28, 0
.LBB280_210:
	v_pk_add_f16 v26, v2, v26
	v_max_f16_e32 v29, v84, v84
	v_pk_add_f16 v27, v3, v27
	v_min_f16_e32 v29, v29, v26
	v_lshrrev_b32_e32 v30, 16, v84
	v_lshrrev_b32_e32 v26, 16, v26
	;; [unrolled: 1-line block ×3, first 2 shown]
	v_min3_f16 v26, v30, v26, v31
	v_min3_f16 v26, v29, v27, v26
	v_cvt_f32_f16_e32 v26, v26
	v_max_f32_e32 v27, v28, v28
	v_lshl_add_u64 v[24:25], v[46:47], 1, v[24:25]
	v_min_f32_e32 v26, v27, v26
	v_cvt_f16_f32_e32 v26, v26
	global_store_short v[24:25], v26, off
.LBB280_211:
	s_or_b64 exec, exec, s[18:19]
	v_add_u32_e32 v28, 0x80, v103
	v_mad_i64_i32 v[24:25], s[26:27], v28, s29, 0
	v_cmp_gt_i32_e64 s[18:19], s21, v28
	v_lshl_add_u64 v[26:27], v[24:25], 1, s[24:25]
	v_mad_i64_i32 v[24:25], s[26:27], v28, s28, 0
	v_lshl_add_u64 v[24:25], v[24:25], 1, s[22:23]
	s_and_b64 s[30:31], s[2:3], s[18:19]
	s_and_saveexec_b64 s[26:27], s[30:31]
	s_cbranch_execnz .LBB280_219
; %bb.212:
	s_or_b64 exec, exec, s[26:27]
	s_and_b64 s[30:31], s[4:5], s[18:19]
	s_and_saveexec_b64 s[26:27], s[30:31]
	s_cbranch_execnz .LBB280_223
.LBB280_213:
	s_or_b64 exec, exec, s[26:27]
	s_and_b64 s[30:31], s[6:7], s[18:19]
	s_and_saveexec_b64 s[26:27], s[30:31]
	s_cbranch_execnz .LBB280_227
.LBB280_214:
	s_or_b64 exec, exec, s[26:27]
	s_and_b64 s[30:31], s[8:9], s[18:19]
	s_and_saveexec_b64 s[26:27], s[30:31]
	s_cbranch_execnz .LBB280_231
.LBB280_215:
	s_or_b64 exec, exec, s[26:27]
	s_and_b64 s[30:31], s[10:11], s[18:19]
	s_and_saveexec_b64 s[26:27], s[30:31]
	s_cbranch_execnz .LBB280_235
.LBB280_216:
	s_or_b64 exec, exec, s[26:27]
	s_and_b64 s[30:31], s[12:13], s[18:19]
	s_and_saveexec_b64 s[26:27], s[30:31]
	s_cbranch_execnz .LBB280_239
.LBB280_217:
	s_or_b64 exec, exec, s[26:27]
	s_and_b64 s[30:31], s[14:15], s[18:19]
	s_and_saveexec_b64 s[26:27], s[30:31]
	s_cbranch_execnz .LBB280_243
.LBB280_218:
	s_or_b64 exec, exec, s[26:27]
	s_and_b64 s[26:27], s[16:17], s[18:19]
	s_and_saveexec_b64 s[18:19], s[26:27]
	s_cbranch_execnz .LBB280_247
	s_branch .LBB280_251
.LBB280_219:
	s_and_b64 vcc, exec, s[0:1]
	s_cbranch_vccnz .LBB280_221
; %bb.220:
	v_lshl_add_u64 v[28:29], v[32:33], 1, v[26:27]
	global_load_ushort v28, v[28:29], off
	s_waitcnt vmcnt(0)
	v_mul_f16_e32 v28, s33, v28
	v_cvt_f32_f16_e32 v28, v28
	s_branch .LBB280_222
.LBB280_221:
	v_mov_b32_e32 v28, 0
.LBB280_222:
	s_waitcnt lgkmcnt(1)
	v_pk_add_f16 v29, v16, v20
	v_max_f16_e32 v30, v83, v83
	v_pk_add_f16 v48, v17, v21
	v_min_f16_e32 v30, v30, v29
	v_lshrrev_b32_e32 v31, 16, v83
	v_lshrrev_b32_e32 v29, 16, v29
	;; [unrolled: 1-line block ×3, first 2 shown]
	v_min3_f16 v29, v31, v29, v49
	v_min3_f16 v29, v30, v48, v29
	v_cvt_f32_f16_e32 v29, v29
	v_max_f32_e32 v28, v28, v28
	v_min_f32_e32 v28, v28, v29
	v_cvt_f16_f32_e32 v30, v28
	v_lshl_add_u64 v[28:29], v[32:33], 1, v[24:25]
	global_store_short v[28:29], v30, off
	s_or_b64 exec, exec, s[26:27]
	s_and_b64 s[30:31], s[4:5], s[18:19]
	s_and_saveexec_b64 s[26:27], s[30:31]
	s_cbranch_execz .LBB280_213
.LBB280_223:
	s_and_b64 vcc, exec, s[0:1]
	s_cbranch_vccnz .LBB280_225
; %bb.224:
	v_lshl_add_u64 v[28:29], v[34:35], 1, v[26:27]
	global_load_ushort v28, v[28:29], off
	s_waitcnt vmcnt(0)
	v_mul_f16_e32 v28, s33, v28
	v_cvt_f32_f16_e32 v28, v28
	s_branch .LBB280_226
.LBB280_225:
	v_mov_b32_e32 v28, 0
.LBB280_226:
	s_waitcnt lgkmcnt(1)
	v_pk_add_f16 v29, v18, v20
	v_max_f16_e32 v30, v82, v82
	v_pk_add_f16 v48, v19, v21
	v_min_f16_e32 v30, v30, v29
	v_lshrrev_b32_e32 v31, 16, v82
	v_lshrrev_b32_e32 v29, 16, v29
	v_lshrrev_b32_e32 v49, 16, v48
	v_min3_f16 v29, v31, v29, v49
	v_min3_f16 v29, v30, v48, v29
	v_cvt_f32_f16_e32 v29, v29
	v_max_f32_e32 v28, v28, v28
	v_min_f32_e32 v28, v28, v29
	v_cvt_f16_f32_e32 v30, v28
	v_lshl_add_u64 v[28:29], v[34:35], 1, v[24:25]
	global_store_short v[28:29], v30, off
	s_or_b64 exec, exec, s[26:27]
	s_and_b64 s[30:31], s[6:7], s[18:19]
	s_and_saveexec_b64 s[26:27], s[30:31]
	s_cbranch_execz .LBB280_214
.LBB280_227:
	s_and_b64 vcc, exec, s[0:1]
	s_cbranch_vccnz .LBB280_229
; %bb.228:
	v_lshl_add_u64 v[28:29], v[36:37], 1, v[26:27]
	global_load_ushort v28, v[28:29], off
	s_waitcnt vmcnt(0)
	v_mul_f16_e32 v28, s33, v28
	v_cvt_f32_f16_e32 v28, v28
	s_branch .LBB280_230
.LBB280_229:
	v_mov_b32_e32 v28, 0
.LBB280_230:
	s_waitcnt lgkmcnt(1)
	v_pk_add_f16 v29, v12, v20
	v_max_f16_e32 v30, v81, v81
	v_pk_add_f16 v48, v13, v21
	v_min_f16_e32 v30, v30, v29
	v_lshrrev_b32_e32 v31, 16, v81
	v_lshrrev_b32_e32 v29, 16, v29
	;; [unrolled: 1-line block ×3, first 2 shown]
	v_min3_f16 v29, v31, v29, v49
	v_min3_f16 v29, v30, v48, v29
	v_cvt_f32_f16_e32 v29, v29
	v_max_f32_e32 v28, v28, v28
	v_min_f32_e32 v28, v28, v29
	v_cvt_f16_f32_e32 v30, v28
	v_lshl_add_u64 v[28:29], v[36:37], 1, v[24:25]
	global_store_short v[28:29], v30, off
	s_or_b64 exec, exec, s[26:27]
	s_and_b64 s[30:31], s[8:9], s[18:19]
	s_and_saveexec_b64 s[26:27], s[30:31]
	s_cbranch_execz .LBB280_215
.LBB280_231:
	s_and_b64 vcc, exec, s[0:1]
	s_cbranch_vccnz .LBB280_233
; %bb.232:
	v_lshl_add_u64 v[28:29], v[38:39], 1, v[26:27]
	global_load_ushort v28, v[28:29], off
	s_waitcnt vmcnt(0)
	v_mul_f16_e32 v28, s33, v28
	v_cvt_f32_f16_e32 v28, v28
	s_branch .LBB280_234
.LBB280_233:
	v_mov_b32_e32 v28, 0
.LBB280_234:
	s_waitcnt lgkmcnt(1)
	v_pk_add_f16 v29, v14, v20
	v_max_f16_e32 v30, v80, v80
	v_pk_add_f16 v48, v15, v21
	v_min_f16_e32 v30, v30, v29
	v_lshrrev_b32_e32 v31, 16, v80
	v_lshrrev_b32_e32 v29, 16, v29
	;; [unrolled: 1-line block ×3, first 2 shown]
	v_min3_f16 v29, v31, v29, v49
	v_min3_f16 v29, v30, v48, v29
	v_cvt_f32_f16_e32 v29, v29
	v_max_f32_e32 v28, v28, v28
	v_min_f32_e32 v28, v28, v29
	v_cvt_f16_f32_e32 v30, v28
	v_lshl_add_u64 v[28:29], v[38:39], 1, v[24:25]
	global_store_short v[28:29], v30, off
	s_or_b64 exec, exec, s[26:27]
	s_and_b64 s[30:31], s[10:11], s[18:19]
	s_and_saveexec_b64 s[26:27], s[30:31]
	s_cbranch_execz .LBB280_216
.LBB280_235:
	s_and_b64 vcc, exec, s[0:1]
	s_cbranch_vccnz .LBB280_237
; %bb.236:
	v_lshl_add_u64 v[28:29], v[40:41], 1, v[26:27]
	global_load_ushort v28, v[28:29], off
	s_waitcnt vmcnt(0)
	v_mul_f16_e32 v28, s33, v28
	v_cvt_f32_f16_e32 v28, v28
	s_branch .LBB280_238
.LBB280_237:
	v_mov_b32_e32 v28, 0
.LBB280_238:
	s_waitcnt lgkmcnt(1)
	v_pk_add_f16 v29, v8, v20
	v_max_f16_e32 v30, v79, v79
	v_pk_add_f16 v48, v9, v21
	v_min_f16_e32 v30, v30, v29
	v_lshrrev_b32_e32 v31, 16, v79
	v_lshrrev_b32_e32 v29, 16, v29
	;; [unrolled: 1-line block ×3, first 2 shown]
	v_min3_f16 v29, v31, v29, v49
	v_min3_f16 v29, v30, v48, v29
	v_cvt_f32_f16_e32 v29, v29
	v_max_f32_e32 v28, v28, v28
	v_min_f32_e32 v28, v28, v29
	v_cvt_f16_f32_e32 v30, v28
	v_lshl_add_u64 v[28:29], v[40:41], 1, v[24:25]
	global_store_short v[28:29], v30, off
	s_or_b64 exec, exec, s[26:27]
	s_and_b64 s[30:31], s[12:13], s[18:19]
	s_and_saveexec_b64 s[26:27], s[30:31]
	s_cbranch_execz .LBB280_217
.LBB280_239:
	s_and_b64 vcc, exec, s[0:1]
	s_cbranch_vccnz .LBB280_241
; %bb.240:
	v_lshl_add_u64 v[28:29], v[42:43], 1, v[26:27]
	global_load_ushort v28, v[28:29], off
	s_waitcnt vmcnt(0)
	v_mul_f16_e32 v28, s33, v28
	v_cvt_f32_f16_e32 v28, v28
	s_branch .LBB280_242
.LBB280_241:
	v_mov_b32_e32 v28, 0
.LBB280_242:
	s_waitcnt lgkmcnt(1)
	v_pk_add_f16 v29, v10, v20
	v_max_f16_e32 v30, v78, v78
	v_pk_add_f16 v48, v11, v21
	v_min_f16_e32 v30, v30, v29
	v_lshrrev_b32_e32 v31, 16, v78
	v_lshrrev_b32_e32 v29, 16, v29
	;; [unrolled: 1-line block ×3, first 2 shown]
	v_min3_f16 v29, v31, v29, v49
	v_min3_f16 v29, v30, v48, v29
	v_cvt_f32_f16_e32 v29, v29
	v_max_f32_e32 v28, v28, v28
	v_min_f32_e32 v28, v28, v29
	v_cvt_f16_f32_e32 v30, v28
	v_lshl_add_u64 v[28:29], v[42:43], 1, v[24:25]
	global_store_short v[28:29], v30, off
	s_or_b64 exec, exec, s[26:27]
	s_and_b64 s[30:31], s[14:15], s[18:19]
	s_and_saveexec_b64 s[26:27], s[30:31]
	s_cbranch_execz .LBB280_218
.LBB280_243:
	s_and_b64 vcc, exec, s[0:1]
	s_cbranch_vccnz .LBB280_245
; %bb.244:
	v_lshl_add_u64 v[28:29], v[44:45], 1, v[26:27]
	global_load_ushort v28, v[28:29], off
	s_waitcnt vmcnt(0)
	v_mul_f16_e32 v28, s33, v28
	v_cvt_f32_f16_e32 v28, v28
	s_branch .LBB280_246
.LBB280_245:
	v_mov_b32_e32 v28, 0
.LBB280_246:
	s_waitcnt lgkmcnt(1)
	v_pk_add_f16 v29, v0, v20
	v_max_f16_e32 v30, v77, v77
	v_pk_add_f16 v48, v1, v21
	v_min_f16_e32 v30, v30, v29
	v_lshrrev_b32_e32 v31, 16, v77
	v_lshrrev_b32_e32 v29, 16, v29
	;; [unrolled: 1-line block ×3, first 2 shown]
	v_min3_f16 v29, v31, v29, v49
	v_min3_f16 v29, v30, v48, v29
	v_cvt_f32_f16_e32 v29, v29
	v_max_f32_e32 v28, v28, v28
	v_min_f32_e32 v28, v28, v29
	v_cvt_f16_f32_e32 v30, v28
	v_lshl_add_u64 v[28:29], v[44:45], 1, v[24:25]
	global_store_short v[28:29], v30, off
	s_or_b64 exec, exec, s[26:27]
	s_and_b64 s[26:27], s[16:17], s[18:19]
	s_and_saveexec_b64 s[18:19], s[26:27]
	s_cbranch_execz .LBB280_251
.LBB280_247:
	s_and_b64 vcc, exec, s[0:1]
	s_cbranch_vccnz .LBB280_249
; %bb.248:
	v_lshl_add_u64 v[26:27], v[46:47], 1, v[26:27]
	global_load_ushort v26, v[26:27], off
	s_waitcnt vmcnt(0)
	v_mul_f16_e32 v26, s33, v26
	v_cvt_f32_f16_e32 v26, v26
	s_branch .LBB280_250
.LBB280_249:
	v_mov_b32_e32 v26, 0
.LBB280_250:
	s_waitcnt lgkmcnt(1)
	v_pk_add_f16 v20, v2, v20
	v_max_f16_e32 v27, v76, v76
	v_pk_add_f16 v21, v3, v21
	v_min_f16_e32 v27, v27, v20
	v_lshrrev_b32_e32 v28, 16, v76
	v_lshrrev_b32_e32 v20, 16, v20
	;; [unrolled: 1-line block ×3, first 2 shown]
	v_min3_f16 v20, v28, v20, v29
	v_min3_f16 v20, v27, v21, v20
	v_cvt_f32_f16_e32 v20, v20
	v_max_f32_e32 v21, v26, v26
	v_min_f32_e32 v20, v21, v20
	v_cvt_f16_f32_e32 v26, v20
	v_lshl_add_u64 v[20:21], v[46:47], 1, v[24:25]
	global_store_short v[20:21], v26, off
.LBB280_251:
	s_or_b64 exec, exec, s[18:19]
	v_add_u32_e32 v26, 0xa0, v103
	s_waitcnt lgkmcnt(1)
	v_mad_i64_i32 v[20:21], s[26:27], v26, s29, 0
	v_cmp_gt_i32_e64 s[18:19], s21, v26
	v_lshl_add_u64 v[24:25], v[20:21], 1, s[24:25]
	v_mad_i64_i32 v[20:21], s[26:27], v26, s28, 0
	v_lshl_add_u64 v[20:21], v[20:21], 1, s[22:23]
	s_and_b64 s[30:31], s[2:3], s[18:19]
	s_and_saveexec_b64 s[26:27], s[30:31]
	s_cbranch_execnz .LBB280_259
; %bb.252:
	s_or_b64 exec, exec, s[26:27]
	s_and_b64 s[30:31], s[4:5], s[18:19]
	s_and_saveexec_b64 s[26:27], s[30:31]
	s_cbranch_execnz .LBB280_263
.LBB280_253:
	s_or_b64 exec, exec, s[26:27]
	s_and_b64 s[30:31], s[6:7], s[18:19]
	s_and_saveexec_b64 s[26:27], s[30:31]
	s_cbranch_execnz .LBB280_267
.LBB280_254:
	s_or_b64 exec, exec, s[26:27]
	s_and_b64 s[30:31], s[8:9], s[18:19]
	s_and_saveexec_b64 s[26:27], s[30:31]
	s_cbranch_execnz .LBB280_271
.LBB280_255:
	s_or_b64 exec, exec, s[26:27]
	s_and_b64 s[30:31], s[10:11], s[18:19]
	s_and_saveexec_b64 s[26:27], s[30:31]
	s_cbranch_execnz .LBB280_275
.LBB280_256:
	s_or_b64 exec, exec, s[26:27]
	s_and_b64 s[30:31], s[12:13], s[18:19]
	s_and_saveexec_b64 s[26:27], s[30:31]
	s_cbranch_execnz .LBB280_279
.LBB280_257:
	s_or_b64 exec, exec, s[26:27]
	s_and_b64 s[30:31], s[14:15], s[18:19]
	s_and_saveexec_b64 s[26:27], s[30:31]
	s_cbranch_execnz .LBB280_283
.LBB280_258:
	s_or_b64 exec, exec, s[26:27]
	s_and_b64 s[26:27], s[16:17], s[18:19]
	s_and_saveexec_b64 s[18:19], s[26:27]
	s_cbranch_execnz .LBB280_287
	s_branch .LBB280_291
.LBB280_259:
	s_and_b64 vcc, exec, s[0:1]
	s_cbranch_vccnz .LBB280_261
; %bb.260:
	v_lshl_add_u64 v[26:27], v[32:33], 1, v[24:25]
	global_load_ushort v26, v[26:27], off
	s_waitcnt vmcnt(0)
	v_mul_f16_e32 v26, s33, v26
	v_cvt_f32_f16_e32 v26, v26
	s_branch .LBB280_262
.LBB280_261:
	v_mov_b32_e32 v26, 0
.LBB280_262:
	v_pk_add_f16 v27, v16, v22
	v_max_f16_e32 v28, v75, v75
	v_pk_add_f16 v30, v17, v23
	v_min_f16_e32 v28, v28, v27
	v_lshrrev_b32_e32 v29, 16, v75
	v_lshrrev_b32_e32 v27, 16, v27
	v_lshrrev_b32_e32 v31, 16, v30
	v_min3_f16 v27, v29, v27, v31
	v_min3_f16 v27, v28, v30, v27
	v_cvt_f32_f16_e32 v27, v27
	v_max_f32_e32 v26, v26, v26
	v_min_f32_e32 v26, v26, v27
	v_cvt_f16_f32_e32 v28, v26
	v_lshl_add_u64 v[26:27], v[32:33], 1, v[20:21]
	global_store_short v[26:27], v28, off
	s_or_b64 exec, exec, s[26:27]
	s_and_b64 s[30:31], s[4:5], s[18:19]
	s_and_saveexec_b64 s[26:27], s[30:31]
	s_cbranch_execz .LBB280_253
.LBB280_263:
	s_and_b64 vcc, exec, s[0:1]
	s_cbranch_vccnz .LBB280_265
; %bb.264:
	v_lshl_add_u64 v[26:27], v[34:35], 1, v[24:25]
	global_load_ushort v26, v[26:27], off
	s_waitcnt vmcnt(0)
	v_mul_f16_e32 v26, s33, v26
	v_cvt_f32_f16_e32 v26, v26
	s_branch .LBB280_266
.LBB280_265:
	v_mov_b32_e32 v26, 0
.LBB280_266:
	v_pk_add_f16 v27, v18, v22
	v_max_f16_e32 v28, v74, v74
	v_pk_add_f16 v30, v19, v23
	v_min_f16_e32 v28, v28, v27
	v_lshrrev_b32_e32 v29, 16, v74
	v_lshrrev_b32_e32 v27, 16, v27
	;; [unrolled: 1-line block ×3, first 2 shown]
	v_min3_f16 v27, v29, v27, v31
	v_min3_f16 v27, v28, v30, v27
	v_cvt_f32_f16_e32 v27, v27
	v_max_f32_e32 v26, v26, v26
	v_min_f32_e32 v26, v26, v27
	v_cvt_f16_f32_e32 v28, v26
	v_lshl_add_u64 v[26:27], v[34:35], 1, v[20:21]
	global_store_short v[26:27], v28, off
	s_or_b64 exec, exec, s[26:27]
	s_and_b64 s[30:31], s[6:7], s[18:19]
	s_and_saveexec_b64 s[26:27], s[30:31]
	s_cbranch_execz .LBB280_254
.LBB280_267:
	s_and_b64 vcc, exec, s[0:1]
	s_cbranch_vccnz .LBB280_269
; %bb.268:
	v_lshl_add_u64 v[26:27], v[36:37], 1, v[24:25]
	global_load_ushort v26, v[26:27], off
	s_waitcnt vmcnt(0)
	v_mul_f16_e32 v26, s33, v26
	v_cvt_f32_f16_e32 v26, v26
	s_branch .LBB280_270
.LBB280_269:
	v_mov_b32_e32 v26, 0
.LBB280_270:
	v_pk_add_f16 v27, v12, v22
	v_max_f16_e32 v28, v73, v73
	v_pk_add_f16 v30, v13, v23
	v_min_f16_e32 v28, v28, v27
	v_lshrrev_b32_e32 v29, 16, v73
	v_lshrrev_b32_e32 v27, 16, v27
	;; [unrolled: 1-line block ×3, first 2 shown]
	v_min3_f16 v27, v29, v27, v31
	v_min3_f16 v27, v28, v30, v27
	v_cvt_f32_f16_e32 v27, v27
	v_max_f32_e32 v26, v26, v26
	v_min_f32_e32 v26, v26, v27
	v_cvt_f16_f32_e32 v28, v26
	v_lshl_add_u64 v[26:27], v[36:37], 1, v[20:21]
	global_store_short v[26:27], v28, off
	s_or_b64 exec, exec, s[26:27]
	s_and_b64 s[30:31], s[8:9], s[18:19]
	s_and_saveexec_b64 s[26:27], s[30:31]
	s_cbranch_execz .LBB280_255
.LBB280_271:
	s_and_b64 vcc, exec, s[0:1]
	s_cbranch_vccnz .LBB280_273
; %bb.272:
	v_lshl_add_u64 v[26:27], v[38:39], 1, v[24:25]
	global_load_ushort v26, v[26:27], off
	s_waitcnt vmcnt(0)
	v_mul_f16_e32 v26, s33, v26
	v_cvt_f32_f16_e32 v26, v26
	s_branch .LBB280_274
.LBB280_273:
	v_mov_b32_e32 v26, 0
.LBB280_274:
	v_pk_add_f16 v27, v14, v22
	v_max_f16_e32 v28, v72, v72
	v_pk_add_f16 v30, v15, v23
	v_min_f16_e32 v28, v28, v27
	v_lshrrev_b32_e32 v29, 16, v72
	v_lshrrev_b32_e32 v27, 16, v27
	;; [unrolled: 1-line block ×3, first 2 shown]
	v_min3_f16 v27, v29, v27, v31
	v_min3_f16 v27, v28, v30, v27
	v_cvt_f32_f16_e32 v27, v27
	v_max_f32_e32 v26, v26, v26
	v_min_f32_e32 v26, v26, v27
	v_cvt_f16_f32_e32 v28, v26
	v_lshl_add_u64 v[26:27], v[38:39], 1, v[20:21]
	global_store_short v[26:27], v28, off
	s_or_b64 exec, exec, s[26:27]
	s_and_b64 s[30:31], s[10:11], s[18:19]
	s_and_saveexec_b64 s[26:27], s[30:31]
	s_cbranch_execz .LBB280_256
.LBB280_275:
	s_and_b64 vcc, exec, s[0:1]
	s_cbranch_vccnz .LBB280_277
; %bb.276:
	v_lshl_add_u64 v[26:27], v[40:41], 1, v[24:25]
	global_load_ushort v26, v[26:27], off
	s_waitcnt vmcnt(0)
	v_mul_f16_e32 v26, s33, v26
	v_cvt_f32_f16_e32 v26, v26
	s_branch .LBB280_278
.LBB280_277:
	v_mov_b32_e32 v26, 0
.LBB280_278:
	v_pk_add_f16 v27, v8, v22
	v_max_f16_e32 v28, v71, v71
	v_pk_add_f16 v30, v9, v23
	v_min_f16_e32 v28, v28, v27
	v_lshrrev_b32_e32 v29, 16, v71
	v_lshrrev_b32_e32 v27, 16, v27
	;; [unrolled: 1-line block ×3, first 2 shown]
	v_min3_f16 v27, v29, v27, v31
	v_min3_f16 v27, v28, v30, v27
	v_cvt_f32_f16_e32 v27, v27
	v_max_f32_e32 v26, v26, v26
	v_min_f32_e32 v26, v26, v27
	v_cvt_f16_f32_e32 v28, v26
	v_lshl_add_u64 v[26:27], v[40:41], 1, v[20:21]
	global_store_short v[26:27], v28, off
	s_or_b64 exec, exec, s[26:27]
	s_and_b64 s[30:31], s[12:13], s[18:19]
	s_and_saveexec_b64 s[26:27], s[30:31]
	s_cbranch_execz .LBB280_257
.LBB280_279:
	s_and_b64 vcc, exec, s[0:1]
	s_cbranch_vccnz .LBB280_281
; %bb.280:
	v_lshl_add_u64 v[26:27], v[42:43], 1, v[24:25]
	global_load_ushort v26, v[26:27], off
	s_waitcnt vmcnt(0)
	v_mul_f16_e32 v26, s33, v26
	v_cvt_f32_f16_e32 v26, v26
	s_branch .LBB280_282
.LBB280_281:
	v_mov_b32_e32 v26, 0
.LBB280_282:
	v_pk_add_f16 v27, v10, v22
	v_max_f16_e32 v28, v70, v70
	v_pk_add_f16 v30, v11, v23
	v_min_f16_e32 v28, v28, v27
	v_lshrrev_b32_e32 v29, 16, v70
	v_lshrrev_b32_e32 v27, 16, v27
	;; [unrolled: 1-line block ×3, first 2 shown]
	v_min3_f16 v27, v29, v27, v31
	v_min3_f16 v27, v28, v30, v27
	v_cvt_f32_f16_e32 v27, v27
	v_max_f32_e32 v26, v26, v26
	v_min_f32_e32 v26, v26, v27
	v_cvt_f16_f32_e32 v28, v26
	v_lshl_add_u64 v[26:27], v[42:43], 1, v[20:21]
	global_store_short v[26:27], v28, off
	s_or_b64 exec, exec, s[26:27]
	s_and_b64 s[30:31], s[14:15], s[18:19]
	s_and_saveexec_b64 s[26:27], s[30:31]
	s_cbranch_execz .LBB280_258
.LBB280_283:
	s_and_b64 vcc, exec, s[0:1]
	s_cbranch_vccnz .LBB280_285
; %bb.284:
	v_lshl_add_u64 v[26:27], v[44:45], 1, v[24:25]
	global_load_ushort v26, v[26:27], off
	s_waitcnt vmcnt(0)
	v_mul_f16_e32 v26, s33, v26
	v_cvt_f32_f16_e32 v26, v26
	s_branch .LBB280_286
.LBB280_285:
	v_mov_b32_e32 v26, 0
.LBB280_286:
	v_pk_add_f16 v27, v0, v22
	v_max_f16_e32 v28, v68, v68
	v_pk_add_f16 v30, v1, v23
	v_min_f16_e32 v28, v28, v27
	v_lshrrev_b32_e32 v29, 16, v68
	v_lshrrev_b32_e32 v27, 16, v27
	;; [unrolled: 1-line block ×3, first 2 shown]
	v_min3_f16 v27, v29, v27, v31
	v_min3_f16 v27, v28, v30, v27
	v_cvt_f32_f16_e32 v27, v27
	v_max_f32_e32 v26, v26, v26
	v_min_f32_e32 v26, v26, v27
	v_cvt_f16_f32_e32 v28, v26
	v_lshl_add_u64 v[26:27], v[44:45], 1, v[20:21]
	global_store_short v[26:27], v28, off
	s_or_b64 exec, exec, s[26:27]
	s_and_b64 s[26:27], s[16:17], s[18:19]
	s_and_saveexec_b64 s[18:19], s[26:27]
	s_cbranch_execz .LBB280_291
.LBB280_287:
	s_and_b64 vcc, exec, s[0:1]
	s_cbranch_vccnz .LBB280_289
; %bb.288:
	v_lshl_add_u64 v[24:25], v[46:47], 1, v[24:25]
	global_load_ushort v24, v[24:25], off
	s_waitcnt vmcnt(0)
	v_mul_f16_e32 v24, s33, v24
	v_cvt_f32_f16_e32 v24, v24
	s_branch .LBB280_290
.LBB280_289:
	v_mov_b32_e32 v24, 0
.LBB280_290:
	v_pk_add_f16 v22, v2, v22
	v_max_f16_e32 v25, v69, v69
	v_pk_add_f16 v23, v3, v23
	v_min_f16_e32 v25, v25, v22
	v_lshrrev_b32_e32 v26, 16, v69
	v_lshrrev_b32_e32 v22, 16, v22
	;; [unrolled: 1-line block ×3, first 2 shown]
	v_min3_f16 v22, v26, v22, v27
	v_min3_f16 v22, v25, v23, v22
	v_cvt_f32_f16_e32 v22, v22
	v_max_f32_e32 v23, v24, v24
	v_lshl_add_u64 v[20:21], v[46:47], 1, v[20:21]
	v_min_f32_e32 v22, v23, v22
	v_cvt_f16_f32_e32 v22, v22
	global_store_short v[20:21], v22, off
.LBB280_291:
	s_or_b64 exec, exec, s[18:19]
	v_add_u32_e32 v24, 0xc0, v103
	v_mad_i64_i32 v[20:21], s[26:27], v24, s29, 0
	v_cmp_gt_i32_e64 s[18:19], s21, v24
	v_lshl_add_u64 v[22:23], v[20:21], 1, s[24:25]
	v_mad_i64_i32 v[20:21], s[26:27], v24, s28, 0
	v_lshl_add_u64 v[20:21], v[20:21], 1, s[22:23]
	s_and_b64 s[30:31], s[2:3], s[18:19]
	s_and_saveexec_b64 s[26:27], s[30:31]
	s_cbranch_execnz .LBB280_299
; %bb.292:
	s_or_b64 exec, exec, s[26:27]
	s_and_b64 s[30:31], s[4:5], s[18:19]
	s_and_saveexec_b64 s[26:27], s[30:31]
	s_cbranch_execnz .LBB280_303
.LBB280_293:
	s_or_b64 exec, exec, s[26:27]
	s_and_b64 s[30:31], s[6:7], s[18:19]
	s_and_saveexec_b64 s[26:27], s[30:31]
	s_cbranch_execnz .LBB280_307
.LBB280_294:
	s_or_b64 exec, exec, s[26:27]
	s_and_b64 s[30:31], s[8:9], s[18:19]
	s_and_saveexec_b64 s[26:27], s[30:31]
	s_cbranch_execnz .LBB280_311
.LBB280_295:
	s_or_b64 exec, exec, s[26:27]
	s_and_b64 s[30:31], s[10:11], s[18:19]
	s_and_saveexec_b64 s[26:27], s[30:31]
	s_cbranch_execnz .LBB280_315
.LBB280_296:
	s_or_b64 exec, exec, s[26:27]
	s_and_b64 s[30:31], s[12:13], s[18:19]
	s_and_saveexec_b64 s[26:27], s[30:31]
	s_cbranch_execnz .LBB280_319
.LBB280_297:
	s_or_b64 exec, exec, s[26:27]
	s_and_b64 s[30:31], s[14:15], s[18:19]
	s_and_saveexec_b64 s[26:27], s[30:31]
	s_cbranch_execnz .LBB280_323
.LBB280_298:
	s_or_b64 exec, exec, s[26:27]
	s_and_b64 s[26:27], s[16:17], s[18:19]
	s_and_saveexec_b64 s[18:19], s[26:27]
	s_cbranch_execnz .LBB280_327
	s_branch .LBB280_331
.LBB280_299:
	s_and_b64 vcc, exec, s[0:1]
	s_cbranch_vccnz .LBB280_301
; %bb.300:
	v_lshl_add_u64 v[24:25], v[32:33], 1, v[22:23]
	global_load_ushort v24, v[24:25], off
	s_waitcnt vmcnt(0)
	v_mul_f16_e32 v24, s33, v24
	v_cvt_f32_f16_e32 v24, v24
	s_branch .LBB280_302
.LBB280_301:
	v_mov_b32_e32 v24, 0
.LBB280_302:
	s_waitcnt lgkmcnt(0)
	v_pk_add_f16 v25, v16, v4
	v_max_f16_e32 v26, v67, v67
	v_pk_add_f16 v28, v17, v5
	v_min_f16_e32 v26, v26, v25
	v_lshrrev_b32_e32 v27, 16, v67
	v_lshrrev_b32_e32 v25, 16, v25
	v_lshrrev_b32_e32 v29, 16, v28
	v_min3_f16 v25, v27, v25, v29
	v_min3_f16 v25, v26, v28, v25
	v_cvt_f32_f16_e32 v25, v25
	v_max_f32_e32 v24, v24, v24
	v_min_f32_e32 v24, v24, v25
	v_cvt_f16_f32_e32 v26, v24
	v_lshl_add_u64 v[24:25], v[32:33], 1, v[20:21]
	global_store_short v[24:25], v26, off
	s_or_b64 exec, exec, s[26:27]
	s_and_b64 s[30:31], s[4:5], s[18:19]
	s_and_saveexec_b64 s[26:27], s[30:31]
	s_cbranch_execz .LBB280_293
.LBB280_303:
	s_and_b64 vcc, exec, s[0:1]
	s_cbranch_vccnz .LBB280_305
; %bb.304:
	v_lshl_add_u64 v[24:25], v[34:35], 1, v[22:23]
	global_load_ushort v24, v[24:25], off
	s_waitcnt vmcnt(0)
	v_mul_f16_e32 v24, s33, v24
	v_cvt_f32_f16_e32 v24, v24
	s_branch .LBB280_306
.LBB280_305:
	v_mov_b32_e32 v24, 0
.LBB280_306:
	s_waitcnt lgkmcnt(0)
	v_pk_add_f16 v25, v18, v4
	v_max_f16_e32 v26, v66, v66
	v_pk_add_f16 v28, v19, v5
	v_min_f16_e32 v26, v26, v25
	v_lshrrev_b32_e32 v27, 16, v66
	v_lshrrev_b32_e32 v25, 16, v25
	;; [unrolled: 1-line block ×3, first 2 shown]
	v_min3_f16 v25, v27, v25, v29
	v_min3_f16 v25, v26, v28, v25
	v_cvt_f32_f16_e32 v25, v25
	v_max_f32_e32 v24, v24, v24
	v_min_f32_e32 v24, v24, v25
	v_cvt_f16_f32_e32 v26, v24
	v_lshl_add_u64 v[24:25], v[34:35], 1, v[20:21]
	global_store_short v[24:25], v26, off
	s_or_b64 exec, exec, s[26:27]
	s_and_b64 s[30:31], s[6:7], s[18:19]
	s_and_saveexec_b64 s[26:27], s[30:31]
	s_cbranch_execz .LBB280_294
.LBB280_307:
	s_and_b64 vcc, exec, s[0:1]
	s_cbranch_vccnz .LBB280_309
; %bb.308:
	v_lshl_add_u64 v[24:25], v[36:37], 1, v[22:23]
	global_load_ushort v24, v[24:25], off
	s_waitcnt vmcnt(0)
	v_mul_f16_e32 v24, s33, v24
	v_cvt_f32_f16_e32 v24, v24
	s_branch .LBB280_310
.LBB280_309:
	v_mov_b32_e32 v24, 0
.LBB280_310:
	s_waitcnt lgkmcnt(0)
	v_pk_add_f16 v25, v12, v4
	v_max_f16_e32 v26, v65, v65
	v_pk_add_f16 v28, v13, v5
	v_min_f16_e32 v26, v26, v25
	v_lshrrev_b32_e32 v27, 16, v65
	v_lshrrev_b32_e32 v25, 16, v25
	;; [unrolled: 1-line block ×3, first 2 shown]
	v_min3_f16 v25, v27, v25, v29
	v_min3_f16 v25, v26, v28, v25
	v_cvt_f32_f16_e32 v25, v25
	v_max_f32_e32 v24, v24, v24
	v_min_f32_e32 v24, v24, v25
	v_cvt_f16_f32_e32 v26, v24
	v_lshl_add_u64 v[24:25], v[36:37], 1, v[20:21]
	global_store_short v[24:25], v26, off
	s_or_b64 exec, exec, s[26:27]
	s_and_b64 s[30:31], s[8:9], s[18:19]
	s_and_saveexec_b64 s[26:27], s[30:31]
	s_cbranch_execz .LBB280_295
.LBB280_311:
	s_and_b64 vcc, exec, s[0:1]
	s_cbranch_vccnz .LBB280_313
; %bb.312:
	v_lshl_add_u64 v[24:25], v[38:39], 1, v[22:23]
	global_load_ushort v24, v[24:25], off
	s_waitcnt vmcnt(0)
	v_mul_f16_e32 v24, s33, v24
	v_cvt_f32_f16_e32 v24, v24
	s_branch .LBB280_314
.LBB280_313:
	v_mov_b32_e32 v24, 0
.LBB280_314:
	s_waitcnt lgkmcnt(0)
	v_pk_add_f16 v25, v14, v4
	v_max_f16_e32 v26, v64, v64
	v_pk_add_f16 v28, v15, v5
	v_min_f16_e32 v26, v26, v25
	v_lshrrev_b32_e32 v27, 16, v64
	v_lshrrev_b32_e32 v25, 16, v25
	;; [unrolled: 1-line block ×3, first 2 shown]
	v_min3_f16 v25, v27, v25, v29
	v_min3_f16 v25, v26, v28, v25
	v_cvt_f32_f16_e32 v25, v25
	v_max_f32_e32 v24, v24, v24
	v_min_f32_e32 v24, v24, v25
	v_cvt_f16_f32_e32 v26, v24
	v_lshl_add_u64 v[24:25], v[38:39], 1, v[20:21]
	global_store_short v[24:25], v26, off
	s_or_b64 exec, exec, s[26:27]
	s_and_b64 s[30:31], s[10:11], s[18:19]
	s_and_saveexec_b64 s[26:27], s[30:31]
	s_cbranch_execz .LBB280_296
.LBB280_315:
	s_and_b64 vcc, exec, s[0:1]
	s_cbranch_vccnz .LBB280_317
; %bb.316:
	v_lshl_add_u64 v[24:25], v[40:41], 1, v[22:23]
	global_load_ushort v24, v[24:25], off
	s_waitcnt vmcnt(0)
	v_mul_f16_e32 v24, s33, v24
	v_cvt_f32_f16_e32 v24, v24
	s_branch .LBB280_318
.LBB280_317:
	v_mov_b32_e32 v24, 0
.LBB280_318:
	s_waitcnt lgkmcnt(0)
	v_pk_add_f16 v25, v8, v4
	v_max_f16_e32 v26, v63, v63
	v_pk_add_f16 v28, v9, v5
	v_min_f16_e32 v26, v26, v25
	v_lshrrev_b32_e32 v27, 16, v63
	v_lshrrev_b32_e32 v25, 16, v25
	;; [unrolled: 1-line block ×3, first 2 shown]
	v_min3_f16 v25, v27, v25, v29
	v_min3_f16 v25, v26, v28, v25
	v_cvt_f32_f16_e32 v25, v25
	v_max_f32_e32 v24, v24, v24
	v_min_f32_e32 v24, v24, v25
	v_cvt_f16_f32_e32 v26, v24
	v_lshl_add_u64 v[24:25], v[40:41], 1, v[20:21]
	global_store_short v[24:25], v26, off
	s_or_b64 exec, exec, s[26:27]
	s_and_b64 s[30:31], s[12:13], s[18:19]
	s_and_saveexec_b64 s[26:27], s[30:31]
	s_cbranch_execz .LBB280_297
.LBB280_319:
	s_and_b64 vcc, exec, s[0:1]
	s_cbranch_vccnz .LBB280_321
; %bb.320:
	v_lshl_add_u64 v[24:25], v[42:43], 1, v[22:23]
	global_load_ushort v24, v[24:25], off
	s_waitcnt vmcnt(0)
	v_mul_f16_e32 v24, s33, v24
	v_cvt_f32_f16_e32 v24, v24
	s_branch .LBB280_322
.LBB280_321:
	v_mov_b32_e32 v24, 0
.LBB280_322:
	s_waitcnt lgkmcnt(0)
	v_pk_add_f16 v25, v10, v4
	v_max_f16_e32 v26, v62, v62
	v_pk_add_f16 v28, v11, v5
	v_min_f16_e32 v26, v26, v25
	v_lshrrev_b32_e32 v27, 16, v62
	v_lshrrev_b32_e32 v25, 16, v25
	;; [unrolled: 1-line block ×3, first 2 shown]
	v_min3_f16 v25, v27, v25, v29
	v_min3_f16 v25, v26, v28, v25
	v_cvt_f32_f16_e32 v25, v25
	v_max_f32_e32 v24, v24, v24
	v_min_f32_e32 v24, v24, v25
	v_cvt_f16_f32_e32 v26, v24
	v_lshl_add_u64 v[24:25], v[42:43], 1, v[20:21]
	global_store_short v[24:25], v26, off
	s_or_b64 exec, exec, s[26:27]
	s_and_b64 s[30:31], s[14:15], s[18:19]
	s_and_saveexec_b64 s[26:27], s[30:31]
	s_cbranch_execz .LBB280_298
.LBB280_323:
	s_and_b64 vcc, exec, s[0:1]
	s_cbranch_vccnz .LBB280_325
; %bb.324:
	v_lshl_add_u64 v[24:25], v[44:45], 1, v[22:23]
	global_load_ushort v24, v[24:25], off
	s_waitcnt vmcnt(0)
	v_mul_f16_e32 v24, s33, v24
	v_cvt_f32_f16_e32 v24, v24
	s_branch .LBB280_326
.LBB280_325:
	v_mov_b32_e32 v24, 0
.LBB280_326:
	s_waitcnt lgkmcnt(0)
	v_pk_add_f16 v25, v0, v4
	v_max_f16_e32 v26, v61, v61
	v_pk_add_f16 v28, v1, v5
	v_min_f16_e32 v26, v26, v25
	v_lshrrev_b32_e32 v27, 16, v61
	v_lshrrev_b32_e32 v25, 16, v25
	;; [unrolled: 1-line block ×3, first 2 shown]
	v_min3_f16 v25, v27, v25, v29
	v_min3_f16 v25, v26, v28, v25
	v_cvt_f32_f16_e32 v25, v25
	v_max_f32_e32 v24, v24, v24
	v_min_f32_e32 v24, v24, v25
	v_cvt_f16_f32_e32 v26, v24
	v_lshl_add_u64 v[24:25], v[44:45], 1, v[20:21]
	global_store_short v[24:25], v26, off
	s_or_b64 exec, exec, s[26:27]
	s_and_b64 s[26:27], s[16:17], s[18:19]
	s_and_saveexec_b64 s[18:19], s[26:27]
	s_cbranch_execz .LBB280_331
.LBB280_327:
	s_and_b64 vcc, exec, s[0:1]
	s_cbranch_vccnz .LBB280_329
; %bb.328:
	v_lshl_add_u64 v[22:23], v[46:47], 1, v[22:23]
	global_load_ushort v22, v[22:23], off
	s_waitcnt vmcnt(0)
	v_mul_f16_e32 v22, s33, v22
	v_cvt_f32_f16_e32 v22, v22
	s_branch .LBB280_330
.LBB280_329:
	v_mov_b32_e32 v22, 0
.LBB280_330:
	s_waitcnt lgkmcnt(0)
	v_pk_add_f16 v4, v2, v4
	v_max_f16_e32 v23, v60, v60
	v_pk_add_f16 v5, v3, v5
	v_min_f16_e32 v23, v23, v4
	v_lshrrev_b32_e32 v24, 16, v60
	v_lshrrev_b32_e32 v4, 16, v4
	v_lshrrev_b32_e32 v25, 16, v5
	v_min3_f16 v4, v24, v4, v25
	v_min3_f16 v4, v23, v5, v4
	v_cvt_f32_f16_e32 v4, v4
	v_max_f32_e32 v5, v22, v22
	v_min_f32_e32 v4, v5, v4
	v_cvt_f16_f32_e32 v22, v4
	v_lshl_add_u64 v[4:5], v[46:47], 1, v[20:21]
	global_store_short v[4:5], v22, off
.LBB280_331:
	s_or_b64 exec, exec, s[18:19]
	v_add_u32_e32 v22, 0xe0, v103
	v_cmp_gt_i32_e64 s[18:19], s21, v22
	s_waitcnt lgkmcnt(0)
	v_mad_i64_i32 v[4:5], s[20:21], v22, s29, 0
	v_lshl_add_u64 v[20:21], v[4:5], 1, s[24:25]
	v_mad_i64_i32 v[4:5], s[20:21], v22, s28, 0
	v_lshl_add_u64 v[4:5], v[4:5], 1, s[22:23]
	s_and_b64 s[20:21], s[2:3], s[18:19]
	s_and_saveexec_b64 s[2:3], s[20:21]
	s_cbranch_execnz .LBB280_340
; %bb.332:
	s_or_b64 exec, exec, s[2:3]
	s_and_b64 s[4:5], s[4:5], s[18:19]
	s_and_saveexec_b64 s[2:3], s[4:5]
	s_cbranch_execnz .LBB280_344
.LBB280_333:
	s_or_b64 exec, exec, s[2:3]
	s_and_b64 s[4:5], s[6:7], s[18:19]
	s_and_saveexec_b64 s[2:3], s[4:5]
	s_cbranch_execnz .LBB280_348
.LBB280_334:
	s_or_b64 exec, exec, s[2:3]
	s_and_b64 s[4:5], s[8:9], s[18:19]
	s_and_saveexec_b64 s[2:3], s[4:5]
	s_cbranch_execnz .LBB280_352
.LBB280_335:
	s_or_b64 exec, exec, s[2:3]
	s_and_b64 s[4:5], s[10:11], s[18:19]
	s_and_saveexec_b64 s[2:3], s[4:5]
	s_cbranch_execnz .LBB280_356
.LBB280_336:
	s_or_b64 exec, exec, s[2:3]
	s_and_b64 s[4:5], s[12:13], s[18:19]
	s_and_saveexec_b64 s[2:3], s[4:5]
	s_cbranch_execnz .LBB280_360
.LBB280_337:
	s_or_b64 exec, exec, s[2:3]
	s_and_b64 s[4:5], s[14:15], s[18:19]
	s_and_saveexec_b64 s[2:3], s[4:5]
	s_cbranch_execnz .LBB280_364
.LBB280_338:
	s_or_b64 exec, exec, s[2:3]
	s_and_b64 s[2:3], s[16:17], s[18:19]
	s_and_saveexec_b64 s[4:5], s[2:3]
	s_cbranch_execnz .LBB280_368
.LBB280_339:
	s_endpgm
.LBB280_340:
	s_and_b64 vcc, exec, s[0:1]
	s_cbranch_vccnz .LBB280_342
; %bb.341:
	v_lshl_add_u64 v[22:23], v[32:33], 1, v[20:21]
	global_load_ushort v22, v[22:23], off
	s_waitcnt vmcnt(0)
	v_mul_f16_e32 v22, s33, v22
	v_cvt_f32_f16_e32 v22, v22
	s_branch .LBB280_343
.LBB280_342:
	v_mov_b32_e32 v22, 0
.LBB280_343:
	v_pk_add_f16 v16, v16, v6
	v_max_f16_e32 v23, v59, v59
	v_pk_add_f16 v17, v17, v7
	v_min_f16_e32 v23, v23, v16
	v_lshrrev_b32_e32 v24, 16, v59
	v_lshrrev_b32_e32 v16, 16, v16
	;; [unrolled: 1-line block ×3, first 2 shown]
	v_min3_f16 v16, v24, v16, v25
	v_min3_f16 v16, v23, v17, v16
	v_cvt_f32_f16_e32 v16, v16
	v_max_f32_e32 v17, v22, v22
	v_min_f32_e32 v16, v17, v16
	v_cvt_f16_f32_e32 v22, v16
	v_lshl_add_u64 v[16:17], v[32:33], 1, v[4:5]
	global_store_short v[16:17], v22, off
	s_or_b64 exec, exec, s[2:3]
	s_and_b64 s[4:5], s[4:5], s[18:19]
	s_and_saveexec_b64 s[2:3], s[4:5]
	s_cbranch_execz .LBB280_333
.LBB280_344:
	s_and_b64 vcc, exec, s[0:1]
	s_cbranch_vccnz .LBB280_346
; %bb.345:
	v_lshl_add_u64 v[16:17], v[34:35], 1, v[20:21]
	global_load_ushort v16, v[16:17], off
	s_waitcnt vmcnt(0)
	v_mul_f16_e32 v16, s33, v16
	v_cvt_f32_f16_e32 v16, v16
	s_branch .LBB280_347
.LBB280_346:
	v_mov_b32_e32 v16, 0
.LBB280_347:
	v_pk_add_f16 v17, v18, v6
	v_max_f16_e32 v18, v58, v58
	v_pk_add_f16 v19, v19, v7
	v_min_f16_e32 v18, v18, v17
	v_lshrrev_b32_e32 v22, 16, v58
	v_lshrrev_b32_e32 v17, 16, v17
	v_lshrrev_b32_e32 v23, 16, v19
	v_min3_f16 v17, v22, v17, v23
	v_min3_f16 v17, v18, v19, v17
	v_cvt_f32_f16_e32 v17, v17
	v_max_f32_e32 v16, v16, v16
	v_min_f32_e32 v16, v16, v17
	v_cvt_f16_f32_e32 v18, v16
	v_lshl_add_u64 v[16:17], v[34:35], 1, v[4:5]
	global_store_short v[16:17], v18, off
	s_or_b64 exec, exec, s[2:3]
	s_and_b64 s[4:5], s[6:7], s[18:19]
	s_and_saveexec_b64 s[2:3], s[4:5]
	s_cbranch_execz .LBB280_334
.LBB280_348:
	s_and_b64 vcc, exec, s[0:1]
	s_cbranch_vccnz .LBB280_350
; %bb.349:
	v_lshl_add_u64 v[16:17], v[36:37], 1, v[20:21]
	global_load_ushort v16, v[16:17], off
	s_waitcnt vmcnt(0)
	v_mul_f16_e32 v16, s33, v16
	v_cvt_f32_f16_e32 v16, v16
	s_branch .LBB280_351
.LBB280_350:
	v_mov_b32_e32 v16, 0
.LBB280_351:
	v_pk_add_f16 v12, v12, v6
	v_max_f16_e32 v17, v57, v57
	v_pk_add_f16 v13, v13, v7
	v_min_f16_e32 v17, v17, v12
	v_lshrrev_b32_e32 v18, 16, v57
	v_lshrrev_b32_e32 v12, 16, v12
	;; [unrolled: 1-line block ×3, first 2 shown]
	v_min3_f16 v12, v18, v12, v19
	v_min3_f16 v12, v17, v13, v12
	v_cvt_f32_f16_e32 v12, v12
	v_max_f32_e32 v13, v16, v16
	v_min_f32_e32 v12, v13, v12
	v_cvt_f16_f32_e32 v16, v12
	v_lshl_add_u64 v[12:13], v[36:37], 1, v[4:5]
	global_store_short v[12:13], v16, off
	s_or_b64 exec, exec, s[2:3]
	s_and_b64 s[4:5], s[8:9], s[18:19]
	s_and_saveexec_b64 s[2:3], s[4:5]
	s_cbranch_execz .LBB280_335
.LBB280_352:
	s_and_b64 vcc, exec, s[0:1]
	s_cbranch_vccnz .LBB280_354
; %bb.353:
	v_lshl_add_u64 v[12:13], v[38:39], 1, v[20:21]
	global_load_ushort v12, v[12:13], off
	s_waitcnt vmcnt(0)
	v_mul_f16_e32 v12, s33, v12
	v_cvt_f32_f16_e32 v12, v12
	s_branch .LBB280_355
.LBB280_354:
	v_mov_b32_e32 v12, 0
.LBB280_355:
	v_pk_add_f16 v13, v14, v6
	v_max_f16_e32 v14, v56, v56
	v_pk_add_f16 v15, v15, v7
	v_min_f16_e32 v14, v14, v13
	v_lshrrev_b32_e32 v16, 16, v56
	v_lshrrev_b32_e32 v13, 16, v13
	;; [unrolled: 1-line block ×3, first 2 shown]
	v_min3_f16 v13, v16, v13, v17
	v_min3_f16 v13, v14, v15, v13
	v_cvt_f32_f16_e32 v13, v13
	v_max_f32_e32 v12, v12, v12
	v_min_f32_e32 v12, v12, v13
	v_cvt_f16_f32_e32 v14, v12
	v_lshl_add_u64 v[12:13], v[38:39], 1, v[4:5]
	global_store_short v[12:13], v14, off
	s_or_b64 exec, exec, s[2:3]
	s_and_b64 s[4:5], s[10:11], s[18:19]
	s_and_saveexec_b64 s[2:3], s[4:5]
	s_cbranch_execz .LBB280_336
.LBB280_356:
	s_and_b64 vcc, exec, s[0:1]
	s_cbranch_vccnz .LBB280_358
; %bb.357:
	v_lshl_add_u64 v[12:13], v[40:41], 1, v[20:21]
	global_load_ushort v12, v[12:13], off
	s_waitcnt vmcnt(0)
	v_mul_f16_e32 v12, s33, v12
	v_cvt_f32_f16_e32 v12, v12
	s_branch .LBB280_359
.LBB280_358:
	v_mov_b32_e32 v12, 0
.LBB280_359:
	v_pk_add_f16 v8, v8, v6
	v_max_f16_e32 v13, v54, v54
	v_pk_add_f16 v9, v9, v7
	v_min_f16_e32 v13, v13, v8
	v_lshrrev_b32_e32 v14, 16, v54
	v_lshrrev_b32_e32 v8, 16, v8
	;; [unrolled: 1-line block ×3, first 2 shown]
	v_min3_f16 v8, v14, v8, v15
	v_min3_f16 v8, v13, v9, v8
	v_cvt_f32_f16_e32 v8, v8
	v_max_f32_e32 v9, v12, v12
	v_min_f32_e32 v8, v9, v8
	v_cvt_f16_f32_e32 v12, v8
	v_lshl_add_u64 v[8:9], v[40:41], 1, v[4:5]
	global_store_short v[8:9], v12, off
	s_or_b64 exec, exec, s[2:3]
	s_and_b64 s[4:5], s[12:13], s[18:19]
	s_and_saveexec_b64 s[2:3], s[4:5]
	s_cbranch_execz .LBB280_337
.LBB280_360:
	s_and_b64 vcc, exec, s[0:1]
	s_cbranch_vccnz .LBB280_362
; %bb.361:
	v_lshl_add_u64 v[8:9], v[42:43], 1, v[20:21]
	global_load_ushort v8, v[8:9], off
	s_waitcnt vmcnt(0)
	v_mul_f16_e32 v8, s33, v8
	v_cvt_f32_f16_e32 v8, v8
	s_branch .LBB280_363
.LBB280_362:
	v_mov_b32_e32 v8, 0
.LBB280_363:
	v_pk_add_f16 v9, v10, v6
	v_max_f16_e32 v10, v53, v53
	v_pk_add_f16 v11, v11, v7
	v_min_f16_e32 v10, v10, v9
	v_lshrrev_b32_e32 v12, 16, v53
	v_lshrrev_b32_e32 v9, 16, v9
	;; [unrolled: 1-line block ×3, first 2 shown]
	v_min3_f16 v9, v12, v9, v13
	v_min3_f16 v9, v10, v11, v9
	v_cvt_f32_f16_e32 v9, v9
	v_max_f32_e32 v8, v8, v8
	v_min_f32_e32 v8, v8, v9
	v_cvt_f16_f32_e32 v10, v8
	v_lshl_add_u64 v[8:9], v[42:43], 1, v[4:5]
	global_store_short v[8:9], v10, off
	s_or_b64 exec, exec, s[2:3]
	s_and_b64 s[4:5], s[14:15], s[18:19]
	s_and_saveexec_b64 s[2:3], s[4:5]
	s_cbranch_execz .LBB280_338
.LBB280_364:
	s_and_b64 vcc, exec, s[0:1]
	s_cbranch_vccnz .LBB280_366
; %bb.365:
	v_lshl_add_u64 v[8:9], v[44:45], 1, v[20:21]
	global_load_ushort v8, v[8:9], off
	s_waitcnt vmcnt(0)
	v_mul_f16_e32 v8, s33, v8
	v_cvt_f32_f16_e32 v8, v8
	s_branch .LBB280_367
.LBB280_366:
	v_mov_b32_e32 v8, 0
.LBB280_367:
	v_pk_add_f16 v0, v0, v6
	v_max_f16_e32 v9, v52, v52
	v_pk_add_f16 v1, v1, v7
	v_min_f16_e32 v9, v9, v0
	v_lshrrev_b32_e32 v10, 16, v52
	v_lshrrev_b32_e32 v0, 16, v0
	;; [unrolled: 1-line block ×3, first 2 shown]
	v_min3_f16 v0, v10, v0, v11
	v_min3_f16 v0, v9, v1, v0
	v_cvt_f32_f16_e32 v0, v0
	v_max_f32_e32 v1, v8, v8
	v_min_f32_e32 v0, v1, v0
	v_cvt_f16_f32_e32 v8, v0
	v_lshl_add_u64 v[0:1], v[44:45], 1, v[4:5]
	global_store_short v[0:1], v8, off
	s_or_b64 exec, exec, s[2:3]
	s_and_b64 s[2:3], s[16:17], s[18:19]
	s_and_saveexec_b64 s[4:5], s[2:3]
	s_cbranch_execz .LBB280_339
.LBB280_368:
	s_and_b64 vcc, exec, s[0:1]
	s_cbranch_vccnz .LBB280_370
; %bb.369:
	v_lshl_add_u64 v[0:1], v[46:47], 1, v[20:21]
	global_load_ushort v0, v[0:1], off
	s_waitcnt vmcnt(0)
	v_mul_f16_e32 v0, s33, v0
	v_cvt_f32_f16_e32 v0, v0
	s_branch .LBB280_371
.LBB280_370:
	v_mov_b32_e32 v0, 0
.LBB280_371:
	v_pk_add_f16 v1, v2, v6
	v_max_f16_e32 v2, v55, v55
	v_pk_add_f16 v3, v3, v7
	v_min_f16_e32 v2, v2, v1
	v_lshrrev_b32_e32 v6, 16, v55
	v_lshrrev_b32_e32 v1, 16, v1
	;; [unrolled: 1-line block ×3, first 2 shown]
	v_min3_f16 v1, v6, v1, v7
	v_min3_f16 v1, v2, v3, v1
	v_cvt_f32_f16_e32 v1, v1
	v_max_f32_e32 v0, v0, v0
	v_min_f32_e32 v0, v0, v1
	v_cvt_f16_f32_e32 v2, v0
	v_lshl_add_u64 v[0:1], v[46:47], 1, v[4:5]
	global_store_short v[0:1], v2, off
	s_endpgm
	.section	.rodata,"a",@progbits
	.p2align	6, 0x0
	.amdhsa_kernel _ZN12_GLOBAL__N_120geam_min_plus_kernelIDF16_Dv2_DF16_S1_Li8ELi32ELi64ELi256ELi4ELi4ELi64ELi64ELi4ELc84ELc84ELb1ELb1ELb1EDF16_KDF16_DF16_EEviiiT16_PT17_ilS5_ilS3_S5_ilPT18_ili26rocblas_geam_ex_operation_
		.amdhsa_group_segment_fixed_size 5120
		.amdhsa_private_segment_fixed_size 0
		.amdhsa_kernarg_size 128
		.amdhsa_user_sgpr_count 2
		.amdhsa_user_sgpr_dispatch_ptr 0
		.amdhsa_user_sgpr_queue_ptr 0
		.amdhsa_user_sgpr_kernarg_segment_ptr 1
		.amdhsa_user_sgpr_dispatch_id 0
		.amdhsa_user_sgpr_kernarg_preload_length 0
		.amdhsa_user_sgpr_kernarg_preload_offset 0
		.amdhsa_user_sgpr_private_segment_size 0
		.amdhsa_uses_dynamic_stack 0
		.amdhsa_enable_private_segment 0
		.amdhsa_system_sgpr_workgroup_id_x 1
		.amdhsa_system_sgpr_workgroup_id_y 0
		.amdhsa_system_sgpr_workgroup_id_z 1
		.amdhsa_system_sgpr_workgroup_info 0
		.amdhsa_system_vgpr_workitem_id 1
		.amdhsa_next_free_vgpr 148
		.amdhsa_next_free_sgpr 40
		.amdhsa_accum_offset 148
		.amdhsa_reserve_vcc 1
		.amdhsa_float_round_mode_32 0
		.amdhsa_float_round_mode_16_64 0
		.amdhsa_float_denorm_mode_32 3
		.amdhsa_float_denorm_mode_16_64 3
		.amdhsa_dx10_clamp 1
		.amdhsa_ieee_mode 1
		.amdhsa_fp16_overflow 0
		.amdhsa_tg_split 0
		.amdhsa_exception_fp_ieee_invalid_op 0
		.amdhsa_exception_fp_denorm_src 0
		.amdhsa_exception_fp_ieee_div_zero 0
		.amdhsa_exception_fp_ieee_overflow 0
		.amdhsa_exception_fp_ieee_underflow 0
		.amdhsa_exception_fp_ieee_inexact 0
		.amdhsa_exception_int_div_zero 0
	.end_amdhsa_kernel
	.section	.text._ZN12_GLOBAL__N_120geam_min_plus_kernelIDF16_Dv2_DF16_S1_Li8ELi32ELi64ELi256ELi4ELi4ELi64ELi64ELi4ELc84ELc84ELb1ELb1ELb1EDF16_KDF16_DF16_EEviiiT16_PT17_ilS5_ilS3_S5_ilPT18_ili26rocblas_geam_ex_operation_,"axG",@progbits,_ZN12_GLOBAL__N_120geam_min_plus_kernelIDF16_Dv2_DF16_S1_Li8ELi32ELi64ELi256ELi4ELi4ELi64ELi64ELi4ELc84ELc84ELb1ELb1ELb1EDF16_KDF16_DF16_EEviiiT16_PT17_ilS5_ilS3_S5_ilPT18_ili26rocblas_geam_ex_operation_,comdat
.Lfunc_end280:
	.size	_ZN12_GLOBAL__N_120geam_min_plus_kernelIDF16_Dv2_DF16_S1_Li8ELi32ELi64ELi256ELi4ELi4ELi64ELi64ELi4ELc84ELc84ELb1ELb1ELb1EDF16_KDF16_DF16_EEviiiT16_PT17_ilS5_ilS3_S5_ilPT18_ili26rocblas_geam_ex_operation_, .Lfunc_end280-_ZN12_GLOBAL__N_120geam_min_plus_kernelIDF16_Dv2_DF16_S1_Li8ELi32ELi64ELi256ELi4ELi4ELi64ELi64ELi4ELc84ELc84ELb1ELb1ELb1EDF16_KDF16_DF16_EEviiiT16_PT17_ilS5_ilS3_S5_ilPT18_ili26rocblas_geam_ex_operation_
                                        ; -- End function
	.set _ZN12_GLOBAL__N_120geam_min_plus_kernelIDF16_Dv2_DF16_S1_Li8ELi32ELi64ELi256ELi4ELi4ELi64ELi64ELi4ELc84ELc84ELb1ELb1ELb1EDF16_KDF16_DF16_EEviiiT16_PT17_ilS5_ilS3_S5_ilPT18_ili26rocblas_geam_ex_operation_.num_vgpr, 148
	.set _ZN12_GLOBAL__N_120geam_min_plus_kernelIDF16_Dv2_DF16_S1_Li8ELi32ELi64ELi256ELi4ELi4ELi64ELi64ELi4ELc84ELc84ELb1ELb1ELb1EDF16_KDF16_DF16_EEviiiT16_PT17_ilS5_ilS3_S5_ilPT18_ili26rocblas_geam_ex_operation_.num_agpr, 0
	.set _ZN12_GLOBAL__N_120geam_min_plus_kernelIDF16_Dv2_DF16_S1_Li8ELi32ELi64ELi256ELi4ELi4ELi64ELi64ELi4ELc84ELc84ELb1ELb1ELb1EDF16_KDF16_DF16_EEviiiT16_PT17_ilS5_ilS3_S5_ilPT18_ili26rocblas_geam_ex_operation_.numbered_sgpr, 40
	.set _ZN12_GLOBAL__N_120geam_min_plus_kernelIDF16_Dv2_DF16_S1_Li8ELi32ELi64ELi256ELi4ELi4ELi64ELi64ELi4ELc84ELc84ELb1ELb1ELb1EDF16_KDF16_DF16_EEviiiT16_PT17_ilS5_ilS3_S5_ilPT18_ili26rocblas_geam_ex_operation_.num_named_barrier, 0
	.set _ZN12_GLOBAL__N_120geam_min_plus_kernelIDF16_Dv2_DF16_S1_Li8ELi32ELi64ELi256ELi4ELi4ELi64ELi64ELi4ELc84ELc84ELb1ELb1ELb1EDF16_KDF16_DF16_EEviiiT16_PT17_ilS5_ilS3_S5_ilPT18_ili26rocblas_geam_ex_operation_.private_seg_size, 0
	.set _ZN12_GLOBAL__N_120geam_min_plus_kernelIDF16_Dv2_DF16_S1_Li8ELi32ELi64ELi256ELi4ELi4ELi64ELi64ELi4ELc84ELc84ELb1ELb1ELb1EDF16_KDF16_DF16_EEviiiT16_PT17_ilS5_ilS3_S5_ilPT18_ili26rocblas_geam_ex_operation_.uses_vcc, 1
	.set _ZN12_GLOBAL__N_120geam_min_plus_kernelIDF16_Dv2_DF16_S1_Li8ELi32ELi64ELi256ELi4ELi4ELi64ELi64ELi4ELc84ELc84ELb1ELb1ELb1EDF16_KDF16_DF16_EEviiiT16_PT17_ilS5_ilS3_S5_ilPT18_ili26rocblas_geam_ex_operation_.uses_flat_scratch, 0
	.set _ZN12_GLOBAL__N_120geam_min_plus_kernelIDF16_Dv2_DF16_S1_Li8ELi32ELi64ELi256ELi4ELi4ELi64ELi64ELi4ELc84ELc84ELb1ELb1ELb1EDF16_KDF16_DF16_EEviiiT16_PT17_ilS5_ilS3_S5_ilPT18_ili26rocblas_geam_ex_operation_.has_dyn_sized_stack, 0
	.set _ZN12_GLOBAL__N_120geam_min_plus_kernelIDF16_Dv2_DF16_S1_Li8ELi32ELi64ELi256ELi4ELi4ELi64ELi64ELi4ELc84ELc84ELb1ELb1ELb1EDF16_KDF16_DF16_EEviiiT16_PT17_ilS5_ilS3_S5_ilPT18_ili26rocblas_geam_ex_operation_.has_recursion, 0
	.set _ZN12_GLOBAL__N_120geam_min_plus_kernelIDF16_Dv2_DF16_S1_Li8ELi32ELi64ELi256ELi4ELi4ELi64ELi64ELi4ELc84ELc84ELb1ELb1ELb1EDF16_KDF16_DF16_EEviiiT16_PT17_ilS5_ilS3_S5_ilPT18_ili26rocblas_geam_ex_operation_.has_indirect_call, 0
	.section	.AMDGPU.csdata,"",@progbits
; Kernel info:
; codeLenInByte = 20396
; TotalNumSgprs: 46
; NumVgprs: 148
; NumAgprs: 0
; TotalNumVgprs: 148
; ScratchSize: 0
; MemoryBound: 0
; FloatMode: 240
; IeeeMode: 1
; LDSByteSize: 5120 bytes/workgroup (compile time only)
; SGPRBlocks: 5
; VGPRBlocks: 18
; NumSGPRsForWavesPerEU: 46
; NumVGPRsForWavesPerEU: 148
; AccumOffset: 148
; Occupancy: 3
; WaveLimiterHint : 0
; COMPUTE_PGM_RSRC2:SCRATCH_EN: 0
; COMPUTE_PGM_RSRC2:USER_SGPR: 2
; COMPUTE_PGM_RSRC2:TRAP_HANDLER: 0
; COMPUTE_PGM_RSRC2:TGID_X_EN: 1
; COMPUTE_PGM_RSRC2:TGID_Y_EN: 0
; COMPUTE_PGM_RSRC2:TGID_Z_EN: 1
; COMPUTE_PGM_RSRC2:TIDIG_COMP_CNT: 1
; COMPUTE_PGM_RSRC3_GFX90A:ACCUM_OFFSET: 36
; COMPUTE_PGM_RSRC3_GFX90A:TG_SPLIT: 0
	.section	.text._ZN12_GLOBAL__N_120geam_min_plus_kernelIDF16_Dv2_DF16_S1_Li8ELi32ELi64ELi256ELi4ELi4ELi64ELi64ELi4ELc84ELc84ELb0ELb1ELb1EDF16_KDF16_DF16_EEviiiT16_PT17_ilS5_ilS3_S5_ilPT18_ili26rocblas_geam_ex_operation_,"axG",@progbits,_ZN12_GLOBAL__N_120geam_min_plus_kernelIDF16_Dv2_DF16_S1_Li8ELi32ELi64ELi256ELi4ELi4ELi64ELi64ELi4ELc84ELc84ELb0ELb1ELb1EDF16_KDF16_DF16_EEviiiT16_PT17_ilS5_ilS3_S5_ilPT18_ili26rocblas_geam_ex_operation_,comdat
	.globl	_ZN12_GLOBAL__N_120geam_min_plus_kernelIDF16_Dv2_DF16_S1_Li8ELi32ELi64ELi256ELi4ELi4ELi64ELi64ELi4ELc84ELc84ELb0ELb1ELb1EDF16_KDF16_DF16_EEviiiT16_PT17_ilS5_ilS3_S5_ilPT18_ili26rocblas_geam_ex_operation_ ; -- Begin function _ZN12_GLOBAL__N_120geam_min_plus_kernelIDF16_Dv2_DF16_S1_Li8ELi32ELi64ELi256ELi4ELi4ELi64ELi64ELi4ELc84ELc84ELb0ELb1ELb1EDF16_KDF16_DF16_EEviiiT16_PT17_ilS5_ilS3_S5_ilPT18_ili26rocblas_geam_ex_operation_
	.p2align	8
	.type	_ZN12_GLOBAL__N_120geam_min_plus_kernelIDF16_Dv2_DF16_S1_Li8ELi32ELi64ELi256ELi4ELi4ELi64ELi64ELi4ELc84ELc84ELb0ELb1ELb1EDF16_KDF16_DF16_EEviiiT16_PT17_ilS5_ilS3_S5_ilPT18_ili26rocblas_geam_ex_operation_,@function
_ZN12_GLOBAL__N_120geam_min_plus_kernelIDF16_Dv2_DF16_S1_Li8ELi32ELi64ELi256ELi4ELi4ELi64ELi64ELi4ELc84ELc84ELb0ELb1ELb1EDF16_KDF16_DF16_EEviiiT16_PT17_ilS5_ilS3_S5_ilPT18_ili26rocblas_geam_ex_operation_: ; @_ZN12_GLOBAL__N_120geam_min_plus_kernelIDF16_Dv2_DF16_S1_Li8ELi32ELi64ELi256ELi4ELi4ELi64ELi64ELi4ELc84ELc84ELb0ELb1ELb1EDF16_KDF16_DF16_EEviiiT16_PT17_ilS5_ilS3_S5_ilPT18_ili26rocblas_geam_ex_operation_
; %bb.0:
	s_load_dwordx4 s[20:23], s[0:1], 0x0
	s_load_dwordx4 s[4:7], s[0:1], 0x20
	s_waitcnt lgkmcnt(0)
	v_cmp_eq_f16_e64 s[8:9], s23, 0
	s_and_b64 vcc, exec, s[8:9]
	s_cbranch_vccnz .LBB281_61
; %bb.1:
	s_load_dwordx2 s[10:11], s[0:1], 0x10
	s_mul_i32 s5, s5, s3
	s_mul_hi_u32 s12, s4, s3
	s_add_i32 s5, s12, s5
	s_mul_i32 s4, s4, s3
	s_lshl_b64 s[4:5], s[4:5], 1
	s_waitcnt lgkmcnt(0)
	s_add_u32 s30, s10, s4
	s_addc_u32 s31, s11, s5
	s_andn2_b64 vcc, exec, s[8:9]
	s_mov_b64 s[4:5], -1
	s_cbranch_vccnz .LBB281_3
.LBB281_2:
	s_mov_b64 s[4:5], 0
.LBB281_3:
	s_mov_b64 s[24:25], 0
	s_andn2_b64 vcc, exec, s[4:5]
	s_mov_b64 s[28:29], 0
	s_cbranch_vccnz .LBB281_5
; %bb.4:
	s_load_dwordx2 s[4:5], s[0:1], 0x38
	s_waitcnt lgkmcnt(0)
	s_mul_i32 s5, s5, s3
	s_mul_hi_u32 s8, s4, s3
	s_add_i32 s5, s8, s5
	s_mul_i32 s4, s4, s3
	s_lshl_b64 s[4:5], s[4:5], 1
	s_add_u32 s28, s6, s4
	s_addc_u32 s29, s7, s5
.LBB281_5:
	s_load_dword s33, s[0:1], 0x40
	s_load_dwordx4 s[16:19], s[0:1], 0x58
	s_waitcnt lgkmcnt(0)
	v_cmp_eq_f16_e64 s[4:5], s33, 0
	v_cmp_neq_f16_e64 s[26:27], s33, 0
	s_and_b64 vcc, exec, s[4:5]
	s_cbranch_vccnz .LBB281_7
; %bb.6:
	s_load_dwordx2 s[4:5], s[0:1], 0x48
	s_mul_i32 s6, s17, s3
	s_mul_hi_u32 s7, s16, s3
	s_add_i32 s7, s7, s6
	s_mul_i32 s6, s16, s3
	s_lshl_b64 s[6:7], s[6:7], 1
	s_waitcnt lgkmcnt(0)
	s_add_u32 s24, s4, s6
	s_addc_u32 s25, s5, s7
.LBB281_7:
	s_add_i32 s4, s20, -1
	s_ashr_i32 s5, s4, 31
	s_lshr_b32 s5, s5, 26
	s_add_i32 s4, s4, s5
	s_ashr_i32 s4, s4, 6
	s_add_i32 s5, s4, 1
	v_cvt_f32_u32_e32 v1, s5
	v_and_b32_e32 v44, 0x3ff, v0
	v_bfe_u32 v45, v0, 10, 10
	v_and_b32_e32 v46, 3, v0
	v_rcp_iflag_f32_e32 v1, v1
	s_not_b32 s4, s4
	s_load_dword s38, s[0:1], 0x18
	v_cmp_eq_f16_e64 s[16:17], s23, 0
	v_mul_f32_e32 v0, 0x4f7ffffe, v1
	v_cvt_u32_f32_e32 v1, v0
	v_lshl_add_u32 v0, v45, 3, v44
	v_lshrrev_b32_e32 v2, 2, v0
                                        ; implicit-def: $vgpr3
                                        ; implicit-def: $sgpr9
	v_readfirstlane_b32 s6, v1
	s_mul_i32 s4, s4, s6
	s_mul_hi_u32 s4, s6, s4
	s_add_i32 s6, s6, s4
	s_mul_hi_u32 s4, s2, s6
	s_mul_i32 s6, s4, s5
	s_sub_i32 s6, s2, s6
	s_add_i32 s7, s4, 1
	s_sub_i32 s8, s6, s5
	s_cmp_ge_u32 s6, s5
	s_cselect_b32 s4, s7, s4
	s_cselect_b32 s6, s8, s6
	s_add_i32 s7, s4, 1
	s_cmp_ge_u32 s6, s5
	s_cselect_b32 s8, s7, s4
	s_mul_i32 s4, s8, s5
	s_sub_i32 s2, s2, s4
	s_lshl_b32 s2, s2, 6
	v_add_u32_e32 v28, s2, v2
	v_cmp_le_i32_e64 s[4:5], s22, v46
	v_cmp_le_i32_e32 vcc, s20, v28
	s_or_b64 s[4:5], s[4:5], vcc
	s_nor_b64 s[6:7], s[16:17], s[4:5]
	s_and_saveexec_b64 s[10:11], s[6:7]
	s_xor_b64 s[6:7], exec, s[10:11]
	s_cbranch_execz .LBB281_9
; %bb.8:
	s_add_i32 s9, s22, -1
	s_waitcnt lgkmcnt(0)
	v_mad_i64_i32 v[4:5], s[10:11], v28, s38, 0
	v_min_u32_e32 v1, s9, v46
	v_lshl_add_u64 v[4:5], v[4:5], 1, s[30:31]
	v_lshlrev_b32_e32 v6, 1, v1
	v_mov_b32_e32 v7, 0
	v_lshl_add_u64 v[4:5], v[4:5], 0, v[6:7]
	global_load_ushort v1, v[4:5], off
	s_waitcnt vmcnt(0)
	v_mul_f16_e32 v3, s23, v1
.LBB281_9:
	s_or_saveexec_b64 s[6:7], s[6:7]
	v_mov_b32_e32 v1, s9
	s_xor_b64 exec, exec, s[6:7]
; %bb.10:
	v_mov_b32_e32 v1, 0x7c00
	v_cndmask_b32_e64 v3, 0, v1, s[4:5]
	s_add_i32 s4, s22, -1
	v_mov_b32_e32 v1, s4
; %bb.11:
	s_or_b64 exec, exec, s[6:7]
	s_load_dword s35, s[0:1], 0x30
	v_and_b32_e32 v4, 63, v0
	v_lshrrev_b32_e32 v47, 6, v0
	s_lshl_b32 s34, s8, 8
	v_or_b32_e32 v32, s34, v4
	v_min_i32_e32 v0, v47, v1
	v_cmp_le_i32_e64 s[10:11], s22, v47
	s_waitcnt lgkmcnt(0)
	v_mad_i64_i32 v[0:1], s[4:5], v0, s35, 0
	v_cmp_le_i32_e64 s[12:13], s21, v32
	v_mov_b32_e32 v6, 0x7c00
	s_or_b64 s[4:5], s[12:13], s[10:11]
	v_lshl_add_u64 v[0:1], v[0:1], 1, s[28:29]
	v_cndmask_b32_e64 v5, 0, v6, s[4:5]
	s_nor_b64 s[6:7], s[16:17], s[4:5]
	v_ashrrev_i32_e32 v33, 31, v32
	s_and_saveexec_b64 s[4:5], s[6:7]
	s_cbranch_execz .LBB281_13
; %bb.12:
	v_lshl_add_u64 v[8:9], v[32:33], 1, v[0:1]
	global_load_ushort v5, v[8:9], off
	s_waitcnt vmcnt(0)
	v_mul_f16_e32 v5, s23, v5
.LBB281_13:
	s_or_b64 exec, exec, s[4:5]
	v_or_b32_e32 v7, 64, v32
	s_add_i32 s14, s21, -1
	v_cmp_le_i32_e64 s[4:5], s21, v7
	v_min_i32_e32 v34, s14, v7
	s_or_b64 s[6:7], s[4:5], s[10:11]
	v_cndmask_b32_e64 v6, 0, v6, s[6:7]
	s_nor_b64 s[8:9], s[6:7], s[16:17]
	v_ashrrev_i32_e32 v35, 31, v34
	s_and_saveexec_b64 s[6:7], s[8:9]
	s_cbranch_execz .LBB281_15
; %bb.14:
	v_lshl_add_u64 v[6:7], v[34:35], 1, v[0:1]
	global_load_ushort v6, v[6:7], off
	s_waitcnt vmcnt(0)
	v_mul_f16_e32 v6, s23, v6
.LBB281_15:
	s_or_b64 exec, exec, s[6:7]
	v_or_b32_e32 v7, 0x80, v32
	v_cmp_le_i32_e64 s[6:7], s21, v7
	v_min_i32_e32 v36, s14, v7
	v_mov_b32_e32 v8, 0x7c00
	s_or_b64 s[8:9], s[6:7], s[10:11]
	v_cndmask_b32_e64 v7, 0, v8, s[8:9]
	s_nor_b64 s[36:37], s[8:9], s[16:17]
	v_ashrrev_i32_e32 v37, 31, v36
	s_and_saveexec_b64 s[8:9], s[36:37]
	s_cbranch_execz .LBB281_17
; %bb.16:
	v_lshl_add_u64 v[10:11], v[36:37], 1, v[0:1]
	global_load_ushort v7, v[10:11], off
	s_waitcnt vmcnt(0)
	v_mul_f16_e32 v7, s23, v7
.LBB281_17:
	s_or_b64 exec, exec, s[8:9]
	v_or_b32_e32 v9, 0xc0, v32
	v_cmp_le_i32_e64 s[8:9], s21, v9
	v_min_i32_e32 v38, s14, v9
	s_or_b64 s[10:11], s[8:9], s[10:11]
	v_cndmask_b32_e64 v8, 0, v8, s[10:11]
	s_nor_b64 s[14:15], s[10:11], s[16:17]
	v_ashrrev_i32_e32 v39, 31, v38
	s_and_saveexec_b64 s[10:11], s[14:15]
	s_cbranch_execz .LBB281_19
; %bb.18:
	v_lshl_add_u64 v[0:1], v[38:39], 1, v[0:1]
	global_load_ushort v0, v[0:1], off
	s_waitcnt vmcnt(0)
	v_mul_f16_e32 v8, s23, v0
.LBB281_19:
	s_or_b64 exec, exec, s[10:11]
	v_or_b32_e32 v0, 4, v46
	v_cmp_le_i32_e64 s[10:11], s22, v0
	s_or_b64 s[10:11], s[10:11], vcc
	s_nor_b64 s[14:15], s[16:17], s[10:11]
                                        ; implicit-def: $vgpr29
                                        ; implicit-def: $sgpr36
	s_and_saveexec_b64 s[40:41], s[14:15]
	s_xor_b64 s[14:15], exec, s[40:41]
	s_cbranch_execz .LBB281_21
; %bb.20:
	v_mad_i64_i32 v[10:11], s[36:37], v28, s38, 0
	s_add_i32 s36, s22, -1
	s_nop 0
	v_min_u32_e32 v0, s36, v0
	v_lshl_add_u64 v[10:11], v[10:11], 1, s[30:31]
	v_lshlrev_b32_e32 v0, 1, v0
	v_mov_b32_e32 v1, 0
	v_lshl_add_u64 v[0:1], v[10:11], 0, v[0:1]
	global_load_ushort v0, v[0:1], off
	s_waitcnt vmcnt(0)
	v_mul_f16_e32 v29, s23, v0
.LBB281_21:
	s_or_saveexec_b64 s[14:15], s[14:15]
	v_mov_b32_e32 v0, s36
	s_xor_b64 exec, exec, s[14:15]
; %bb.22:
	v_mov_b32_e32 v0, 0x7c00
	v_cndmask_b32_e64 v29, 0, v0, s[10:11]
	s_add_i32 s10, s22, -1
	v_mov_b32_e32 v0, s10
; %bb.23:
	s_or_b64 exec, exec, s[14:15]
	v_add_u32_e32 v1, 4, v47
	v_min_i32_e32 v0, v1, v0
	v_cmp_le_i32_e64 s[10:11], s22, v1
	v_mad_i64_i32 v[0:1], s[14:15], v0, s35, 0
	v_mov_b32_e32 v9, 0x7c00
	s_or_b64 s[14:15], s[12:13], s[10:11]
	v_lshl_add_u64 v[0:1], v[0:1], 1, s[28:29]
	v_cndmask_b32_e64 v30, 0, v9, s[14:15]
	s_nor_b64 s[36:37], s[16:17], s[14:15]
	s_and_saveexec_b64 s[14:15], s[36:37]
	s_cbranch_execz .LBB281_25
; %bb.24:
	v_lshl_add_u64 v[10:11], v[32:33], 1, v[0:1]
	global_load_ushort v10, v[10:11], off
	s_waitcnt vmcnt(0)
	v_mul_f16_e32 v30, s23, v10
.LBB281_25:
	s_or_b64 exec, exec, s[14:15]
	s_or_b64 s[14:15], s[4:5], s[10:11]
	v_cndmask_b32_e64 v31, 0, v9, s[14:15]
	s_nor_b64 s[36:37], s[14:15], s[16:17]
	s_and_saveexec_b64 s[14:15], s[36:37]
	s_cbranch_execz .LBB281_27
; %bb.26:
	v_lshl_add_u64 v[10:11], v[34:35], 1, v[0:1]
	global_load_ushort v9, v[10:11], off
	s_waitcnt vmcnt(0)
	v_mul_f16_e32 v31, s23, v9
.LBB281_27:
	s_or_b64 exec, exec, s[14:15]
	v_mov_b32_e32 v9, 0x7c00
	s_or_b64 s[14:15], s[6:7], s[10:11]
	v_cndmask_b32_e64 v40, 0, v9, s[14:15]
	s_nor_b64 s[36:37], s[14:15], s[16:17]
	s_and_saveexec_b64 s[14:15], s[36:37]
	s_cbranch_execz .LBB281_29
; %bb.28:
	v_lshl_add_u64 v[10:11], v[36:37], 1, v[0:1]
	global_load_ushort v10, v[10:11], off
	s_waitcnt vmcnt(0)
	v_mul_f16_e32 v40, s23, v10
.LBB281_29:
	s_or_b64 exec, exec, s[14:15]
	s_or_b64 s[10:11], s[8:9], s[10:11]
	v_cndmask_b32_e64 v41, 0, v9, s[10:11]
	s_nor_b64 s[36:37], s[10:11], s[16:17]
	s_movk_i32 s14, 0x7c00
	s_and_saveexec_b64 s[10:11], s[36:37]
	s_cbranch_execz .LBB281_31
; %bb.30:
	v_lshl_add_u64 v[0:1], v[38:39], 1, v[0:1]
	global_load_ushort v0, v[0:1], off
	s_waitcnt vmcnt(0)
	v_mul_f16_e32 v41, s23, v0
.LBB281_31:
	s_or_b64 exec, exec, s[10:11]
	v_lshlrev_b32_e32 v0, 1, v46
	v_lshl_or_b32 v42, v2, 3, v0
	v_lshlrev_b32_e32 v0, 3, v4
	v_lshlrev_b32_e32 v49, 3, v44
	v_lshl_add_u32 v50, v47, 1, v0
	v_add_u32_e32 v51, 0x1000, v49
	ds_write_b16 v42, v3 offset:4096
	ds_write_b16 v50, v5
	ds_write_b16 v50, v6 offset:512
	ds_write_b16 v50, v7 offset:1024
	;; [unrolled: 1-line block ×3, first 2 shown]
	s_waitcnt lgkmcnt(0)
	s_barrier
	v_lshlrev_b32_e32 v48, 3, v45
	ds_read2_b64 v[16:19], v51 offset1:8
	ds_read2_b64 v[12:15], v51 offset0:16 offset1:24
	ds_read2_b64 v[4:7], v51 offset0:32 offset1:40
	ds_read2_b64 v[52:55], v48 offset1:32
	ds_read2_b64 v[0:3], v51 offset0:48 offset1:56
	ds_read2_b64 v[24:27], v48 offset0:64 offset1:96
	;; [unrolled: 1-line block ×4, first 2 shown]
	s_waitcnt lgkmcnt(4)
	v_pk_add_f16 v43, v16, v52
	v_pk_add_f16 v56, v18, v52
	;; [unrolled: 1-line block ×6, first 2 shown]
	s_waitcnt lgkmcnt(3)
	v_pk_add_f16 v61, v0, v52
	v_pk_add_f16 v52, v2, v52
	v_pk_add_f16 v62, v16, v54
	v_pk_add_f16 v63, v18, v54
	v_pk_add_f16 v64, v12, v54
	v_pk_add_f16 v65, v14, v54
	v_pk_add_f16 v66, v4, v54
	v_pk_add_f16 v67, v6, v54
	v_pk_add_f16 v68, v0, v54
	v_pk_add_f16 v54, v2, v54
	s_waitcnt lgkmcnt(2)
	v_pk_add_f16 v69, v16, v24
	v_pk_add_f16 v70, v18, v24
	v_pk_add_f16 v71, v12, v24
	v_pk_add_f16 v72, v14, v24
	v_pk_add_f16 v73, v4, v24
	v_pk_add_f16 v74, v6, v24
	v_pk_add_f16 v75, v0, v24
	v_pk_add_f16 v24, v2, v24
	v_pk_add_f16 v76, v16, v26
	v_pk_add_f16 v77, v18, v26
	v_pk_add_f16 v78, v12, v26
	v_pk_add_f16 v79, v14, v26
	v_pk_add_f16 v80, v4, v26
	v_pk_add_f16 v81, v6, v26
	v_pk_add_f16 v82, v0, v26
	v_pk_add_f16 v26, v2, v26
	s_waitcnt lgkmcnt(1)
	v_pk_add_f16 v83, v16, v20
	v_pk_add_f16 v103, v18, v20
	v_pk_add_f16 v117, v12, v20
	v_pk_add_f16 v118, v14, v20
	v_pk_add_f16 v119, v4, v20
	v_pk_add_f16 v120, v6, v20
	;; [unrolled: 17-line block ×3, first 2 shown]
	v_pk_add_f16 v135, v0, v8
	v_pk_add_f16 v8, v2, v8
	v_pk_add_f16 v16, v16, v10
	v_pk_add_f16 v18, v18, v10
	v_pk_add_f16 v12, v12, v10
	v_pk_add_f16 v14, v14, v10
	v_pk_add_f16 v4, v4, v10
	v_pk_add_f16 v6, v6, v10
	v_pk_add_f16 v136, v0, v10
	v_pk_add_f16 v0, v2, v10
	v_pk_add_f16 v2, v17, v53
	v_pk_min_f16 v10, v43, s14 op_sel_hi:[1,0]
	v_pk_min_f16 v8, v8, s14 op_sel_hi:[1,0]
	v_pk_min_f16 v116, v10, v2
	v_pk_add_f16 v2, v19, v53
	v_pk_min_f16 v10, v56, s14 op_sel_hi:[1,0]
	v_pk_min_f16 v4, v4, s14 op_sel_hi:[1,0]
	v_pk_min_f16 v115, v10, v2
	v_pk_add_f16 v2, v13, v53
	;; [unrolled: 4-line block ×3, first 2 shown]
	v_pk_min_f16 v10, v58, s14 op_sel_hi:[1,0]
	s_cmp_lt_i32 s22, 9
	v_pk_min_f16 v113, v10, v2
	v_pk_add_f16 v2, v5, v53
	v_pk_min_f16 v10, v59, s14 op_sel_hi:[1,0]
	ds_write_b16 v42, v29 offset:4608
	ds_write_b16 v50, v30 offset:2048
	;; [unrolled: 1-line block ×5, first 2 shown]
	v_pk_min_f16 v112, v10, v2
	v_pk_add_f16 v2, v7, v53
	v_pk_min_f16 v10, v60, s14 op_sel_hi:[1,0]
	s_waitcnt lgkmcnt(0)
	v_pk_min_f16 v111, v10, v2
	v_pk_add_f16 v2, v1, v53
	v_pk_min_f16 v10, v61, s14 op_sel_hi:[1,0]
	s_barrier
	v_pk_min_f16 v110, v10, v2
	v_pk_add_f16 v2, v3, v53
	v_pk_min_f16 v10, v52, s14 op_sel_hi:[1,0]
	s_nop 0
	v_pk_min_f16 v109, v10, v2
	v_pk_add_f16 v2, v17, v55
	v_pk_min_f16 v10, v62, s14 op_sel_hi:[1,0]
	s_nop 0
	v_pk_min_f16 v108, v10, v2
	v_pk_add_f16 v2, v19, v55
	v_pk_min_f16 v10, v63, s14 op_sel_hi:[1,0]
	s_nop 0
	v_pk_min_f16 v107, v10, v2
	v_pk_add_f16 v2, v13, v55
	v_pk_min_f16 v10, v64, s14 op_sel_hi:[1,0]
	s_nop 0
	v_pk_min_f16 v105, v10, v2
	v_pk_add_f16 v2, v15, v55
	v_pk_min_f16 v10, v65, s14 op_sel_hi:[1,0]
	s_nop 0
	v_pk_min_f16 v102, v10, v2
	v_pk_add_f16 v2, v5, v55
	v_pk_min_f16 v10, v66, s14 op_sel_hi:[1,0]
	s_nop 0
	v_pk_min_f16 v100, v10, v2
	v_pk_add_f16 v2, v7, v55
	v_pk_min_f16 v10, v67, s14 op_sel_hi:[1,0]
	s_nop 0
	v_pk_min_f16 v98, v10, v2
	v_pk_add_f16 v2, v1, v55
	v_pk_min_f16 v10, v68, s14 op_sel_hi:[1,0]
	s_nop 0
	v_pk_min_f16 v96, v10, v2
	v_pk_add_f16 v2, v3, v55
	v_pk_min_f16 v10, v54, s14 op_sel_hi:[1,0]
	s_nop 0
	v_pk_min_f16 v94, v10, v2
	v_pk_add_f16 v2, v17, v25
	v_pk_min_f16 v10, v69, s14 op_sel_hi:[1,0]
	s_nop 0
	v_pk_min_f16 v92, v10, v2
	v_pk_add_f16 v2, v19, v25
	v_pk_min_f16 v10, v70, s14 op_sel_hi:[1,0]
	s_nop 0
	v_pk_min_f16 v90, v10, v2
	v_pk_add_f16 v2, v13, v25
	v_pk_min_f16 v10, v71, s14 op_sel_hi:[1,0]
	s_nop 0
	v_pk_min_f16 v88, v10, v2
	v_pk_add_f16 v2, v15, v25
	v_pk_min_f16 v10, v72, s14 op_sel_hi:[1,0]
	s_nop 0
	v_pk_min_f16 v106, v10, v2
	v_pk_add_f16 v2, v5, v25
	v_pk_min_f16 v10, v73, s14 op_sel_hi:[1,0]
	s_nop 0
	v_pk_min_f16 v104, v10, v2
	v_pk_add_f16 v2, v7, v25
	v_pk_min_f16 v10, v74, s14 op_sel_hi:[1,0]
	s_nop 0
	v_pk_min_f16 v101, v10, v2
	v_pk_add_f16 v2, v1, v25
	v_pk_min_f16 v10, v75, s14 op_sel_hi:[1,0]
	s_nop 0
	v_pk_min_f16 v99, v10, v2
	v_pk_add_f16 v2, v3, v25
	v_pk_min_f16 v10, v24, s14 op_sel_hi:[1,0]
	s_nop 0
	v_pk_min_f16 v97, v10, v2
	v_pk_add_f16 v2, v17, v27
	v_pk_min_f16 v10, v76, s14 op_sel_hi:[1,0]
	s_nop 0
	v_pk_min_f16 v95, v10, v2
	v_pk_add_f16 v2, v19, v27
	v_pk_min_f16 v10, v77, s14 op_sel_hi:[1,0]
	s_nop 0
	v_pk_min_f16 v93, v10, v2
	v_pk_add_f16 v2, v13, v27
	v_pk_min_f16 v10, v78, s14 op_sel_hi:[1,0]
	s_nop 0
	v_pk_min_f16 v91, v10, v2
	v_pk_add_f16 v2, v15, v27
	v_pk_min_f16 v10, v79, s14 op_sel_hi:[1,0]
	s_nop 0
	v_pk_min_f16 v89, v10, v2
	v_pk_add_f16 v2, v5, v27
	v_pk_min_f16 v10, v80, s14 op_sel_hi:[1,0]
	s_nop 0
	v_pk_min_f16 v87, v10, v2
	v_pk_add_f16 v2, v7, v27
	v_pk_min_f16 v10, v81, s14 op_sel_hi:[1,0]
	s_nop 0
	v_pk_min_f16 v86, v10, v2
	v_pk_add_f16 v2, v1, v27
	v_pk_min_f16 v10, v82, s14 op_sel_hi:[1,0]
	s_nop 0
	v_pk_min_f16 v85, v10, v2
	v_pk_add_f16 v2, v3, v27
	v_pk_min_f16 v10, v26, s14 op_sel_hi:[1,0]
	s_nop 0
	v_pk_min_f16 v84, v10, v2
	v_pk_add_f16 v2, v17, v21
	v_pk_min_f16 v10, v83, s14 op_sel_hi:[1,0]
	s_nop 0
	v_pk_min_f16 v83, v10, v2
	v_pk_add_f16 v2, v19, v21
	v_pk_min_f16 v10, v103, s14 op_sel_hi:[1,0]
	s_nop 0
	v_pk_min_f16 v82, v10, v2
	v_pk_add_f16 v2, v13, v21
	v_pk_min_f16 v10, v117, s14 op_sel_hi:[1,0]
	s_nop 0
	v_pk_min_f16 v81, v10, v2
	v_pk_add_f16 v2, v15, v21
	v_pk_min_f16 v10, v118, s14 op_sel_hi:[1,0]
	s_nop 0
	v_pk_min_f16 v80, v10, v2
	v_pk_add_f16 v2, v5, v21
	v_pk_min_f16 v10, v119, s14 op_sel_hi:[1,0]
	s_nop 0
	v_pk_min_f16 v79, v10, v2
	v_pk_add_f16 v2, v7, v21
	v_pk_min_f16 v10, v120, s14 op_sel_hi:[1,0]
	s_nop 0
	v_pk_min_f16 v78, v10, v2
	v_pk_add_f16 v2, v1, v21
	v_pk_min_f16 v10, v121, s14 op_sel_hi:[1,0]
	s_nop 0
	v_pk_min_f16 v77, v10, v2
	v_pk_add_f16 v2, v3, v21
	v_pk_min_f16 v10, v20, s14 op_sel_hi:[1,0]
	s_nop 0
	v_pk_min_f16 v76, v10, v2
	v_pk_add_f16 v2, v17, v23
	v_pk_min_f16 v10, v122, s14 op_sel_hi:[1,0]
	s_nop 0
	v_pk_min_f16 v75, v10, v2
	v_pk_add_f16 v2, v19, v23
	v_pk_min_f16 v10, v123, s14 op_sel_hi:[1,0]
	s_nop 0
	v_pk_min_f16 v74, v10, v2
	v_pk_add_f16 v2, v13, v23
	v_pk_min_f16 v10, v124, s14 op_sel_hi:[1,0]
	s_nop 0
	v_pk_min_f16 v73, v10, v2
	v_pk_add_f16 v2, v15, v23
	v_pk_min_f16 v10, v125, s14 op_sel_hi:[1,0]
	s_nop 0
	v_pk_min_f16 v72, v10, v2
	v_pk_add_f16 v2, v5, v23
	v_pk_min_f16 v10, v126, s14 op_sel_hi:[1,0]
	s_nop 0
	v_pk_min_f16 v71, v10, v2
	v_pk_add_f16 v2, v7, v23
	v_pk_min_f16 v10, v127, s14 op_sel_hi:[1,0]
	s_nop 0
	v_pk_min_f16 v70, v10, v2
	v_pk_add_f16 v2, v1, v23
	v_pk_min_f16 v10, v128, s14 op_sel_hi:[1,0]
	s_nop 0
	v_pk_min_f16 v69, v10, v2
	v_pk_add_f16 v2, v3, v23
	v_pk_min_f16 v10, v22, s14 op_sel_hi:[1,0]
	s_nop 0
	v_pk_min_f16 v68, v10, v2
	v_pk_add_f16 v2, v17, v9
	v_pk_min_f16 v10, v129, s14 op_sel_hi:[1,0]
	s_nop 0
	v_pk_min_f16 v67, v10, v2
	v_pk_add_f16 v2, v19, v9
	v_pk_min_f16 v10, v130, s14 op_sel_hi:[1,0]
	s_nop 0
	v_pk_min_f16 v66, v10, v2
	v_pk_add_f16 v2, v13, v9
	v_pk_min_f16 v10, v131, s14 op_sel_hi:[1,0]
	s_nop 0
	v_pk_min_f16 v65, v10, v2
	v_pk_add_f16 v2, v15, v9
	v_pk_min_f16 v10, v132, s14 op_sel_hi:[1,0]
	s_nop 0
	v_pk_min_f16 v64, v10, v2
	v_pk_add_f16 v2, v5, v9
	v_pk_min_f16 v10, v133, s14 op_sel_hi:[1,0]
	s_nop 0
	v_pk_min_f16 v63, v10, v2
	v_pk_add_f16 v2, v7, v9
	v_pk_min_f16 v10, v134, s14 op_sel_hi:[1,0]
	s_nop 0
	v_pk_min_f16 v62, v10, v2
	v_pk_add_f16 v2, v1, v9
	v_pk_min_f16 v10, v135, s14 op_sel_hi:[1,0]
	v_pk_add_f16 v1, v1, v11
	v_pk_min_f16 v61, v10, v2
	v_pk_add_f16 v2, v3, v9
	s_nop 0
	v_pk_min_f16 v60, v8, v2
	v_pk_add_f16 v2, v17, v11
	v_pk_min_f16 v8, v16, s14 op_sel_hi:[1,0]
	s_nop 0
	v_pk_min_f16 v59, v8, v2
	v_pk_add_f16 v2, v19, v11
	v_pk_min_f16 v8, v18, s14 op_sel_hi:[1,0]
	;; [unrolled: 4-line block ×4, first 2 shown]
	s_nop 0
	v_pk_min_f16 v56, v8, v2
	v_pk_add_f16 v2, v5, v11
	s_nop 0
	v_pk_min_f16 v54, v4, v2
	v_pk_add_f16 v2, v7, v11
	v_pk_min_f16 v4, v6, s14 op_sel_hi:[1,0]
	s_nop 0
	v_pk_min_f16 v53, v4, v2
	v_pk_min_f16 v2, v136, s14 op_sel_hi:[1,0]
	s_nop 0
	v_pk_min_f16 v52, v2, v1
	v_pk_add_f16 v1, v3, v11
	s_nop 0
	v_pk_min_f16 v55, v0, v1
	s_cbranch_scc1 .LBB281_58
; %bb.32:
	v_mov_b32_e32 v0, 0x1200
	v_lshl_add_u32 v119, v44, 3, v0
	v_mov_b32_e32 v0, 0x800
	v_and_b32_e32 v2, 3, v44
	v_lshl_add_u32 v120, v45, 3, v0
	v_mad_i64_i32 v[0:1], s[10:11], s38, v28, 0
	v_lshlrev_b32_e32 v2, 1, v2
	v_mov_b32_e32 v3, 0
	v_lshl_add_u64 v[0:1], v[0:1], 1, v[2:3]
	v_lshl_add_u64 v[0:1], s[30:31], 0, v[0:1]
	v_add_u32_e32 v103, 0x1000, v42
	v_add_u32_e32 v117, 0x1200, v42
	;; [unrolled: 1-line block ×3, first 2 shown]
	s_add_i32 s36, s22, -8
	s_add_i32 s37, s22, -1
	v_lshl_add_u64 v[40:41], v[0:1], 0, 16
	s_mov_b32 s30, 0
	v_mov_b32_e32 v121, 0x7c00
	s_branch .LBB281_34
.LBB281_33:                             ;   in Loop: Header=BB281_34 Depth=1
	s_or_b64 exec, exec, s[10:11]
	v_pk_add_f16 v42, v16, v28
	v_pk_max_f16 v43, v116, v116
	v_pk_max_f16 v115, v115, v115
	v_pk_min_f16 v42, v43, v42
	v_pk_add_f16 v43, v18, v28
	v_pk_max_f16 v114, v114, v114
	v_pk_min_f16 v43, v115, v43
	v_pk_add_f16 v115, v12, v28
	v_pk_max_f16 v113, v113, v113
	v_pk_min_f16 v114, v114, v115
	v_pk_add_f16 v115, v14, v28
	v_pk_max_f16 v112, v112, v112
	v_pk_min_f16 v113, v113, v115
	v_pk_add_f16 v115, v4, v28
	v_pk_max_f16 v111, v111, v111
	v_pk_min_f16 v112, v112, v115
	v_pk_add_f16 v115, v6, v28
	v_pk_max_f16 v109, v109, v109
	v_pk_min_f16 v111, v111, v115
	v_pk_add_f16 v115, v0, v28
	v_pk_add_f16 v28, v2, v28
	v_pk_max_f16 v108, v108, v108
	v_pk_min_f16 v28, v109, v28
	v_pk_add_f16 v109, v16, v30
	v_pk_max_f16 v107, v107, v107
	v_pk_min_f16 v108, v108, v109
	v_pk_add_f16 v109, v18, v30
	v_pk_max_f16 v105, v105, v105
	v_pk_min_f16 v107, v107, v109
	v_pk_add_f16 v109, v12, v30
	v_pk_max_f16 v102, v102, v102
	v_pk_min_f16 v105, v105, v109
	v_pk_add_f16 v109, v14, v30
	v_pk_max_f16 v100, v100, v100
	v_pk_min_f16 v102, v102, v109
	v_pk_add_f16 v109, v4, v30
	v_pk_max_f16 v98, v98, v98
	v_pk_min_f16 v100, v100, v109
	v_pk_add_f16 v109, v6, v30
	v_pk_max_f16 v94, v94, v94
	v_pk_min_f16 v98, v98, v109
	v_pk_add_f16 v109, v0, v30
	v_pk_add_f16 v30, v2, v30
	v_pk_max_f16 v92, v92, v92
	v_pk_min_f16 v30, v94, v30
	v_pk_add_f16 v94, v16, v24
	;; [unrolled: 22-line block ×4, first 2 shown]
	v_pk_max_f16 v82, v82, v82
	v_pk_min_f16 v83, v83, v84
	v_pk_add_f16 v84, v18, v20
	v_pk_max_f16 v81, v81, v81
	v_pk_min_f16 v82, v82, v84
	v_pk_add_f16 v84, v12, v20
	;; [unrolled: 3-line block ×3, first 2 shown]
	v_pk_max_f16 v80, v80, v80
	v_pk_max_f16 v99, v99, v99
	v_pk_min_f16 v85, v85, v97
	v_pk_min_f16 v97, v80, v81
	v_pk_add_f16 v80, v4, v20
	v_pk_max_f16 v79, v79, v79
	v_pk_max_f16 v96, v96, v96
	v_pk_min_f16 v99, v99, v106
	v_pk_min_f16 v106, v79, v80
	v_pk_add_f16 v79, v6, v20
	v_pk_max_f16 v78, v78, v78
	v_pk_min_f16 v96, v96, v109
	v_pk_min_f16 v109, v78, v79
	v_pk_add_f16 v78, v0, v20
	v_pk_add_f16 v20, v2, v20
	v_pk_max_f16 v76, v76, v76
	v_pk_max_f16 v75, v75, v75
	v_pk_min_f16 v20, v76, v20
	v_pk_add_f16 v76, v16, v22
	v_pk_max_f16 v74, v74, v74
	v_pk_min_f16 v116, v75, v76
	v_pk_add_f16 v75, v18, v22
	;; [unrolled: 3-line block ×7, first 2 shown]
	v_pk_add_f16 v22, v2, v22
	v_pk_max_f16 v67, v67, v67
	v_pk_min_f16 v22, v68, v22
	v_pk_add_f16 v68, v16, v8
	v_pk_max_f16 v66, v66, v66
	v_pk_min_f16 v133, v67, v68
	;; [unrolled: 3-line block ×6, first 2 shown]
	v_pk_add_f16 v63, v6, v8
	v_pk_add_f16 v16, v16, v10
	v_pk_min_f16 v138, v62, v63
	v_pk_add_f16 v62, v0, v8
	v_pk_add_f16 v8, v2, v8
	;; [unrolled: 1-line block ×9, first 2 shown]
	v_pk_max_f16 v10, v55, v55
	v_pk_max_f16 v110, v110, v110
	v_pk_min_f16 v2, v10, v2
	v_pk_add_f16 v10, v17, v29
	v_pk_min_f16 v110, v110, v115
	v_pk_min_f16 v140, v42, v10
	v_pk_add_f16 v10, v19, v29
	v_pk_max_f16 v77, v77, v77
	v_pk_min_f16 v141, v43, v10
	v_pk_add_f16 v10, v13, v29
	v_pk_min_f16 v115, v77, v78
	v_pk_min_f16 v114, v114, v10
	v_pk_add_f16 v10, v15, v29
	;; [unrolled: 6-line block ×12, first 2 shown]
	v_pk_max_f16 v81, v81, v81
	v_pk_min_f16 v78, v24, v10
	v_pk_add_f16 v10, v17, v27
	v_pk_max_f16 v80, v80, v80
	v_pk_min_f16 v77, v95, v10
	v_pk_add_f16 v10, v19, v27
	;; [unrolled: 3-line block ×18, first 2 shown]
	s_add_i32 s30, s30, 8
	v_pk_min_f16 v60, v127, v10
	v_pk_add_f16 v10, v13, v23
	s_cmp_ge_i32 s30, s36
	v_pk_min_f16 v59, v128, v10
	v_pk_add_f16 v10, v15, v23
	v_lshl_add_u64 v[40:41], v[40:41], 0, 16
	v_pk_min_f16 v58, v129, v10
	v_pk_add_f16 v10, v5, v23
	s_nop 0
	v_pk_min_f16 v57, v130, v10
	v_pk_add_f16 v10, v7, v23
	s_nop 0
	;; [unrolled: 3-line block ×8, first 2 shown]
	v_pk_min_f16 v28, v136, v10
	v_pk_add_f16 v10, v5, v9
	v_pk_add_f16 v5, v5, v11
	v_pk_min_f16 v27, v137, v10
	v_pk_add_f16 v10, v7, v9
	v_pk_min_f16 v128, v4, v5
	v_pk_min_f16 v26, v138, v10
	v_pk_add_f16 v10, v1, v9
	v_pk_add_f16 v9, v3, v9
	;; [unrolled: 1-line block ×3, first 2 shown]
	v_pk_min_f16 v24, v8, v9
	v_pk_add_f16 v8, v17, v11
	v_pk_add_f16 v4, v7, v11
	v_pk_min_f16 v42, v16, v8
	v_pk_add_f16 v8, v19, v11
	v_pk_min_f16 v130, v0, v1
	v_pk_min_f16 v31, v18, v8
	v_pk_add_f16 v8, v13, v11
	v_pk_add_f16 v0, v3, v11
	v_pk_min_f16 v55, v12, v8
	v_pk_add_f16 v8, v15, v11
	v_pk_min_f16 v25, v139, v10
	v_pk_min_f16 v54, v14, v8
	;; [unrolled: 1-line block ×4, first 2 shown]
	ds_read2_b64 v[12:15], v51 offset1:8
	ds_read2_b64 v[4:7], v51 offset0:16 offset1:24
	ds_read2_b64 v[82:85], v48 offset1:32
	ds_read2_b64 v[8:11], v51 offset0:32 offset1:40
	ds_read2_b64 v[0:3], v51 offset0:48 offset1:56
	;; [unrolled: 1-line block ×4, first 2 shown]
	s_waitcnt lgkmcnt(4)
	v_pk_add_f16 v86, v12, v82
	v_pk_add_f16 v87, v14, v82
	v_pk_min_f16 v86, v109, v86
	v_pk_add_f16 v109, v13, v83
	v_pk_add_f16 v89, v4, v82
	v_pk_min_f16 v116, v86, v109
	v_pk_max_f16 v109, v141, v141
	v_pk_add_f16 v91, v6, v82
	v_pk_min_f16 v87, v109, v87
	v_pk_add_f16 v109, v15, v83
	s_waitcnt lgkmcnt(3)
	v_pk_add_f16 v93, v8, v82
	v_pk_min_f16 v115, v87, v109
	v_pk_max_f16 v109, v114, v114
	v_pk_add_f16 v94, v10, v82
	v_pk_min_f16 v89, v109, v89
	v_pk_add_f16 v109, v5, v83
	s_waitcnt lgkmcnt(2)
	v_pk_add_f16 v95, v0, v82
	v_pk_add_f16 v97, v2, v82
	s_waitcnt lgkmcnt(1)
	v_pk_add_f16 v134, v12, v20
	v_pk_add_f16 v135, v14, v20
	;; [unrolled: 1-line block ×7, first 2 shown]
	v_pk_min_f16 v114, v89, v109
	v_pk_add_f16 v89, v2, v20
	v_pk_max_f16 v20, v113, v113
	v_pk_add_f16 v99, v12, v84
	v_pk_min_f16 v20, v20, v91
	v_pk_add_f16 v91, v7, v83
	v_pk_add_f16 v101, v14, v84
	v_pk_min_f16 v113, v20, v91
	v_pk_max_f16 v20, v112, v112
	v_pk_add_f16 v104, v4, v84
	v_pk_min_f16 v20, v20, v93
	v_pk_add_f16 v93, v9, v83
	v_pk_add_f16 v106, v6, v84
	v_pk_min_f16 v112, v20, v93
	;; [unrolled: 6-line block ×3, first 2 shown]
	v_pk_max_f16 v20, v110, v110
	v_pk_add_f16 v94, v1, v83
	v_pk_min_f16 v20, v20, v95
	v_pk_add_f16 v83, v3, v83
	v_pk_min_f16 v110, v20, v94
	v_pk_max_f16 v20, v142, v142
	v_pk_add_f16 v94, v13, v85
	v_pk_min_f16 v20, v20, v97
	v_pk_add_f16 v138, v4, v22
	v_pk_min_f16 v109, v20, v83
	;; [unrolled: 5-line block ×5, first 2 shown]
	v_pk_max_f16 v20, v102, v102
	v_pk_add_f16 v142, v2, v22
	v_pk_min_f16 v20, v20, v106
	v_pk_add_f16 v22, v7, v85
	v_pk_add_f16 v131, v8, v84
	v_pk_min_f16 v102, v20, v22
	v_pk_max_f16 v22, v100, v100
	v_pk_add_f16 v20, v9, v85
	v_pk_min_f16 v22, v22, v131
	v_pk_add_f16 v132, v10, v84
	v_pk_min_f16 v100, v22, v20
	v_pk_max_f16 v22, v98, v98
	v_pk_add_f16 v20, v11, v85
	v_pk_min_f16 v22, v22, v132
	;; [unrolled: 5-line block ×5, first 2 shown]
	v_pk_min_f16 v68, v68, v142
	v_pk_min_f16 v92, v22, v20
	v_pk_max_f16 v22, v90, v90
	v_pk_add_f16 v20, v15, v21
	v_pk_min_f16 v22, v22, v135
	v_pk_add_f16 v143, v1, v23
	v_pk_min_f16 v90, v22, v20
	v_pk_max_f16 v22, v88, v88
	v_pk_add_f16 v20, v5, v21
	v_pk_min_f16 v22, v22, v136
	s_waitcnt lgkmcnt(0)
	v_pk_add_f16 v145, v12, v16
	v_pk_min_f16 v88, v22, v20
	v_pk_max_f16 v20, v144, v144
	v_pk_add_f16 v144, v3, v23
	v_pk_min_f16 v85, v20, v137
	v_pk_min_f16 v70, v70, v141
	;; [unrolled: 1-line block ×4, first 2 shown]
	v_pk_max_f16 v68, v71, v71
	v_pk_min_f16 v85, v70, v143
	v_pk_min_f16 v68, v68, v145
	v_pk_add_f16 v70, v13, v17
	v_pk_add_f16 v95, v9, v21
	;; [unrolled: 1-line block ×11, first 2 shown]
	ds_read2_b64 v[20:23], v48 offset0:192 offset1:224
	v_pk_min_f16 v81, v81, v82
	v_pk_add_f16 v82, v14, v16
	v_pk_min_f16 v73, v73, v83
	v_pk_min_f16 v83, v68, v70
	v_pk_max_f16 v68, v69, v69
	v_pk_min_f16 v104, v81, v95
	v_pk_add_f16 v81, v4, v16
	v_pk_min_f16 v68, v68, v82
	v_pk_add_f16 v69, v15, v17
	v_pk_add_f16 v146, v6, v16
	v_pk_min_f16 v82, v68, v69
	v_pk_min_f16 v67, v67, v81
	v_pk_add_f16 v68, v5, v17
	v_pk_min_f16 v80, v80, v86
	v_pk_add_f16 v147, v8, v16
	v_pk_min_f16 v81, v67, v68
	v_pk_min_f16 v66, v66, v146
	v_pk_add_f16 v67, v7, v17
	v_pk_min_f16 v101, v80, v97
	;; [unrolled: 3-line block ×3, first 2 shown]
	v_pk_min_f16 v77, v77, v91
	v_pk_min_f16 v76, v76, v93
	;; [unrolled: 1-line block ×7, first 2 shown]
	v_pk_add_f16 v66, v9, v17
	v_pk_min_f16 v99, v79, v99
	v_pk_add_f16 v149, v0, v16
	v_pk_add_f16 v16, v2, v16
	v_pk_min_f16 v97, v78, v131
	v_pk_add_f16 v131, v12, v18
	;; [unrolled: 3-line block ×5, first 2 shown]
	v_pk_add_f16 v18, v2, v18
	v_pk_min_f16 v89, v74, v135
	s_waitcnt lgkmcnt(0)
	v_pk_add_f16 v135, v12, v20
	v_pk_add_f16 v139, v14, v20
	v_pk_min_f16 v87, v73, v136
	v_pk_add_f16 v136, v4, v20
	v_pk_add_f16 v140, v6, v20
	v_pk_min_f16 v86, v72, v137
	v_pk_add_f16 v137, v8, v20
	v_pk_add_f16 v141, v10, v20
	;; [unrolled: 1-line block ×9, first 2 shown]
	v_pk_min_f16 v79, v65, v66
	v_pk_add_f16 v10, v10, v22
	v_pk_min_f16 v64, v64, v148
	v_pk_add_f16 v65, v11, v17
	v_pk_add_f16 v0, v0, v22
	v_pk_add_f16 v2, v2, v22
	v_pk_max_f16 v22, v62, v62
	v_pk_min_f16 v78, v64, v65
	v_pk_add_f16 v64, v1, v17
	v_pk_min_f16 v16, v22, v16
	v_pk_add_f16 v17, v3, v17
	v_pk_min_f16 v63, v63, v149
	v_pk_min_f16 v76, v16, v17
	v_pk_max_f16 v17, v61, v61
	v_pk_add_f16 v16, v13, v19
	v_pk_min_f16 v17, v17, v131
	v_pk_min_f16 v77, v63, v64
	;; [unrolled: 1-line block ×3, first 2 shown]
	v_pk_max_f16 v17, v60, v60
	v_pk_add_f16 v16, v15, v19
	v_pk_min_f16 v17, v17, v150
	ds_write_b16 v117, v122
	ds_write_b16 v118, v123
	ds_write_b16 v118, v124 offset:512
	ds_write_b16 v118, v125 offset:1024
	ds_write_b16 v118, v126 offset:1536
	v_pk_min_f16 v74, v17, v16
	v_pk_max_f16 v17, v59, v59
	v_pk_add_f16 v16, v5, v19
	v_pk_min_f16 v17, v17, v132
	s_waitcnt lgkmcnt(0)
	v_pk_min_f16 v73, v17, v16
	v_pk_max_f16 v17, v58, v58
	v_pk_add_f16 v16, v7, v19
	v_pk_min_f16 v17, v17, v151
	s_barrier
	v_pk_min_f16 v72, v17, v16
	v_pk_max_f16 v17, v57, v57
	v_pk_add_f16 v16, v9, v19
	v_pk_min_f16 v17, v17, v133
	s_nop 0
	v_pk_min_f16 v71, v17, v16
	v_pk_max_f16 v17, v56, v56
	v_pk_add_f16 v16, v11, v19
	v_pk_min_f16 v17, v17, v138
	s_nop 0
	;; [unrolled: 5-line block ×4, first 2 shown]
	v_pk_min_f16 v68, v17, v16
	v_pk_max_f16 v17, v53, v53
	v_pk_add_f16 v16, v13, v21
	v_pk_min_f16 v17, v17, v135
	v_pk_add_f16 v13, v13, v23
	v_pk_min_f16 v67, v17, v16
	v_pk_max_f16 v17, v52, v52
	v_pk_add_f16 v16, v15, v21
	v_pk_min_f16 v17, v17, v139
	s_nop 0
	v_pk_min_f16 v66, v17, v16
	v_pk_max_f16 v17, v30, v30
	v_pk_add_f16 v16, v5, v21
	v_pk_min_f16 v17, v17, v136
	v_pk_add_f16 v5, v5, v23
	v_pk_min_f16 v65, v17, v16
	v_pk_max_f16 v17, v28, v28
	v_pk_add_f16 v16, v7, v21
	v_pk_min_f16 v17, v17, v140
	s_nop 0
	v_pk_min_f16 v64, v17, v16
	v_pk_max_f16 v17, v27, v27
	v_pk_add_f16 v16, v9, v21
	v_pk_min_f16 v17, v17, v137
	s_nop 0
	;; [unrolled: 5-line block ×3, first 2 shown]
	v_pk_min_f16 v62, v17, v16
	v_pk_max_f16 v17, v25, v25
	v_pk_add_f16 v16, v1, v21
	v_pk_min_f16 v17, v17, v143
	v_pk_add_f16 v1, v1, v23
	v_pk_min_f16 v61, v17, v16
	v_pk_max_f16 v17, v24, v24
	v_pk_add_f16 v16, v3, v21
	v_pk_min_f16 v17, v17, v20
	s_nop 0
	v_pk_min_f16 v60, v17, v16
	v_pk_max_f16 v16, v42, v42
	s_nop 0
	v_pk_min_f16 v12, v16, v12
	s_nop 0
	v_pk_min_f16 v59, v12, v13
	v_pk_max_f16 v13, v31, v31
	v_pk_add_f16 v12, v15, v23
	v_pk_min_f16 v13, v13, v14
	s_nop 0
	v_pk_min_f16 v58, v13, v12
	v_pk_max_f16 v12, v55, v55
	s_nop 0
	v_pk_min_f16 v4, v12, v4
	s_nop 0
	v_pk_min_f16 v57, v4, v5
	v_pk_max_f16 v5, v54, v54
	v_pk_add_f16 v4, v7, v23
	v_pk_min_f16 v5, v5, v6
	s_nop 0
	v_pk_min_f16 v56, v5, v4
	v_pk_max_f16 v5, v128, v128
	v_pk_add_f16 v4, v9, v23
	;; [unrolled: 5-line block ×3, first 2 shown]
	v_pk_min_f16 v5, v5, v10
	s_nop 0
	v_pk_min_f16 v53, v5, v4
	v_pk_max_f16 v4, v130, v130
	s_nop 0
	v_pk_min_f16 v0, v4, v0
	s_nop 0
	v_pk_min_f16 v52, v0, v1
	v_pk_max_f16 v1, v129, v129
	v_pk_add_f16 v0, v3, v23
	v_pk_min_f16 v1, v1, v2
	s_nop 0
	v_pk_min_f16 v55, v1, v0
	s_cbranch_scc1 .LBB281_58
.LBB281_34:                             ; =>This Inner Loop Header: Depth=1
	v_add_u32_e32 v42, s30, v46
	v_add_u32_e32 v0, 8, v42
	v_cmp_le_i32_e64 s[10:11], s22, v0
	s_or_b64 s[10:11], s[10:11], vcc
	s_nor_b64 s[14:15], s[16:17], s[10:11]
                                        ; implicit-def: $vgpr122
	s_and_saveexec_b64 s[38:39], s[14:15]
	s_xor_b64 s[14:15], exec, s[38:39]
	s_cbranch_execz .LBB281_36
; %bb.35:                               ;   in Loop: Header=BB281_34 Depth=1
	global_load_ushort v0, v[40:41], off
	s_waitcnt vmcnt(0)
	v_mul_f16_e32 v122, s23, v0
.LBB281_36:                             ;   in Loop: Header=BB281_34 Depth=1
	s_andn2_saveexec_b64 s[14:15], s[14:15]
; %bb.37:                               ;   in Loop: Header=BB281_34 Depth=1
	v_cndmask_b32_e64 v122, 0, v121, s[10:11]
; %bb.38:                               ;   in Loop: Header=BB281_34 Depth=1
	s_or_b64 exec, exec, s[14:15]
	v_add_u32_e32 v43, s30, v47
	v_add_u32_e32 v0, 8, v43
	v_cmp_le_i32_e64 s[10:11], s22, v0
	v_min_i32_e32 v0, s37, v0
	v_mad_i64_i32 v[0:1], s[14:15], v0, s35, 0
	s_or_b64 s[14:15], s[12:13], s[10:11]
	v_lshl_add_u64 v[0:1], v[0:1], 1, s[28:29]
	v_cndmask_b32_e64 v123, 0, v121, s[14:15]
	s_nor_b64 s[38:39], s[16:17], s[14:15]
	s_and_saveexec_b64 s[14:15], s[38:39]
	s_cbranch_execz .LBB281_40
; %bb.39:                               ;   in Loop: Header=BB281_34 Depth=1
	v_lshl_add_u64 v[2:3], v[32:33], 1, v[0:1]
	global_load_ushort v2, v[2:3], off
	s_waitcnt vmcnt(0)
	v_mul_f16_e32 v123, s23, v2
.LBB281_40:                             ;   in Loop: Header=BB281_34 Depth=1
	s_or_b64 exec, exec, s[14:15]
	s_or_b64 s[14:15], s[4:5], s[10:11]
	v_cndmask_b32_e64 v124, 0, v121, s[14:15]
	s_nor_b64 s[38:39], s[14:15], s[16:17]
	s_and_saveexec_b64 s[14:15], s[38:39]
	s_cbranch_execz .LBB281_42
; %bb.41:                               ;   in Loop: Header=BB281_34 Depth=1
	v_lshl_add_u64 v[2:3], v[34:35], 1, v[0:1]
	global_load_ushort v2, v[2:3], off
	s_waitcnt vmcnt(0)
	v_mul_f16_e32 v124, s23, v2
.LBB281_42:                             ;   in Loop: Header=BB281_34 Depth=1
	s_or_b64 exec, exec, s[14:15]
	s_or_b64 s[14:15], s[6:7], s[10:11]
	;; [unrolled: 12-line block ×3, first 2 shown]
	v_cndmask_b32_e64 v126, 0, v121, s[10:11]
	s_nor_b64 s[14:15], s[10:11], s[16:17]
	s_and_saveexec_b64 s[10:11], s[14:15]
	s_cbranch_execz .LBB281_46
; %bb.45:                               ;   in Loop: Header=BB281_34 Depth=1
	v_lshl_add_u64 v[0:1], v[38:39], 1, v[0:1]
	global_load_ushort v0, v[0:1], off
	s_waitcnt vmcnt(0)
	v_mul_f16_e32 v126, s23, v0
.LBB281_46:                             ;   in Loop: Header=BB281_34 Depth=1
	s_or_b64 exec, exec, s[10:11]
	ds_read2_b64 v[16:19], v119 offset1:8
	ds_read2_b64 v[12:15], v119 offset0:16 offset1:24
	ds_read2_b64 v[4:7], v119 offset0:32 offset1:40
	;; [unrolled: 1-line block ×3, first 2 shown]
	ds_read2_b64 v[28:31], v120 offset1:32
	ds_read2_b64 v[24:27], v120 offset0:64 offset1:96
	ds_read2_b64 v[20:23], v120 offset0:128 offset1:160
	;; [unrolled: 1-line block ×3, first 2 shown]
	v_add_u32_e32 v42, 12, v42
	v_cmp_le_i32_e64 s[10:11], s22, v42
	s_or_b64 s[10:11], s[10:11], vcc
	s_nor_b64 s[14:15], s[16:17], s[10:11]
	ds_write_b16 v103, v122
	ds_write_b16 v50, v123
	ds_write_b16 v50, v124 offset:512
	ds_write_b16 v50, v125 offset:1024
	ds_write_b16 v50, v126 offset:1536
	s_waitcnt lgkmcnt(0)
	s_barrier
                                        ; implicit-def: $vgpr122
	s_and_saveexec_b64 s[38:39], s[14:15]
	s_xor_b64 s[14:15], exec, s[38:39]
	s_cbranch_execz .LBB281_48
; %bb.47:                               ;   in Loop: Header=BB281_34 Depth=1
	global_load_ushort v42, v[40:41], off offset:8
	s_waitcnt vmcnt(0)
	v_mul_f16_e32 v122, s23, v42
.LBB281_48:                             ;   in Loop: Header=BB281_34 Depth=1
	s_andn2_saveexec_b64 s[14:15], s[14:15]
; %bb.49:                               ;   in Loop: Header=BB281_34 Depth=1
	v_cndmask_b32_e64 v122, 0, v121, s[10:11]
; %bb.50:                               ;   in Loop: Header=BB281_34 Depth=1
	s_or_b64 exec, exec, s[14:15]
	v_add_u32_e32 v42, 12, v43
	v_cmp_le_i32_e64 s[10:11], s22, v42
	v_min_i32_e32 v42, s37, v42
	v_mad_i64_i32 v[42:43], s[14:15], v42, s35, 0
	s_or_b64 s[14:15], s[12:13], s[10:11]
	v_lshl_add_u64 v[42:43], v[42:43], 1, s[28:29]
	v_cndmask_b32_e64 v123, 0, v121, s[14:15]
	s_nor_b64 s[38:39], s[16:17], s[14:15]
	s_and_saveexec_b64 s[14:15], s[38:39]
	s_cbranch_execz .LBB281_52
; %bb.51:                               ;   in Loop: Header=BB281_34 Depth=1
	v_lshl_add_u64 v[124:125], v[32:33], 1, v[42:43]
	global_load_ushort v123, v[124:125], off
	s_waitcnt vmcnt(0)
	v_mul_f16_e32 v123, s23, v123
.LBB281_52:                             ;   in Loop: Header=BB281_34 Depth=1
	s_or_b64 exec, exec, s[14:15]
	s_or_b64 s[14:15], s[4:5], s[10:11]
	v_cndmask_b32_e64 v124, 0, v121, s[14:15]
	s_nor_b64 s[38:39], s[14:15], s[16:17]
	s_and_saveexec_b64 s[14:15], s[38:39]
	s_cbranch_execz .LBB281_54
; %bb.53:                               ;   in Loop: Header=BB281_34 Depth=1
	v_lshl_add_u64 v[124:125], v[34:35], 1, v[42:43]
	global_load_ushort v124, v[124:125], off
	s_waitcnt vmcnt(0)
	v_mul_f16_e32 v124, s23, v124
.LBB281_54:                             ;   in Loop: Header=BB281_34 Depth=1
	s_or_b64 exec, exec, s[14:15]
	s_or_b64 s[14:15], s[6:7], s[10:11]
	;; [unrolled: 12-line block ×3, first 2 shown]
	v_cndmask_b32_e64 v126, 0, v121, s[10:11]
	s_nor_b64 s[14:15], s[10:11], s[16:17]
	s_and_saveexec_b64 s[10:11], s[14:15]
	s_cbranch_execz .LBB281_33
; %bb.57:                               ;   in Loop: Header=BB281_34 Depth=1
	v_lshl_add_u64 v[42:43], v[38:39], 1, v[42:43]
	global_load_ushort v42, v[42:43], off
	s_waitcnt vmcnt(0)
	v_mul_f16_e32 v126, s23, v42
	s_branch .LBB281_33
.LBB281_58:
	s_load_dwordx2 s[4:5], s[0:1], 0x70
	s_load_dword s29, s[0:1], 0x50
	s_load_dword s28, s[0:1], 0x68
	v_add_u32_e32 v0, 0x1000, v49
	v_add_u32_e32 v4, 0x800, v48
	s_waitcnt lgkmcnt(0)
	s_mul_i32 s1, s5, s3
	s_mul_hi_u32 s5, s4, s3
	s_mul_i32 s0, s4, s3
	s_add_i32 s1, s5, s1
	ds_read2_b64 v[16:19], v0 offset0:64 offset1:72
	ds_read2_b64 v[12:15], v0 offset0:80 offset1:88
	;; [unrolled: 1-line block ×4, first 2 shown]
	ds_read2_b64 v[28:31], v4 offset1:32
	ds_read2_b64 v[24:27], v4 offset0:64 offset1:96
	ds_read2_b64 v[20:23], v4 offset0:128 offset1:160
	;; [unrolled: 1-line block ×3, first 2 shown]
	s_lshl_b64 s[0:1], s[0:1], 1
	s_add_u32 s22, s18, s0
	v_add_u32_e32 v103, s34, v45
	s_addc_u32 s23, s19, s1
	v_mad_i64_i32 v[34:35], s[0:1], v103, s29, 0
	v_add_u32_e32 v32, s2, v44
	v_lshl_add_u64 v[50:51], v[34:35], 1, s[24:25]
	v_mad_i64_i32 v[34:35], s[0:1], v103, s28, 0
	v_cmp_gt_i32_e64 s[2:3], s20, v32
	v_cmp_gt_i32_e64 s[18:19], s21, v103
	v_lshl_add_u64 v[48:49], v[34:35], 1, s[22:23]
	v_cndmask_b32_e64 v34, 0, 1, s[26:27]
	v_ashrrev_i32_e32 v33, 31, v32
	s_and_b64 s[6:7], s[2:3], s[18:19]
	v_cmp_ne_u32_e64 s[0:1], 1, v34
	s_and_saveexec_b64 s[4:5], s[6:7]
	s_cbranch_execz .LBB281_64
; %bb.59:
	s_and_b64 vcc, exec, s[0:1]
	s_cbranch_vccnz .LBB281_62
; %bb.60:
	v_lshl_add_u64 v[34:35], v[32:33], 1, v[50:51]
	global_load_ushort v34, v[34:35], off
	s_waitcnt vmcnt(0)
	v_mul_f16_e32 v34, s33, v34
	v_cvt_f32_f16_e32 v34, v34
	s_branch .LBB281_63
.LBB281_61:
	s_mov_b64 s[30:31], 0
	s_andn2_b64 vcc, exec, s[8:9]
	s_mov_b64 s[4:5], -1
	s_cbranch_vccz .LBB281_2
	s_branch .LBB281_3
.LBB281_62:
	v_mov_b32_e32 v34, 0
.LBB281_63:
	s_waitcnt lgkmcnt(3)
	v_pk_add_f16 v35, v16, v28
	v_max_f16_e32 v36, v116, v116
	v_pk_add_f16 v38, v17, v29
	v_min_f16_e32 v36, v36, v35
	v_lshrrev_b32_e32 v37, 16, v116
	v_lshrrev_b32_e32 v35, 16, v35
	;; [unrolled: 1-line block ×3, first 2 shown]
	v_min3_f16 v35, v37, v35, v39
	v_min3_f16 v35, v36, v38, v35
	v_cvt_f32_f16_e32 v35, v35
	v_max_f32_e32 v34, v34, v34
	v_min_f32_e32 v34, v34, v35
	v_cvt_f16_f32_e32 v36, v34
	v_lshl_add_u64 v[34:35], v[32:33], 1, v[48:49]
	global_store_short v[34:35], v36, off
.LBB281_64:
	s_or_b64 exec, exec, s[4:5]
	v_add_u32_e32 v34, 8, v32
	v_cmp_gt_i32_e64 s[4:5], s20, v34
	v_ashrrev_i32_e32 v35, 31, v34
	s_and_b64 s[8:9], s[4:5], s[18:19]
	s_and_saveexec_b64 s[6:7], s[8:9]
	s_cbranch_execz .LBB281_69
; %bb.65:
	s_and_b64 vcc, exec, s[0:1]
	s_cbranch_vccnz .LBB281_67
; %bb.66:
	v_lshl_add_u64 v[36:37], v[34:35], 1, v[50:51]
	global_load_ushort v36, v[36:37], off
	s_waitcnt vmcnt(0)
	v_mul_f16_e32 v36, s33, v36
	v_cvt_f32_f16_e32 v36, v36
	s_branch .LBB281_68
.LBB281_67:
	v_mov_b32_e32 v36, 0
.LBB281_68:
	s_waitcnt lgkmcnt(3)
	v_pk_add_f16 v37, v18, v28
	v_max_f16_e32 v38, v115, v115
	v_pk_add_f16 v40, v19, v29
	v_min_f16_e32 v38, v38, v37
	v_lshrrev_b32_e32 v39, 16, v115
	v_lshrrev_b32_e32 v37, 16, v37
	v_lshrrev_b32_e32 v41, 16, v40
	v_min3_f16 v37, v39, v37, v41
	v_min3_f16 v37, v38, v40, v37
	v_cvt_f32_f16_e32 v37, v37
	v_max_f32_e32 v36, v36, v36
	v_min_f32_e32 v36, v36, v37
	v_cvt_f16_f32_e32 v38, v36
	v_lshl_add_u64 v[36:37], v[34:35], 1, v[48:49]
	global_store_short v[36:37], v38, off
.LBB281_69:
	s_or_b64 exec, exec, s[6:7]
	v_add_u32_e32 v36, 16, v32
	v_cmp_gt_i32_e64 s[6:7], s20, v36
	v_ashrrev_i32_e32 v37, 31, v36
	s_and_b64 s[10:11], s[6:7], s[18:19]
	s_and_saveexec_b64 s[8:9], s[10:11]
	s_cbranch_execz .LBB281_74
; %bb.70:
	s_and_b64 vcc, exec, s[0:1]
	s_cbranch_vccnz .LBB281_72
; %bb.71:
	v_lshl_add_u64 v[38:39], v[36:37], 1, v[50:51]
	global_load_ushort v38, v[38:39], off
	s_waitcnt vmcnt(0)
	v_mul_f16_e32 v38, s33, v38
	v_cvt_f32_f16_e32 v38, v38
	s_branch .LBB281_73
.LBB281_72:
	v_mov_b32_e32 v38, 0
.LBB281_73:
	s_waitcnt lgkmcnt(3)
	v_pk_add_f16 v39, v12, v28
	v_max_f16_e32 v40, v114, v114
	v_pk_add_f16 v42, v13, v29
	v_min_f16_e32 v40, v40, v39
	v_lshrrev_b32_e32 v41, 16, v114
	v_lshrrev_b32_e32 v39, 16, v39
	v_lshrrev_b32_e32 v43, 16, v42
	v_min3_f16 v39, v41, v39, v43
	v_min3_f16 v39, v40, v42, v39
	v_cvt_f32_f16_e32 v39, v39
	v_max_f32_e32 v38, v38, v38
	v_min_f32_e32 v38, v38, v39
	v_cvt_f16_f32_e32 v40, v38
	v_lshl_add_u64 v[38:39], v[36:37], 1, v[48:49]
	global_store_short v[38:39], v40, off
.LBB281_74:
	;; [unrolled: 37-line block ×4, first 2 shown]
	s_or_b64 exec, exec, s[12:13]
	v_add_u32_e32 v42, 40, v32
	v_cmp_gt_i32_e64 s[12:13], s20, v42
	v_ashrrev_i32_e32 v43, 31, v42
	s_and_b64 s[16:17], s[12:13], s[18:19]
	s_and_saveexec_b64 s[14:15], s[16:17]
	s_cbranch_execz .LBB281_89
; %bb.85:
	s_and_b64 vcc, exec, s[0:1]
	s_cbranch_vccnz .LBB281_87
; %bb.86:
	v_lshl_add_u64 v[44:45], v[42:43], 1, v[50:51]
	global_load_ushort v44, v[44:45], off
	s_waitcnt vmcnt(0)
	v_mul_f16_e32 v44, s33, v44
	v_cvt_f32_f16_e32 v44, v44
	s_branch .LBB281_88
.LBB281_87:
	v_mov_b32_e32 v44, 0
.LBB281_88:
	s_waitcnt lgkmcnt(3)
	v_pk_add_f16 v45, v10, v28
	v_max_f16_e32 v46, v111, v111
	v_lshrrev_b32_e32 v47, 16, v111
	v_pk_add_f16 v111, v11, v29
	v_min_f16_e32 v46, v46, v45
	v_lshrrev_b32_e32 v45, 16, v45
	v_lshrrev_b32_e32 v112, 16, v111
	v_min3_f16 v45, v47, v45, v112
	v_min3_f16 v45, v46, v111, v45
	v_cvt_f32_f16_e32 v45, v45
	v_max_f32_e32 v44, v44, v44
	v_min_f32_e32 v44, v44, v45
	v_cvt_f16_f32_e32 v46, v44
	v_lshl_add_u64 v[44:45], v[42:43], 1, v[48:49]
	global_store_short v[44:45], v46, off
.LBB281_89:
	s_or_b64 exec, exec, s[14:15]
	v_add_u32_e32 v44, 48, v32
	v_cmp_gt_i32_e64 s[14:15], s20, v44
	v_ashrrev_i32_e32 v45, 31, v44
	s_and_b64 s[26:27], s[14:15], s[18:19]
	s_and_saveexec_b64 s[16:17], s[26:27]
	s_cbranch_execz .LBB281_94
; %bb.90:
	s_and_b64 vcc, exec, s[0:1]
	s_cbranch_vccnz .LBB281_92
; %bb.91:
	v_lshl_add_u64 v[46:47], v[44:45], 1, v[50:51]
	global_load_ushort v46, v[46:47], off
	s_waitcnt vmcnt(0)
	v_mul_f16_e32 v46, s33, v46
	v_cvt_f32_f16_e32 v46, v46
	s_branch .LBB281_93
.LBB281_92:
	v_mov_b32_e32 v46, 0
.LBB281_93:
	s_waitcnt lgkmcnt(3)
	v_pk_add_f16 v47, v0, v28
	v_max_f16_e32 v111, v110, v110
	v_pk_add_f16 v112, v1, v29
	v_min_f16_e32 v111, v111, v47
	v_lshrrev_b32_e32 v110, 16, v110
	v_lshrrev_b32_e32 v47, 16, v47
	;; [unrolled: 1-line block ×3, first 2 shown]
	v_min3_f16 v47, v110, v47, v113
	v_min3_f16 v47, v111, v112, v47
	v_cvt_f32_f16_e32 v47, v47
	v_max_f32_e32 v46, v46, v46
	v_min_f32_e32 v46, v46, v47
	v_cvt_f16_f32_e32 v110, v46
	v_lshl_add_u64 v[46:47], v[44:45], 1, v[48:49]
	global_store_short v[46:47], v110, off
.LBB281_94:
	s_or_b64 exec, exec, s[16:17]
	v_add_u32_e32 v46, 56, v32
	v_cmp_gt_i32_e64 s[16:17], s20, v46
	v_ashrrev_i32_e32 v47, 31, v46
	s_and_b64 s[26:27], s[16:17], s[18:19]
	s_and_saveexec_b64 s[18:19], s[26:27]
	s_cbranch_execz .LBB281_99
; %bb.95:
	s_and_b64 vcc, exec, s[0:1]
	s_cbranch_vccnz .LBB281_97
; %bb.96:
	v_lshl_add_u64 v[50:51], v[46:47], 1, v[50:51]
	global_load_ushort v50, v[50:51], off
	s_waitcnt vmcnt(0)
	v_mul_f16_e32 v50, s33, v50
	v_cvt_f32_f16_e32 v50, v50
	s_branch .LBB281_98
.LBB281_97:
	v_mov_b32_e32 v50, 0
.LBB281_98:
	s_waitcnt lgkmcnt(3)
	v_pk_add_f16 v28, v2, v28
	v_max_f16_e32 v51, v109, v109
	v_pk_add_f16 v29, v3, v29
	v_min_f16_e32 v51, v51, v28
	v_lshrrev_b32_e32 v109, 16, v109
	v_lshrrev_b32_e32 v28, 16, v28
	;; [unrolled: 1-line block ×3, first 2 shown]
	v_min3_f16 v28, v109, v28, v110
	v_min3_f16 v28, v51, v29, v28
	v_cvt_f32_f16_e32 v28, v28
	v_max_f32_e32 v29, v50, v50
	v_min_f32_e32 v28, v29, v28
	v_cvt_f16_f32_e32 v50, v28
	v_lshl_add_u64 v[28:29], v[46:47], 1, v[48:49]
	global_store_short v[28:29], v50, off
.LBB281_99:
	s_or_b64 exec, exec, s[18:19]
	v_add_u32_e32 v50, 32, v103
	s_waitcnt lgkmcnt(3)
	v_mad_i64_i32 v[28:29], s[26:27], v50, s29, 0
	v_cmp_gt_i32_e64 s[18:19], s21, v50
	v_lshl_add_u64 v[48:49], v[28:29], 1, s[24:25]
	v_mad_i64_i32 v[28:29], s[26:27], v50, s28, 0
	v_lshl_add_u64 v[28:29], v[28:29], 1, s[22:23]
	s_and_b64 s[30:31], s[2:3], s[18:19]
	s_and_saveexec_b64 s[26:27], s[30:31]
	s_cbranch_execnz .LBB281_107
; %bb.100:
	s_or_b64 exec, exec, s[26:27]
	s_and_b64 s[30:31], s[4:5], s[18:19]
	s_and_saveexec_b64 s[26:27], s[30:31]
	s_cbranch_execnz .LBB281_111
.LBB281_101:
	s_or_b64 exec, exec, s[26:27]
	s_and_b64 s[30:31], s[6:7], s[18:19]
	s_and_saveexec_b64 s[26:27], s[30:31]
	s_cbranch_execnz .LBB281_115
.LBB281_102:
	s_or_b64 exec, exec, s[26:27]
	s_and_b64 s[30:31], s[8:9], s[18:19]
	s_and_saveexec_b64 s[26:27], s[30:31]
	s_cbranch_execnz .LBB281_119
.LBB281_103:
	s_or_b64 exec, exec, s[26:27]
	s_and_b64 s[30:31], s[10:11], s[18:19]
	s_and_saveexec_b64 s[26:27], s[30:31]
	s_cbranch_execnz .LBB281_123
.LBB281_104:
	s_or_b64 exec, exec, s[26:27]
	s_and_b64 s[30:31], s[12:13], s[18:19]
	s_and_saveexec_b64 s[26:27], s[30:31]
	s_cbranch_execnz .LBB281_127
.LBB281_105:
	s_or_b64 exec, exec, s[26:27]
	s_and_b64 s[30:31], s[14:15], s[18:19]
	s_and_saveexec_b64 s[26:27], s[30:31]
	s_cbranch_execnz .LBB281_131
.LBB281_106:
	s_or_b64 exec, exec, s[26:27]
	s_and_b64 s[26:27], s[16:17], s[18:19]
	s_and_saveexec_b64 s[18:19], s[26:27]
	s_cbranch_execnz .LBB281_135
	s_branch .LBB281_139
.LBB281_107:
	s_and_b64 vcc, exec, s[0:1]
	s_cbranch_vccnz .LBB281_109
; %bb.108:
	v_lshl_add_u64 v[50:51], v[32:33], 1, v[48:49]
	global_load_ushort v50, v[50:51], off
	s_waitcnt vmcnt(0)
	v_mul_f16_e32 v50, s33, v50
	v_cvt_f32_f16_e32 v50, v50
	s_branch .LBB281_110
.LBB281_109:
	v_mov_b32_e32 v50, 0
.LBB281_110:
	v_pk_add_f16 v51, v16, v30
	v_max_f16_e32 v109, v108, v108
	v_pk_add_f16 v110, v17, v31
	v_min_f16_e32 v109, v109, v51
	v_lshrrev_b32_e32 v108, 16, v108
	v_lshrrev_b32_e32 v51, 16, v51
	;; [unrolled: 1-line block ×3, first 2 shown]
	v_min3_f16 v51, v108, v51, v111
	v_min3_f16 v51, v109, v110, v51
	v_cvt_f32_f16_e32 v51, v51
	v_max_f32_e32 v50, v50, v50
	v_min_f32_e32 v50, v50, v51
	v_cvt_f16_f32_e32 v108, v50
	v_lshl_add_u64 v[50:51], v[32:33], 1, v[28:29]
	global_store_short v[50:51], v108, off
	s_or_b64 exec, exec, s[26:27]
	s_and_b64 s[30:31], s[4:5], s[18:19]
	s_and_saveexec_b64 s[26:27], s[30:31]
	s_cbranch_execz .LBB281_101
.LBB281_111:
	s_and_b64 vcc, exec, s[0:1]
	s_cbranch_vccnz .LBB281_113
; %bb.112:
	v_lshl_add_u64 v[50:51], v[34:35], 1, v[48:49]
	global_load_ushort v50, v[50:51], off
	s_waitcnt vmcnt(0)
	v_mul_f16_e32 v50, s33, v50
	v_cvt_f32_f16_e32 v50, v50
	s_branch .LBB281_114
.LBB281_113:
	v_mov_b32_e32 v50, 0
.LBB281_114:
	v_pk_add_f16 v51, v18, v30
	v_max_f16_e32 v108, v107, v107
	v_pk_add_f16 v109, v19, v31
	v_min_f16_e32 v108, v108, v51
	v_lshrrev_b32_e32 v107, 16, v107
	v_lshrrev_b32_e32 v51, 16, v51
	;; [unrolled: 1-line block ×3, first 2 shown]
	v_min3_f16 v51, v107, v51, v110
	v_min3_f16 v51, v108, v109, v51
	v_cvt_f32_f16_e32 v51, v51
	v_max_f32_e32 v50, v50, v50
	v_min_f32_e32 v50, v50, v51
	v_cvt_f16_f32_e32 v107, v50
	v_lshl_add_u64 v[50:51], v[34:35], 1, v[28:29]
	global_store_short v[50:51], v107, off
	s_or_b64 exec, exec, s[26:27]
	s_and_b64 s[30:31], s[6:7], s[18:19]
	s_and_saveexec_b64 s[26:27], s[30:31]
	s_cbranch_execz .LBB281_102
.LBB281_115:
	s_and_b64 vcc, exec, s[0:1]
	s_cbranch_vccnz .LBB281_117
; %bb.116:
	v_lshl_add_u64 v[50:51], v[36:37], 1, v[48:49]
	global_load_ushort v50, v[50:51], off
	s_waitcnt vmcnt(0)
	v_mul_f16_e32 v50, s33, v50
	v_cvt_f32_f16_e32 v50, v50
	s_branch .LBB281_118
.LBB281_117:
	v_mov_b32_e32 v50, 0
.LBB281_118:
	v_pk_add_f16 v51, v12, v30
	v_max_f16_e32 v107, v105, v105
	v_pk_add_f16 v108, v13, v31
	v_min_f16_e32 v107, v107, v51
	v_lshrrev_b32_e32 v105, 16, v105
	v_lshrrev_b32_e32 v51, 16, v51
	;; [unrolled: 1-line block ×3, first 2 shown]
	v_min3_f16 v51, v105, v51, v109
	v_min3_f16 v51, v107, v108, v51
	v_cvt_f32_f16_e32 v51, v51
	v_max_f32_e32 v50, v50, v50
	v_min_f32_e32 v50, v50, v51
	v_cvt_f16_f32_e32 v105, v50
	v_lshl_add_u64 v[50:51], v[36:37], 1, v[28:29]
	global_store_short v[50:51], v105, off
	s_or_b64 exec, exec, s[26:27]
	s_and_b64 s[30:31], s[8:9], s[18:19]
	s_and_saveexec_b64 s[26:27], s[30:31]
	s_cbranch_execz .LBB281_103
.LBB281_119:
	s_and_b64 vcc, exec, s[0:1]
	s_cbranch_vccnz .LBB281_121
; %bb.120:
	v_lshl_add_u64 v[50:51], v[38:39], 1, v[48:49]
	global_load_ushort v50, v[50:51], off
	s_waitcnt vmcnt(0)
	v_mul_f16_e32 v50, s33, v50
	v_cvt_f32_f16_e32 v50, v50
	s_branch .LBB281_122
.LBB281_121:
	v_mov_b32_e32 v50, 0
.LBB281_122:
	v_pk_add_f16 v51, v14, v30
	v_max_f16_e32 v105, v102, v102
	v_pk_add_f16 v107, v15, v31
	v_min_f16_e32 v105, v105, v51
	v_lshrrev_b32_e32 v102, 16, v102
	v_lshrrev_b32_e32 v51, 16, v51
	;; [unrolled: 1-line block ×3, first 2 shown]
	v_min3_f16 v51, v102, v51, v108
	v_min3_f16 v51, v105, v107, v51
	v_cvt_f32_f16_e32 v51, v51
	v_max_f32_e32 v50, v50, v50
	v_min_f32_e32 v50, v50, v51
	v_cvt_f16_f32_e32 v102, v50
	v_lshl_add_u64 v[50:51], v[38:39], 1, v[28:29]
	global_store_short v[50:51], v102, off
	s_or_b64 exec, exec, s[26:27]
	s_and_b64 s[30:31], s[10:11], s[18:19]
	s_and_saveexec_b64 s[26:27], s[30:31]
	s_cbranch_execz .LBB281_104
.LBB281_123:
	s_and_b64 vcc, exec, s[0:1]
	s_cbranch_vccnz .LBB281_125
; %bb.124:
	v_lshl_add_u64 v[50:51], v[40:41], 1, v[48:49]
	global_load_ushort v50, v[50:51], off
	s_waitcnt vmcnt(0)
	v_mul_f16_e32 v50, s33, v50
	v_cvt_f32_f16_e32 v50, v50
	s_branch .LBB281_126
.LBB281_125:
	v_mov_b32_e32 v50, 0
.LBB281_126:
	v_pk_add_f16 v51, v8, v30
	v_max_f16_e32 v102, v100, v100
	v_pk_add_f16 v105, v9, v31
	v_min_f16_e32 v102, v102, v51
	v_lshrrev_b32_e32 v100, 16, v100
	v_lshrrev_b32_e32 v51, 16, v51
	;; [unrolled: 1-line block ×3, first 2 shown]
	v_min3_f16 v51, v100, v51, v107
	v_min3_f16 v51, v102, v105, v51
	v_cvt_f32_f16_e32 v51, v51
	v_max_f32_e32 v50, v50, v50
	v_min_f32_e32 v50, v50, v51
	v_cvt_f16_f32_e32 v100, v50
	v_lshl_add_u64 v[50:51], v[40:41], 1, v[28:29]
	global_store_short v[50:51], v100, off
	s_or_b64 exec, exec, s[26:27]
	s_and_b64 s[30:31], s[12:13], s[18:19]
	s_and_saveexec_b64 s[26:27], s[30:31]
	s_cbranch_execz .LBB281_105
.LBB281_127:
	s_and_b64 vcc, exec, s[0:1]
	s_cbranch_vccnz .LBB281_129
; %bb.128:
	v_lshl_add_u64 v[50:51], v[42:43], 1, v[48:49]
	global_load_ushort v50, v[50:51], off
	s_waitcnt vmcnt(0)
	v_mul_f16_e32 v50, s33, v50
	v_cvt_f32_f16_e32 v50, v50
	s_branch .LBB281_130
.LBB281_129:
	v_mov_b32_e32 v50, 0
.LBB281_130:
	v_pk_add_f16 v51, v10, v30
	v_max_f16_e32 v100, v98, v98
	v_pk_add_f16 v102, v11, v31
	v_min_f16_e32 v100, v100, v51
	v_lshrrev_b32_e32 v98, 16, v98
	v_lshrrev_b32_e32 v51, 16, v51
	;; [unrolled: 1-line block ×3, first 2 shown]
	v_min3_f16 v51, v98, v51, v105
	v_min3_f16 v51, v100, v102, v51
	v_cvt_f32_f16_e32 v51, v51
	v_max_f32_e32 v50, v50, v50
	v_min_f32_e32 v50, v50, v51
	v_cvt_f16_f32_e32 v98, v50
	v_lshl_add_u64 v[50:51], v[42:43], 1, v[28:29]
	global_store_short v[50:51], v98, off
	s_or_b64 exec, exec, s[26:27]
	s_and_b64 s[30:31], s[14:15], s[18:19]
	s_and_saveexec_b64 s[26:27], s[30:31]
	s_cbranch_execz .LBB281_106
.LBB281_131:
	s_and_b64 vcc, exec, s[0:1]
	s_cbranch_vccnz .LBB281_133
; %bb.132:
	v_lshl_add_u64 v[50:51], v[44:45], 1, v[48:49]
	global_load_ushort v50, v[50:51], off
	s_waitcnt vmcnt(0)
	v_mul_f16_e32 v50, s33, v50
	v_cvt_f32_f16_e32 v50, v50
	s_branch .LBB281_134
.LBB281_133:
	v_mov_b32_e32 v50, 0
.LBB281_134:
	v_pk_add_f16 v51, v0, v30
	v_max_f16_e32 v98, v96, v96
	v_pk_add_f16 v100, v1, v31
	v_min_f16_e32 v98, v98, v51
	v_lshrrev_b32_e32 v96, 16, v96
	v_lshrrev_b32_e32 v51, 16, v51
	;; [unrolled: 1-line block ×3, first 2 shown]
	v_min3_f16 v51, v96, v51, v102
	v_min3_f16 v51, v98, v100, v51
	v_cvt_f32_f16_e32 v51, v51
	v_max_f32_e32 v50, v50, v50
	v_min_f32_e32 v50, v50, v51
	v_cvt_f16_f32_e32 v96, v50
	v_lshl_add_u64 v[50:51], v[44:45], 1, v[28:29]
	global_store_short v[50:51], v96, off
	s_or_b64 exec, exec, s[26:27]
	s_and_b64 s[26:27], s[16:17], s[18:19]
	s_and_saveexec_b64 s[18:19], s[26:27]
	s_cbranch_execz .LBB281_139
.LBB281_135:
	s_and_b64 vcc, exec, s[0:1]
	s_cbranch_vccnz .LBB281_137
; %bb.136:
	v_lshl_add_u64 v[48:49], v[46:47], 1, v[48:49]
	global_load_ushort v48, v[48:49], off
	s_waitcnt vmcnt(0)
	v_mul_f16_e32 v48, s33, v48
	v_cvt_f32_f16_e32 v48, v48
	s_branch .LBB281_138
.LBB281_137:
	v_mov_b32_e32 v48, 0
.LBB281_138:
	v_pk_add_f16 v30, v2, v30
	v_max_f16_e32 v49, v94, v94
	v_pk_add_f16 v31, v3, v31
	v_min_f16_e32 v49, v49, v30
	v_lshrrev_b32_e32 v50, 16, v94
	v_lshrrev_b32_e32 v30, 16, v30
	;; [unrolled: 1-line block ×3, first 2 shown]
	v_min3_f16 v30, v50, v30, v51
	v_min3_f16 v30, v49, v31, v30
	v_cvt_f32_f16_e32 v30, v30
	v_max_f32_e32 v31, v48, v48
	v_lshl_add_u64 v[28:29], v[46:47], 1, v[28:29]
	v_min_f32_e32 v30, v31, v30
	v_cvt_f16_f32_e32 v30, v30
	global_store_short v[28:29], v30, off
.LBB281_139:
	s_or_b64 exec, exec, s[18:19]
	v_add_u32_e32 v48, 64, v103
	v_mad_i64_i32 v[28:29], s[26:27], v48, s29, 0
	v_cmp_gt_i32_e64 s[18:19], s21, v48
	v_lshl_add_u64 v[30:31], v[28:29], 1, s[24:25]
	v_mad_i64_i32 v[28:29], s[26:27], v48, s28, 0
	v_lshl_add_u64 v[28:29], v[28:29], 1, s[22:23]
	s_and_b64 s[30:31], s[2:3], s[18:19]
	s_and_saveexec_b64 s[26:27], s[30:31]
	s_cbranch_execnz .LBB281_147
; %bb.140:
	s_or_b64 exec, exec, s[26:27]
	s_and_b64 s[30:31], s[4:5], s[18:19]
	s_and_saveexec_b64 s[26:27], s[30:31]
	s_cbranch_execnz .LBB281_151
.LBB281_141:
	s_or_b64 exec, exec, s[26:27]
	s_and_b64 s[30:31], s[6:7], s[18:19]
	s_and_saveexec_b64 s[26:27], s[30:31]
	s_cbranch_execnz .LBB281_155
.LBB281_142:
	s_or_b64 exec, exec, s[26:27]
	s_and_b64 s[30:31], s[8:9], s[18:19]
	s_and_saveexec_b64 s[26:27], s[30:31]
	s_cbranch_execnz .LBB281_159
.LBB281_143:
	s_or_b64 exec, exec, s[26:27]
	s_and_b64 s[30:31], s[10:11], s[18:19]
	s_and_saveexec_b64 s[26:27], s[30:31]
	s_cbranch_execnz .LBB281_163
.LBB281_144:
	s_or_b64 exec, exec, s[26:27]
	s_and_b64 s[30:31], s[12:13], s[18:19]
	s_and_saveexec_b64 s[26:27], s[30:31]
	s_cbranch_execnz .LBB281_167
.LBB281_145:
	s_or_b64 exec, exec, s[26:27]
	s_and_b64 s[30:31], s[14:15], s[18:19]
	s_and_saveexec_b64 s[26:27], s[30:31]
	s_cbranch_execnz .LBB281_171
.LBB281_146:
	s_or_b64 exec, exec, s[26:27]
	s_and_b64 s[26:27], s[16:17], s[18:19]
	s_and_saveexec_b64 s[18:19], s[26:27]
	s_cbranch_execnz .LBB281_175
	s_branch .LBB281_179
.LBB281_147:
	s_and_b64 vcc, exec, s[0:1]
	s_cbranch_vccnz .LBB281_149
; %bb.148:
	v_lshl_add_u64 v[48:49], v[32:33], 1, v[30:31]
	global_load_ushort v48, v[48:49], off
	s_waitcnt vmcnt(0)
	v_mul_f16_e32 v48, s33, v48
	v_cvt_f32_f16_e32 v48, v48
	s_branch .LBB281_150
.LBB281_149:
	v_mov_b32_e32 v48, 0
.LBB281_150:
	s_waitcnt lgkmcnt(2)
	v_pk_add_f16 v49, v16, v24
	v_max_f16_e32 v50, v92, v92
	v_lshrrev_b32_e32 v51, 16, v92
	v_pk_add_f16 v92, v17, v25
	v_min_f16_e32 v50, v50, v49
	v_lshrrev_b32_e32 v49, 16, v49
	v_lshrrev_b32_e32 v94, 16, v92
	v_min3_f16 v49, v51, v49, v94
	v_min3_f16 v49, v50, v92, v49
	v_cvt_f32_f16_e32 v49, v49
	v_max_f32_e32 v48, v48, v48
	v_min_f32_e32 v48, v48, v49
	v_cvt_f16_f32_e32 v50, v48
	v_lshl_add_u64 v[48:49], v[32:33], 1, v[28:29]
	global_store_short v[48:49], v50, off
	s_or_b64 exec, exec, s[26:27]
	s_and_b64 s[30:31], s[4:5], s[18:19]
	s_and_saveexec_b64 s[26:27], s[30:31]
	s_cbranch_execz .LBB281_141
.LBB281_151:
	s_and_b64 vcc, exec, s[0:1]
	s_cbranch_vccnz .LBB281_153
; %bb.152:
	v_lshl_add_u64 v[48:49], v[34:35], 1, v[30:31]
	global_load_ushort v48, v[48:49], off
	s_waitcnt vmcnt(0)
	v_mul_f16_e32 v48, s33, v48
	v_cvt_f32_f16_e32 v48, v48
	s_branch .LBB281_154
.LBB281_153:
	v_mov_b32_e32 v48, 0
.LBB281_154:
	s_waitcnt lgkmcnt(2)
	v_pk_add_f16 v49, v18, v24
	v_max_f16_e32 v50, v90, v90
	v_lshrrev_b32_e32 v51, 16, v90
	v_pk_add_f16 v90, v19, v25
	v_min_f16_e32 v50, v50, v49
	v_lshrrev_b32_e32 v49, 16, v49
	v_lshrrev_b32_e32 v92, 16, v90
	v_min3_f16 v49, v51, v49, v92
	v_min3_f16 v49, v50, v90, v49
	v_cvt_f32_f16_e32 v49, v49
	v_max_f32_e32 v48, v48, v48
	v_min_f32_e32 v48, v48, v49
	v_cvt_f16_f32_e32 v50, v48
	v_lshl_add_u64 v[48:49], v[34:35], 1, v[28:29]
	global_store_short v[48:49], v50, off
	s_or_b64 exec, exec, s[26:27]
	s_and_b64 s[30:31], s[6:7], s[18:19]
	s_and_saveexec_b64 s[26:27], s[30:31]
	s_cbranch_execz .LBB281_142
.LBB281_155:
	s_and_b64 vcc, exec, s[0:1]
	s_cbranch_vccnz .LBB281_157
; %bb.156:
	v_lshl_add_u64 v[48:49], v[36:37], 1, v[30:31]
	global_load_ushort v48, v[48:49], off
	s_waitcnt vmcnt(0)
	v_mul_f16_e32 v48, s33, v48
	v_cvt_f32_f16_e32 v48, v48
	s_branch .LBB281_158
.LBB281_157:
	v_mov_b32_e32 v48, 0
.LBB281_158:
	s_waitcnt lgkmcnt(2)
	v_pk_add_f16 v49, v12, v24
	v_max_f16_e32 v50, v88, v88
	v_lshrrev_b32_e32 v51, 16, v88
	v_pk_add_f16 v88, v13, v25
	v_min_f16_e32 v50, v50, v49
	v_lshrrev_b32_e32 v49, 16, v49
	v_lshrrev_b32_e32 v90, 16, v88
	v_min3_f16 v49, v51, v49, v90
	v_min3_f16 v49, v50, v88, v49
	v_cvt_f32_f16_e32 v49, v49
	v_max_f32_e32 v48, v48, v48
	v_min_f32_e32 v48, v48, v49
	v_cvt_f16_f32_e32 v50, v48
	v_lshl_add_u64 v[48:49], v[36:37], 1, v[28:29]
	global_store_short v[48:49], v50, off
	s_or_b64 exec, exec, s[26:27]
	s_and_b64 s[30:31], s[8:9], s[18:19]
	s_and_saveexec_b64 s[26:27], s[30:31]
	s_cbranch_execz .LBB281_143
.LBB281_159:
	s_and_b64 vcc, exec, s[0:1]
	s_cbranch_vccnz .LBB281_161
; %bb.160:
	v_lshl_add_u64 v[48:49], v[38:39], 1, v[30:31]
	global_load_ushort v48, v[48:49], off
	s_waitcnt vmcnt(0)
	v_mul_f16_e32 v48, s33, v48
	v_cvt_f32_f16_e32 v48, v48
	s_branch .LBB281_162
.LBB281_161:
	v_mov_b32_e32 v48, 0
.LBB281_162:
	s_waitcnt lgkmcnt(2)
	v_pk_add_f16 v49, v14, v24
	v_max_f16_e32 v50, v106, v106
	v_pk_add_f16 v88, v15, v25
	v_min_f16_e32 v50, v50, v49
	v_lshrrev_b32_e32 v51, 16, v106
	v_lshrrev_b32_e32 v49, 16, v49
	;; [unrolled: 1-line block ×3, first 2 shown]
	v_min3_f16 v49, v51, v49, v90
	v_min3_f16 v49, v50, v88, v49
	v_cvt_f32_f16_e32 v49, v49
	v_max_f32_e32 v48, v48, v48
	v_min_f32_e32 v48, v48, v49
	v_cvt_f16_f32_e32 v50, v48
	v_lshl_add_u64 v[48:49], v[38:39], 1, v[28:29]
	global_store_short v[48:49], v50, off
	s_or_b64 exec, exec, s[26:27]
	s_and_b64 s[30:31], s[10:11], s[18:19]
	s_and_saveexec_b64 s[26:27], s[30:31]
	s_cbranch_execz .LBB281_144
.LBB281_163:
	s_and_b64 vcc, exec, s[0:1]
	s_cbranch_vccnz .LBB281_165
; %bb.164:
	v_lshl_add_u64 v[48:49], v[40:41], 1, v[30:31]
	global_load_ushort v48, v[48:49], off
	s_waitcnt vmcnt(0)
	v_mul_f16_e32 v48, s33, v48
	v_cvt_f32_f16_e32 v48, v48
	s_branch .LBB281_166
.LBB281_165:
	v_mov_b32_e32 v48, 0
.LBB281_166:
	s_waitcnt lgkmcnt(2)
	v_pk_add_f16 v49, v8, v24
	v_max_f16_e32 v50, v104, v104
	v_pk_add_f16 v88, v9, v25
	v_min_f16_e32 v50, v50, v49
	v_lshrrev_b32_e32 v51, 16, v104
	v_lshrrev_b32_e32 v49, 16, v49
	;; [unrolled: 1-line block ×3, first 2 shown]
	v_min3_f16 v49, v51, v49, v90
	v_min3_f16 v49, v50, v88, v49
	v_cvt_f32_f16_e32 v49, v49
	v_max_f32_e32 v48, v48, v48
	v_min_f32_e32 v48, v48, v49
	v_cvt_f16_f32_e32 v50, v48
	v_lshl_add_u64 v[48:49], v[40:41], 1, v[28:29]
	global_store_short v[48:49], v50, off
	s_or_b64 exec, exec, s[26:27]
	s_and_b64 s[30:31], s[12:13], s[18:19]
	s_and_saveexec_b64 s[26:27], s[30:31]
	s_cbranch_execz .LBB281_145
.LBB281_167:
	s_and_b64 vcc, exec, s[0:1]
	s_cbranch_vccnz .LBB281_169
; %bb.168:
	v_lshl_add_u64 v[48:49], v[42:43], 1, v[30:31]
	global_load_ushort v48, v[48:49], off
	s_waitcnt vmcnt(0)
	v_mul_f16_e32 v48, s33, v48
	v_cvt_f32_f16_e32 v48, v48
	s_branch .LBB281_170
.LBB281_169:
	v_mov_b32_e32 v48, 0
.LBB281_170:
	s_waitcnt lgkmcnt(2)
	v_pk_add_f16 v49, v10, v24
	v_max_f16_e32 v50, v101, v101
	v_pk_add_f16 v88, v11, v25
	v_min_f16_e32 v50, v50, v49
	v_lshrrev_b32_e32 v51, 16, v101
	v_lshrrev_b32_e32 v49, 16, v49
	;; [unrolled: 1-line block ×3, first 2 shown]
	v_min3_f16 v49, v51, v49, v90
	v_min3_f16 v49, v50, v88, v49
	v_cvt_f32_f16_e32 v49, v49
	v_max_f32_e32 v48, v48, v48
	v_min_f32_e32 v48, v48, v49
	v_cvt_f16_f32_e32 v50, v48
	v_lshl_add_u64 v[48:49], v[42:43], 1, v[28:29]
	global_store_short v[48:49], v50, off
	s_or_b64 exec, exec, s[26:27]
	s_and_b64 s[30:31], s[14:15], s[18:19]
	s_and_saveexec_b64 s[26:27], s[30:31]
	s_cbranch_execz .LBB281_146
.LBB281_171:
	s_and_b64 vcc, exec, s[0:1]
	s_cbranch_vccnz .LBB281_173
; %bb.172:
	v_lshl_add_u64 v[48:49], v[44:45], 1, v[30:31]
	global_load_ushort v48, v[48:49], off
	s_waitcnt vmcnt(0)
	v_mul_f16_e32 v48, s33, v48
	v_cvt_f32_f16_e32 v48, v48
	s_branch .LBB281_174
.LBB281_173:
	v_mov_b32_e32 v48, 0
.LBB281_174:
	s_waitcnt lgkmcnt(2)
	v_pk_add_f16 v49, v0, v24
	v_max_f16_e32 v50, v99, v99
	v_pk_add_f16 v88, v1, v25
	v_min_f16_e32 v50, v50, v49
	v_lshrrev_b32_e32 v51, 16, v99
	v_lshrrev_b32_e32 v49, 16, v49
	;; [unrolled: 1-line block ×3, first 2 shown]
	v_min3_f16 v49, v51, v49, v90
	v_min3_f16 v49, v50, v88, v49
	v_cvt_f32_f16_e32 v49, v49
	v_max_f32_e32 v48, v48, v48
	v_min_f32_e32 v48, v48, v49
	v_cvt_f16_f32_e32 v50, v48
	v_lshl_add_u64 v[48:49], v[44:45], 1, v[28:29]
	global_store_short v[48:49], v50, off
	s_or_b64 exec, exec, s[26:27]
	s_and_b64 s[26:27], s[16:17], s[18:19]
	s_and_saveexec_b64 s[18:19], s[26:27]
	s_cbranch_execz .LBB281_179
.LBB281_175:
	s_and_b64 vcc, exec, s[0:1]
	s_cbranch_vccnz .LBB281_177
; %bb.176:
	v_lshl_add_u64 v[30:31], v[46:47], 1, v[30:31]
	global_load_ushort v30, v[30:31], off
	s_waitcnt vmcnt(0)
	v_mul_f16_e32 v30, s33, v30
	v_cvt_f32_f16_e32 v30, v30
	s_branch .LBB281_178
.LBB281_177:
	v_mov_b32_e32 v30, 0
.LBB281_178:
	s_waitcnt lgkmcnt(2)
	v_pk_add_f16 v24, v2, v24
	v_max_f16_e32 v31, v97, v97
	v_pk_add_f16 v25, v3, v25
	v_min_f16_e32 v31, v31, v24
	v_lshrrev_b32_e32 v48, 16, v97
	v_lshrrev_b32_e32 v24, 16, v24
	;; [unrolled: 1-line block ×3, first 2 shown]
	v_min3_f16 v24, v48, v24, v49
	v_min3_f16 v24, v31, v25, v24
	v_cvt_f32_f16_e32 v24, v24
	v_max_f32_e32 v25, v30, v30
	v_min_f32_e32 v24, v25, v24
	v_cvt_f16_f32_e32 v30, v24
	v_lshl_add_u64 v[24:25], v[46:47], 1, v[28:29]
	global_store_short v[24:25], v30, off
.LBB281_179:
	s_or_b64 exec, exec, s[18:19]
	v_add_u32_e32 v30, 0x60, v103
	s_waitcnt lgkmcnt(2)
	v_mad_i64_i32 v[24:25], s[26:27], v30, s29, 0
	v_cmp_gt_i32_e64 s[18:19], s21, v30
	v_lshl_add_u64 v[28:29], v[24:25], 1, s[24:25]
	v_mad_i64_i32 v[24:25], s[26:27], v30, s28, 0
	v_lshl_add_u64 v[24:25], v[24:25], 1, s[22:23]
	s_and_b64 s[30:31], s[2:3], s[18:19]
	s_and_saveexec_b64 s[26:27], s[30:31]
	s_cbranch_execnz .LBB281_187
; %bb.180:
	s_or_b64 exec, exec, s[26:27]
	s_and_b64 s[30:31], s[4:5], s[18:19]
	s_and_saveexec_b64 s[26:27], s[30:31]
	s_cbranch_execnz .LBB281_191
.LBB281_181:
	s_or_b64 exec, exec, s[26:27]
	s_and_b64 s[30:31], s[6:7], s[18:19]
	s_and_saveexec_b64 s[26:27], s[30:31]
	s_cbranch_execnz .LBB281_195
.LBB281_182:
	s_or_b64 exec, exec, s[26:27]
	s_and_b64 s[30:31], s[8:9], s[18:19]
	s_and_saveexec_b64 s[26:27], s[30:31]
	s_cbranch_execnz .LBB281_199
.LBB281_183:
	s_or_b64 exec, exec, s[26:27]
	s_and_b64 s[30:31], s[10:11], s[18:19]
	s_and_saveexec_b64 s[26:27], s[30:31]
	s_cbranch_execnz .LBB281_203
.LBB281_184:
	s_or_b64 exec, exec, s[26:27]
	s_and_b64 s[30:31], s[12:13], s[18:19]
	s_and_saveexec_b64 s[26:27], s[30:31]
	s_cbranch_execnz .LBB281_207
.LBB281_185:
	s_or_b64 exec, exec, s[26:27]
	s_and_b64 s[30:31], s[14:15], s[18:19]
	s_and_saveexec_b64 s[26:27], s[30:31]
	s_cbranch_execnz .LBB281_211
.LBB281_186:
	s_or_b64 exec, exec, s[26:27]
	s_and_b64 s[26:27], s[16:17], s[18:19]
	s_and_saveexec_b64 s[18:19], s[26:27]
	s_cbranch_execnz .LBB281_215
	s_branch .LBB281_219
.LBB281_187:
	s_and_b64 vcc, exec, s[0:1]
	s_cbranch_vccnz .LBB281_189
; %bb.188:
	v_lshl_add_u64 v[30:31], v[32:33], 1, v[28:29]
	global_load_ushort v30, v[30:31], off
	s_waitcnt vmcnt(0)
	v_mul_f16_e32 v30, s33, v30
	v_cvt_f32_f16_e32 v30, v30
	s_branch .LBB281_190
.LBB281_189:
	v_mov_b32_e32 v30, 0
.LBB281_190:
	v_pk_add_f16 v31, v16, v26
	v_max_f16_e32 v48, v95, v95
	v_pk_add_f16 v50, v17, v27
	v_min_f16_e32 v48, v48, v31
	v_lshrrev_b32_e32 v49, 16, v95
	v_lshrrev_b32_e32 v31, 16, v31
	;; [unrolled: 1-line block ×3, first 2 shown]
	v_min3_f16 v31, v49, v31, v51
	v_min3_f16 v31, v48, v50, v31
	v_cvt_f32_f16_e32 v31, v31
	v_max_f32_e32 v30, v30, v30
	v_min_f32_e32 v30, v30, v31
	v_cvt_f16_f32_e32 v48, v30
	v_lshl_add_u64 v[30:31], v[32:33], 1, v[24:25]
	global_store_short v[30:31], v48, off
	s_or_b64 exec, exec, s[26:27]
	s_and_b64 s[30:31], s[4:5], s[18:19]
	s_and_saveexec_b64 s[26:27], s[30:31]
	s_cbranch_execz .LBB281_181
.LBB281_191:
	s_and_b64 vcc, exec, s[0:1]
	s_cbranch_vccnz .LBB281_193
; %bb.192:
	v_lshl_add_u64 v[30:31], v[34:35], 1, v[28:29]
	global_load_ushort v30, v[30:31], off
	s_waitcnt vmcnt(0)
	v_mul_f16_e32 v30, s33, v30
	v_cvt_f32_f16_e32 v30, v30
	s_branch .LBB281_194
.LBB281_193:
	v_mov_b32_e32 v30, 0
.LBB281_194:
	v_pk_add_f16 v31, v18, v26
	v_max_f16_e32 v48, v93, v93
	v_pk_add_f16 v50, v19, v27
	v_min_f16_e32 v48, v48, v31
	v_lshrrev_b32_e32 v49, 16, v93
	v_lshrrev_b32_e32 v31, 16, v31
	;; [unrolled: 1-line block ×3, first 2 shown]
	v_min3_f16 v31, v49, v31, v51
	v_min3_f16 v31, v48, v50, v31
	v_cvt_f32_f16_e32 v31, v31
	v_max_f32_e32 v30, v30, v30
	v_min_f32_e32 v30, v30, v31
	v_cvt_f16_f32_e32 v48, v30
	v_lshl_add_u64 v[30:31], v[34:35], 1, v[24:25]
	global_store_short v[30:31], v48, off
	s_or_b64 exec, exec, s[26:27]
	s_and_b64 s[30:31], s[6:7], s[18:19]
	s_and_saveexec_b64 s[26:27], s[30:31]
	s_cbranch_execz .LBB281_182
.LBB281_195:
	s_and_b64 vcc, exec, s[0:1]
	s_cbranch_vccnz .LBB281_197
; %bb.196:
	v_lshl_add_u64 v[30:31], v[36:37], 1, v[28:29]
	global_load_ushort v30, v[30:31], off
	s_waitcnt vmcnt(0)
	v_mul_f16_e32 v30, s33, v30
	v_cvt_f32_f16_e32 v30, v30
	s_branch .LBB281_198
.LBB281_197:
	v_mov_b32_e32 v30, 0
.LBB281_198:
	v_pk_add_f16 v31, v12, v26
	v_max_f16_e32 v48, v91, v91
	v_pk_add_f16 v50, v13, v27
	v_min_f16_e32 v48, v48, v31
	v_lshrrev_b32_e32 v49, 16, v91
	v_lshrrev_b32_e32 v31, 16, v31
	;; [unrolled: 1-line block ×3, first 2 shown]
	v_min3_f16 v31, v49, v31, v51
	v_min3_f16 v31, v48, v50, v31
	v_cvt_f32_f16_e32 v31, v31
	v_max_f32_e32 v30, v30, v30
	v_min_f32_e32 v30, v30, v31
	v_cvt_f16_f32_e32 v48, v30
	v_lshl_add_u64 v[30:31], v[36:37], 1, v[24:25]
	global_store_short v[30:31], v48, off
	s_or_b64 exec, exec, s[26:27]
	s_and_b64 s[30:31], s[8:9], s[18:19]
	s_and_saveexec_b64 s[26:27], s[30:31]
	s_cbranch_execz .LBB281_183
.LBB281_199:
	s_and_b64 vcc, exec, s[0:1]
	s_cbranch_vccnz .LBB281_201
; %bb.200:
	v_lshl_add_u64 v[30:31], v[38:39], 1, v[28:29]
	global_load_ushort v30, v[30:31], off
	s_waitcnt vmcnt(0)
	v_mul_f16_e32 v30, s33, v30
	v_cvt_f32_f16_e32 v30, v30
	s_branch .LBB281_202
.LBB281_201:
	v_mov_b32_e32 v30, 0
.LBB281_202:
	v_pk_add_f16 v31, v14, v26
	v_max_f16_e32 v48, v89, v89
	v_pk_add_f16 v50, v15, v27
	v_min_f16_e32 v48, v48, v31
	v_lshrrev_b32_e32 v49, 16, v89
	v_lshrrev_b32_e32 v31, 16, v31
	;; [unrolled: 1-line block ×3, first 2 shown]
	v_min3_f16 v31, v49, v31, v51
	v_min3_f16 v31, v48, v50, v31
	v_cvt_f32_f16_e32 v31, v31
	v_max_f32_e32 v30, v30, v30
	v_min_f32_e32 v30, v30, v31
	v_cvt_f16_f32_e32 v48, v30
	v_lshl_add_u64 v[30:31], v[38:39], 1, v[24:25]
	global_store_short v[30:31], v48, off
	s_or_b64 exec, exec, s[26:27]
	s_and_b64 s[30:31], s[10:11], s[18:19]
	s_and_saveexec_b64 s[26:27], s[30:31]
	s_cbranch_execz .LBB281_184
.LBB281_203:
	s_and_b64 vcc, exec, s[0:1]
	s_cbranch_vccnz .LBB281_205
; %bb.204:
	v_lshl_add_u64 v[30:31], v[40:41], 1, v[28:29]
	global_load_ushort v30, v[30:31], off
	s_waitcnt vmcnt(0)
	v_mul_f16_e32 v30, s33, v30
	v_cvt_f32_f16_e32 v30, v30
	s_branch .LBB281_206
.LBB281_205:
	v_mov_b32_e32 v30, 0
.LBB281_206:
	v_pk_add_f16 v31, v8, v26
	v_max_f16_e32 v48, v87, v87
	v_pk_add_f16 v50, v9, v27
	v_min_f16_e32 v48, v48, v31
	v_lshrrev_b32_e32 v49, 16, v87
	v_lshrrev_b32_e32 v31, 16, v31
	;; [unrolled: 1-line block ×3, first 2 shown]
	v_min3_f16 v31, v49, v31, v51
	v_min3_f16 v31, v48, v50, v31
	v_cvt_f32_f16_e32 v31, v31
	v_max_f32_e32 v30, v30, v30
	v_min_f32_e32 v30, v30, v31
	v_cvt_f16_f32_e32 v48, v30
	v_lshl_add_u64 v[30:31], v[40:41], 1, v[24:25]
	global_store_short v[30:31], v48, off
	s_or_b64 exec, exec, s[26:27]
	s_and_b64 s[30:31], s[12:13], s[18:19]
	s_and_saveexec_b64 s[26:27], s[30:31]
	s_cbranch_execz .LBB281_185
.LBB281_207:
	s_and_b64 vcc, exec, s[0:1]
	s_cbranch_vccnz .LBB281_209
; %bb.208:
	v_lshl_add_u64 v[30:31], v[42:43], 1, v[28:29]
	global_load_ushort v30, v[30:31], off
	s_waitcnt vmcnt(0)
	v_mul_f16_e32 v30, s33, v30
	v_cvt_f32_f16_e32 v30, v30
	s_branch .LBB281_210
.LBB281_209:
	v_mov_b32_e32 v30, 0
.LBB281_210:
	v_pk_add_f16 v31, v10, v26
	v_max_f16_e32 v48, v86, v86
	v_pk_add_f16 v50, v11, v27
	v_min_f16_e32 v48, v48, v31
	v_lshrrev_b32_e32 v49, 16, v86
	v_lshrrev_b32_e32 v31, 16, v31
	;; [unrolled: 1-line block ×3, first 2 shown]
	v_min3_f16 v31, v49, v31, v51
	v_min3_f16 v31, v48, v50, v31
	v_cvt_f32_f16_e32 v31, v31
	v_max_f32_e32 v30, v30, v30
	v_min_f32_e32 v30, v30, v31
	v_cvt_f16_f32_e32 v48, v30
	v_lshl_add_u64 v[30:31], v[42:43], 1, v[24:25]
	global_store_short v[30:31], v48, off
	s_or_b64 exec, exec, s[26:27]
	s_and_b64 s[30:31], s[14:15], s[18:19]
	s_and_saveexec_b64 s[26:27], s[30:31]
	s_cbranch_execz .LBB281_186
.LBB281_211:
	s_and_b64 vcc, exec, s[0:1]
	s_cbranch_vccnz .LBB281_213
; %bb.212:
	v_lshl_add_u64 v[30:31], v[44:45], 1, v[28:29]
	global_load_ushort v30, v[30:31], off
	s_waitcnt vmcnt(0)
	v_mul_f16_e32 v30, s33, v30
	v_cvt_f32_f16_e32 v30, v30
	s_branch .LBB281_214
.LBB281_213:
	v_mov_b32_e32 v30, 0
.LBB281_214:
	v_pk_add_f16 v31, v0, v26
	v_max_f16_e32 v48, v85, v85
	v_pk_add_f16 v50, v1, v27
	v_min_f16_e32 v48, v48, v31
	v_lshrrev_b32_e32 v49, 16, v85
	v_lshrrev_b32_e32 v31, 16, v31
	;; [unrolled: 1-line block ×3, first 2 shown]
	v_min3_f16 v31, v49, v31, v51
	v_min3_f16 v31, v48, v50, v31
	v_cvt_f32_f16_e32 v31, v31
	v_max_f32_e32 v30, v30, v30
	v_min_f32_e32 v30, v30, v31
	v_cvt_f16_f32_e32 v48, v30
	v_lshl_add_u64 v[30:31], v[44:45], 1, v[24:25]
	global_store_short v[30:31], v48, off
	s_or_b64 exec, exec, s[26:27]
	s_and_b64 s[26:27], s[16:17], s[18:19]
	s_and_saveexec_b64 s[18:19], s[26:27]
	s_cbranch_execz .LBB281_219
.LBB281_215:
	s_and_b64 vcc, exec, s[0:1]
	s_cbranch_vccnz .LBB281_217
; %bb.216:
	v_lshl_add_u64 v[28:29], v[46:47], 1, v[28:29]
	global_load_ushort v28, v[28:29], off
	s_waitcnt vmcnt(0)
	v_mul_f16_e32 v28, s33, v28
	v_cvt_f32_f16_e32 v28, v28
	s_branch .LBB281_218
.LBB281_217:
	v_mov_b32_e32 v28, 0
.LBB281_218:
	v_pk_add_f16 v26, v2, v26
	v_max_f16_e32 v29, v84, v84
	v_pk_add_f16 v27, v3, v27
	v_min_f16_e32 v29, v29, v26
	v_lshrrev_b32_e32 v30, 16, v84
	v_lshrrev_b32_e32 v26, 16, v26
	;; [unrolled: 1-line block ×3, first 2 shown]
	v_min3_f16 v26, v30, v26, v31
	v_min3_f16 v26, v29, v27, v26
	v_cvt_f32_f16_e32 v26, v26
	v_max_f32_e32 v27, v28, v28
	v_lshl_add_u64 v[24:25], v[46:47], 1, v[24:25]
	v_min_f32_e32 v26, v27, v26
	v_cvt_f16_f32_e32 v26, v26
	global_store_short v[24:25], v26, off
.LBB281_219:
	s_or_b64 exec, exec, s[18:19]
	v_add_u32_e32 v28, 0x80, v103
	v_mad_i64_i32 v[24:25], s[26:27], v28, s29, 0
	v_cmp_gt_i32_e64 s[18:19], s21, v28
	v_lshl_add_u64 v[26:27], v[24:25], 1, s[24:25]
	v_mad_i64_i32 v[24:25], s[26:27], v28, s28, 0
	v_lshl_add_u64 v[24:25], v[24:25], 1, s[22:23]
	s_and_b64 s[30:31], s[2:3], s[18:19]
	s_and_saveexec_b64 s[26:27], s[30:31]
	s_cbranch_execnz .LBB281_227
; %bb.220:
	s_or_b64 exec, exec, s[26:27]
	s_and_b64 s[30:31], s[4:5], s[18:19]
	s_and_saveexec_b64 s[26:27], s[30:31]
	s_cbranch_execnz .LBB281_231
.LBB281_221:
	s_or_b64 exec, exec, s[26:27]
	s_and_b64 s[30:31], s[6:7], s[18:19]
	s_and_saveexec_b64 s[26:27], s[30:31]
	s_cbranch_execnz .LBB281_235
.LBB281_222:
	s_or_b64 exec, exec, s[26:27]
	s_and_b64 s[30:31], s[8:9], s[18:19]
	s_and_saveexec_b64 s[26:27], s[30:31]
	s_cbranch_execnz .LBB281_239
.LBB281_223:
	s_or_b64 exec, exec, s[26:27]
	s_and_b64 s[30:31], s[10:11], s[18:19]
	s_and_saveexec_b64 s[26:27], s[30:31]
	s_cbranch_execnz .LBB281_243
.LBB281_224:
	s_or_b64 exec, exec, s[26:27]
	s_and_b64 s[30:31], s[12:13], s[18:19]
	s_and_saveexec_b64 s[26:27], s[30:31]
	s_cbranch_execnz .LBB281_247
.LBB281_225:
	s_or_b64 exec, exec, s[26:27]
	s_and_b64 s[30:31], s[14:15], s[18:19]
	s_and_saveexec_b64 s[26:27], s[30:31]
	s_cbranch_execnz .LBB281_251
.LBB281_226:
	s_or_b64 exec, exec, s[26:27]
	s_and_b64 s[26:27], s[16:17], s[18:19]
	s_and_saveexec_b64 s[18:19], s[26:27]
	s_cbranch_execnz .LBB281_255
	s_branch .LBB281_259
.LBB281_227:
	s_and_b64 vcc, exec, s[0:1]
	s_cbranch_vccnz .LBB281_229
; %bb.228:
	v_lshl_add_u64 v[28:29], v[32:33], 1, v[26:27]
	global_load_ushort v28, v[28:29], off
	s_waitcnt vmcnt(0)
	v_mul_f16_e32 v28, s33, v28
	v_cvt_f32_f16_e32 v28, v28
	s_branch .LBB281_230
.LBB281_229:
	v_mov_b32_e32 v28, 0
.LBB281_230:
	s_waitcnt lgkmcnt(1)
	v_pk_add_f16 v29, v16, v20
	v_max_f16_e32 v30, v83, v83
	v_pk_add_f16 v48, v17, v21
	v_min_f16_e32 v30, v30, v29
	v_lshrrev_b32_e32 v31, 16, v83
	v_lshrrev_b32_e32 v29, 16, v29
	;; [unrolled: 1-line block ×3, first 2 shown]
	v_min3_f16 v29, v31, v29, v49
	v_min3_f16 v29, v30, v48, v29
	v_cvt_f32_f16_e32 v29, v29
	v_max_f32_e32 v28, v28, v28
	v_min_f32_e32 v28, v28, v29
	v_cvt_f16_f32_e32 v30, v28
	v_lshl_add_u64 v[28:29], v[32:33], 1, v[24:25]
	global_store_short v[28:29], v30, off
	s_or_b64 exec, exec, s[26:27]
	s_and_b64 s[30:31], s[4:5], s[18:19]
	s_and_saveexec_b64 s[26:27], s[30:31]
	s_cbranch_execz .LBB281_221
.LBB281_231:
	s_and_b64 vcc, exec, s[0:1]
	s_cbranch_vccnz .LBB281_233
; %bb.232:
	v_lshl_add_u64 v[28:29], v[34:35], 1, v[26:27]
	global_load_ushort v28, v[28:29], off
	s_waitcnt vmcnt(0)
	v_mul_f16_e32 v28, s33, v28
	v_cvt_f32_f16_e32 v28, v28
	s_branch .LBB281_234
.LBB281_233:
	v_mov_b32_e32 v28, 0
.LBB281_234:
	s_waitcnt lgkmcnt(1)
	v_pk_add_f16 v29, v18, v20
	v_max_f16_e32 v30, v82, v82
	v_pk_add_f16 v48, v19, v21
	v_min_f16_e32 v30, v30, v29
	v_lshrrev_b32_e32 v31, 16, v82
	v_lshrrev_b32_e32 v29, 16, v29
	;; [unrolled: 1-line block ×3, first 2 shown]
	v_min3_f16 v29, v31, v29, v49
	v_min3_f16 v29, v30, v48, v29
	v_cvt_f32_f16_e32 v29, v29
	v_max_f32_e32 v28, v28, v28
	v_min_f32_e32 v28, v28, v29
	v_cvt_f16_f32_e32 v30, v28
	v_lshl_add_u64 v[28:29], v[34:35], 1, v[24:25]
	global_store_short v[28:29], v30, off
	s_or_b64 exec, exec, s[26:27]
	s_and_b64 s[30:31], s[6:7], s[18:19]
	s_and_saveexec_b64 s[26:27], s[30:31]
	s_cbranch_execz .LBB281_222
.LBB281_235:
	s_and_b64 vcc, exec, s[0:1]
	s_cbranch_vccnz .LBB281_237
; %bb.236:
	v_lshl_add_u64 v[28:29], v[36:37], 1, v[26:27]
	global_load_ushort v28, v[28:29], off
	s_waitcnt vmcnt(0)
	v_mul_f16_e32 v28, s33, v28
	v_cvt_f32_f16_e32 v28, v28
	s_branch .LBB281_238
.LBB281_237:
	v_mov_b32_e32 v28, 0
.LBB281_238:
	s_waitcnt lgkmcnt(1)
	v_pk_add_f16 v29, v12, v20
	v_max_f16_e32 v30, v81, v81
	v_pk_add_f16 v48, v13, v21
	v_min_f16_e32 v30, v30, v29
	v_lshrrev_b32_e32 v31, 16, v81
	v_lshrrev_b32_e32 v29, 16, v29
	;; [unrolled: 1-line block ×3, first 2 shown]
	v_min3_f16 v29, v31, v29, v49
	v_min3_f16 v29, v30, v48, v29
	v_cvt_f32_f16_e32 v29, v29
	v_max_f32_e32 v28, v28, v28
	v_min_f32_e32 v28, v28, v29
	v_cvt_f16_f32_e32 v30, v28
	v_lshl_add_u64 v[28:29], v[36:37], 1, v[24:25]
	global_store_short v[28:29], v30, off
	s_or_b64 exec, exec, s[26:27]
	s_and_b64 s[30:31], s[8:9], s[18:19]
	s_and_saveexec_b64 s[26:27], s[30:31]
	s_cbranch_execz .LBB281_223
.LBB281_239:
	s_and_b64 vcc, exec, s[0:1]
	s_cbranch_vccnz .LBB281_241
; %bb.240:
	v_lshl_add_u64 v[28:29], v[38:39], 1, v[26:27]
	global_load_ushort v28, v[28:29], off
	s_waitcnt vmcnt(0)
	v_mul_f16_e32 v28, s33, v28
	v_cvt_f32_f16_e32 v28, v28
	s_branch .LBB281_242
.LBB281_241:
	v_mov_b32_e32 v28, 0
.LBB281_242:
	s_waitcnt lgkmcnt(1)
	v_pk_add_f16 v29, v14, v20
	v_max_f16_e32 v30, v80, v80
	v_pk_add_f16 v48, v15, v21
	v_min_f16_e32 v30, v30, v29
	v_lshrrev_b32_e32 v31, 16, v80
	v_lshrrev_b32_e32 v29, 16, v29
	;; [unrolled: 1-line block ×3, first 2 shown]
	v_min3_f16 v29, v31, v29, v49
	v_min3_f16 v29, v30, v48, v29
	v_cvt_f32_f16_e32 v29, v29
	v_max_f32_e32 v28, v28, v28
	v_min_f32_e32 v28, v28, v29
	v_cvt_f16_f32_e32 v30, v28
	v_lshl_add_u64 v[28:29], v[38:39], 1, v[24:25]
	global_store_short v[28:29], v30, off
	s_or_b64 exec, exec, s[26:27]
	s_and_b64 s[30:31], s[10:11], s[18:19]
	s_and_saveexec_b64 s[26:27], s[30:31]
	s_cbranch_execz .LBB281_224
.LBB281_243:
	s_and_b64 vcc, exec, s[0:1]
	s_cbranch_vccnz .LBB281_245
; %bb.244:
	v_lshl_add_u64 v[28:29], v[40:41], 1, v[26:27]
	global_load_ushort v28, v[28:29], off
	s_waitcnt vmcnt(0)
	v_mul_f16_e32 v28, s33, v28
	v_cvt_f32_f16_e32 v28, v28
	s_branch .LBB281_246
.LBB281_245:
	v_mov_b32_e32 v28, 0
.LBB281_246:
	s_waitcnt lgkmcnt(1)
	v_pk_add_f16 v29, v8, v20
	v_max_f16_e32 v30, v79, v79
	v_pk_add_f16 v48, v9, v21
	v_min_f16_e32 v30, v30, v29
	v_lshrrev_b32_e32 v31, 16, v79
	v_lshrrev_b32_e32 v29, 16, v29
	;; [unrolled: 1-line block ×3, first 2 shown]
	v_min3_f16 v29, v31, v29, v49
	v_min3_f16 v29, v30, v48, v29
	v_cvt_f32_f16_e32 v29, v29
	v_max_f32_e32 v28, v28, v28
	v_min_f32_e32 v28, v28, v29
	v_cvt_f16_f32_e32 v30, v28
	v_lshl_add_u64 v[28:29], v[40:41], 1, v[24:25]
	global_store_short v[28:29], v30, off
	s_or_b64 exec, exec, s[26:27]
	s_and_b64 s[30:31], s[12:13], s[18:19]
	s_and_saveexec_b64 s[26:27], s[30:31]
	s_cbranch_execz .LBB281_225
.LBB281_247:
	s_and_b64 vcc, exec, s[0:1]
	s_cbranch_vccnz .LBB281_249
; %bb.248:
	v_lshl_add_u64 v[28:29], v[42:43], 1, v[26:27]
	global_load_ushort v28, v[28:29], off
	s_waitcnt vmcnt(0)
	v_mul_f16_e32 v28, s33, v28
	v_cvt_f32_f16_e32 v28, v28
	s_branch .LBB281_250
.LBB281_249:
	v_mov_b32_e32 v28, 0
.LBB281_250:
	s_waitcnt lgkmcnt(1)
	v_pk_add_f16 v29, v10, v20
	v_max_f16_e32 v30, v78, v78
	v_pk_add_f16 v48, v11, v21
	v_min_f16_e32 v30, v30, v29
	v_lshrrev_b32_e32 v31, 16, v78
	v_lshrrev_b32_e32 v29, 16, v29
	;; [unrolled: 1-line block ×3, first 2 shown]
	v_min3_f16 v29, v31, v29, v49
	v_min3_f16 v29, v30, v48, v29
	v_cvt_f32_f16_e32 v29, v29
	v_max_f32_e32 v28, v28, v28
	v_min_f32_e32 v28, v28, v29
	v_cvt_f16_f32_e32 v30, v28
	v_lshl_add_u64 v[28:29], v[42:43], 1, v[24:25]
	global_store_short v[28:29], v30, off
	s_or_b64 exec, exec, s[26:27]
	s_and_b64 s[30:31], s[14:15], s[18:19]
	s_and_saveexec_b64 s[26:27], s[30:31]
	s_cbranch_execz .LBB281_226
.LBB281_251:
	s_and_b64 vcc, exec, s[0:1]
	s_cbranch_vccnz .LBB281_253
; %bb.252:
	v_lshl_add_u64 v[28:29], v[44:45], 1, v[26:27]
	global_load_ushort v28, v[28:29], off
	s_waitcnt vmcnt(0)
	v_mul_f16_e32 v28, s33, v28
	v_cvt_f32_f16_e32 v28, v28
	s_branch .LBB281_254
.LBB281_253:
	v_mov_b32_e32 v28, 0
.LBB281_254:
	s_waitcnt lgkmcnt(1)
	v_pk_add_f16 v29, v0, v20
	v_max_f16_e32 v30, v77, v77
	v_pk_add_f16 v48, v1, v21
	v_min_f16_e32 v30, v30, v29
	v_lshrrev_b32_e32 v31, 16, v77
	v_lshrrev_b32_e32 v29, 16, v29
	;; [unrolled: 1-line block ×3, first 2 shown]
	v_min3_f16 v29, v31, v29, v49
	v_min3_f16 v29, v30, v48, v29
	v_cvt_f32_f16_e32 v29, v29
	v_max_f32_e32 v28, v28, v28
	v_min_f32_e32 v28, v28, v29
	v_cvt_f16_f32_e32 v30, v28
	v_lshl_add_u64 v[28:29], v[44:45], 1, v[24:25]
	global_store_short v[28:29], v30, off
	s_or_b64 exec, exec, s[26:27]
	s_and_b64 s[26:27], s[16:17], s[18:19]
	s_and_saveexec_b64 s[18:19], s[26:27]
	s_cbranch_execz .LBB281_259
.LBB281_255:
	s_and_b64 vcc, exec, s[0:1]
	s_cbranch_vccnz .LBB281_257
; %bb.256:
	v_lshl_add_u64 v[26:27], v[46:47], 1, v[26:27]
	global_load_ushort v26, v[26:27], off
	s_waitcnt vmcnt(0)
	v_mul_f16_e32 v26, s33, v26
	v_cvt_f32_f16_e32 v26, v26
	s_branch .LBB281_258
.LBB281_257:
	v_mov_b32_e32 v26, 0
.LBB281_258:
	s_waitcnt lgkmcnt(1)
	v_pk_add_f16 v20, v2, v20
	v_max_f16_e32 v27, v76, v76
	v_pk_add_f16 v21, v3, v21
	v_min_f16_e32 v27, v27, v20
	v_lshrrev_b32_e32 v28, 16, v76
	v_lshrrev_b32_e32 v20, 16, v20
	;; [unrolled: 1-line block ×3, first 2 shown]
	v_min3_f16 v20, v28, v20, v29
	v_min3_f16 v20, v27, v21, v20
	v_cvt_f32_f16_e32 v20, v20
	v_max_f32_e32 v21, v26, v26
	v_min_f32_e32 v20, v21, v20
	v_cvt_f16_f32_e32 v26, v20
	v_lshl_add_u64 v[20:21], v[46:47], 1, v[24:25]
	global_store_short v[20:21], v26, off
.LBB281_259:
	s_or_b64 exec, exec, s[18:19]
	v_add_u32_e32 v26, 0xa0, v103
	s_waitcnt lgkmcnt(1)
	v_mad_i64_i32 v[20:21], s[26:27], v26, s29, 0
	v_cmp_gt_i32_e64 s[18:19], s21, v26
	v_lshl_add_u64 v[24:25], v[20:21], 1, s[24:25]
	v_mad_i64_i32 v[20:21], s[26:27], v26, s28, 0
	v_lshl_add_u64 v[20:21], v[20:21], 1, s[22:23]
	s_and_b64 s[30:31], s[2:3], s[18:19]
	s_and_saveexec_b64 s[26:27], s[30:31]
	s_cbranch_execnz .LBB281_267
; %bb.260:
	s_or_b64 exec, exec, s[26:27]
	s_and_b64 s[30:31], s[4:5], s[18:19]
	s_and_saveexec_b64 s[26:27], s[30:31]
	s_cbranch_execnz .LBB281_271
.LBB281_261:
	s_or_b64 exec, exec, s[26:27]
	s_and_b64 s[30:31], s[6:7], s[18:19]
	s_and_saveexec_b64 s[26:27], s[30:31]
	s_cbranch_execnz .LBB281_275
.LBB281_262:
	s_or_b64 exec, exec, s[26:27]
	s_and_b64 s[30:31], s[8:9], s[18:19]
	s_and_saveexec_b64 s[26:27], s[30:31]
	s_cbranch_execnz .LBB281_279
.LBB281_263:
	s_or_b64 exec, exec, s[26:27]
	s_and_b64 s[30:31], s[10:11], s[18:19]
	s_and_saveexec_b64 s[26:27], s[30:31]
	s_cbranch_execnz .LBB281_283
.LBB281_264:
	s_or_b64 exec, exec, s[26:27]
	s_and_b64 s[30:31], s[12:13], s[18:19]
	s_and_saveexec_b64 s[26:27], s[30:31]
	s_cbranch_execnz .LBB281_287
.LBB281_265:
	s_or_b64 exec, exec, s[26:27]
	s_and_b64 s[30:31], s[14:15], s[18:19]
	s_and_saveexec_b64 s[26:27], s[30:31]
	s_cbranch_execnz .LBB281_291
.LBB281_266:
	s_or_b64 exec, exec, s[26:27]
	s_and_b64 s[26:27], s[16:17], s[18:19]
	s_and_saveexec_b64 s[18:19], s[26:27]
	s_cbranch_execnz .LBB281_295
	s_branch .LBB281_299
.LBB281_267:
	s_and_b64 vcc, exec, s[0:1]
	s_cbranch_vccnz .LBB281_269
; %bb.268:
	v_lshl_add_u64 v[26:27], v[32:33], 1, v[24:25]
	global_load_ushort v26, v[26:27], off
	s_waitcnt vmcnt(0)
	v_mul_f16_e32 v26, s33, v26
	v_cvt_f32_f16_e32 v26, v26
	s_branch .LBB281_270
.LBB281_269:
	v_mov_b32_e32 v26, 0
.LBB281_270:
	v_pk_add_f16 v27, v16, v22
	v_max_f16_e32 v28, v75, v75
	v_pk_add_f16 v30, v17, v23
	v_min_f16_e32 v28, v28, v27
	v_lshrrev_b32_e32 v29, 16, v75
	v_lshrrev_b32_e32 v27, 16, v27
	;; [unrolled: 1-line block ×3, first 2 shown]
	v_min3_f16 v27, v29, v27, v31
	v_min3_f16 v27, v28, v30, v27
	v_cvt_f32_f16_e32 v27, v27
	v_max_f32_e32 v26, v26, v26
	v_min_f32_e32 v26, v26, v27
	v_cvt_f16_f32_e32 v28, v26
	v_lshl_add_u64 v[26:27], v[32:33], 1, v[20:21]
	global_store_short v[26:27], v28, off
	s_or_b64 exec, exec, s[26:27]
	s_and_b64 s[30:31], s[4:5], s[18:19]
	s_and_saveexec_b64 s[26:27], s[30:31]
	s_cbranch_execz .LBB281_261
.LBB281_271:
	s_and_b64 vcc, exec, s[0:1]
	s_cbranch_vccnz .LBB281_273
; %bb.272:
	v_lshl_add_u64 v[26:27], v[34:35], 1, v[24:25]
	global_load_ushort v26, v[26:27], off
	s_waitcnt vmcnt(0)
	v_mul_f16_e32 v26, s33, v26
	v_cvt_f32_f16_e32 v26, v26
	s_branch .LBB281_274
.LBB281_273:
	v_mov_b32_e32 v26, 0
.LBB281_274:
	v_pk_add_f16 v27, v18, v22
	v_max_f16_e32 v28, v74, v74
	v_pk_add_f16 v30, v19, v23
	v_min_f16_e32 v28, v28, v27
	v_lshrrev_b32_e32 v29, 16, v74
	v_lshrrev_b32_e32 v27, 16, v27
	;; [unrolled: 1-line block ×3, first 2 shown]
	v_min3_f16 v27, v29, v27, v31
	v_min3_f16 v27, v28, v30, v27
	v_cvt_f32_f16_e32 v27, v27
	v_max_f32_e32 v26, v26, v26
	v_min_f32_e32 v26, v26, v27
	v_cvt_f16_f32_e32 v28, v26
	v_lshl_add_u64 v[26:27], v[34:35], 1, v[20:21]
	global_store_short v[26:27], v28, off
	s_or_b64 exec, exec, s[26:27]
	s_and_b64 s[30:31], s[6:7], s[18:19]
	s_and_saveexec_b64 s[26:27], s[30:31]
	s_cbranch_execz .LBB281_262
.LBB281_275:
	s_and_b64 vcc, exec, s[0:1]
	s_cbranch_vccnz .LBB281_277
; %bb.276:
	v_lshl_add_u64 v[26:27], v[36:37], 1, v[24:25]
	global_load_ushort v26, v[26:27], off
	s_waitcnt vmcnt(0)
	v_mul_f16_e32 v26, s33, v26
	v_cvt_f32_f16_e32 v26, v26
	s_branch .LBB281_278
.LBB281_277:
	v_mov_b32_e32 v26, 0
.LBB281_278:
	v_pk_add_f16 v27, v12, v22
	v_max_f16_e32 v28, v73, v73
	v_pk_add_f16 v30, v13, v23
	v_min_f16_e32 v28, v28, v27
	v_lshrrev_b32_e32 v29, 16, v73
	v_lshrrev_b32_e32 v27, 16, v27
	;; [unrolled: 1-line block ×3, first 2 shown]
	v_min3_f16 v27, v29, v27, v31
	v_min3_f16 v27, v28, v30, v27
	v_cvt_f32_f16_e32 v27, v27
	v_max_f32_e32 v26, v26, v26
	v_min_f32_e32 v26, v26, v27
	v_cvt_f16_f32_e32 v28, v26
	v_lshl_add_u64 v[26:27], v[36:37], 1, v[20:21]
	global_store_short v[26:27], v28, off
	s_or_b64 exec, exec, s[26:27]
	s_and_b64 s[30:31], s[8:9], s[18:19]
	s_and_saveexec_b64 s[26:27], s[30:31]
	s_cbranch_execz .LBB281_263
.LBB281_279:
	s_and_b64 vcc, exec, s[0:1]
	s_cbranch_vccnz .LBB281_281
; %bb.280:
	v_lshl_add_u64 v[26:27], v[38:39], 1, v[24:25]
	global_load_ushort v26, v[26:27], off
	s_waitcnt vmcnt(0)
	v_mul_f16_e32 v26, s33, v26
	v_cvt_f32_f16_e32 v26, v26
	s_branch .LBB281_282
.LBB281_281:
	v_mov_b32_e32 v26, 0
.LBB281_282:
	v_pk_add_f16 v27, v14, v22
	v_max_f16_e32 v28, v72, v72
	v_pk_add_f16 v30, v15, v23
	v_min_f16_e32 v28, v28, v27
	v_lshrrev_b32_e32 v29, 16, v72
	v_lshrrev_b32_e32 v27, 16, v27
	;; [unrolled: 1-line block ×3, first 2 shown]
	v_min3_f16 v27, v29, v27, v31
	v_min3_f16 v27, v28, v30, v27
	v_cvt_f32_f16_e32 v27, v27
	v_max_f32_e32 v26, v26, v26
	v_min_f32_e32 v26, v26, v27
	v_cvt_f16_f32_e32 v28, v26
	v_lshl_add_u64 v[26:27], v[38:39], 1, v[20:21]
	global_store_short v[26:27], v28, off
	s_or_b64 exec, exec, s[26:27]
	s_and_b64 s[30:31], s[10:11], s[18:19]
	s_and_saveexec_b64 s[26:27], s[30:31]
	s_cbranch_execz .LBB281_264
.LBB281_283:
	s_and_b64 vcc, exec, s[0:1]
	s_cbranch_vccnz .LBB281_285
; %bb.284:
	v_lshl_add_u64 v[26:27], v[40:41], 1, v[24:25]
	global_load_ushort v26, v[26:27], off
	s_waitcnt vmcnt(0)
	v_mul_f16_e32 v26, s33, v26
	v_cvt_f32_f16_e32 v26, v26
	s_branch .LBB281_286
.LBB281_285:
	v_mov_b32_e32 v26, 0
.LBB281_286:
	v_pk_add_f16 v27, v8, v22
	v_max_f16_e32 v28, v71, v71
	v_pk_add_f16 v30, v9, v23
	v_min_f16_e32 v28, v28, v27
	v_lshrrev_b32_e32 v29, 16, v71
	v_lshrrev_b32_e32 v27, 16, v27
	;; [unrolled: 1-line block ×3, first 2 shown]
	v_min3_f16 v27, v29, v27, v31
	v_min3_f16 v27, v28, v30, v27
	v_cvt_f32_f16_e32 v27, v27
	v_max_f32_e32 v26, v26, v26
	v_min_f32_e32 v26, v26, v27
	v_cvt_f16_f32_e32 v28, v26
	v_lshl_add_u64 v[26:27], v[40:41], 1, v[20:21]
	global_store_short v[26:27], v28, off
	s_or_b64 exec, exec, s[26:27]
	s_and_b64 s[30:31], s[12:13], s[18:19]
	s_and_saveexec_b64 s[26:27], s[30:31]
	s_cbranch_execz .LBB281_265
.LBB281_287:
	s_and_b64 vcc, exec, s[0:1]
	s_cbranch_vccnz .LBB281_289
; %bb.288:
	v_lshl_add_u64 v[26:27], v[42:43], 1, v[24:25]
	global_load_ushort v26, v[26:27], off
	s_waitcnt vmcnt(0)
	v_mul_f16_e32 v26, s33, v26
	v_cvt_f32_f16_e32 v26, v26
	s_branch .LBB281_290
.LBB281_289:
	v_mov_b32_e32 v26, 0
.LBB281_290:
	v_pk_add_f16 v27, v10, v22
	v_max_f16_e32 v28, v70, v70
	v_pk_add_f16 v30, v11, v23
	v_min_f16_e32 v28, v28, v27
	v_lshrrev_b32_e32 v29, 16, v70
	v_lshrrev_b32_e32 v27, 16, v27
	;; [unrolled: 1-line block ×3, first 2 shown]
	v_min3_f16 v27, v29, v27, v31
	v_min3_f16 v27, v28, v30, v27
	v_cvt_f32_f16_e32 v27, v27
	v_max_f32_e32 v26, v26, v26
	v_min_f32_e32 v26, v26, v27
	v_cvt_f16_f32_e32 v28, v26
	v_lshl_add_u64 v[26:27], v[42:43], 1, v[20:21]
	global_store_short v[26:27], v28, off
	s_or_b64 exec, exec, s[26:27]
	s_and_b64 s[30:31], s[14:15], s[18:19]
	s_and_saveexec_b64 s[26:27], s[30:31]
	s_cbranch_execz .LBB281_266
.LBB281_291:
	s_and_b64 vcc, exec, s[0:1]
	s_cbranch_vccnz .LBB281_293
; %bb.292:
	v_lshl_add_u64 v[26:27], v[44:45], 1, v[24:25]
	global_load_ushort v26, v[26:27], off
	s_waitcnt vmcnt(0)
	v_mul_f16_e32 v26, s33, v26
	v_cvt_f32_f16_e32 v26, v26
	s_branch .LBB281_294
.LBB281_293:
	v_mov_b32_e32 v26, 0
.LBB281_294:
	v_pk_add_f16 v27, v0, v22
	v_max_f16_e32 v28, v69, v69
	v_pk_add_f16 v30, v1, v23
	v_min_f16_e32 v28, v28, v27
	v_lshrrev_b32_e32 v29, 16, v69
	v_lshrrev_b32_e32 v27, 16, v27
	;; [unrolled: 1-line block ×3, first 2 shown]
	v_min3_f16 v27, v29, v27, v31
	v_min3_f16 v27, v28, v30, v27
	v_cvt_f32_f16_e32 v27, v27
	v_max_f32_e32 v26, v26, v26
	v_min_f32_e32 v26, v26, v27
	v_cvt_f16_f32_e32 v28, v26
	v_lshl_add_u64 v[26:27], v[44:45], 1, v[20:21]
	global_store_short v[26:27], v28, off
	s_or_b64 exec, exec, s[26:27]
	s_and_b64 s[26:27], s[16:17], s[18:19]
	s_and_saveexec_b64 s[18:19], s[26:27]
	s_cbranch_execz .LBB281_299
.LBB281_295:
	s_and_b64 vcc, exec, s[0:1]
	s_cbranch_vccnz .LBB281_297
; %bb.296:
	v_lshl_add_u64 v[24:25], v[46:47], 1, v[24:25]
	global_load_ushort v24, v[24:25], off
	s_waitcnt vmcnt(0)
	v_mul_f16_e32 v24, s33, v24
	v_cvt_f32_f16_e32 v24, v24
	s_branch .LBB281_298
.LBB281_297:
	v_mov_b32_e32 v24, 0
.LBB281_298:
	v_pk_add_f16 v22, v2, v22
	v_max_f16_e32 v25, v68, v68
	v_pk_add_f16 v23, v3, v23
	v_min_f16_e32 v25, v25, v22
	v_lshrrev_b32_e32 v26, 16, v68
	v_lshrrev_b32_e32 v22, 16, v22
	;; [unrolled: 1-line block ×3, first 2 shown]
	v_min3_f16 v22, v26, v22, v27
	v_min3_f16 v22, v25, v23, v22
	v_cvt_f32_f16_e32 v22, v22
	v_max_f32_e32 v23, v24, v24
	v_lshl_add_u64 v[20:21], v[46:47], 1, v[20:21]
	v_min_f32_e32 v22, v23, v22
	v_cvt_f16_f32_e32 v22, v22
	global_store_short v[20:21], v22, off
.LBB281_299:
	s_or_b64 exec, exec, s[18:19]
	v_add_u32_e32 v24, 0xc0, v103
	v_mad_i64_i32 v[20:21], s[26:27], v24, s29, 0
	v_cmp_gt_i32_e64 s[18:19], s21, v24
	v_lshl_add_u64 v[22:23], v[20:21], 1, s[24:25]
	v_mad_i64_i32 v[20:21], s[26:27], v24, s28, 0
	v_lshl_add_u64 v[20:21], v[20:21], 1, s[22:23]
	s_and_b64 s[30:31], s[2:3], s[18:19]
	s_and_saveexec_b64 s[26:27], s[30:31]
	s_cbranch_execnz .LBB281_307
; %bb.300:
	s_or_b64 exec, exec, s[26:27]
	s_and_b64 s[30:31], s[4:5], s[18:19]
	s_and_saveexec_b64 s[26:27], s[30:31]
	s_cbranch_execnz .LBB281_311
.LBB281_301:
	s_or_b64 exec, exec, s[26:27]
	s_and_b64 s[30:31], s[6:7], s[18:19]
	s_and_saveexec_b64 s[26:27], s[30:31]
	s_cbranch_execnz .LBB281_315
.LBB281_302:
	s_or_b64 exec, exec, s[26:27]
	s_and_b64 s[30:31], s[8:9], s[18:19]
	s_and_saveexec_b64 s[26:27], s[30:31]
	s_cbranch_execnz .LBB281_319
.LBB281_303:
	s_or_b64 exec, exec, s[26:27]
	s_and_b64 s[30:31], s[10:11], s[18:19]
	s_and_saveexec_b64 s[26:27], s[30:31]
	s_cbranch_execnz .LBB281_323
.LBB281_304:
	s_or_b64 exec, exec, s[26:27]
	s_and_b64 s[30:31], s[12:13], s[18:19]
	s_and_saveexec_b64 s[26:27], s[30:31]
	s_cbranch_execnz .LBB281_327
.LBB281_305:
	s_or_b64 exec, exec, s[26:27]
	s_and_b64 s[30:31], s[14:15], s[18:19]
	s_and_saveexec_b64 s[26:27], s[30:31]
	s_cbranch_execnz .LBB281_331
.LBB281_306:
	s_or_b64 exec, exec, s[26:27]
	s_and_b64 s[26:27], s[16:17], s[18:19]
	s_and_saveexec_b64 s[18:19], s[26:27]
	s_cbranch_execnz .LBB281_335
	s_branch .LBB281_339
.LBB281_307:
	s_and_b64 vcc, exec, s[0:1]
	s_cbranch_vccnz .LBB281_309
; %bb.308:
	v_lshl_add_u64 v[24:25], v[32:33], 1, v[22:23]
	global_load_ushort v24, v[24:25], off
	s_waitcnt vmcnt(0)
	v_mul_f16_e32 v24, s33, v24
	v_cvt_f32_f16_e32 v24, v24
	s_branch .LBB281_310
.LBB281_309:
	v_mov_b32_e32 v24, 0
.LBB281_310:
	s_waitcnt lgkmcnt(0)
	v_pk_add_f16 v25, v16, v4
	v_max_f16_e32 v26, v67, v67
	v_pk_add_f16 v28, v17, v5
	v_min_f16_e32 v26, v26, v25
	v_lshrrev_b32_e32 v27, 16, v67
	v_lshrrev_b32_e32 v25, 16, v25
	;; [unrolled: 1-line block ×3, first 2 shown]
	v_min3_f16 v25, v27, v25, v29
	v_min3_f16 v25, v26, v28, v25
	v_cvt_f32_f16_e32 v25, v25
	v_max_f32_e32 v24, v24, v24
	v_min_f32_e32 v24, v24, v25
	v_cvt_f16_f32_e32 v26, v24
	v_lshl_add_u64 v[24:25], v[32:33], 1, v[20:21]
	global_store_short v[24:25], v26, off
	s_or_b64 exec, exec, s[26:27]
	s_and_b64 s[30:31], s[4:5], s[18:19]
	s_and_saveexec_b64 s[26:27], s[30:31]
	s_cbranch_execz .LBB281_301
.LBB281_311:
	s_and_b64 vcc, exec, s[0:1]
	s_cbranch_vccnz .LBB281_313
; %bb.312:
	v_lshl_add_u64 v[24:25], v[34:35], 1, v[22:23]
	global_load_ushort v24, v[24:25], off
	s_waitcnt vmcnt(0)
	v_mul_f16_e32 v24, s33, v24
	v_cvt_f32_f16_e32 v24, v24
	s_branch .LBB281_314
.LBB281_313:
	v_mov_b32_e32 v24, 0
.LBB281_314:
	s_waitcnt lgkmcnt(0)
	v_pk_add_f16 v25, v18, v4
	v_max_f16_e32 v26, v66, v66
	v_pk_add_f16 v28, v19, v5
	v_min_f16_e32 v26, v26, v25
	v_lshrrev_b32_e32 v27, 16, v66
	v_lshrrev_b32_e32 v25, 16, v25
	;; [unrolled: 1-line block ×3, first 2 shown]
	v_min3_f16 v25, v27, v25, v29
	v_min3_f16 v25, v26, v28, v25
	v_cvt_f32_f16_e32 v25, v25
	v_max_f32_e32 v24, v24, v24
	v_min_f32_e32 v24, v24, v25
	v_cvt_f16_f32_e32 v26, v24
	v_lshl_add_u64 v[24:25], v[34:35], 1, v[20:21]
	global_store_short v[24:25], v26, off
	s_or_b64 exec, exec, s[26:27]
	s_and_b64 s[30:31], s[6:7], s[18:19]
	s_and_saveexec_b64 s[26:27], s[30:31]
	s_cbranch_execz .LBB281_302
.LBB281_315:
	s_and_b64 vcc, exec, s[0:1]
	s_cbranch_vccnz .LBB281_317
; %bb.316:
	v_lshl_add_u64 v[24:25], v[36:37], 1, v[22:23]
	global_load_ushort v24, v[24:25], off
	s_waitcnt vmcnt(0)
	v_mul_f16_e32 v24, s33, v24
	v_cvt_f32_f16_e32 v24, v24
	s_branch .LBB281_318
.LBB281_317:
	v_mov_b32_e32 v24, 0
.LBB281_318:
	s_waitcnt lgkmcnt(0)
	v_pk_add_f16 v25, v12, v4
	v_max_f16_e32 v26, v65, v65
	v_pk_add_f16 v28, v13, v5
	v_min_f16_e32 v26, v26, v25
	v_lshrrev_b32_e32 v27, 16, v65
	v_lshrrev_b32_e32 v25, 16, v25
	;; [unrolled: 1-line block ×3, first 2 shown]
	v_min3_f16 v25, v27, v25, v29
	v_min3_f16 v25, v26, v28, v25
	v_cvt_f32_f16_e32 v25, v25
	v_max_f32_e32 v24, v24, v24
	v_min_f32_e32 v24, v24, v25
	v_cvt_f16_f32_e32 v26, v24
	v_lshl_add_u64 v[24:25], v[36:37], 1, v[20:21]
	global_store_short v[24:25], v26, off
	s_or_b64 exec, exec, s[26:27]
	s_and_b64 s[30:31], s[8:9], s[18:19]
	s_and_saveexec_b64 s[26:27], s[30:31]
	s_cbranch_execz .LBB281_303
.LBB281_319:
	s_and_b64 vcc, exec, s[0:1]
	s_cbranch_vccnz .LBB281_321
; %bb.320:
	v_lshl_add_u64 v[24:25], v[38:39], 1, v[22:23]
	global_load_ushort v24, v[24:25], off
	s_waitcnt vmcnt(0)
	v_mul_f16_e32 v24, s33, v24
	v_cvt_f32_f16_e32 v24, v24
	s_branch .LBB281_322
.LBB281_321:
	v_mov_b32_e32 v24, 0
.LBB281_322:
	s_waitcnt lgkmcnt(0)
	v_pk_add_f16 v25, v14, v4
	v_max_f16_e32 v26, v64, v64
	v_pk_add_f16 v28, v15, v5
	v_min_f16_e32 v26, v26, v25
	v_lshrrev_b32_e32 v27, 16, v64
	v_lshrrev_b32_e32 v25, 16, v25
	;; [unrolled: 1-line block ×3, first 2 shown]
	v_min3_f16 v25, v27, v25, v29
	v_min3_f16 v25, v26, v28, v25
	v_cvt_f32_f16_e32 v25, v25
	v_max_f32_e32 v24, v24, v24
	v_min_f32_e32 v24, v24, v25
	v_cvt_f16_f32_e32 v26, v24
	v_lshl_add_u64 v[24:25], v[38:39], 1, v[20:21]
	global_store_short v[24:25], v26, off
	s_or_b64 exec, exec, s[26:27]
	s_and_b64 s[30:31], s[10:11], s[18:19]
	s_and_saveexec_b64 s[26:27], s[30:31]
	s_cbranch_execz .LBB281_304
.LBB281_323:
	s_and_b64 vcc, exec, s[0:1]
	s_cbranch_vccnz .LBB281_325
; %bb.324:
	v_lshl_add_u64 v[24:25], v[40:41], 1, v[22:23]
	global_load_ushort v24, v[24:25], off
	s_waitcnt vmcnt(0)
	v_mul_f16_e32 v24, s33, v24
	v_cvt_f32_f16_e32 v24, v24
	s_branch .LBB281_326
.LBB281_325:
	v_mov_b32_e32 v24, 0
.LBB281_326:
	s_waitcnt lgkmcnt(0)
	v_pk_add_f16 v25, v8, v4
	v_max_f16_e32 v26, v63, v63
	v_pk_add_f16 v28, v9, v5
	v_min_f16_e32 v26, v26, v25
	v_lshrrev_b32_e32 v27, 16, v63
	v_lshrrev_b32_e32 v25, 16, v25
	v_lshrrev_b32_e32 v29, 16, v28
	v_min3_f16 v25, v27, v25, v29
	v_min3_f16 v25, v26, v28, v25
	v_cvt_f32_f16_e32 v25, v25
	v_max_f32_e32 v24, v24, v24
	v_min_f32_e32 v24, v24, v25
	v_cvt_f16_f32_e32 v26, v24
	v_lshl_add_u64 v[24:25], v[40:41], 1, v[20:21]
	global_store_short v[24:25], v26, off
	s_or_b64 exec, exec, s[26:27]
	s_and_b64 s[30:31], s[12:13], s[18:19]
	s_and_saveexec_b64 s[26:27], s[30:31]
	s_cbranch_execz .LBB281_305
.LBB281_327:
	s_and_b64 vcc, exec, s[0:1]
	s_cbranch_vccnz .LBB281_329
; %bb.328:
	v_lshl_add_u64 v[24:25], v[42:43], 1, v[22:23]
	global_load_ushort v24, v[24:25], off
	s_waitcnt vmcnt(0)
	v_mul_f16_e32 v24, s33, v24
	v_cvt_f32_f16_e32 v24, v24
	s_branch .LBB281_330
.LBB281_329:
	v_mov_b32_e32 v24, 0
.LBB281_330:
	s_waitcnt lgkmcnt(0)
	v_pk_add_f16 v25, v10, v4
	v_max_f16_e32 v26, v62, v62
	v_pk_add_f16 v28, v11, v5
	v_min_f16_e32 v26, v26, v25
	v_lshrrev_b32_e32 v27, 16, v62
	v_lshrrev_b32_e32 v25, 16, v25
	;; [unrolled: 1-line block ×3, first 2 shown]
	v_min3_f16 v25, v27, v25, v29
	v_min3_f16 v25, v26, v28, v25
	v_cvt_f32_f16_e32 v25, v25
	v_max_f32_e32 v24, v24, v24
	v_min_f32_e32 v24, v24, v25
	v_cvt_f16_f32_e32 v26, v24
	v_lshl_add_u64 v[24:25], v[42:43], 1, v[20:21]
	global_store_short v[24:25], v26, off
	s_or_b64 exec, exec, s[26:27]
	s_and_b64 s[30:31], s[14:15], s[18:19]
	s_and_saveexec_b64 s[26:27], s[30:31]
	s_cbranch_execz .LBB281_306
.LBB281_331:
	s_and_b64 vcc, exec, s[0:1]
	s_cbranch_vccnz .LBB281_333
; %bb.332:
	v_lshl_add_u64 v[24:25], v[44:45], 1, v[22:23]
	global_load_ushort v24, v[24:25], off
	s_waitcnt vmcnt(0)
	v_mul_f16_e32 v24, s33, v24
	v_cvt_f32_f16_e32 v24, v24
	s_branch .LBB281_334
.LBB281_333:
	v_mov_b32_e32 v24, 0
.LBB281_334:
	s_waitcnt lgkmcnt(0)
	v_pk_add_f16 v25, v0, v4
	v_max_f16_e32 v26, v61, v61
	v_pk_add_f16 v28, v1, v5
	v_min_f16_e32 v26, v26, v25
	v_lshrrev_b32_e32 v27, 16, v61
	v_lshrrev_b32_e32 v25, 16, v25
	v_lshrrev_b32_e32 v29, 16, v28
	v_min3_f16 v25, v27, v25, v29
	v_min3_f16 v25, v26, v28, v25
	v_cvt_f32_f16_e32 v25, v25
	v_max_f32_e32 v24, v24, v24
	v_min_f32_e32 v24, v24, v25
	v_cvt_f16_f32_e32 v26, v24
	v_lshl_add_u64 v[24:25], v[44:45], 1, v[20:21]
	global_store_short v[24:25], v26, off
	s_or_b64 exec, exec, s[26:27]
	s_and_b64 s[26:27], s[16:17], s[18:19]
	s_and_saveexec_b64 s[18:19], s[26:27]
	s_cbranch_execz .LBB281_339
.LBB281_335:
	s_and_b64 vcc, exec, s[0:1]
	s_cbranch_vccnz .LBB281_337
; %bb.336:
	v_lshl_add_u64 v[22:23], v[46:47], 1, v[22:23]
	global_load_ushort v22, v[22:23], off
	s_waitcnt vmcnt(0)
	v_mul_f16_e32 v22, s33, v22
	v_cvt_f32_f16_e32 v22, v22
	s_branch .LBB281_338
.LBB281_337:
	v_mov_b32_e32 v22, 0
.LBB281_338:
	s_waitcnt lgkmcnt(0)
	v_pk_add_f16 v4, v2, v4
	v_max_f16_e32 v23, v60, v60
	v_pk_add_f16 v5, v3, v5
	v_min_f16_e32 v23, v23, v4
	v_lshrrev_b32_e32 v24, 16, v60
	v_lshrrev_b32_e32 v4, 16, v4
	;; [unrolled: 1-line block ×3, first 2 shown]
	v_min3_f16 v4, v24, v4, v25
	v_min3_f16 v4, v23, v5, v4
	v_cvt_f32_f16_e32 v4, v4
	v_max_f32_e32 v5, v22, v22
	v_min_f32_e32 v4, v5, v4
	v_cvt_f16_f32_e32 v22, v4
	v_lshl_add_u64 v[4:5], v[46:47], 1, v[20:21]
	global_store_short v[4:5], v22, off
.LBB281_339:
	s_or_b64 exec, exec, s[18:19]
	v_add_u32_e32 v22, 0xe0, v103
	v_cmp_gt_i32_e64 s[18:19], s21, v22
	s_waitcnt lgkmcnt(0)
	v_mad_i64_i32 v[4:5], s[20:21], v22, s29, 0
	v_lshl_add_u64 v[20:21], v[4:5], 1, s[24:25]
	v_mad_i64_i32 v[4:5], s[20:21], v22, s28, 0
	v_lshl_add_u64 v[4:5], v[4:5], 1, s[22:23]
	s_and_b64 s[20:21], s[2:3], s[18:19]
	s_and_saveexec_b64 s[2:3], s[20:21]
	s_cbranch_execnz .LBB281_348
; %bb.340:
	s_or_b64 exec, exec, s[2:3]
	s_and_b64 s[4:5], s[4:5], s[18:19]
	s_and_saveexec_b64 s[2:3], s[4:5]
	s_cbranch_execnz .LBB281_352
.LBB281_341:
	s_or_b64 exec, exec, s[2:3]
	s_and_b64 s[4:5], s[6:7], s[18:19]
	s_and_saveexec_b64 s[2:3], s[4:5]
	s_cbranch_execnz .LBB281_356
.LBB281_342:
	s_or_b64 exec, exec, s[2:3]
	s_and_b64 s[4:5], s[8:9], s[18:19]
	s_and_saveexec_b64 s[2:3], s[4:5]
	s_cbranch_execnz .LBB281_360
.LBB281_343:
	s_or_b64 exec, exec, s[2:3]
	s_and_b64 s[4:5], s[10:11], s[18:19]
	s_and_saveexec_b64 s[2:3], s[4:5]
	s_cbranch_execnz .LBB281_364
.LBB281_344:
	s_or_b64 exec, exec, s[2:3]
	s_and_b64 s[4:5], s[12:13], s[18:19]
	s_and_saveexec_b64 s[2:3], s[4:5]
	s_cbranch_execnz .LBB281_368
.LBB281_345:
	s_or_b64 exec, exec, s[2:3]
	s_and_b64 s[4:5], s[14:15], s[18:19]
	s_and_saveexec_b64 s[2:3], s[4:5]
	s_cbranch_execnz .LBB281_372
.LBB281_346:
	s_or_b64 exec, exec, s[2:3]
	s_and_b64 s[2:3], s[16:17], s[18:19]
	s_and_saveexec_b64 s[4:5], s[2:3]
	s_cbranch_execnz .LBB281_376
.LBB281_347:
	s_endpgm
.LBB281_348:
	s_and_b64 vcc, exec, s[0:1]
	s_cbranch_vccnz .LBB281_350
; %bb.349:
	v_lshl_add_u64 v[22:23], v[32:33], 1, v[20:21]
	global_load_ushort v22, v[22:23], off
	s_waitcnt vmcnt(0)
	v_mul_f16_e32 v22, s33, v22
	v_cvt_f32_f16_e32 v22, v22
	s_branch .LBB281_351
.LBB281_350:
	v_mov_b32_e32 v22, 0
.LBB281_351:
	v_pk_add_f16 v16, v16, v6
	v_max_f16_e32 v23, v59, v59
	v_pk_add_f16 v17, v17, v7
	v_min_f16_e32 v23, v23, v16
	v_lshrrev_b32_e32 v24, 16, v59
	v_lshrrev_b32_e32 v16, 16, v16
	;; [unrolled: 1-line block ×3, first 2 shown]
	v_min3_f16 v16, v24, v16, v25
	v_min3_f16 v16, v23, v17, v16
	v_cvt_f32_f16_e32 v16, v16
	v_max_f32_e32 v17, v22, v22
	v_min_f32_e32 v16, v17, v16
	v_cvt_f16_f32_e32 v22, v16
	v_lshl_add_u64 v[16:17], v[32:33], 1, v[4:5]
	global_store_short v[16:17], v22, off
	s_or_b64 exec, exec, s[2:3]
	s_and_b64 s[4:5], s[4:5], s[18:19]
	s_and_saveexec_b64 s[2:3], s[4:5]
	s_cbranch_execz .LBB281_341
.LBB281_352:
	s_and_b64 vcc, exec, s[0:1]
	s_cbranch_vccnz .LBB281_354
; %bb.353:
	v_lshl_add_u64 v[16:17], v[34:35], 1, v[20:21]
	global_load_ushort v16, v[16:17], off
	s_waitcnt vmcnt(0)
	v_mul_f16_e32 v16, s33, v16
	v_cvt_f32_f16_e32 v16, v16
	s_branch .LBB281_355
.LBB281_354:
	v_mov_b32_e32 v16, 0
.LBB281_355:
	v_pk_add_f16 v17, v18, v6
	v_max_f16_e32 v18, v58, v58
	v_pk_add_f16 v19, v19, v7
	v_min_f16_e32 v18, v18, v17
	v_lshrrev_b32_e32 v22, 16, v58
	v_lshrrev_b32_e32 v17, 16, v17
	;; [unrolled: 1-line block ×3, first 2 shown]
	v_min3_f16 v17, v22, v17, v23
	v_min3_f16 v17, v18, v19, v17
	v_cvt_f32_f16_e32 v17, v17
	v_max_f32_e32 v16, v16, v16
	v_min_f32_e32 v16, v16, v17
	v_cvt_f16_f32_e32 v18, v16
	v_lshl_add_u64 v[16:17], v[34:35], 1, v[4:5]
	global_store_short v[16:17], v18, off
	s_or_b64 exec, exec, s[2:3]
	s_and_b64 s[4:5], s[6:7], s[18:19]
	s_and_saveexec_b64 s[2:3], s[4:5]
	s_cbranch_execz .LBB281_342
.LBB281_356:
	s_and_b64 vcc, exec, s[0:1]
	s_cbranch_vccnz .LBB281_358
; %bb.357:
	v_lshl_add_u64 v[16:17], v[36:37], 1, v[20:21]
	global_load_ushort v16, v[16:17], off
	s_waitcnt vmcnt(0)
	v_mul_f16_e32 v16, s33, v16
	v_cvt_f32_f16_e32 v16, v16
	s_branch .LBB281_359
.LBB281_358:
	v_mov_b32_e32 v16, 0
.LBB281_359:
	v_pk_add_f16 v12, v12, v6
	v_max_f16_e32 v17, v57, v57
	v_pk_add_f16 v13, v13, v7
	v_min_f16_e32 v17, v17, v12
	v_lshrrev_b32_e32 v18, 16, v57
	v_lshrrev_b32_e32 v12, 16, v12
	;; [unrolled: 1-line block ×3, first 2 shown]
	v_min3_f16 v12, v18, v12, v19
	v_min3_f16 v12, v17, v13, v12
	v_cvt_f32_f16_e32 v12, v12
	v_max_f32_e32 v13, v16, v16
	v_min_f32_e32 v12, v13, v12
	v_cvt_f16_f32_e32 v16, v12
	v_lshl_add_u64 v[12:13], v[36:37], 1, v[4:5]
	global_store_short v[12:13], v16, off
	s_or_b64 exec, exec, s[2:3]
	s_and_b64 s[4:5], s[8:9], s[18:19]
	s_and_saveexec_b64 s[2:3], s[4:5]
	s_cbranch_execz .LBB281_343
.LBB281_360:
	s_and_b64 vcc, exec, s[0:1]
	s_cbranch_vccnz .LBB281_362
; %bb.361:
	v_lshl_add_u64 v[12:13], v[38:39], 1, v[20:21]
	global_load_ushort v12, v[12:13], off
	s_waitcnt vmcnt(0)
	v_mul_f16_e32 v12, s33, v12
	v_cvt_f32_f16_e32 v12, v12
	s_branch .LBB281_363
.LBB281_362:
	v_mov_b32_e32 v12, 0
.LBB281_363:
	v_pk_add_f16 v13, v14, v6
	v_max_f16_e32 v14, v56, v56
	v_pk_add_f16 v15, v15, v7
	v_min_f16_e32 v14, v14, v13
	v_lshrrev_b32_e32 v16, 16, v56
	v_lshrrev_b32_e32 v13, 16, v13
	;; [unrolled: 1-line block ×3, first 2 shown]
	v_min3_f16 v13, v16, v13, v17
	v_min3_f16 v13, v14, v15, v13
	v_cvt_f32_f16_e32 v13, v13
	v_max_f32_e32 v12, v12, v12
	v_min_f32_e32 v12, v12, v13
	v_cvt_f16_f32_e32 v14, v12
	v_lshl_add_u64 v[12:13], v[38:39], 1, v[4:5]
	global_store_short v[12:13], v14, off
	s_or_b64 exec, exec, s[2:3]
	s_and_b64 s[4:5], s[10:11], s[18:19]
	s_and_saveexec_b64 s[2:3], s[4:5]
	s_cbranch_execz .LBB281_344
.LBB281_364:
	s_and_b64 vcc, exec, s[0:1]
	s_cbranch_vccnz .LBB281_366
; %bb.365:
	v_lshl_add_u64 v[12:13], v[40:41], 1, v[20:21]
	global_load_ushort v12, v[12:13], off
	s_waitcnt vmcnt(0)
	v_mul_f16_e32 v12, s33, v12
	v_cvt_f32_f16_e32 v12, v12
	s_branch .LBB281_367
.LBB281_366:
	v_mov_b32_e32 v12, 0
.LBB281_367:
	v_pk_add_f16 v8, v8, v6
	v_max_f16_e32 v13, v54, v54
	v_pk_add_f16 v9, v9, v7
	v_min_f16_e32 v13, v13, v8
	v_lshrrev_b32_e32 v14, 16, v54
	v_lshrrev_b32_e32 v8, 16, v8
	;; [unrolled: 1-line block ×3, first 2 shown]
	v_min3_f16 v8, v14, v8, v15
	v_min3_f16 v8, v13, v9, v8
	v_cvt_f32_f16_e32 v8, v8
	v_max_f32_e32 v9, v12, v12
	v_min_f32_e32 v8, v9, v8
	v_cvt_f16_f32_e32 v12, v8
	v_lshl_add_u64 v[8:9], v[40:41], 1, v[4:5]
	global_store_short v[8:9], v12, off
	s_or_b64 exec, exec, s[2:3]
	s_and_b64 s[4:5], s[12:13], s[18:19]
	s_and_saveexec_b64 s[2:3], s[4:5]
	s_cbranch_execz .LBB281_345
.LBB281_368:
	s_and_b64 vcc, exec, s[0:1]
	s_cbranch_vccnz .LBB281_370
; %bb.369:
	v_lshl_add_u64 v[8:9], v[42:43], 1, v[20:21]
	global_load_ushort v8, v[8:9], off
	s_waitcnt vmcnt(0)
	v_mul_f16_e32 v8, s33, v8
	v_cvt_f32_f16_e32 v8, v8
	s_branch .LBB281_371
.LBB281_370:
	v_mov_b32_e32 v8, 0
.LBB281_371:
	v_pk_add_f16 v9, v10, v6
	v_max_f16_e32 v10, v53, v53
	v_pk_add_f16 v11, v11, v7
	v_min_f16_e32 v10, v10, v9
	v_lshrrev_b32_e32 v12, 16, v53
	v_lshrrev_b32_e32 v9, 16, v9
	;; [unrolled: 1-line block ×3, first 2 shown]
	v_min3_f16 v9, v12, v9, v13
	v_min3_f16 v9, v10, v11, v9
	v_cvt_f32_f16_e32 v9, v9
	v_max_f32_e32 v8, v8, v8
	v_min_f32_e32 v8, v8, v9
	v_cvt_f16_f32_e32 v10, v8
	v_lshl_add_u64 v[8:9], v[42:43], 1, v[4:5]
	global_store_short v[8:9], v10, off
	s_or_b64 exec, exec, s[2:3]
	s_and_b64 s[4:5], s[14:15], s[18:19]
	s_and_saveexec_b64 s[2:3], s[4:5]
	s_cbranch_execz .LBB281_346
.LBB281_372:
	s_and_b64 vcc, exec, s[0:1]
	s_cbranch_vccnz .LBB281_374
; %bb.373:
	v_lshl_add_u64 v[8:9], v[44:45], 1, v[20:21]
	global_load_ushort v8, v[8:9], off
	s_waitcnt vmcnt(0)
	v_mul_f16_e32 v8, s33, v8
	v_cvt_f32_f16_e32 v8, v8
	s_branch .LBB281_375
.LBB281_374:
	v_mov_b32_e32 v8, 0
.LBB281_375:
	v_pk_add_f16 v0, v0, v6
	v_max_f16_e32 v9, v52, v52
	v_pk_add_f16 v1, v1, v7
	v_min_f16_e32 v9, v9, v0
	v_lshrrev_b32_e32 v10, 16, v52
	v_lshrrev_b32_e32 v0, 16, v0
	;; [unrolled: 1-line block ×3, first 2 shown]
	v_min3_f16 v0, v10, v0, v11
	v_min3_f16 v0, v9, v1, v0
	v_cvt_f32_f16_e32 v0, v0
	v_max_f32_e32 v1, v8, v8
	v_min_f32_e32 v0, v1, v0
	v_cvt_f16_f32_e32 v8, v0
	v_lshl_add_u64 v[0:1], v[44:45], 1, v[4:5]
	global_store_short v[0:1], v8, off
	s_or_b64 exec, exec, s[2:3]
	s_and_b64 s[2:3], s[16:17], s[18:19]
	s_and_saveexec_b64 s[4:5], s[2:3]
	s_cbranch_execz .LBB281_347
.LBB281_376:
	s_and_b64 vcc, exec, s[0:1]
	s_cbranch_vccnz .LBB281_378
; %bb.377:
	v_lshl_add_u64 v[0:1], v[46:47], 1, v[20:21]
	global_load_ushort v0, v[0:1], off
	s_waitcnt vmcnt(0)
	v_mul_f16_e32 v0, s33, v0
	v_cvt_f32_f16_e32 v0, v0
	s_branch .LBB281_379
.LBB281_378:
	v_mov_b32_e32 v0, 0
.LBB281_379:
	v_pk_add_f16 v1, v2, v6
	v_max_f16_e32 v2, v55, v55
	v_pk_add_f16 v3, v3, v7
	v_min_f16_e32 v2, v2, v1
	v_lshrrev_b32_e32 v6, 16, v55
	v_lshrrev_b32_e32 v1, 16, v1
	;; [unrolled: 1-line block ×3, first 2 shown]
	v_min3_f16 v1, v6, v1, v7
	v_min3_f16 v1, v2, v3, v1
	v_cvt_f32_f16_e32 v1, v1
	v_max_f32_e32 v0, v0, v0
	v_min_f32_e32 v0, v0, v1
	v_cvt_f16_f32_e32 v2, v0
	v_lshl_add_u64 v[0:1], v[46:47], 1, v[4:5]
	global_store_short v[0:1], v2, off
	s_endpgm
	.section	.rodata,"a",@progbits
	.p2align	6, 0x0
	.amdhsa_kernel _ZN12_GLOBAL__N_120geam_min_plus_kernelIDF16_Dv2_DF16_S1_Li8ELi32ELi64ELi256ELi4ELi4ELi64ELi64ELi4ELc84ELc84ELb0ELb1ELb1EDF16_KDF16_DF16_EEviiiT16_PT17_ilS5_ilS3_S5_ilPT18_ili26rocblas_geam_ex_operation_
		.amdhsa_group_segment_fixed_size 5120
		.amdhsa_private_segment_fixed_size 0
		.amdhsa_kernarg_size 128
		.amdhsa_user_sgpr_count 2
		.amdhsa_user_sgpr_dispatch_ptr 0
		.amdhsa_user_sgpr_queue_ptr 0
		.amdhsa_user_sgpr_kernarg_segment_ptr 1
		.amdhsa_user_sgpr_dispatch_id 0
		.amdhsa_user_sgpr_kernarg_preload_length 0
		.amdhsa_user_sgpr_kernarg_preload_offset 0
		.amdhsa_user_sgpr_private_segment_size 0
		.amdhsa_uses_dynamic_stack 0
		.amdhsa_enable_private_segment 0
		.amdhsa_system_sgpr_workgroup_id_x 1
		.amdhsa_system_sgpr_workgroup_id_y 0
		.amdhsa_system_sgpr_workgroup_id_z 1
		.amdhsa_system_sgpr_workgroup_info 0
		.amdhsa_system_vgpr_workitem_id 1
		.amdhsa_next_free_vgpr 152
		.amdhsa_next_free_sgpr 42
		.amdhsa_accum_offset 152
		.amdhsa_reserve_vcc 1
		.amdhsa_float_round_mode_32 0
		.amdhsa_float_round_mode_16_64 0
		.amdhsa_float_denorm_mode_32 3
		.amdhsa_float_denorm_mode_16_64 3
		.amdhsa_dx10_clamp 1
		.amdhsa_ieee_mode 1
		.amdhsa_fp16_overflow 0
		.amdhsa_tg_split 0
		.amdhsa_exception_fp_ieee_invalid_op 0
		.amdhsa_exception_fp_denorm_src 0
		.amdhsa_exception_fp_ieee_div_zero 0
		.amdhsa_exception_fp_ieee_overflow 0
		.amdhsa_exception_fp_ieee_underflow 0
		.amdhsa_exception_fp_ieee_inexact 0
		.amdhsa_exception_int_div_zero 0
	.end_amdhsa_kernel
	.section	.text._ZN12_GLOBAL__N_120geam_min_plus_kernelIDF16_Dv2_DF16_S1_Li8ELi32ELi64ELi256ELi4ELi4ELi64ELi64ELi4ELc84ELc84ELb0ELb1ELb1EDF16_KDF16_DF16_EEviiiT16_PT17_ilS5_ilS3_S5_ilPT18_ili26rocblas_geam_ex_operation_,"axG",@progbits,_ZN12_GLOBAL__N_120geam_min_plus_kernelIDF16_Dv2_DF16_S1_Li8ELi32ELi64ELi256ELi4ELi4ELi64ELi64ELi4ELc84ELc84ELb0ELb1ELb1EDF16_KDF16_DF16_EEviiiT16_PT17_ilS5_ilS3_S5_ilPT18_ili26rocblas_geam_ex_operation_,comdat
.Lfunc_end281:
	.size	_ZN12_GLOBAL__N_120geam_min_plus_kernelIDF16_Dv2_DF16_S1_Li8ELi32ELi64ELi256ELi4ELi4ELi64ELi64ELi4ELc84ELc84ELb0ELb1ELb1EDF16_KDF16_DF16_EEviiiT16_PT17_ilS5_ilS3_S5_ilPT18_ili26rocblas_geam_ex_operation_, .Lfunc_end281-_ZN12_GLOBAL__N_120geam_min_plus_kernelIDF16_Dv2_DF16_S1_Li8ELi32ELi64ELi256ELi4ELi4ELi64ELi64ELi4ELc84ELc84ELb0ELb1ELb1EDF16_KDF16_DF16_EEviiiT16_PT17_ilS5_ilS3_S5_ilPT18_ili26rocblas_geam_ex_operation_
                                        ; -- End function
	.set _ZN12_GLOBAL__N_120geam_min_plus_kernelIDF16_Dv2_DF16_S1_Li8ELi32ELi64ELi256ELi4ELi4ELi64ELi64ELi4ELc84ELc84ELb0ELb1ELb1EDF16_KDF16_DF16_EEviiiT16_PT17_ilS5_ilS3_S5_ilPT18_ili26rocblas_geam_ex_operation_.num_vgpr, 152
	.set _ZN12_GLOBAL__N_120geam_min_plus_kernelIDF16_Dv2_DF16_S1_Li8ELi32ELi64ELi256ELi4ELi4ELi64ELi64ELi4ELc84ELc84ELb0ELb1ELb1EDF16_KDF16_DF16_EEviiiT16_PT17_ilS5_ilS3_S5_ilPT18_ili26rocblas_geam_ex_operation_.num_agpr, 0
	.set _ZN12_GLOBAL__N_120geam_min_plus_kernelIDF16_Dv2_DF16_S1_Li8ELi32ELi64ELi256ELi4ELi4ELi64ELi64ELi4ELc84ELc84ELb0ELb1ELb1EDF16_KDF16_DF16_EEviiiT16_PT17_ilS5_ilS3_S5_ilPT18_ili26rocblas_geam_ex_operation_.numbered_sgpr, 42
	.set _ZN12_GLOBAL__N_120geam_min_plus_kernelIDF16_Dv2_DF16_S1_Li8ELi32ELi64ELi256ELi4ELi4ELi64ELi64ELi4ELc84ELc84ELb0ELb1ELb1EDF16_KDF16_DF16_EEviiiT16_PT17_ilS5_ilS3_S5_ilPT18_ili26rocblas_geam_ex_operation_.num_named_barrier, 0
	.set _ZN12_GLOBAL__N_120geam_min_plus_kernelIDF16_Dv2_DF16_S1_Li8ELi32ELi64ELi256ELi4ELi4ELi64ELi64ELi4ELc84ELc84ELb0ELb1ELb1EDF16_KDF16_DF16_EEviiiT16_PT17_ilS5_ilS3_S5_ilPT18_ili26rocblas_geam_ex_operation_.private_seg_size, 0
	.set _ZN12_GLOBAL__N_120geam_min_plus_kernelIDF16_Dv2_DF16_S1_Li8ELi32ELi64ELi256ELi4ELi4ELi64ELi64ELi4ELc84ELc84ELb0ELb1ELb1EDF16_KDF16_DF16_EEviiiT16_PT17_ilS5_ilS3_S5_ilPT18_ili26rocblas_geam_ex_operation_.uses_vcc, 1
	.set _ZN12_GLOBAL__N_120geam_min_plus_kernelIDF16_Dv2_DF16_S1_Li8ELi32ELi64ELi256ELi4ELi4ELi64ELi64ELi4ELc84ELc84ELb0ELb1ELb1EDF16_KDF16_DF16_EEviiiT16_PT17_ilS5_ilS3_S5_ilPT18_ili26rocblas_geam_ex_operation_.uses_flat_scratch, 0
	.set _ZN12_GLOBAL__N_120geam_min_plus_kernelIDF16_Dv2_DF16_S1_Li8ELi32ELi64ELi256ELi4ELi4ELi64ELi64ELi4ELc84ELc84ELb0ELb1ELb1EDF16_KDF16_DF16_EEviiiT16_PT17_ilS5_ilS3_S5_ilPT18_ili26rocblas_geam_ex_operation_.has_dyn_sized_stack, 0
	.set _ZN12_GLOBAL__N_120geam_min_plus_kernelIDF16_Dv2_DF16_S1_Li8ELi32ELi64ELi256ELi4ELi4ELi64ELi64ELi4ELc84ELc84ELb0ELb1ELb1EDF16_KDF16_DF16_EEviiiT16_PT17_ilS5_ilS3_S5_ilPT18_ili26rocblas_geam_ex_operation_.has_recursion, 0
	.set _ZN12_GLOBAL__N_120geam_min_plus_kernelIDF16_Dv2_DF16_S1_Li8ELi32ELi64ELi256ELi4ELi4ELi64ELi64ELi4ELc84ELc84ELb0ELb1ELb1EDF16_KDF16_DF16_EEviiiT16_PT17_ilS5_ilS3_S5_ilPT18_ili26rocblas_geam_ex_operation_.has_indirect_call, 0
	.section	.AMDGPU.csdata,"",@progbits
; Kernel info:
; codeLenInByte = 20880
; TotalNumSgprs: 48
; NumVgprs: 152
; NumAgprs: 0
; TotalNumVgprs: 152
; ScratchSize: 0
; MemoryBound: 0
; FloatMode: 240
; IeeeMode: 1
; LDSByteSize: 5120 bytes/workgroup (compile time only)
; SGPRBlocks: 5
; VGPRBlocks: 18
; NumSGPRsForWavesPerEU: 48
; NumVGPRsForWavesPerEU: 152
; AccumOffset: 152
; Occupancy: 3
; WaveLimiterHint : 0
; COMPUTE_PGM_RSRC2:SCRATCH_EN: 0
; COMPUTE_PGM_RSRC2:USER_SGPR: 2
; COMPUTE_PGM_RSRC2:TRAP_HANDLER: 0
; COMPUTE_PGM_RSRC2:TGID_X_EN: 1
; COMPUTE_PGM_RSRC2:TGID_Y_EN: 0
; COMPUTE_PGM_RSRC2:TGID_Z_EN: 1
; COMPUTE_PGM_RSRC2:TIDIG_COMP_CNT: 1
; COMPUTE_PGM_RSRC3_GFX90A:ACCUM_OFFSET: 37
; COMPUTE_PGM_RSRC3_GFX90A:TG_SPLIT: 0
	.section	.text._ZN12_GLOBAL__N_120geam_min_plus_kernelIDF16_Dv2_DF16_S1_Li8ELi32ELi64ELi128ELi4ELi64ELi4ELi4ELi64ELc78ELc78ELb0ELb0ELb0EPKDF16_S2_DF16_EEviiiT16_PT17_ilS6_ilS4_S6_ilPT18_ili26rocblas_geam_ex_operation_,"axG",@progbits,_ZN12_GLOBAL__N_120geam_min_plus_kernelIDF16_Dv2_DF16_S1_Li8ELi32ELi64ELi128ELi4ELi64ELi4ELi4ELi64ELc78ELc78ELb0ELb0ELb0EPKDF16_S2_DF16_EEviiiT16_PT17_ilS6_ilS4_S6_ilPT18_ili26rocblas_geam_ex_operation_,comdat
	.globl	_ZN12_GLOBAL__N_120geam_min_plus_kernelIDF16_Dv2_DF16_S1_Li8ELi32ELi64ELi128ELi4ELi64ELi4ELi4ELi64ELc78ELc78ELb0ELb0ELb0EPKDF16_S2_DF16_EEviiiT16_PT17_ilS6_ilS4_S6_ilPT18_ili26rocblas_geam_ex_operation_ ; -- Begin function _ZN12_GLOBAL__N_120geam_min_plus_kernelIDF16_Dv2_DF16_S1_Li8ELi32ELi64ELi128ELi4ELi64ELi4ELi4ELi64ELc78ELc78ELb0ELb0ELb0EPKDF16_S2_DF16_EEviiiT16_PT17_ilS6_ilS4_S6_ilPT18_ili26rocblas_geam_ex_operation_
	.p2align	8
	.type	_ZN12_GLOBAL__N_120geam_min_plus_kernelIDF16_Dv2_DF16_S1_Li8ELi32ELi64ELi128ELi4ELi64ELi4ELi4ELi64ELc78ELc78ELb0ELb0ELb0EPKDF16_S2_DF16_EEviiiT16_PT17_ilS6_ilS4_S6_ilPT18_ili26rocblas_geam_ex_operation_,@function
_ZN12_GLOBAL__N_120geam_min_plus_kernelIDF16_Dv2_DF16_S1_Li8ELi32ELi64ELi128ELi4ELi64ELi4ELi4ELi64ELc78ELc78ELb0ELb0ELb0EPKDF16_S2_DF16_EEviiiT16_PT17_ilS6_ilS4_S6_ilPT18_ili26rocblas_geam_ex_operation_: ; @_ZN12_GLOBAL__N_120geam_min_plus_kernelIDF16_Dv2_DF16_S1_Li8ELi32ELi64ELi128ELi4ELi64ELi4ELi4ELi64ELc78ELc78ELb0ELb0ELb0EPKDF16_S2_DF16_EEviiiT16_PT17_ilS6_ilS4_S6_ilPT18_ili26rocblas_geam_ex_operation_
; %bb.0:
	s_load_dwordx4 s[8:11], s[0:1], 0x10
	s_load_dwordx4 s[12:15], s[0:1], 0x28
	s_mov_b32 s20, s3
	s_mov_b32 s21, 0
	s_lshl_b64 s[4:5], s[20:21], 1
	s_waitcnt lgkmcnt(0)
	s_add_u32 s6, s8, s4
	s_addc_u32 s7, s9, s5
	v_mov_b32_e32 v1, 0
	global_load_ushort v41, v1, s[6:7]
	s_load_dwordx4 s[16:19], s[0:1], 0x40
	s_load_dwordx2 s[24:25], s[0:1], 0x50
	s_mov_b64 s[22:23], 0
	s_waitcnt lgkmcnt(0)
	s_add_u32 s4, s18, s4
	s_addc_u32 s5, s19, s5
	s_mov_b64 s[18:19], 0
	s_waitcnt vmcnt(0)
	v_cmp_eq_f16_e32 vcc, 0, v41
	s_and_b64 s[8:9], exec, vcc
	v_cmp_neq_f16_e64 s[6:7], 0, v41
	s_mov_b64 vcc, s[8:9]
	s_cbranch_vccnz .LBB282_2
; %bb.1:
	s_mul_i32 s3, s13, s20
	s_mul_hi_u32 s13, s12, s20
	s_add_i32 s13, s13, s3
	s_mul_i32 s12, s12, s20
	s_lshl_b64 s[12:13], s[12:13], 1
	s_add_u32 s18, s10, s12
	s_addc_u32 s19, s11, s13
.LBB282_2:
	global_load_ushort v52, v1, s[4:5]
	v_cndmask_b32_e64 v1, 0, 1, s[6:7]
	v_cmp_ne_u32_e64 s[4:5], 1, v1
	s_andn2_b64 vcc, exec, s[6:7]
	s_cbranch_vccnz .LBB282_4
; %bb.3:
	s_mul_i32 s3, s17, s20
	s_mul_hi_u32 s6, s16, s20
	s_add_i32 s7, s6, s3
	s_mul_i32 s6, s16, s20
	s_lshl_b64 s[6:7], s[6:7], 1
	s_add_u32 s22, s14, s6
	s_addc_u32 s23, s15, s7
.LBB282_4:
	s_load_dwordx4 s[12:15], s[0:1], 0x60
	s_waitcnt vmcnt(0)
	v_cmp_eq_f16_e32 vcc, 0, v52
	s_cbranch_vccnz .LBB282_6
; %bb.5:
	s_waitcnt lgkmcnt(0)
	s_mul_i32 s3, s13, s20
	s_mul_hi_u32 s6, s12, s20
	s_add_i32 s7, s6, s3
	s_mul_i32 s6, s12, s20
	s_lshl_b64 s[6:7], s[6:7], 1
	s_add_u32 s6, s24, s6
	s_addc_u32 s7, s25, s7
	s_branch .LBB282_7
.LBB282_6:
	s_mov_b64 s[6:7], 0
.LBB282_7:
	s_load_dword s11, s[0:1], 0x0
	s_load_dword s10, s[0:1], 0x20
	;; [unrolled: 1-line block ×3, first 2 shown]
	v_and_b32_e32 v40, 0x3ff, v0
	v_bfe_u32 v48, v0, 10, 10
	s_waitcnt lgkmcnt(0)
	s_add_i32 s11, s11, -1
	s_ashr_i32 s12, s11, 31
	s_lshr_b32 s12, s12, 26
	s_add_i32 s11, s11, s12
	s_ashr_i32 s12, s11, 6
	s_add_i32 s13, s12, 1
	v_cvt_f32_u32_e32 v1, s13
	v_and_b32_e32 v11, 3, v0
	s_not_b32 s12, s12
	s_ashr_i32 s11, s10, 31
	v_rcp_iflag_f32_e32 v0, v1
	v_lshl_add_u32 v1, v48, 3, v40
	v_and_b32_e32 v5, 63, v1
	v_lshrrev_b32_e32 v12, 2, v1
	v_mul_f32_e32 v0, 0x4f7ffffe, v0
	v_cvt_u32_f32_e32 v0, v0
	v_lshrrev_b32_e32 v4, 6, v1
	v_mov_b32_e32 v10, 0
	v_readfirstlane_b32 s16, v0
	s_mul_i32 s12, s12, s16
	s_mul_hi_u32 s12, s16, s12
	s_add_i32 s16, s16, s12
	s_mul_hi_u32 s12, s2, s16
	s_mul_i32 s16, s12, s13
	s_sub_i32 s16, s2, s16
	s_add_i32 s17, s12, 1
	s_sub_i32 s21, s16, s13
	s_cmp_ge_u32 s16, s13
	s_cselect_b32 s12, s17, s12
	s_cselect_b32 s16, s21, s16
	s_add_i32 s17, s12, 1
	s_cmp_ge_u32 s16, s13
	s_cselect_b32 s12, s17, s12
	s_mul_i32 s21, s12, s13
	s_sub_i32 s13, s2, s21
	s_lshl_b32 s17, s13, 6
	s_lshl_b32 s16, s12, 7
	v_or_b32_e32 v2, s17, v5
	v_add_u32_e32 v7, s16, v12
	s_and_b64 vcc, exec, s[4:5]
	v_ashrrev_i32_e32 v3, 31, v2
	v_lshlrev_b32_e32 v0, 1, v11
	v_add_u32_e32 v6, 64, v7
	s_cbranch_vccnz .LBB282_10
; %bb.8:
	v_mad_i64_i32 v[8:9], s[12:13], s10, v4, 0
	v_lshl_add_u64 v[8:9], v[8:9], 1, s[18:19]
	v_lshl_add_u64 v[8:9], v[2:3], 1, v[8:9]
	v_mov_b32_e32 v1, 0
	global_load_ushort v13, v[8:9], off
	v_lshl_add_u64 v[8:9], s[22:23], 0, v[0:1]
	v_mad_i64_i32 v[14:15], s[12:13], v7, s3, 0
	v_lshl_add_u64 v[14:15], v[14:15], 1, v[8:9]
	global_load_ushort v1, v[14:15], off
	v_mad_i64_i32 v[14:15], s[12:13], v6, s3, 0
	v_lshl_add_u64 v[8:9], v[14:15], 1, v[8:9]
	global_load_ushort v9, v[8:9], off
	s_waitcnt vmcnt(2)
	v_mul_f16_e32 v13, v41, v13
	s_waitcnt vmcnt(1)
	v_mul_f16_e32 v1, v41, v1
	v_pack_b32_f16 v8, v1, 0
	s_waitcnt vmcnt(0)
	v_mul_f16_e32 v9, v41, v9
	s_and_b64 vcc, exec, s[4:5]
	s_cbranch_vccnz .LBB282_11
.LBB282_9:
	v_add_u32_e32 v1, 4, v4
	v_mad_i64_i32 v[14:15], s[4:5], s10, v1, 0
	v_lshl_add_u64 v[14:15], v[14:15], 1, s[18:19]
	v_lshl_add_u64 v[2:3], v[2:3], 1, v[14:15]
	v_mov_b32_e32 v1, 0
	global_load_ushort v10, v[2:3], off
	v_lshl_add_u64 v[0:1], s[22:23], 0, v[0:1]
	v_mad_i64_i32 v[2:3], s[4:5], v7, s3, 0
	v_lshl_add_u64 v[2:3], v[2:3], 1, v[0:1]
	global_load_ushort v14, v[2:3], off offset:8
	v_mad_i64_i32 v[2:3], s[4:5], v6, s3, 0
	v_lshl_add_u64 v[0:1], v[2:3], 1, v[0:1]
	global_load_ushort v0, v[0:1], off offset:8
	s_waitcnt vmcnt(2)
	v_mul_f16_e32 v10, v41, v10
	s_waitcnt vmcnt(1)
	v_mul_f16_e32 v1, v41, v14
	v_pack_b32_f16 v1, v1, 0
	s_waitcnt vmcnt(0)
	v_mul_f16_e32 v2, v41, v0
	s_branch .LBB282_12
.LBB282_10:
	v_mov_b32_e32 v8, 0
	v_mov_b32_e32 v13, 0
	;; [unrolled: 1-line block ×3, first 2 shown]
	s_and_b64 vcc, exec, s[4:5]
	s_cbranch_vccz .LBB282_9
.LBB282_11:
	v_mov_b32_e32 v1, 0
	v_mov_b32_e32 v2, 0
.LBB282_12:
	v_lshlrev_b32_e32 v0, 3, v5
	v_lshlrev_b32_e32 v3, 3, v12
	v_lshl_add_u32 v0, v4, 1, v0
	v_lshl_or_b32 v44, v11, 1, v3
	v_lshlrev_b32_e32 v43, 3, v40
	v_lshlrev_b32_e32 v42, 3, v48
	ds_write_b16 v0, v13 offset:2048
	ds_write_b16 v44, v8
	ds_write_b16 v44, v9 offset:512
	s_waitcnt lgkmcnt(0)
	s_barrier
	ds_read2_b64 v[12:15], v42 offset1:32
	v_add_u32_e32 v45, 0x800, v43
	ds_read2_b64 v[16:19], v45 offset0:48 offset1:56
	ds_read2_b64 v[20:23], v42 offset0:64 offset1:96
	ds_read2_b64 v[24:27], v45 offset1:8
	ds_read2_b64 v[28:31], v45 offset0:16 offset1:24
	ds_read2_b64 v[32:35], v45 offset0:32 offset1:40
	s_waitcnt lgkmcnt(5)
	v_pk_max_f16 v3, v12, v12
	s_waitcnt lgkmcnt(4)
	v_pk_max_f16 v11, v18, v18
	v_pk_max_f16 v14, v14, v14
	v_pk_min_f16 v12, v11, v3
	s_waitcnt lgkmcnt(3)
	v_pk_max_f16 v18, v20, v20
	s_waitcnt lgkmcnt(2)
	v_pk_max_f16 v20, v24, v24
	v_pk_max_f16 v22, v22, v22
	v_pk_max_f16 v26, v26, v26
	s_waitcnt lgkmcnt(1)
	v_pk_max_f16 v28, v28, v28
	v_pk_max_f16 v30, v30, v30
	;; [unrolled: 4-line block ×3, first 2 shown]
	v_pk_max_f16 v16, v16, v16
	v_pk_max_f16 v19, v19, v19
	v_pk_min_f16 v24, v20, v3
	v_pk_min_f16 v36, v20, v14
	;; [unrolled: 1-line block ×14, first 2 shown]
	v_pk_max_f16 v15, v15, v15
	v_pk_min_f16 v67, v30, v18
	v_pk_min_f16 v30, v30, v22
	;; [unrolled: 1-line block ×17, first 2 shown]
	v_pk_add_f16 v12, v12, 0
	v_pk_min_f16 v22, v19, v13
	v_pk_max_f16 v21, v21, v21
	v_pk_add_f16 v50, v12, v22
	v_pk_add_f16 v12, v46, 0
	v_pk_min_f16 v22, v19, v15
	v_pk_max_f16 v25, v25, v25
	v_pk_add_f16 v46, v12, v22
	;; [unrolled: 4-line block ×6, first 2 shown]
	v_pk_add_f16 v12, v20, 0
	v_pk_min_f16 v20, v25, v23
	v_pk_min_f16 v22, v31, v23
	v_pk_add_f16 v54, v12, v20
	v_pk_add_f16 v12, v38, 0
	v_pk_min_f16 v20, v27, v13
	v_pk_add_f16 v24, v72, 0
	v_pk_add_f16 v56, v12, v20
	;; [unrolled: 1-line block ×3, first 2 shown]
	v_pk_min_f16 v20, v27, v15
	s_load_dword s12, s[0:1], 0x8
	v_pk_add_f16 v59, v12, v20
	v_pk_add_f16 v12, v55, 0
	v_pk_min_f16 v20, v27, v21
	v_pk_add_f16 v3, v3, 0
	v_pk_add_f16 v55, v12, v20
	v_pk_add_f16 v12, v26, 0
	v_pk_min_f16 v20, v27, v23
	v_pk_add_f16 v26, v34, 0
	;; [unrolled: 4-line block ×7, first 2 shown]
	v_pk_add_f16 v64, v12, v20
	v_pk_add_f16 v12, v65, 0
	v_pk_min_f16 v20, v31, v15
	s_waitcnt lgkmcnt(0)
	s_cmp_lt_i32 s12, 9
	v_pk_add_f16 v66, v12, v20
	v_pk_add_f16 v12, v67, 0
	v_pk_min_f16 v20, v31, v21
	ds_write_b16 v0, v10 offset:2560
	ds_write_b16 v44, v1 offset:1024
	;; [unrolled: 1-line block ×3, first 2 shown]
	v_pk_add_f16 v63, v12, v20
	v_pk_add_f16 v12, v30, 0
	;; [unrolled: 1-line block ×4, first 2 shown]
	v_pk_max_f16 v12, v33, v33
	s_waitcnt lgkmcnt(0)
	v_pk_min_f16 v22, v12, v13
	s_barrier
	v_pk_add_f16 v65, v20, v22
	v_pk_add_f16 v20, v69, 0
	v_pk_min_f16 v22, v12, v15
	s_nop 0
	v_pk_add_f16 v68, v20, v22
	v_pk_add_f16 v20, v70, 0
	v_pk_min_f16 v22, v12, v21
	v_pk_min_f16 v12, v12, v23
	v_pk_add_f16 v69, v20, v22
	v_pk_add_f16 v20, v32, 0
	;; [unrolled: 1-line block ×4, first 2 shown]
	v_pk_max_f16 v12, v35, v35
	s_nop 0
	v_pk_min_f16 v20, v12, v13
	s_nop 0
	v_pk_add_f16 v71, v22, v20
	v_pk_min_f16 v20, v12, v15
	s_nop 0
	v_pk_add_f16 v72, v24, v20
	v_pk_min_f16 v20, v12, v21
	v_pk_min_f16 v12, v12, v23
	v_pk_add_f16 v73, v25, v20
	v_pk_add_f16 v74, v26, v12
	v_pk_max_f16 v12, v17, v17
	s_nop 0
	v_pk_min_f16 v13, v12, v13
	s_nop 0
	v_pk_add_f16 v75, v3, v13
	v_pk_min_f16 v3, v12, v15
	s_nop 0
	v_pk_add_f16 v76, v14, v3
	;; [unrolled: 3-line block ×5, first 2 shown]
	s_cbranch_scc1 .LBB282_23
; %bb.13:
	s_mov_b32 s13, 0x5040100
	v_perm_b32 v90, v2, v1, s13
	v_mov_b32_e32 v1, 0xa00
	v_lshl_add_u32 v83, v40, 3, v1
	v_mov_b32_e32 v1, 0x400
	v_lshl_add_u32 v84, v48, 3, v1
	v_and_b32_e32 v1, 3, v40
	v_mad_i64_i32 v[2:3], s[4:5], s3, v7, 0
	v_lshlrev_b32_e32 v24, 1, v1
	v_lshl_add_u64 v[26:27], v[2:3], 1, s[22:23]
	v_mad_i64_i32 v[2:3], s[4:5], s3, v6, 0
	v_add_u32_e32 v1, 8, v4
	v_lshl_add_u64 v[28:29], v[2:3], 1, s[22:23]
	v_mad_i64_i32 v[2:3], s[4:5], v1, s10, 0
	v_lshl_or_b32 v1, s2, 6, v5
	s_lshl_b32 s2, s21, 6
	v_lshlrev_b64 v[30:31], 1, v[2:3]
	v_subrev_u32_e32 v2, s2, v1
	v_ashrrev_i32_e32 v3, 31, v2
	v_add_u32_e32 v1, 12, v4
	v_lshl_add_u64 v[32:33], v[2:3], 1, s[18:19]
	v_mad_i64_i32 v[2:3], s[4:5], v1, s10, 0
	v_or_b32_e32 v80, 0x800, v0
	v_add_u32_e32 v81, 0xa00, v0
	v_add_u32_e32 v82, 0x400, v44
	s_add_i32 s12, s12, -8
	v_perm_b32 v0, v9, v8, s13
	v_mov_b32_e32 v25, 0
	s_lshl_b64 s[2:3], s[10:11], 4
	v_lshlrev_b64 v[34:35], 1, v[2:3]
	s_mov_b32 s10, 0
	s_mov_b32 s11, 0xffff
	s_branch .LBB282_15
.LBB282_14:                             ;   in Loop: Header=BB282_15 Depth=1
	v_pk_max_f16 v2, v2, v2
	v_pk_max_f16 v20, v20, v20
	;; [unrolled: 1-line block ×12, first 2 shown]
	v_pk_min_f16 v92, v8, v20
	v_pk_max_f16 v17, v17, v17
	v_pk_max_f16 v19, v19, v19
	v_pk_min_f16 v93, v8, v22
	v_pk_min_f16 v94, v8, v16
	v_pk_min_f16 v8, v8, v18
	v_pk_max_f16 v13, v13, v13
	v_pk_max_f16 v15, v15, v15
	;; [unrolled: 1-line block ×10, first 2 shown]
	v_pk_min_f16 v98, v4, v20
	v_pk_min_f16 v99, v4, v22
	;; [unrolled: 1-line block ×60, first 2 shown]
	v_pk_add_f16 v3, v50, v104
	v_pk_add_f16 v8, v62, v8
	;; [unrolled: 1-line block ×17, first 2 shown]
	ds_read2_b64 v[2:5], v45 offset0:48 offset1:56
	ds_read2_b64 v[6:9], v42 offset1:32
	v_pk_add_f16 v36, v47, v36
	v_pk_add_f16 v37, v51, v37
	;; [unrolled: 1-line block ×3, first 2 shown]
	s_waitcnt lgkmcnt(1)
	v_pk_max_f16 v4, v4, v4
	s_waitcnt lgkmcnt(0)
	v_pk_max_f16 v6, v6, v6
	v_pk_add_f16 v39, v56, v39
	v_pk_add_f16 v47, v59, v90
	;; [unrolled: 1-line block ×12, first 2 shown]
	ds_read2_b64 v[10:13], v42 offset0:64 offset1:96
	v_pk_min_f16 v14, v4, v6
	v_pk_add_f16 v22, v22, v23
	v_pk_add_f16 v23, v16, v17
	;; [unrolled: 1-line block ×3, first 2 shown]
	ds_read2_b64 v[14:17], v45 offset1:8
	v_pk_add_f16 v46, v46, v105
	v_pk_max_f16 v8, v8, v8
	v_pk_add_f16 v49, v49, v106
	v_pk_add_f16 v46, v46, v125
	;; [unrolled: 1-line block ×3, first 2 shown]
	v_pk_min_f16 v19, v4, v8
	s_waitcnt lgkmcnt(1)
	v_pk_max_f16 v10, v10, v10
	v_pk_add_f16 v49, v49, v126
	v_pk_add_f16 v46, v46, v19
	v_pk_min_f16 v19, v4, v10
	s_waitcnt lgkmcnt(0)
	v_pk_max_f16 v14, v14, v14
	v_pk_add_f16 v49, v49, v19
	v_pk_min_f16 v19, v14, v6
	v_pk_add_f16 v62, v72, v102
	v_pk_add_f16 v72, v18, v19
	v_pk_min_f16 v18, v14, v8
	v_pk_add_f16 v51, v57, v92
	v_pk_add_f16 v57, v63, v97
	;; [unrolled: 1-line block ×4, first 2 shown]
	v_pk_min_f16 v18, v14, v10
	v_pk_max_f16 v16, v16, v16
	v_pk_add_f16 v39, v39, v109
	v_pk_add_f16 v74, v37, v18
	v_pk_min_f16 v18, v16, v6
	v_pk_add_f16 v20, v75, v20
	v_pk_add_f16 v47, v47, v110
	;; [unrolled: 1-line block ×3, first 2 shown]
	v_pk_min_f16 v18, v16, v8
	v_pk_add_f16 v54, v61, v94
	v_pk_add_f16 v61, v71, v101
	;; [unrolled: 1-line block ×4, first 2 shown]
	ds_read2_b64 v[18:21], v45 offset0:16 offset1:24
	v_pk_add_f16 v50, v50, v111
	v_pk_max_f16 v12, v12, v12
	v_pk_min_f16 v36, v16, v10
	v_pk_add_f16 v51, v51, v112
	s_waitcnt lgkmcnt(0)
	v_pk_max_f16 v18, v18, v18
	v_pk_add_f16 v77, v50, v36
	v_pk_min_f16 v16, v16, v12
	v_pk_min_f16 v36, v18, v6
	v_pk_add_f16 v53, v53, v113
	v_pk_add_f16 v16, v66, v16
	;; [unrolled: 1-line block ×3, first 2 shown]
	v_pk_min_f16 v36, v18, v8
	v_pk_add_f16 v0, v78, v0
	v_pk_add_f16 v54, v54, v114
	;; [unrolled: 1-line block ×3, first 2 shown]
	v_pk_min_f16 v36, v18, v10
	v_pk_max_f16 v20, v20, v20
	v_pk_add_f16 v55, v55, v115
	v_pk_add_f16 v79, v54, v36
	v_pk_min_f16 v18, v18, v12
	v_pk_min_f16 v36, v20, v6
	v_pk_add_f16 v56, v56, v116
	v_pk_min_f16 v14, v14, v12
	v_pk_add_f16 v18, v67, v18
	v_pk_add_f16 v67, v55, v36
	v_pk_min_f16 v36, v20, v8
	v_pk_add_f16 v1, v0, v1
	v_perm_b32 v0, v89, v88, s13
	v_pk_add_f16 v14, v38, v14
	v_pk_add_f16 v88, v56, v36
	ds_read2_b64 v[36:39], v45 offset0:32 offset1:40
	v_pk_add_f16 v57, v57, v117
	v_pk_min_f16 v47, v20, v10
	v_pk_add_f16 v58, v58, v118
	v_pk_add_f16 v89, v57, v47
	s_waitcnt lgkmcnt(0)
	v_pk_max_f16 v36, v36, v36
	v_pk_min_f16 v20, v20, v12
	v_pk_min_f16 v47, v36, v6
	v_pk_add_f16 v59, v59, v119
	v_pk_add_f16 v20, v68, v20
	;; [unrolled: 1-line block ×3, first 2 shown]
	v_pk_min_f16 v47, v36, v8
	v_pk_add_f16 v60, v60, v120
	v_pk_add_f16 v90, v59, v47
	v_pk_min_f16 v47, v36, v10
	v_pk_max_f16 v38, v38, v38
	v_pk_add_f16 v61, v61, v121
	v_pk_add_f16 v91, v60, v47
	v_pk_min_f16 v47, v38, v6
	v_pk_add_f16 v62, v62, v122
	v_pk_add_f16 v92, v61, v47
	v_pk_min_f16 v47, v38, v8
	v_pk_max_f16 v2, v2, v2
	v_pk_add_f16 v93, v62, v47
	v_pk_min_f16 v47, v38, v10
	v_pk_min_f16 v6, v2, v6
	;; [unrolled: 1-line block ×5, first 2 shown]
	v_pk_add_f16 v63, v63, v123
	v_pk_add_f16 v1, v1, v2
	v_pk_min_f16 v2, v4, v12
	v_pk_max_f16 v4, v5, v5
	v_pk_max_f16 v5, v7, v7
	v_pk_min_f16 v36, v36, v12
	v_pk_min_f16 v7, v4, v5
	;; [unrolled: 1-line block ×3, first 2 shown]
	v_pk_add_f16 v50, v65, v7
	v_pk_max_f16 v7, v9, v9
	v_pk_add_f16 v94, v63, v47
	v_pk_min_f16 v9, v4, v7
	v_pk_add_f16 v2, v64, v2
	v_pk_add_f16 v46, v46, v9
	v_pk_max_f16 v9, v11, v11
	v_pk_add_f16 v36, v69, v36
	v_pk_min_f16 v11, v4, v9
	v_pk_add_f16 v38, v70, v38
	v_pk_add_f16 v49, v49, v11
	v_pk_max_f16 v11, v15, v15
	v_pk_max_f16 v3, v3, v3
	v_pk_min_f16 v12, v11, v5
	v_pk_add_f16 v6, v71, v6
	v_pk_add_f16 v47, v72, v12
	v_pk_min_f16 v12, v11, v7
	v_pk_add_f16 v8, v22, v8
	v_pk_add_f16 v51, v73, v12
	;; [unrolled: 3-line block ×3, first 2 shown]
	v_pk_max_f16 v12, v13, v13
	s_add_i32 s10, s10, 8
	v_pk_min_f16 v11, v11, v12
	v_lshl_add_u64 v[26:27], v[26:27], 0, 16
	v_pk_add_f16 v54, v14, v11
	v_pk_max_f16 v11, v17, v17
	v_lshl_add_u64 v[28:29], v[28:29], 0, 16
	v_pk_min_f16 v13, v11, v5
	s_cmp_ge_i32 s10, s12
	v_pk_add_f16 v56, v75, v13
	v_pk_min_f16 v13, v11, v7
	v_lshl_add_u64 v[32:33], v[32:33], 0, s[2:3]
	v_pk_add_f16 v59, v76, v13
	v_pk_min_f16 v13, v11, v9
	v_pk_min_f16 v11, v11, v12
	v_pk_add_f16 v55, v77, v13
	v_pk_add_f16 v58, v16, v11
	v_pk_max_f16 v11, v19, v19
	ds_write_b16 v81, v86
	ds_write_b16 v82, v85
	ds_write_b16 v82, v87 offset:512
	v_pk_min_f16 v13, v11, v5
	s_waitcnt lgkmcnt(0)
	v_pk_add_f16 v57, v66, v13
	v_pk_min_f16 v13, v11, v7
	s_barrier
	v_pk_add_f16 v60, v78, v13
	v_pk_min_f16 v13, v11, v9
	v_pk_min_f16 v11, v11, v12
	v_pk_add_f16 v61, v79, v13
	v_pk_add_f16 v62, v18, v11
	v_pk_max_f16 v11, v21, v21
	s_nop 0
	v_pk_min_f16 v13, v11, v5
	s_nop 0
	v_pk_add_f16 v64, v67, v13
	v_pk_min_f16 v13, v11, v7
	s_nop 0
	v_pk_add_f16 v66, v88, v13
	v_pk_min_f16 v13, v11, v9
	v_pk_min_f16 v11, v11, v12
	v_pk_add_f16 v63, v89, v13
	v_pk_add_f16 v67, v20, v11
	v_pk_max_f16 v11, v37, v37
	s_nop 0
	v_pk_min_f16 v13, v11, v5
	s_nop 0
	v_pk_add_f16 v65, v68, v13
	v_pk_min_f16 v13, v11, v7
	s_nop 0
	v_pk_add_f16 v68, v90, v13
	v_pk_min_f16 v13, v11, v9
	v_pk_min_f16 v11, v11, v12
	v_pk_add_f16 v69, v91, v13
	v_pk_add_f16 v70, v36, v11
	v_pk_max_f16 v11, v39, v39
	v_perm_b32 v90, v87, v85, s13
	v_pk_min_f16 v13, v11, v5
	v_pk_min_f16 v5, v3, v5
	v_pk_add_f16 v71, v92, v13
	v_pk_add_f16 v75, v6, v5
	v_pk_min_f16 v5, v3, v7
	v_pk_min_f16 v13, v11, v7
	v_pk_add_f16 v76, v8, v5
	v_pk_min_f16 v5, v3, v9
	v_pk_min_f16 v3, v3, v12
	;; [unrolled: 3-line block ×3, first 2 shown]
	v_pk_add_f16 v78, v1, v3
	v_pk_min_f16 v1, v4, v12
	v_pk_add_f16 v73, v94, v13
	v_pk_add_f16 v74, v38, v11
	;; [unrolled: 1-line block ×4, first 2 shown]
	s_cbranch_scc1 .LBB282_23
.LBB282_15:                             ; =>This Inner Loop Header: Depth=1
	s_mov_b64 s[4:5], -1
	s_mov_b64 vcc, s[8:9]
                                        ; implicit-def: $vgpr88
	s_cbranch_vccz .LBB282_17
; %bb.16:                               ;   in Loop: Header=BB282_15 Depth=1
	v_and_b32_e32 v88, 0xffff0000, v0
	s_mov_b64 s[4:5], 0
.LBB282_17:                             ;   in Loop: Header=BB282_15 Depth=1
	v_mov_b32_e32 v85, 0
	s_andn2_b64 vcc, exec, s[4:5]
	v_lshl_add_u64 v[38:39], v[26:27], 0, v[24:25]
	v_lshl_add_u64 v[36:37], v[28:29], 0, v[24:25]
	v_mov_b32_e32 v89, 0
	s_cbranch_vccnz .LBB282_19
; %bb.18:                               ;   in Loop: Header=BB282_15 Depth=1
	v_lshl_add_u64 v[2:3], v[32:33], 0, v[30:31]
	global_load_ushort v1, v[38:39], off offset:16
	global_load_ushort v4, v[2:3], off
	global_load_ushort v5, v[36:37], off offset:16
	s_waitcnt vmcnt(2)
	v_mul_f16_e32 v1, v41, v1
	s_waitcnt vmcnt(1)
	v_mul_f16_e32 v85, v41, v4
	v_bfi_b32 v88, s11, v1, v0
	s_waitcnt vmcnt(0)
	v_mul_f16_e32 v89, v41, v5
.LBB282_19:                             ;   in Loop: Header=BB282_15 Depth=1
	ds_read2_b64 v[0:3], v83 offset0:48 offset1:56
	ds_read2_b64 v[16:19], v84 offset0:64 offset1:96
	ds_read2_b64 v[20:23], v84 offset1:32
	ds_read2_b64 v[12:15], v83 offset1:8
	ds_read2_b64 v[8:11], v83 offset0:16 offset1:24
	ds_read2_b64 v[4:7], v83 offset0:32 offset1:40
	s_mov_b64 s[4:5], -1
	s_mov_b64 vcc, s[8:9]
	ds_write_b16 v80, v85
	ds_write_b16 v44, v88
	ds_write_b16 v44, v89 offset:512
	s_waitcnt lgkmcnt(0)
	s_barrier
                                        ; implicit-def: $vgpr85
	s_cbranch_vccz .LBB282_21
; %bb.20:                               ;   in Loop: Header=BB282_15 Depth=1
	v_and_b32_e32 v85, 0xffff0000, v90
	s_mov_b64 s[4:5], 0
.LBB282_21:                             ;   in Loop: Header=BB282_15 Depth=1
	v_mov_b32_e32 v86, 0
	s_andn2_b64 vcc, exec, s[4:5]
	v_mov_b32_e32 v87, 0
	s_cbranch_vccnz .LBB282_14
; %bb.22:                               ;   in Loop: Header=BB282_15 Depth=1
	v_lshl_add_u64 v[86:87], v[32:33], 0, v[34:35]
	global_load_ushort v85, v[38:39], off offset:24
	global_load_ushort v91, v[86:87], off
	global_load_ushort v92, v[36:37], off offset:24
	s_waitcnt vmcnt(2)
	v_mul_f16_e32 v36, v41, v85
	s_waitcnt vmcnt(1)
	v_mul_f16_e32 v86, v41, v91
	v_bfi_b32 v85, s11, v36, v90
	s_waitcnt vmcnt(0)
	v_mul_f16_e32 v87, v41, v92
	s_branch .LBB282_14
.LBB282_23:
	s_load_dwordx2 s[2:3], s[0:1], 0x78
	s_load_dword s12, s[0:1], 0x58
	s_load_dword s13, s[0:1], 0x70
	v_add_u32_e32 v12, 0x800, v43
	ds_read2_b64 v[0:3], v42 offset0:128 offset1:160
	ds_read2_b64 v[4:7], v12 offset0:112 offset1:120
	;; [unrolled: 1-line block ×4, first 2 shown]
	s_waitcnt lgkmcnt(0)
	s_mul_i32 s1, s3, s20
	v_pk_max_f16 v2, v2, v2
	v_pk_max_f16 v6, v6, v6
	;; [unrolled: 1-line block ×4, first 2 shown]
	v_pk_min_f16 v15, v6, v8
	v_pk_max_f16 v10, v10, v10
	v_pk_add_f16 v28, v49, v15
	v_pk_max_f16 v15, v16, v16
	v_pk_min_f16 v13, v6, v0
	v_pk_min_f16 v20, v15, v2
	;; [unrolled: 1-line block ×3, first 2 shown]
	v_pk_add_f16 v29, v51, v20
	v_pk_min_f16 v20, v15, v8
	v_pk_min_f16 v15, v15, v10
	v_pk_add_f16 v30, v53, v20
	v_pk_add_f16 v31, v54, v15
	v_pk_max_f16 v15, v18, v18
	v_pk_add_f16 v13, v50, v13
	v_pk_min_f16 v20, v15, v2
	v_pk_min_f16 v18, v15, v0
	v_pk_add_f16 v49, v59, v20
	ds_read2_b64 v[20:23], v12 offset0:80 offset1:88
	v_pk_min_f16 v24, v15, v8
	v_pk_min_f16 v15, v15, v10
	v_pk_add_f16 v50, v55, v24
	v_pk_add_f16 v51, v58, v15
	s_waitcnt lgkmcnt(0)
	v_pk_max_f16 v15, v20, v20
	v_pk_add_f16 v18, v56, v18
	v_pk_min_f16 v24, v15, v2
	v_pk_min_f16 v20, v15, v0
	v_pk_add_f16 v54, v60, v24
	v_pk_min_f16 v24, v15, v8
	v_pk_min_f16 v15, v15, v10
	v_pk_add_f16 v55, v61, v24
	v_pk_add_f16 v56, v62, v15
	v_pk_max_f16 v15, v22, v22
	v_pk_add_f16 v20, v57, v20
	v_pk_min_f16 v24, v15, v2
	v_pk_min_f16 v22, v15, v0
	v_pk_add_f16 v57, v66, v24
	ds_read2_b64 v[24:27], v12 offset0:96 offset1:104
	v_pk_min_f16 v12, v15, v8
	v_pk_max_f16 v4, v4, v4
	v_pk_add_f16 v58, v63, v12
	v_pk_min_f16 v12, v15, v10
	v_pk_min_f16 v14, v6, v2
	v_pk_add_f16 v59, v67, v12
	s_waitcnt lgkmcnt(0)
	v_pk_max_f16 v12, v24, v24
	v_pk_add_f16 v14, v46, v14
	v_pk_min_f16 v15, v12, v0
	s_mul_hi_u32 s3, s2, s20
	v_pk_add_f16 v24, v65, v15
	v_pk_min_f16 v15, v12, v2
	v_pk_add_f16 v22, v64, v22
	v_pk_add_f16 v60, v68, v15
	v_pk_min_f16 v15, v12, v8
	v_pk_min_f16 v12, v12, v10
	v_pk_add_f16 v61, v69, v15
	v_pk_add_f16 v62, v70, v12
	v_pk_max_f16 v12, v26, v26
	s_mul_i32 s0, s2, s20
	v_pk_min_f16 v15, v12, v0
	v_pk_min_f16 v0, v4, v0
	v_pk_add_f16 v26, v71, v15
	v_pk_add_f16 v66, v75, v0
	v_pk_min_f16 v0, v4, v2
	v_pk_min_f16 v15, v12, v2
	v_pk_add_f16 v67, v76, v0
	v_pk_min_f16 v0, v4, v8
	v_pk_add_f16 v63, v72, v15
	v_pk_add_f16 v68, v77, v0
	v_pk_min_f16 v0, v4, v10
	v_pk_min_f16 v15, v12, v8
	v_pk_add_f16 v69, v78, v0
	v_pk_min_f16 v0, v6, v10
	v_pk_add_f16 v64, v73, v15
	v_pk_add_f16 v70, v79, v0
	v_pk_max_f16 v0, v1, v1
	v_pk_max_f16 v1, v7, v7
	s_add_i32 s1, s3, s1
	v_pk_min_f16 v2, v1, v0
	v_pk_min_f16 v12, v12, v10
	v_pk_add_f16 v7, v13, v2
	v_pk_max_f16 v2, v3, v3
	s_lshl_b64 s[0:1], s[0:1], 1
	v_pk_min_f16 v3, v1, v2
	v_pk_add_f16 v65, v74, v12
	v_pk_add_f16 v15, v14, v3
	v_pk_max_f16 v3, v9, v9
	v_pk_max_f16 v11, v11, v11
	v_pk_min_f16 v4, v1, v3
	v_pk_max_f16 v12, v19, v19
	v_pk_add_f16 v9, v28, v4
	v_pk_max_f16 v4, v17, v17
	v_pk_max_f16 v19, v21, v21
	;; [unrolled: 1-line block ×6, first 2 shown]
	v_add_u32_e32 v32, s17, v40
	s_add_u32 s8, s14, s0
	v_pk_add_f16 v16, v47, v16
	v_pk_min_f16 v6, v4, v0
	v_pk_min_f16 v8, v4, v2
	v_pk_min_f16 v10, v4, v3
	v_pk_min_f16 v4, v4, v11
	v_pk_min_f16 v13, v12, v0
	v_pk_min_f16 v14, v12, v2
	v_pk_min_f16 v17, v12, v3
	v_pk_min_f16 v12, v12, v11
	v_pk_min_f16 v21, v19, v0
	v_pk_min_f16 v28, v19, v2
	v_pk_min_f16 v71, v19, v3
	v_pk_min_f16 v19, v19, v11
	v_pk_min_f16 v72, v23, v0
	v_pk_min_f16 v73, v23, v2
	v_pk_min_f16 v74, v23, v3
	v_pk_min_f16 v23, v23, v11
	v_pk_min_f16 v75, v25, v0
	v_pk_min_f16 v76, v25, v2
	v_pk_min_f16 v77, v25, v3
	v_pk_min_f16 v25, v25, v11
	v_pk_min_f16 v78, v27, v0
	v_pk_min_f16 v79, v27, v2
	v_pk_min_f16 v80, v27, v3
	v_pk_min_f16 v81, v27, v11
	v_pk_min_f16 v82, v5, v0
	v_pk_min_f16 v83, v5, v2
	v_pk_min_f16 v84, v5, v3
	v_pk_min_f16 v85, v5, v11
	v_pk_min_f16 v86, v1, v11
	v_add_u32_e32 v34, 8, v32
	v_add_u32_e32 v36, 16, v32
	;; [unrolled: 1-line block ×7, first 2 shown]
	v_cmp_neq_f16_e64 s[4:5], 0, v52
	s_addc_u32 s9, s15, s1
	v_ashrrev_i32_e32 v33, 31, v32
	v_ashrrev_i32_e32 v35, 31, v34
	v_ashrrev_i32_e32 v37, 31, v36
	v_ashrrev_i32_e32 v39, 31, v38
	v_ashrrev_i32_e32 v41, 31, v40
	v_ashrrev_i32_e32 v43, 31, v42
	v_ashrrev_i32_e32 v45, 31, v44
	v_ashrrev_i32_e32 v47, 31, v46
	v_add_u32_e32 v53, s16, v48
	s_mov_b64 s[10:11], 15
	v_pk_add_f16 v0, v16, v6
	v_pk_add_f16 v8, v29, v8
	;; [unrolled: 1-line block ×29, first 2 shown]
	s_branch .LBB282_25
.LBB282_24:                             ;   in Loop: Header=BB282_25 Depth=1
	s_add_i32 s0, s10, -1
	s_cmp_eq_u32 s0, 1
	s_cselect_b64 vcc, -1, 0
	s_cmp_eq_u32 s0, 2
	v_cndmask_b32_e32 v48, v0, v54, vcc
	s_cselect_b64 vcc, -1, 0
	s_cmp_eq_u32 s0, 3
	v_cndmask_b32_e32 v48, v48, v1, vcc
	;; [unrolled: 3-line block ×62, first 2 shown]
	s_cselect_b64 vcc, -1, 0
	s_cmp_eq_u32 s10, 1
	s_cselect_b64 s[0:1], -1, 0
	s_cmp_eq_u32 s10, 2
	v_cndmask_b32_e64 v49, v0, v54, s[0:1]
	s_cselect_b64 s[0:1], -1, 0
	s_cmp_eq_u32 s10, 3
	v_cndmask_b32_e64 v49, v49, v1, s[0:1]
	;; [unrolled: 3-line block ×61, first 2 shown]
	v_cndmask_b32_e32 v48, v48, v85, vcc
	s_cselect_b64 vcc, -1, 0
	s_cmp_eq_u32 s10, 63
	v_cndmask_b32_e32 v49, v49, v31, vcc
	s_cselect_b64 vcc, -1, 0
	v_cndmask_b32_e32 v49, v49, v85, vcc
	s_add_u32 s10, s10, 16
	v_add_f16_e32 v48, v48, v49
	s_addc_u32 s11, s11, 0
	v_add_f16_e32 v54, v48, v86
	v_lshl_add_u64 v[48:49], v[46:47], 1, v[50:51]
	s_cmpk_lg_i32 s10, 0x4f
	v_add_u32_e32 v53, 32, v53
	global_store_short v[48:49], v54, off
	s_cbranch_scc0 .LBB282_41
.LBB282_25:                             ; =>This Inner Loop Header: Depth=1
	v_mad_i64_i32 v[48:49], s[0:1], v53, s12, 0
	v_cndmask_b32_e64 v50, 0, 1, s[4:5]
	v_lshl_add_u64 v[48:49], v[48:49], 1, s[6:7]
	v_mov_b32_e32 v86, 0
	v_cmp_ne_u32_e64 s[2:3], 1, v50
	s_andn2_b64 vcc, exec, s[4:5]
	v_mov_b32_e32 v50, 0
	s_cbranch_vccnz .LBB282_27
; %bb.26:                               ;   in Loop: Header=BB282_25 Depth=1
	v_lshl_add_u64 v[50:51], v[32:33], 1, v[48:49]
	global_load_ushort v50, v[50:51], off
	s_waitcnt vmcnt(0)
	v_mul_f16_e32 v50, v52, v50
.LBB282_27:                             ;   in Loop: Header=BB282_25 Depth=1
	s_add_i32 s0, s10, -15
	s_cmp_eq_u32 s0, 1
	v_lshrrev_b32_e32 v54, 16, v0
	s_cselect_b64 vcc, -1, 0
	s_cmp_eq_u32 s0, 2
	v_cndmask_b32_e32 v51, v0, v54, vcc
	s_cselect_b64 vcc, -1, 0
	s_cmp_eq_u32 s0, 3
	v_cndmask_b32_e32 v51, v51, v1, vcc
	v_lshrrev_b32_e32 v55, 16, v1
	s_cselect_b64 vcc, -1, 0
	s_cmp_eq_u32 s0, 4
	v_cndmask_b32_e32 v51, v51, v55, vcc
	s_cselect_b64 vcc, -1, 0
	s_cmp_eq_u32 s0, 5
	v_cndmask_b32_e32 v51, v51, v4, vcc
	v_lshrrev_b32_e32 v56, 16, v4
	s_cselect_b64 vcc, -1, 0
	s_cmp_eq_u32 s0, 6
	v_cndmask_b32_e32 v51, v51, v56, vcc
	s_cselect_b64 vcc, -1, 0
	s_cmp_eq_u32 s0, 7
	v_cndmask_b32_e32 v51, v51, v5, vcc
	v_lshrrev_b32_e32 v57, 16, v5
	s_cselect_b64 vcc, -1, 0
	s_cmp_eq_u32 s0, 8
	v_cndmask_b32_e32 v51, v51, v57, vcc
	s_cselect_b64 vcc, -1, 0
	s_cmp_eq_u32 s0, 9
	v_cndmask_b32_e32 v51, v51, v16, vcc
	v_lshrrev_b32_e32 v58, 16, v16
	s_cselect_b64 vcc, -1, 0
	s_cmp_eq_u32 s0, 10
	v_cndmask_b32_e32 v51, v51, v58, vcc
	s_cselect_b64 vcc, -1, 0
	s_cmp_eq_u32 s0, 11
	v_cndmask_b32_e32 v51, v51, v23, vcc
	v_lshrrev_b32_e32 v59, 16, v23
	s_cselect_b64 vcc, -1, 0
	s_cmp_eq_u32 s0, 12
	v_cndmask_b32_e32 v51, v51, v59, vcc
	s_cselect_b64 vcc, -1, 0
	s_cmp_eq_u32 s0, 13
	v_cndmask_b32_e32 v51, v51, v24, vcc
	v_lshrrev_b32_e32 v60, 16, v24
	s_cselect_b64 vcc, -1, 0
	s_cmp_eq_u32 s0, 14
	v_cndmask_b32_e32 v51, v51, v60, vcc
	s_cselect_b64 vcc, -1, 0
	s_cmp_eq_u32 s0, 15
	v_cndmask_b32_e32 v51, v51, v7, vcc
	v_lshrrev_b32_e32 v61, 16, v7
	s_cselect_b64 vcc, -1, 0
	s_cmp_eq_u32 s0, 16
	v_cndmask_b32_e32 v51, v51, v61, vcc
	s_cselect_b64 vcc, -1, 0
	s_cmp_eq_u32 s0, 17
	v_cndmask_b32_e32 v51, v51, v8, vcc
	v_lshrrev_b32_e32 v62, 16, v8
	s_cselect_b64 vcc, -1, 0
	s_cmp_eq_u32 s0, 18
	v_cndmask_b32_e32 v51, v51, v62, vcc
	s_cselect_b64 vcc, -1, 0
	s_cmp_eq_u32 s0, 19
	v_cndmask_b32_e32 v51, v51, v11, vcc
	v_lshrrev_b32_e32 v63, 16, v11
	s_cselect_b64 vcc, -1, 0
	s_cmp_eq_u32 s0, 20
	v_cndmask_b32_e32 v51, v51, v63, vcc
	s_cselect_b64 vcc, -1, 0
	s_cmp_eq_u32 s0, 21
	v_cndmask_b32_e32 v51, v51, v12, vcc
	v_lshrrev_b32_e32 v64, 16, v12
	s_cselect_b64 vcc, -1, 0
	s_cmp_eq_u32 s0, 22
	v_cndmask_b32_e32 v51, v51, v64, vcc
	s_cselect_b64 vcc, -1, 0
	s_cmp_eq_u32 s0, 23
	v_cndmask_b32_e32 v51, v51, v17, vcc
	v_lshrrev_b32_e32 v65, 16, v17
	s_cselect_b64 vcc, -1, 0
	s_cmp_eq_u32 s0, 24
	v_cndmask_b32_e32 v51, v51, v65, vcc
	s_cselect_b64 vcc, -1, 0
	s_cmp_eq_u32 s0, 25
	v_cndmask_b32_e32 v51, v51, v18, vcc
	v_lshrrev_b32_e32 v66, 16, v18
	s_cselect_b64 vcc, -1, 0
	s_cmp_eq_u32 s0, 26
	v_cndmask_b32_e32 v51, v51, v66, vcc
	s_cselect_b64 vcc, -1, 0
	s_cmp_eq_u32 s0, 27
	v_cndmask_b32_e32 v51, v51, v25, vcc
	v_lshrrev_b32_e32 v67, 16, v25
	s_cselect_b64 vcc, -1, 0
	s_cmp_eq_u32 s0, 28
	v_cndmask_b32_e32 v51, v51, v67, vcc
	s_cselect_b64 vcc, -1, 0
	s_cmp_eq_u32 s0, 29
	v_cndmask_b32_e32 v51, v51, v26, vcc
	v_lshrrev_b32_e32 v68, 16, v26
	s_cselect_b64 vcc, -1, 0
	s_cmp_eq_u32 s0, 30
	v_cndmask_b32_e32 v51, v51, v68, vcc
	s_cselect_b64 vcc, -1, 0
	s_cmp_eq_u32 s0, 31
	v_cndmask_b32_e32 v51, v51, v15, vcc
	v_lshrrev_b32_e32 v69, 16, v15
	s_cselect_b64 vcc, -1, 0
	s_cmp_eq_u32 s0, 32
	v_cndmask_b32_e32 v51, v51, v69, vcc
	s_cselect_b64 vcc, -1, 0
	s_cmp_eq_u32 s0, 33
	v_cndmask_b32_e32 v51, v51, v2, vcc
	v_lshrrev_b32_e32 v70, 16, v2
	s_cselect_b64 vcc, -1, 0
	s_cmp_eq_u32 s0, 34
	v_cndmask_b32_e32 v51, v51, v70, vcc
	s_cselect_b64 vcc, -1, 0
	s_cmp_eq_u32 s0, 35
	v_cndmask_b32_e32 v51, v51, v3, vcc
	v_lshrrev_b32_e32 v71, 16, v3
	s_cselect_b64 vcc, -1, 0
	s_cmp_eq_u32 s0, 36
	v_cndmask_b32_e32 v51, v51, v71, vcc
	s_cselect_b64 vcc, -1, 0
	s_cmp_eq_u32 s0, 37
	v_cndmask_b32_e32 v51, v51, v6, vcc
	v_lshrrev_b32_e32 v72, 16, v6
	s_cselect_b64 vcc, -1, 0
	s_cmp_eq_u32 s0, 38
	v_cndmask_b32_e32 v51, v51, v72, vcc
	s_cselect_b64 vcc, -1, 0
	s_cmp_eq_u32 s0, 39
	v_cndmask_b32_e32 v51, v51, v19, vcc
	v_lshrrev_b32_e32 v73, 16, v19
	s_cselect_b64 vcc, -1, 0
	s_cmp_eq_u32 s0, 40
	v_cndmask_b32_e32 v51, v51, v73, vcc
	s_cselect_b64 vcc, -1, 0
	s_cmp_eq_u32 s0, 41
	v_cndmask_b32_e32 v51, v51, v20, vcc
	v_lshrrev_b32_e32 v74, 16, v20
	s_cselect_b64 vcc, -1, 0
	s_cmp_eq_u32 s0, 42
	v_cndmask_b32_e32 v51, v51, v74, vcc
	s_cselect_b64 vcc, -1, 0
	s_cmp_eq_u32 s0, 43
	v_cndmask_b32_e32 v51, v51, v27, vcc
	v_lshrrev_b32_e32 v75, 16, v27
	s_cselect_b64 vcc, -1, 0
	s_cmp_eq_u32 s0, 44
	v_cndmask_b32_e32 v51, v51, v75, vcc
	s_cselect_b64 vcc, -1, 0
	s_cmp_eq_u32 s0, 45
	v_cndmask_b32_e32 v51, v51, v28, vcc
	v_lshrrev_b32_e32 v76, 16, v28
	s_cselect_b64 vcc, -1, 0
	s_cmp_eq_u32 s0, 46
	v_cndmask_b32_e32 v51, v51, v76, vcc
	s_cselect_b64 vcc, -1, 0
	s_cmp_eq_u32 s0, 47
	v_cndmask_b32_e32 v51, v51, v9, vcc
	v_lshrrev_b32_e32 v77, 16, v9
	s_cselect_b64 vcc, -1, 0
	s_cmp_eq_u32 s0, 48
	v_cndmask_b32_e32 v51, v51, v77, vcc
	s_cselect_b64 vcc, -1, 0
	s_cmp_eq_u32 s0, 49
	v_cndmask_b32_e32 v51, v51, v10, vcc
	v_lshrrev_b32_e32 v78, 16, v10
	s_cselect_b64 vcc, -1, 0
	s_cmp_eq_u32 s0, 50
	v_cndmask_b32_e32 v51, v51, v78, vcc
	s_cselect_b64 vcc, -1, 0
	s_cmp_eq_u32 s0, 51
	v_cndmask_b32_e32 v51, v51, v13, vcc
	v_lshrrev_b32_e32 v79, 16, v13
	s_cselect_b64 vcc, -1, 0
	s_cmp_eq_u32 s0, 52
	v_cndmask_b32_e32 v51, v51, v79, vcc
	s_cselect_b64 vcc, -1, 0
	s_cmp_eq_u32 s0, 53
	v_cndmask_b32_e32 v51, v51, v14, vcc
	v_lshrrev_b32_e32 v80, 16, v14
	s_cselect_b64 vcc, -1, 0
	s_cmp_eq_u32 s0, 54
	v_cndmask_b32_e32 v51, v51, v80, vcc
	s_cselect_b64 vcc, -1, 0
	s_cmp_eq_u32 s0, 55
	v_cndmask_b32_e32 v51, v51, v21, vcc
	v_lshrrev_b32_e32 v81, 16, v21
	s_cselect_b64 vcc, -1, 0
	s_cmp_eq_u32 s0, 56
	v_cndmask_b32_e32 v51, v51, v81, vcc
	s_cselect_b64 vcc, -1, 0
	s_cmp_eq_u32 s0, 57
	v_cndmask_b32_e32 v51, v51, v22, vcc
	v_lshrrev_b32_e32 v82, 16, v22
	s_cselect_b64 vcc, -1, 0
	s_cmp_eq_u32 s0, 58
	v_cndmask_b32_e32 v51, v51, v82, vcc
	s_cselect_b64 vcc, -1, 0
	s_cmp_eq_u32 s0, 59
	v_cndmask_b32_e32 v51, v51, v29, vcc
	v_lshrrev_b32_e32 v83, 16, v29
	s_cselect_b64 vcc, -1, 0
	s_cmp_eq_u32 s0, 60
	v_cndmask_b32_e32 v51, v51, v83, vcc
	s_cselect_b64 vcc, -1, 0
	s_cmp_eq_u32 s0, 61
	v_cndmask_b32_e32 v51, v51, v30, vcc
	v_lshrrev_b32_e32 v84, 16, v30
	s_cselect_b64 vcc, -1, 0
	s_cmp_eq_u32 s0, 62
	v_cndmask_b32_e32 v51, v51, v84, vcc
	s_cselect_b64 vcc, -1, 0
	s_cmp_eq_u32 s0, 63
	v_cndmask_b32_e32 v51, v51, v31, vcc
	s_cselect_b64 vcc, -1, 0
	s_add_i32 s0, s10, -14
	v_lshrrev_b32_e32 v85, 16, v31
	s_cmp_eq_u32 s0, 1
	v_cndmask_b32_e32 v51, v51, v85, vcc
	s_cselect_b64 vcc, -1, 0
	s_cmp_eq_u32 s0, 2
	v_cndmask_b32_e32 v87, v0, v54, vcc
	s_cselect_b64 vcc, -1, 0
	s_cmp_eq_u32 s0, 3
	v_cndmask_b32_e32 v87, v87, v1, vcc
	s_cselect_b64 vcc, -1, 0
	s_cmp_eq_u32 s0, 4
	v_cndmask_b32_e32 v87, v87, v55, vcc
	s_cselect_b64 vcc, -1, 0
	s_cmp_eq_u32 s0, 5
	v_cndmask_b32_e32 v87, v87, v4, vcc
	s_cselect_b64 vcc, -1, 0
	s_cmp_eq_u32 s0, 6
	v_cndmask_b32_e32 v87, v87, v56, vcc
	s_cselect_b64 vcc, -1, 0
	s_cmp_eq_u32 s0, 7
	v_cndmask_b32_e32 v87, v87, v5, vcc
	s_cselect_b64 vcc, -1, 0
	s_cmp_eq_u32 s0, 8
	v_cndmask_b32_e32 v87, v87, v57, vcc
	s_cselect_b64 vcc, -1, 0
	s_cmp_eq_u32 s0, 9
	v_cndmask_b32_e32 v87, v87, v16, vcc
	s_cselect_b64 vcc, -1, 0
	s_cmp_eq_u32 s0, 10
	v_cndmask_b32_e32 v87, v87, v58, vcc
	s_cselect_b64 vcc, -1, 0
	s_cmp_eq_u32 s0, 11
	v_cndmask_b32_e32 v87, v87, v23, vcc
	s_cselect_b64 vcc, -1, 0
	s_cmp_eq_u32 s0, 12
	v_cndmask_b32_e32 v87, v87, v59, vcc
	s_cselect_b64 vcc, -1, 0
	s_cmp_eq_u32 s0, 13
	v_cndmask_b32_e32 v87, v87, v24, vcc
	s_cselect_b64 vcc, -1, 0
	s_cmp_eq_u32 s0, 14
	v_cndmask_b32_e32 v87, v87, v60, vcc
	s_cselect_b64 vcc, -1, 0
	s_cmp_eq_u32 s0, 15
	v_cndmask_b32_e32 v87, v87, v7, vcc
	s_cselect_b64 vcc, -1, 0
	s_cmp_eq_u32 s0, 16
	v_cndmask_b32_e32 v87, v87, v61, vcc
	s_cselect_b64 vcc, -1, 0
	s_cmp_eq_u32 s0, 17
	v_cndmask_b32_e32 v87, v87, v8, vcc
	s_cselect_b64 vcc, -1, 0
	s_cmp_eq_u32 s0, 18
	v_cndmask_b32_e32 v87, v87, v62, vcc
	s_cselect_b64 vcc, -1, 0
	s_cmp_eq_u32 s0, 19
	v_cndmask_b32_e32 v87, v87, v11, vcc
	s_cselect_b64 vcc, -1, 0
	s_cmp_eq_u32 s0, 20
	v_cndmask_b32_e32 v87, v87, v63, vcc
	s_cselect_b64 vcc, -1, 0
	s_cmp_eq_u32 s0, 21
	v_cndmask_b32_e32 v87, v87, v12, vcc
	s_cselect_b64 vcc, -1, 0
	s_cmp_eq_u32 s0, 22
	v_cndmask_b32_e32 v87, v87, v64, vcc
	s_cselect_b64 vcc, -1, 0
	s_cmp_eq_u32 s0, 23
	v_cndmask_b32_e32 v87, v87, v17, vcc
	s_cselect_b64 vcc, -1, 0
	s_cmp_eq_u32 s0, 24
	v_cndmask_b32_e32 v87, v87, v65, vcc
	s_cselect_b64 vcc, -1, 0
	s_cmp_eq_u32 s0, 25
	v_cndmask_b32_e32 v87, v87, v18, vcc
	s_cselect_b64 vcc, -1, 0
	s_cmp_eq_u32 s0, 26
	v_cndmask_b32_e32 v87, v87, v66, vcc
	s_cselect_b64 vcc, -1, 0
	s_cmp_eq_u32 s0, 27
	v_cndmask_b32_e32 v87, v87, v25, vcc
	s_cselect_b64 vcc, -1, 0
	s_cmp_eq_u32 s0, 28
	v_cndmask_b32_e32 v87, v87, v67, vcc
	s_cselect_b64 vcc, -1, 0
	s_cmp_eq_u32 s0, 29
	v_cndmask_b32_e32 v87, v87, v26, vcc
	s_cselect_b64 vcc, -1, 0
	s_cmp_eq_u32 s0, 30
	v_cndmask_b32_e32 v87, v87, v68, vcc
	s_cselect_b64 vcc, -1, 0
	s_cmp_eq_u32 s0, 31
	v_cndmask_b32_e32 v87, v87, v15, vcc
	s_cselect_b64 vcc, -1, 0
	s_cmp_eq_u32 s0, 32
	v_cndmask_b32_e32 v87, v87, v69, vcc
	s_cselect_b64 vcc, -1, 0
	s_cmp_eq_u32 s0, 33
	v_cndmask_b32_e32 v87, v87, v2, vcc
	s_cselect_b64 vcc, -1, 0
	s_cmp_eq_u32 s0, 34
	v_cndmask_b32_e32 v87, v87, v70, vcc
	s_cselect_b64 vcc, -1, 0
	s_cmp_eq_u32 s0, 35
	v_cndmask_b32_e32 v87, v87, v3, vcc
	s_cselect_b64 vcc, -1, 0
	s_cmp_eq_u32 s0, 36
	v_cndmask_b32_e32 v87, v87, v71, vcc
	s_cselect_b64 vcc, -1, 0
	s_cmp_eq_u32 s0, 37
	v_cndmask_b32_e32 v87, v87, v6, vcc
	s_cselect_b64 vcc, -1, 0
	s_cmp_eq_u32 s0, 38
	v_cndmask_b32_e32 v87, v87, v72, vcc
	s_cselect_b64 vcc, -1, 0
	s_cmp_eq_u32 s0, 39
	v_cndmask_b32_e32 v87, v87, v19, vcc
	s_cselect_b64 vcc, -1, 0
	s_cmp_eq_u32 s0, 40
	v_cndmask_b32_e32 v87, v87, v73, vcc
	s_cselect_b64 vcc, -1, 0
	s_cmp_eq_u32 s0, 41
	v_cndmask_b32_e32 v87, v87, v20, vcc
	s_cselect_b64 vcc, -1, 0
	s_cmp_eq_u32 s0, 42
	v_cndmask_b32_e32 v87, v87, v74, vcc
	s_cselect_b64 vcc, -1, 0
	s_cmp_eq_u32 s0, 43
	v_cndmask_b32_e32 v87, v87, v27, vcc
	s_cselect_b64 vcc, -1, 0
	s_cmp_eq_u32 s0, 44
	v_cndmask_b32_e32 v87, v87, v75, vcc
	s_cselect_b64 vcc, -1, 0
	s_cmp_eq_u32 s0, 45
	v_cndmask_b32_e32 v87, v87, v28, vcc
	s_cselect_b64 vcc, -1, 0
	s_cmp_eq_u32 s0, 46
	v_cndmask_b32_e32 v87, v87, v76, vcc
	s_cselect_b64 vcc, -1, 0
	s_cmp_eq_u32 s0, 47
	v_cndmask_b32_e32 v87, v87, v9, vcc
	s_cselect_b64 vcc, -1, 0
	s_cmp_eq_u32 s0, 48
	v_cndmask_b32_e32 v87, v87, v77, vcc
	s_cselect_b64 vcc, -1, 0
	s_cmp_eq_u32 s0, 49
	v_cndmask_b32_e32 v87, v87, v10, vcc
	s_cselect_b64 vcc, -1, 0
	s_cmp_eq_u32 s0, 50
	v_cndmask_b32_e32 v87, v87, v78, vcc
	s_cselect_b64 vcc, -1, 0
	s_cmp_eq_u32 s0, 51
	v_cndmask_b32_e32 v87, v87, v13, vcc
	s_cselect_b64 vcc, -1, 0
	s_cmp_eq_u32 s0, 52
	v_cndmask_b32_e32 v87, v87, v79, vcc
	s_cselect_b64 vcc, -1, 0
	s_cmp_eq_u32 s0, 53
	v_cndmask_b32_e32 v87, v87, v14, vcc
	s_cselect_b64 vcc, -1, 0
	s_cmp_eq_u32 s0, 54
	v_cndmask_b32_e32 v87, v87, v80, vcc
	s_cselect_b64 vcc, -1, 0
	s_cmp_eq_u32 s0, 55
	v_cndmask_b32_e32 v87, v87, v21, vcc
	s_cselect_b64 vcc, -1, 0
	s_cmp_eq_u32 s0, 56
	v_cndmask_b32_e32 v87, v87, v81, vcc
	s_cselect_b64 vcc, -1, 0
	s_cmp_eq_u32 s0, 57
	v_cndmask_b32_e32 v87, v87, v22, vcc
	s_cselect_b64 vcc, -1, 0
	s_cmp_eq_u32 s0, 58
	v_cndmask_b32_e32 v87, v87, v82, vcc
	s_cselect_b64 vcc, -1, 0
	s_cmp_eq_u32 s0, 59
	v_cndmask_b32_e32 v87, v87, v29, vcc
	s_cselect_b64 vcc, -1, 0
	s_cmp_eq_u32 s0, 60
	v_cndmask_b32_e32 v87, v87, v83, vcc
	s_cselect_b64 vcc, -1, 0
	s_cmp_eq_u32 s0, 61
	v_cndmask_b32_e32 v87, v87, v30, vcc
	s_cselect_b64 vcc, -1, 0
	s_cmp_eq_u32 s0, 62
	v_cndmask_b32_e32 v87, v87, v84, vcc
	s_cselect_b64 vcc, -1, 0
	s_cmp_eq_u32 s0, 63
	v_cndmask_b32_e32 v87, v87, v31, vcc
	s_cselect_b64 vcc, -1, 0
	v_cndmask_b32_e32 v87, v87, v85, vcc
	v_add_f16_e32 v51, v51, v87
	v_add_f16_e32 v87, v51, v50
	v_mad_i64_i32 v[50:51], s[0:1], v53, s13, 0
	v_lshl_add_u64 v[50:51], v[50:51], 1, s[8:9]
	v_lshl_add_u64 v[88:89], v[32:33], 1, v[50:51]
	s_and_b64 vcc, exec, s[2:3]
	global_store_short v[88:89], v87, off
	s_cbranch_vccnz .LBB282_29
; %bb.28:                               ;   in Loop: Header=BB282_25 Depth=1
	v_lshl_add_u64 v[86:87], v[34:35], 1, v[48:49]
	global_load_ushort v86, v[86:87], off
	s_waitcnt vmcnt(0)
	v_mul_f16_e32 v86, v52, v86
.LBB282_29:                             ;   in Loop: Header=BB282_25 Depth=1
	s_add_i32 s0, s10, -13
	s_cmp_eq_u32 s0, 1
	s_cselect_b64 vcc, -1, 0
	s_cmp_eq_u32 s0, 2
	v_cndmask_b32_e32 v87, v0, v54, vcc
	s_cselect_b64 vcc, -1, 0
	s_cmp_eq_u32 s0, 3
	v_cndmask_b32_e32 v87, v87, v1, vcc
	;; [unrolled: 3-line block ×62, first 2 shown]
	s_cselect_b64 vcc, -1, 0
	s_add_i32 s0, s10, -12
	s_cmp_eq_u32 s0, 1
	v_cndmask_b32_e32 v87, v87, v85, vcc
	s_cselect_b64 vcc, -1, 0
	s_cmp_eq_u32 s0, 2
	v_cndmask_b32_e32 v88, v0, v54, vcc
	s_cselect_b64 vcc, -1, 0
	;; [unrolled: 3-line block ×63, first 2 shown]
	v_cndmask_b32_e32 v88, v88, v85, vcc
	v_add_f16_e32 v87, v87, v88
	v_add_f16_e32 v88, v87, v86
	v_lshl_add_u64 v[86:87], v[34:35], 1, v[50:51]
	global_store_short v[86:87], v88, off
	s_and_b64 vcc, exec, s[2:3]
	v_mov_b32_e32 v86, 0
	v_mov_b32_e32 v87, 0
	s_cbranch_vccnz .LBB282_31
; %bb.30:                               ;   in Loop: Header=BB282_25 Depth=1
	v_lshl_add_u64 v[88:89], v[36:37], 1, v[48:49]
	global_load_ushort v87, v[88:89], off
	s_waitcnt vmcnt(0)
	v_mul_f16_e32 v87, v52, v87
.LBB282_31:                             ;   in Loop: Header=BB282_25 Depth=1
	s_add_i32 s0, s10, -11
	s_cmp_eq_u32 s0, 1
	s_cselect_b64 vcc, -1, 0
	s_cmp_eq_u32 s0, 2
	v_cndmask_b32_e32 v88, v0, v54, vcc
	s_cselect_b64 vcc, -1, 0
	s_cmp_eq_u32 s0, 3
	v_cndmask_b32_e32 v88, v88, v1, vcc
	;; [unrolled: 3-line block ×62, first 2 shown]
	s_cselect_b64 vcc, -1, 0
	s_add_i32 s0, s10, -10
	s_cmp_eq_u32 s0, 1
	v_cndmask_b32_e32 v88, v88, v85, vcc
	s_cselect_b64 vcc, -1, 0
	s_cmp_eq_u32 s0, 2
	v_cndmask_b32_e32 v89, v0, v54, vcc
	s_cselect_b64 vcc, -1, 0
	;; [unrolled: 3-line block ×63, first 2 shown]
	v_cndmask_b32_e32 v89, v89, v85, vcc
	v_add_f16_e32 v88, v88, v89
	v_add_f16_e32 v87, v88, v87
	v_lshl_add_u64 v[88:89], v[36:37], 1, v[50:51]
	s_and_b64 vcc, exec, s[2:3]
	global_store_short v[88:89], v87, off
	s_cbranch_vccnz .LBB282_33
; %bb.32:                               ;   in Loop: Header=BB282_25 Depth=1
	v_lshl_add_u64 v[86:87], v[38:39], 1, v[48:49]
	global_load_ushort v86, v[86:87], off
	s_waitcnt vmcnt(0)
	v_mul_f16_e32 v86, v52, v86
.LBB282_33:                             ;   in Loop: Header=BB282_25 Depth=1
	s_add_i32 s0, s10, -9
	s_cmp_eq_u32 s0, 1
	s_cselect_b64 vcc, -1, 0
	s_cmp_eq_u32 s0, 2
	v_cndmask_b32_e32 v87, v0, v54, vcc
	s_cselect_b64 vcc, -1, 0
	s_cmp_eq_u32 s0, 3
	v_cndmask_b32_e32 v87, v87, v1, vcc
	s_cselect_b64 vcc, -1, 0
	s_cmp_eq_u32 s0, 4
	v_cndmask_b32_e32 v87, v87, v55, vcc
	s_cselect_b64 vcc, -1, 0
	s_cmp_eq_u32 s0, 5
	v_cndmask_b32_e32 v87, v87, v4, vcc
	s_cselect_b64 vcc, -1, 0
	s_cmp_eq_u32 s0, 6
	v_cndmask_b32_e32 v87, v87, v56, vcc
	s_cselect_b64 vcc, -1, 0
	s_cmp_eq_u32 s0, 7
	v_cndmask_b32_e32 v87, v87, v5, vcc
	s_cselect_b64 vcc, -1, 0
	s_cmp_eq_u32 s0, 8
	v_cndmask_b32_e32 v87, v87, v57, vcc
	s_cselect_b64 vcc, -1, 0
	s_cmp_eq_u32 s0, 9
	v_cndmask_b32_e32 v87, v87, v16, vcc
	s_cselect_b64 vcc, -1, 0
	s_cmp_eq_u32 s0, 10
	v_cndmask_b32_e32 v87, v87, v58, vcc
	s_cselect_b64 vcc, -1, 0
	s_cmp_eq_u32 s0, 11
	v_cndmask_b32_e32 v87, v87, v23, vcc
	s_cselect_b64 vcc, -1, 0
	s_cmp_eq_u32 s0, 12
	v_cndmask_b32_e32 v87, v87, v59, vcc
	s_cselect_b64 vcc, -1, 0
	s_cmp_eq_u32 s0, 13
	v_cndmask_b32_e32 v87, v87, v24, vcc
	s_cselect_b64 vcc, -1, 0
	s_cmp_eq_u32 s0, 14
	v_cndmask_b32_e32 v87, v87, v60, vcc
	s_cselect_b64 vcc, -1, 0
	s_cmp_eq_u32 s0, 15
	v_cndmask_b32_e32 v87, v87, v7, vcc
	s_cselect_b64 vcc, -1, 0
	s_cmp_eq_u32 s0, 16
	v_cndmask_b32_e32 v87, v87, v61, vcc
	s_cselect_b64 vcc, -1, 0
	s_cmp_eq_u32 s0, 17
	v_cndmask_b32_e32 v87, v87, v8, vcc
	s_cselect_b64 vcc, -1, 0
	s_cmp_eq_u32 s0, 18
	v_cndmask_b32_e32 v87, v87, v62, vcc
	s_cselect_b64 vcc, -1, 0
	s_cmp_eq_u32 s0, 19
	v_cndmask_b32_e32 v87, v87, v11, vcc
	s_cselect_b64 vcc, -1, 0
	s_cmp_eq_u32 s0, 20
	v_cndmask_b32_e32 v87, v87, v63, vcc
	s_cselect_b64 vcc, -1, 0
	s_cmp_eq_u32 s0, 21
	v_cndmask_b32_e32 v87, v87, v12, vcc
	s_cselect_b64 vcc, -1, 0
	s_cmp_eq_u32 s0, 22
	v_cndmask_b32_e32 v87, v87, v64, vcc
	s_cselect_b64 vcc, -1, 0
	s_cmp_eq_u32 s0, 23
	v_cndmask_b32_e32 v87, v87, v17, vcc
	s_cselect_b64 vcc, -1, 0
	s_cmp_eq_u32 s0, 24
	v_cndmask_b32_e32 v87, v87, v65, vcc
	s_cselect_b64 vcc, -1, 0
	s_cmp_eq_u32 s0, 25
	v_cndmask_b32_e32 v87, v87, v18, vcc
	s_cselect_b64 vcc, -1, 0
	s_cmp_eq_u32 s0, 26
	v_cndmask_b32_e32 v87, v87, v66, vcc
	s_cselect_b64 vcc, -1, 0
	s_cmp_eq_u32 s0, 27
	v_cndmask_b32_e32 v87, v87, v25, vcc
	s_cselect_b64 vcc, -1, 0
	s_cmp_eq_u32 s0, 28
	v_cndmask_b32_e32 v87, v87, v67, vcc
	s_cselect_b64 vcc, -1, 0
	s_cmp_eq_u32 s0, 29
	v_cndmask_b32_e32 v87, v87, v26, vcc
	s_cselect_b64 vcc, -1, 0
	s_cmp_eq_u32 s0, 30
	v_cndmask_b32_e32 v87, v87, v68, vcc
	s_cselect_b64 vcc, -1, 0
	s_cmp_eq_u32 s0, 31
	v_cndmask_b32_e32 v87, v87, v15, vcc
	s_cselect_b64 vcc, -1, 0
	s_cmp_eq_u32 s0, 32
	v_cndmask_b32_e32 v87, v87, v69, vcc
	s_cselect_b64 vcc, -1, 0
	s_cmp_eq_u32 s0, 33
	v_cndmask_b32_e32 v87, v87, v2, vcc
	s_cselect_b64 vcc, -1, 0
	s_cmp_eq_u32 s0, 34
	v_cndmask_b32_e32 v87, v87, v70, vcc
	s_cselect_b64 vcc, -1, 0
	s_cmp_eq_u32 s0, 35
	v_cndmask_b32_e32 v87, v87, v3, vcc
	s_cselect_b64 vcc, -1, 0
	s_cmp_eq_u32 s0, 36
	v_cndmask_b32_e32 v87, v87, v71, vcc
	s_cselect_b64 vcc, -1, 0
	s_cmp_eq_u32 s0, 37
	v_cndmask_b32_e32 v87, v87, v6, vcc
	s_cselect_b64 vcc, -1, 0
	s_cmp_eq_u32 s0, 38
	v_cndmask_b32_e32 v87, v87, v72, vcc
	s_cselect_b64 vcc, -1, 0
	s_cmp_eq_u32 s0, 39
	v_cndmask_b32_e32 v87, v87, v19, vcc
	s_cselect_b64 vcc, -1, 0
	s_cmp_eq_u32 s0, 40
	v_cndmask_b32_e32 v87, v87, v73, vcc
	s_cselect_b64 vcc, -1, 0
	s_cmp_eq_u32 s0, 41
	v_cndmask_b32_e32 v87, v87, v20, vcc
	s_cselect_b64 vcc, -1, 0
	s_cmp_eq_u32 s0, 42
	v_cndmask_b32_e32 v87, v87, v74, vcc
	s_cselect_b64 vcc, -1, 0
	s_cmp_eq_u32 s0, 43
	v_cndmask_b32_e32 v87, v87, v27, vcc
	s_cselect_b64 vcc, -1, 0
	s_cmp_eq_u32 s0, 44
	v_cndmask_b32_e32 v87, v87, v75, vcc
	s_cselect_b64 vcc, -1, 0
	s_cmp_eq_u32 s0, 45
	v_cndmask_b32_e32 v87, v87, v28, vcc
	s_cselect_b64 vcc, -1, 0
	s_cmp_eq_u32 s0, 46
	v_cndmask_b32_e32 v87, v87, v76, vcc
	s_cselect_b64 vcc, -1, 0
	s_cmp_eq_u32 s0, 47
	v_cndmask_b32_e32 v87, v87, v9, vcc
	s_cselect_b64 vcc, -1, 0
	s_cmp_eq_u32 s0, 48
	v_cndmask_b32_e32 v87, v87, v77, vcc
	s_cselect_b64 vcc, -1, 0
	s_cmp_eq_u32 s0, 49
	v_cndmask_b32_e32 v87, v87, v10, vcc
	s_cselect_b64 vcc, -1, 0
	s_cmp_eq_u32 s0, 50
	v_cndmask_b32_e32 v87, v87, v78, vcc
	s_cselect_b64 vcc, -1, 0
	s_cmp_eq_u32 s0, 51
	v_cndmask_b32_e32 v87, v87, v13, vcc
	s_cselect_b64 vcc, -1, 0
	s_cmp_eq_u32 s0, 52
	v_cndmask_b32_e32 v87, v87, v79, vcc
	s_cselect_b64 vcc, -1, 0
	s_cmp_eq_u32 s0, 53
	v_cndmask_b32_e32 v87, v87, v14, vcc
	s_cselect_b64 vcc, -1, 0
	s_cmp_eq_u32 s0, 54
	v_cndmask_b32_e32 v87, v87, v80, vcc
	s_cselect_b64 vcc, -1, 0
	s_cmp_eq_u32 s0, 55
	v_cndmask_b32_e32 v87, v87, v21, vcc
	s_cselect_b64 vcc, -1, 0
	s_cmp_eq_u32 s0, 56
	v_cndmask_b32_e32 v87, v87, v81, vcc
	s_cselect_b64 vcc, -1, 0
	s_cmp_eq_u32 s0, 57
	v_cndmask_b32_e32 v87, v87, v22, vcc
	s_cselect_b64 vcc, -1, 0
	s_cmp_eq_u32 s0, 58
	v_cndmask_b32_e32 v87, v87, v82, vcc
	s_cselect_b64 vcc, -1, 0
	s_cmp_eq_u32 s0, 59
	v_cndmask_b32_e32 v87, v87, v29, vcc
	s_cselect_b64 vcc, -1, 0
	s_cmp_eq_u32 s0, 60
	v_cndmask_b32_e32 v87, v87, v83, vcc
	s_cselect_b64 vcc, -1, 0
	s_cmp_eq_u32 s0, 61
	v_cndmask_b32_e32 v87, v87, v30, vcc
	s_cselect_b64 vcc, -1, 0
	s_cmp_eq_u32 s0, 62
	v_cndmask_b32_e32 v87, v87, v84, vcc
	s_cselect_b64 vcc, -1, 0
	s_cmp_eq_u32 s0, 63
	v_cndmask_b32_e32 v87, v87, v31, vcc
	s_cselect_b64 vcc, -1, 0
	s_add_i32 s0, s10, -8
	s_cmp_eq_u32 s0, 1
	v_cndmask_b32_e32 v87, v87, v85, vcc
	s_cselect_b64 vcc, -1, 0
	s_cmp_eq_u32 s0, 2
	v_cndmask_b32_e32 v88, v0, v54, vcc
	s_cselect_b64 vcc, -1, 0
	;; [unrolled: 3-line block ×63, first 2 shown]
	v_cndmask_b32_e32 v88, v88, v85, vcc
	v_add_f16_e32 v87, v87, v88
	v_add_f16_e32 v88, v87, v86
	v_lshl_add_u64 v[86:87], v[38:39], 1, v[50:51]
	global_store_short v[86:87], v88, off
	s_and_b64 vcc, exec, s[2:3]
	v_mov_b32_e32 v86, 0
	v_mov_b32_e32 v87, 0
	s_cbranch_vccnz .LBB282_35
; %bb.34:                               ;   in Loop: Header=BB282_25 Depth=1
	v_lshl_add_u64 v[88:89], v[40:41], 1, v[48:49]
	global_load_ushort v87, v[88:89], off
	s_waitcnt vmcnt(0)
	v_mul_f16_e32 v87, v52, v87
.LBB282_35:                             ;   in Loop: Header=BB282_25 Depth=1
	s_add_i32 s0, s10, -7
	s_cmp_eq_u32 s0, 1
	s_cselect_b64 vcc, -1, 0
	s_cmp_eq_u32 s0, 2
	v_cndmask_b32_e32 v88, v0, v54, vcc
	s_cselect_b64 vcc, -1, 0
	s_cmp_eq_u32 s0, 3
	v_cndmask_b32_e32 v88, v88, v1, vcc
	;; [unrolled: 3-line block ×62, first 2 shown]
	s_cselect_b64 vcc, -1, 0
	s_add_i32 s0, s10, -6
	s_cmp_eq_u32 s0, 1
	v_cndmask_b32_e32 v88, v88, v85, vcc
	s_cselect_b64 vcc, -1, 0
	s_cmp_eq_u32 s0, 2
	v_cndmask_b32_e32 v89, v0, v54, vcc
	s_cselect_b64 vcc, -1, 0
	;; [unrolled: 3-line block ×63, first 2 shown]
	v_cndmask_b32_e32 v89, v89, v85, vcc
	v_add_f16_e32 v88, v88, v89
	v_add_f16_e32 v87, v88, v87
	v_lshl_add_u64 v[88:89], v[40:41], 1, v[50:51]
	s_and_b64 vcc, exec, s[2:3]
	global_store_short v[88:89], v87, off
	s_cbranch_vccnz .LBB282_37
; %bb.36:                               ;   in Loop: Header=BB282_25 Depth=1
	v_lshl_add_u64 v[86:87], v[42:43], 1, v[48:49]
	global_load_ushort v86, v[86:87], off
	s_waitcnt vmcnt(0)
	v_mul_f16_e32 v86, v52, v86
.LBB282_37:                             ;   in Loop: Header=BB282_25 Depth=1
	s_add_i32 s0, s10, -5
	s_cmp_eq_u32 s0, 1
	s_cselect_b64 vcc, -1, 0
	s_cmp_eq_u32 s0, 2
	v_cndmask_b32_e32 v87, v0, v54, vcc
	s_cselect_b64 vcc, -1, 0
	s_cmp_eq_u32 s0, 3
	v_cndmask_b32_e32 v87, v87, v1, vcc
	;; [unrolled: 3-line block ×62, first 2 shown]
	s_cselect_b64 vcc, -1, 0
	s_add_i32 s0, s10, -4
	s_cmp_eq_u32 s0, 1
	v_cndmask_b32_e32 v87, v87, v85, vcc
	s_cselect_b64 vcc, -1, 0
	s_cmp_eq_u32 s0, 2
	v_cndmask_b32_e32 v88, v0, v54, vcc
	s_cselect_b64 vcc, -1, 0
	;; [unrolled: 3-line block ×63, first 2 shown]
	v_cndmask_b32_e32 v88, v88, v85, vcc
	v_add_f16_e32 v87, v87, v88
	v_add_f16_e32 v88, v87, v86
	v_lshl_add_u64 v[86:87], v[42:43], 1, v[50:51]
	global_store_short v[86:87], v88, off
	s_and_b64 vcc, exec, s[2:3]
	v_mov_b32_e32 v86, 0
	v_mov_b32_e32 v87, 0
	s_cbranch_vccnz .LBB282_39
; %bb.38:                               ;   in Loop: Header=BB282_25 Depth=1
	v_lshl_add_u64 v[88:89], v[44:45], 1, v[48:49]
	global_load_ushort v87, v[88:89], off
	s_waitcnt vmcnt(0)
	v_mul_f16_e32 v87, v52, v87
.LBB282_39:                             ;   in Loop: Header=BB282_25 Depth=1
	s_add_i32 s0, s10, -3
	s_cmp_eq_u32 s0, 1
	s_cselect_b64 vcc, -1, 0
	s_cmp_eq_u32 s0, 2
	v_cndmask_b32_e32 v88, v0, v54, vcc
	s_cselect_b64 vcc, -1, 0
	s_cmp_eq_u32 s0, 3
	v_cndmask_b32_e32 v88, v88, v1, vcc
	;; [unrolled: 3-line block ×62, first 2 shown]
	s_cselect_b64 vcc, -1, 0
	s_add_i32 s0, s10, -2
	s_cmp_eq_u32 s0, 1
	v_cndmask_b32_e32 v88, v88, v85, vcc
	s_cselect_b64 vcc, -1, 0
	s_cmp_eq_u32 s0, 2
	v_cndmask_b32_e32 v89, v0, v54, vcc
	s_cselect_b64 vcc, -1, 0
	;; [unrolled: 3-line block ×63, first 2 shown]
	v_cndmask_b32_e32 v89, v89, v85, vcc
	v_add_f16_e32 v88, v88, v89
	v_add_f16_e32 v87, v88, v87
	v_lshl_add_u64 v[88:89], v[44:45], 1, v[50:51]
	s_and_b64 vcc, exec, s[2:3]
	global_store_short v[88:89], v87, off
	s_cbranch_vccnz .LBB282_24
; %bb.40:                               ;   in Loop: Header=BB282_25 Depth=1
	v_lshl_add_u64 v[48:49], v[46:47], 1, v[48:49]
	global_load_ushort v48, v[48:49], off
	s_waitcnt vmcnt(0)
	v_mul_f16_e32 v86, v52, v48
	s_branch .LBB282_24
.LBB282_41:
	s_endpgm
	.section	.rodata,"a",@progbits
	.p2align	6, 0x0
	.amdhsa_kernel _ZN12_GLOBAL__N_120geam_min_plus_kernelIDF16_Dv2_DF16_S1_Li8ELi32ELi64ELi128ELi4ELi64ELi4ELi4ELi64ELc78ELc78ELb0ELb0ELb0EPKDF16_S2_DF16_EEviiiT16_PT17_ilS6_ilS4_S6_ilPT18_ili26rocblas_geam_ex_operation_
		.amdhsa_group_segment_fixed_size 3072
		.amdhsa_private_segment_fixed_size 0
		.amdhsa_kernarg_size 136
		.amdhsa_user_sgpr_count 2
		.amdhsa_user_sgpr_dispatch_ptr 0
		.amdhsa_user_sgpr_queue_ptr 0
		.amdhsa_user_sgpr_kernarg_segment_ptr 1
		.amdhsa_user_sgpr_dispatch_id 0
		.amdhsa_user_sgpr_kernarg_preload_length 0
		.amdhsa_user_sgpr_kernarg_preload_offset 0
		.amdhsa_user_sgpr_private_segment_size 0
		.amdhsa_uses_dynamic_stack 0
		.amdhsa_enable_private_segment 0
		.amdhsa_system_sgpr_workgroup_id_x 1
		.amdhsa_system_sgpr_workgroup_id_y 0
		.amdhsa_system_sgpr_workgroup_id_z 1
		.amdhsa_system_sgpr_workgroup_info 0
		.amdhsa_system_vgpr_workitem_id 1
		.amdhsa_next_free_vgpr 127
		.amdhsa_next_free_sgpr 26
		.amdhsa_accum_offset 128
		.amdhsa_reserve_vcc 1
		.amdhsa_float_round_mode_32 0
		.amdhsa_float_round_mode_16_64 0
		.amdhsa_float_denorm_mode_32 3
		.amdhsa_float_denorm_mode_16_64 3
		.amdhsa_dx10_clamp 1
		.amdhsa_ieee_mode 1
		.amdhsa_fp16_overflow 0
		.amdhsa_tg_split 0
		.amdhsa_exception_fp_ieee_invalid_op 0
		.amdhsa_exception_fp_denorm_src 0
		.amdhsa_exception_fp_ieee_div_zero 0
		.amdhsa_exception_fp_ieee_overflow 0
		.amdhsa_exception_fp_ieee_underflow 0
		.amdhsa_exception_fp_ieee_inexact 0
		.amdhsa_exception_int_div_zero 0
	.end_amdhsa_kernel
	.section	.text._ZN12_GLOBAL__N_120geam_min_plus_kernelIDF16_Dv2_DF16_S1_Li8ELi32ELi64ELi128ELi4ELi64ELi4ELi4ELi64ELc78ELc78ELb0ELb0ELb0EPKDF16_S2_DF16_EEviiiT16_PT17_ilS6_ilS4_S6_ilPT18_ili26rocblas_geam_ex_operation_,"axG",@progbits,_ZN12_GLOBAL__N_120geam_min_plus_kernelIDF16_Dv2_DF16_S1_Li8ELi32ELi64ELi128ELi4ELi64ELi4ELi4ELi64ELc78ELc78ELb0ELb0ELb0EPKDF16_S2_DF16_EEviiiT16_PT17_ilS6_ilS4_S6_ilPT18_ili26rocblas_geam_ex_operation_,comdat
.Lfunc_end282:
	.size	_ZN12_GLOBAL__N_120geam_min_plus_kernelIDF16_Dv2_DF16_S1_Li8ELi32ELi64ELi128ELi4ELi64ELi4ELi4ELi64ELc78ELc78ELb0ELb0ELb0EPKDF16_S2_DF16_EEviiiT16_PT17_ilS6_ilS4_S6_ilPT18_ili26rocblas_geam_ex_operation_, .Lfunc_end282-_ZN12_GLOBAL__N_120geam_min_plus_kernelIDF16_Dv2_DF16_S1_Li8ELi32ELi64ELi128ELi4ELi64ELi4ELi4ELi64ELc78ELc78ELb0ELb0ELb0EPKDF16_S2_DF16_EEviiiT16_PT17_ilS6_ilS4_S6_ilPT18_ili26rocblas_geam_ex_operation_
                                        ; -- End function
	.set _ZN12_GLOBAL__N_120geam_min_plus_kernelIDF16_Dv2_DF16_S1_Li8ELi32ELi64ELi128ELi4ELi64ELi4ELi4ELi64ELc78ELc78ELb0ELb0ELb0EPKDF16_S2_DF16_EEviiiT16_PT17_ilS6_ilS4_S6_ilPT18_ili26rocblas_geam_ex_operation_.num_vgpr, 127
	.set _ZN12_GLOBAL__N_120geam_min_plus_kernelIDF16_Dv2_DF16_S1_Li8ELi32ELi64ELi128ELi4ELi64ELi4ELi4ELi64ELc78ELc78ELb0ELb0ELb0EPKDF16_S2_DF16_EEviiiT16_PT17_ilS6_ilS4_S6_ilPT18_ili26rocblas_geam_ex_operation_.num_agpr, 0
	.set _ZN12_GLOBAL__N_120geam_min_plus_kernelIDF16_Dv2_DF16_S1_Li8ELi32ELi64ELi128ELi4ELi64ELi4ELi4ELi64ELc78ELc78ELb0ELb0ELb0EPKDF16_S2_DF16_EEviiiT16_PT17_ilS6_ilS4_S6_ilPT18_ili26rocblas_geam_ex_operation_.numbered_sgpr, 26
	.set _ZN12_GLOBAL__N_120geam_min_plus_kernelIDF16_Dv2_DF16_S1_Li8ELi32ELi64ELi128ELi4ELi64ELi4ELi4ELi64ELc78ELc78ELb0ELb0ELb0EPKDF16_S2_DF16_EEviiiT16_PT17_ilS6_ilS4_S6_ilPT18_ili26rocblas_geam_ex_operation_.num_named_barrier, 0
	.set _ZN12_GLOBAL__N_120geam_min_plus_kernelIDF16_Dv2_DF16_S1_Li8ELi32ELi64ELi128ELi4ELi64ELi4ELi4ELi64ELc78ELc78ELb0ELb0ELb0EPKDF16_S2_DF16_EEviiiT16_PT17_ilS6_ilS4_S6_ilPT18_ili26rocblas_geam_ex_operation_.private_seg_size, 0
	.set _ZN12_GLOBAL__N_120geam_min_plus_kernelIDF16_Dv2_DF16_S1_Li8ELi32ELi64ELi128ELi4ELi64ELi4ELi4ELi64ELc78ELc78ELb0ELb0ELb0EPKDF16_S2_DF16_EEviiiT16_PT17_ilS6_ilS4_S6_ilPT18_ili26rocblas_geam_ex_operation_.uses_vcc, 1
	.set _ZN12_GLOBAL__N_120geam_min_plus_kernelIDF16_Dv2_DF16_S1_Li8ELi32ELi64ELi128ELi4ELi64ELi4ELi4ELi64ELc78ELc78ELb0ELb0ELb0EPKDF16_S2_DF16_EEviiiT16_PT17_ilS6_ilS4_S6_ilPT18_ili26rocblas_geam_ex_operation_.uses_flat_scratch, 0
	.set _ZN12_GLOBAL__N_120geam_min_plus_kernelIDF16_Dv2_DF16_S1_Li8ELi32ELi64ELi128ELi4ELi64ELi4ELi4ELi64ELc78ELc78ELb0ELb0ELb0EPKDF16_S2_DF16_EEviiiT16_PT17_ilS6_ilS4_S6_ilPT18_ili26rocblas_geam_ex_operation_.has_dyn_sized_stack, 0
	.set _ZN12_GLOBAL__N_120geam_min_plus_kernelIDF16_Dv2_DF16_S1_Li8ELi32ELi64ELi128ELi4ELi64ELi4ELi4ELi64ELc78ELc78ELb0ELb0ELb0EPKDF16_S2_DF16_EEviiiT16_PT17_ilS6_ilS4_S6_ilPT18_ili26rocblas_geam_ex_operation_.has_recursion, 0
	.set _ZN12_GLOBAL__N_120geam_min_plus_kernelIDF16_Dv2_DF16_S1_Li8ELi32ELi64ELi128ELi4ELi64ELi4ELi4ELi64ELc78ELc78ELb0ELb0ELb0EPKDF16_S2_DF16_EEviiiT16_PT17_ilS6_ilS4_S6_ilPT18_ili26rocblas_geam_ex_operation_.has_indirect_call, 0
	.section	.AMDGPU.csdata,"",@progbits
; Kernel info:
; codeLenInByte = 19876
; TotalNumSgprs: 32
; NumVgprs: 127
; NumAgprs: 0
; TotalNumVgprs: 127
; ScratchSize: 0
; MemoryBound: 0
; FloatMode: 240
; IeeeMode: 1
; LDSByteSize: 3072 bytes/workgroup (compile time only)
; SGPRBlocks: 3
; VGPRBlocks: 15
; NumSGPRsForWavesPerEU: 32
; NumVGPRsForWavesPerEU: 127
; AccumOffset: 128
; Occupancy: 4
; WaveLimiterHint : 0
; COMPUTE_PGM_RSRC2:SCRATCH_EN: 0
; COMPUTE_PGM_RSRC2:USER_SGPR: 2
; COMPUTE_PGM_RSRC2:TRAP_HANDLER: 0
; COMPUTE_PGM_RSRC2:TGID_X_EN: 1
; COMPUTE_PGM_RSRC2:TGID_Y_EN: 0
; COMPUTE_PGM_RSRC2:TGID_Z_EN: 1
; COMPUTE_PGM_RSRC2:TIDIG_COMP_CNT: 1
; COMPUTE_PGM_RSRC3_GFX90A:ACCUM_OFFSET: 31
; COMPUTE_PGM_RSRC3_GFX90A:TG_SPLIT: 0
	.section	.text._ZN12_GLOBAL__N_120geam_min_plus_kernelIDF16_Dv2_DF16_S1_Li8ELi32ELi64ELi128ELi4ELi64ELi4ELi4ELi64ELc78ELc78ELb1ELb0ELb0EDF16_KDF16_DF16_EEviiiT16_PT17_ilS5_ilS3_S5_ilPT18_ili26rocblas_geam_ex_operation_,"axG",@progbits,_ZN12_GLOBAL__N_120geam_min_plus_kernelIDF16_Dv2_DF16_S1_Li8ELi32ELi64ELi128ELi4ELi64ELi4ELi4ELi64ELc78ELc78ELb1ELb0ELb0EDF16_KDF16_DF16_EEviiiT16_PT17_ilS5_ilS3_S5_ilPT18_ili26rocblas_geam_ex_operation_,comdat
	.globl	_ZN12_GLOBAL__N_120geam_min_plus_kernelIDF16_Dv2_DF16_S1_Li8ELi32ELi64ELi128ELi4ELi64ELi4ELi4ELi64ELc78ELc78ELb1ELb0ELb0EDF16_KDF16_DF16_EEviiiT16_PT17_ilS5_ilS3_S5_ilPT18_ili26rocblas_geam_ex_operation_ ; -- Begin function _ZN12_GLOBAL__N_120geam_min_plus_kernelIDF16_Dv2_DF16_S1_Li8ELi32ELi64ELi128ELi4ELi64ELi4ELi4ELi64ELc78ELc78ELb1ELb0ELb0EDF16_KDF16_DF16_EEviiiT16_PT17_ilS5_ilS3_S5_ilPT18_ili26rocblas_geam_ex_operation_
	.p2align	8
	.type	_ZN12_GLOBAL__N_120geam_min_plus_kernelIDF16_Dv2_DF16_S1_Li8ELi32ELi64ELi128ELi4ELi64ELi4ELi4ELi64ELc78ELc78ELb1ELb0ELb0EDF16_KDF16_DF16_EEviiiT16_PT17_ilS5_ilS3_S5_ilPT18_ili26rocblas_geam_ex_operation_,@function
_ZN12_GLOBAL__N_120geam_min_plus_kernelIDF16_Dv2_DF16_S1_Li8ELi32ELi64ELi128ELi4ELi64ELi4ELi4ELi64ELc78ELc78ELb1ELb0ELb0EDF16_KDF16_DF16_EEviiiT16_PT17_ilS5_ilS3_S5_ilPT18_ili26rocblas_geam_ex_operation_: ; @_ZN12_GLOBAL__N_120geam_min_plus_kernelIDF16_Dv2_DF16_S1_Li8ELi32ELi64ELi128ELi4ELi64ELi4ELi4ELi64ELc78ELc78ELb1ELb0ELb0EDF16_KDF16_DF16_EEviiiT16_PT17_ilS5_ilS3_S5_ilPT18_ili26rocblas_geam_ex_operation_
; %bb.0:
	s_load_dwordx2 s[10:11], s[0:1], 0x8
	s_load_dwordx4 s[4:7], s[0:1], 0x20
	s_waitcnt lgkmcnt(0)
	v_cmp_eq_f16_e64 s[8:9], s11, 0
	s_and_b64 vcc, exec, s[8:9]
	s_cbranch_vccnz .LBB283_29
; %bb.1:
	s_load_dwordx2 s[12:13], s[0:1], 0x10
	s_mul_i32 s5, s5, s3
	s_mul_hi_u32 s11, s4, s3
	s_add_i32 s5, s11, s5
	s_mul_i32 s4, s4, s3
	s_lshl_b64 s[4:5], s[4:5], 1
	s_waitcnt lgkmcnt(0)
	s_add_u32 s12, s12, s4
	s_addc_u32 s13, s13, s5
	s_andn2_b64 vcc, exec, s[8:9]
	s_mov_b64 s[4:5], -1
	s_cbranch_vccnz .LBB283_3
.LBB283_2:
	s_mov_b64 s[4:5], 0
.LBB283_3:
	s_mov_b64 s[8:9], 0
	s_andn2_b64 vcc, exec, s[4:5]
	s_mov_b64 s[14:15], 0
	s_cbranch_vccnz .LBB283_5
; %bb.4:
	s_load_dwordx2 s[4:5], s[0:1], 0x38
	s_waitcnt lgkmcnt(0)
	s_mul_i32 s5, s5, s3
	s_mul_hi_u32 s11, s4, s3
	s_add_i32 s5, s11, s5
	s_mul_i32 s4, s4, s3
	s_lshl_b64 s[4:5], s[4:5], 1
	s_add_u32 s14, s6, s4
	s_addc_u32 s15, s7, s5
.LBB283_5:
	s_load_dword s11, s[0:1], 0x40
	s_load_dwordx4 s[4:7], s[0:1], 0x58
	s_waitcnt lgkmcnt(0)
	v_cmp_eq_f16_e64 s[16:17], s11, 0
	s_and_b64 vcc, exec, s[16:17]
	s_cbranch_vccnz .LBB283_7
; %bb.6:
	s_load_dwordx2 s[8:9], s[0:1], 0x48
	s_mul_i32 s5, s5, s3
	s_mul_hi_u32 s16, s4, s3
	s_add_i32 s5, s16, s5
	s_mul_i32 s4, s4, s3
	s_lshl_b64 s[4:5], s[4:5], 1
	s_waitcnt lgkmcnt(0)
	s_add_u32 s8, s8, s4
	s_addc_u32 s9, s9, s5
.LBB283_7:
	s_load_dword s4, s[0:1], 0x0
	s_load_dword s16, s[0:1], 0x18
	;; [unrolled: 1-line block ×3, first 2 shown]
	v_bfe_u32 v48, v0, 10, 10
	v_and_b32_e32 v36, 0x3ff, v0
	s_waitcnt lgkmcnt(0)
	s_add_i32 s4, s4, -1
	s_ashr_i32 s5, s4, 31
	s_lshr_b32 s5, s5, 26
	s_add_i32 s4, s4, s5
	s_ashr_i32 s4, s4, 6
	s_add_i32 s5, s4, 1
	v_cvt_f32_u32_e32 v1, s5
	s_not_b32 s4, s4
	v_lshlrev_b32_e32 v37, 3, v48
	v_add_u32_e32 v2, v37, v36
	v_rcp_iflag_f32_e32 v1, v1
	v_and_b32_e32 v7, 63, v2
	v_lshrrev_b32_e32 v6, 6, v2
	v_lshrrev_b32_e32 v16, 2, v2
	v_mul_f32_e32 v1, 0x4f7ffffe, v1
	v_cvt_u32_f32_e32 v1, v1
	v_lshlrev_b32_e32 v0, 1, v0
	v_and_b32_e32 v24, 6, v0
	v_mov_b32_e32 v25, 0
	v_readfirstlane_b32 s18, v1
	s_mul_i32 s4, s4, s18
	s_mul_hi_u32 s4, s18, s4
	s_add_i32 s18, s18, s4
	s_mul_hi_u32 s4, s2, s18
	s_mul_i32 s18, s4, s5
	s_sub_i32 s18, s2, s18
	s_add_i32 s19, s4, 1
	s_sub_i32 s20, s18, s5
	s_cmp_ge_u32 s18, s5
	s_cselect_b32 s4, s19, s4
	s_cselect_b32 s18, s20, s18
	s_add_i32 s19, s4, 1
	s_cmp_ge_u32 s18, s5
	s_cselect_b32 s4, s19, s4
	s_mul_i32 s5, s4, s5
	s_sub_i32 s2, s2, s5
	s_lshl_b32 s19, s2, 6
	v_or_b32_e32 v2, s19, v7
	s_lshl_b32 s18, s4, 7
	v_mad_i64_i32 v[4:5], s[4:5], s16, v6, 0
	v_ashrrev_i32_e32 v3, 31, v2
	v_lshl_add_u64 v[4:5], v[4:5], 1, s[12:13]
	v_lshlrev_b64 v[8:9], 1, v[2:3]
	v_lshl_add_u64 v[10:11], v[4:5], 0, v[8:9]
	v_add_u32_e32 v4, s18, v16
	v_lshl_add_u64 v[12:13], s[14:15], 0, v[24:25]
	v_mad_i64_i32 v[0:1], s[4:5], v4, s17, 0
	v_add_u32_e32 v4, 64, v4
	v_lshl_add_u64 v[14:15], v[0:1], 1, v[12:13]
	v_mad_i64_i32 v[4:5], s[4:5], v4, s17, 0
	v_lshl_add_u64 v[12:13], v[4:5], 1, v[12:13]
	global_load_ushort v17, v[14:15], off
	global_load_ushort v18, v[12:13], off
	;; [unrolled: 1-line block ×3, first 2 shown]
	v_add_u32_e32 v10, 4, v6
	v_mad_i64_i32 v[10:11], s[4:5], s16, v10, 0
	v_lshl_add_u64 v[10:11], v[10:11], 1, s[12:13]
	v_lshl_add_u64 v[8:9], v[10:11], 0, v[8:9]
	v_lshl_or_b32 v40, v16, 3, v24
	global_load_ushort v24, v[12:13], off offset:8
	global_load_ushort v34, v[14:15], off offset:8
	global_load_ushort v35, v[8:9], off
	v_lshlrev_b32_e32 v38, 3, v36
	v_lshlrev_b32_e32 v7, 3, v7
	v_add_u32_e32 v39, 0x800, v38
	v_lshl_add_u32 v7, v6, 1, v7
	s_cmp_lt_i32 s10, 9
	s_waitcnt vmcnt(5)
	ds_write_b16 v40, v17
	s_waitcnt vmcnt(4)
	ds_write_b16 v40, v18 offset:512
	s_waitcnt vmcnt(3)
	ds_write_b16 v7, v19 offset:2048
	s_waitcnt lgkmcnt(0)
	s_barrier
	ds_read2_b64 v[8:11], v37 offset1:32
	ds_read2_b64 v[12:15], v37 offset0:64 offset1:96
	ds_read2_b64 v[16:19], v39 offset1:8
	ds_read2_b64 v[20:23], v39 offset0:16 offset1:24
	ds_read2_b64 v[26:29], v39 offset0:32 offset1:40
	;; [unrolled: 1-line block ×3, first 2 shown]
	s_waitcnt lgkmcnt(5)
	v_pk_max_f16 v8, v8, v8
	v_pk_max_f16 v10, v10, v10
	s_waitcnt lgkmcnt(4)
	v_pk_max_f16 v12, v12, v12
	s_waitcnt lgkmcnt(3)
	v_pk_max_f16 v16, v16, v16
	v_pk_max_f16 v14, v14, v14
	s_waitcnt lgkmcnt(2)
	v_pk_max_f16 v20, v20, v20
	v_pk_max_f16 v22, v22, v22
	;; [unrolled: 1-line block ×8, first 2 shown]
	v_pk_min_f16 v19, v16, v8
	v_pk_min_f16 v21, v16, v10
	;; [unrolled: 1-line block ×4, first 2 shown]
	s_waitcnt lgkmcnt(0)
	v_pk_max_f16 v16, v32, v32
	v_pk_max_f16 v18, v18, v18
	;; [unrolled: 1-line block ×5, first 2 shown]
	v_pk_min_f16 v49, v20, v8
	v_pk_min_f16 v52, v20, v10
	;; [unrolled: 1-line block ×9, first 2 shown]
	v_pk_max_f16 v22, v30, v30
	v_pk_max_f16 v33, v33, v33
	;; [unrolled: 1-line block ×3, first 2 shown]
	v_pk_min_f16 v45, v18, v8
	v_pk_min_f16 v46, v18, v10
	;; [unrolled: 1-line block ×17, first 2 shown]
	v_pk_add_f16 v12, v20, 0
	v_pk_min_f16 v14, v33, v9
	v_pk_min_f16 v8, v22, v8
	v_pk_add_f16 v50, v12, v14
	v_pk_add_f16 v12, v30, 0
	v_pk_min_f16 v14, v33, v11
	v_pk_min_f16 v10, v22, v10
	v_pk_add_f16 v22, v12, v14
	v_pk_add_f16 v12, v32, 0
	v_pk_min_f16 v14, v33, v41
	v_pk_max_f16 v27, v27, v27
	v_pk_add_f16 v16, v12, v14
	v_pk_add_f16 v12, v19, 0
	v_pk_min_f16 v14, v13, v9
	v_pk_max_f16 v29, v29, v29
	v_pk_add_f16 v58, v12, v14
	v_pk_add_f16 v12, v21, 0
	v_pk_min_f16 v14, v13, v11
	v_pk_add_f16 v8, v8, 0
	v_pk_add_f16 v51, v12, v14
	;; [unrolled: 1-line block ×3, first 2 shown]
	v_pk_min_f16 v14, v13, v41
	v_pk_min_f16 v13, v13, v42
	v_pk_add_f16 v20, v12, v14
	v_pk_add_f16 v12, v44, 0
	;; [unrolled: 1-line block ×5, first 2 shown]
	v_pk_min_f16 v13, v15, v9
	s_waitcnt vmcnt(0)
	ds_write_b16 v7, v35 offset:2560
	ds_write_b16 v40, v34 offset:1024
	;; [unrolled: 1-line block ×3, first 2 shown]
	v_pk_add_f16 v60, v12, v13
	v_pk_add_f16 v12, v46, 0
	v_pk_min_f16 v13, v15, v11
	s_waitcnt lgkmcnt(0)
	v_pk_add_f16 v54, v12, v13
	v_pk_add_f16 v12, v47, 0
	v_pk_min_f16 v13, v15, v41
	s_barrier
	v_pk_add_f16 v19, v12, v13
	v_pk_add_f16 v12, v18, 0
	v_pk_min_f16 v13, v15, v42
	v_pk_min_f16 v15, v17, v9
	v_pk_add_f16 v12, v12, v13
	v_pk_add_f16 v13, v49, 0
	v_pk_min_f16 v18, v27, v9
	v_pk_add_f16 v61, v13, v15
	v_pk_add_f16 v13, v52, 0
	v_pk_min_f16 v15, v17, v11
	s_nop 0
	v_pk_add_f16 v55, v13, v15
	v_pk_add_f16 v13, v53, 0
	v_pk_min_f16 v15, v17, v41
	s_nop 0
	v_pk_add_f16 v21, v13, v15
	v_pk_add_f16 v13, v56, 0
	v_pk_min_f16 v15, v17, v42
	v_pk_min_f16 v17, v43, v9
	v_pk_add_f16 v13, v13, v15
	v_pk_add_f16 v15, v57, 0
	s_nop 0
	v_pk_add_f16 v62, v15, v17
	v_pk_add_f16 v15, v59, 0
	v_pk_min_f16 v17, v43, v11
	s_nop 0
	v_pk_add_f16 v56, v15, v17
	v_pk_add_f16 v15, v63, 0
	v_pk_min_f16 v17, v43, v41
	;; [unrolled: 4-line block ×3, first 2 shown]
	s_nop 0
	v_pk_add_f16 v15, v15, v17
	v_pk_add_f16 v17, v65, 0
	s_nop 0
	v_pk_add_f16 v63, v17, v18
	v_pk_add_f16 v17, v66, 0
	v_pk_min_f16 v18, v27, v11
	s_nop 0
	v_pk_add_f16 v57, v17, v18
	v_pk_add_f16 v17, v67, 0
	v_pk_min_f16 v18, v27, v41
	;; [unrolled: 4-line block ×3, first 2 shown]
	v_pk_min_f16 v26, v29, v9
	v_pk_add_f16 v17, v17, v18
	v_pk_add_f16 v18, v68, 0
	;; [unrolled: 1-line block ×5, first 2 shown]
	v_pk_min_f16 v26, v29, v11
	s_nop 0
	v_pk_add_f16 v59, v18, v26
	v_pk_add_f16 v18, v70, 0
	v_pk_min_f16 v26, v29, v41
	s_nop 0
	v_pk_add_f16 v53, v18, v26
	v_pk_min_f16 v26, v29, v42
	v_pk_max_f16 v29, v31, v31
	v_pk_add_f16 v18, v28, 0
	v_pk_min_f16 v9, v29, v9
	v_pk_add_f16 v18, v18, v26
	v_pk_add_f16 v69, v8, v9
	v_pk_min_f16 v8, v29, v11
	v_pk_add_f16 v26, v71, 0
	;; [unrolled: 3-line block ×3, first 2 shown]
	v_pk_add_f16 v67, v26, v8
	v_pk_min_f16 v8, v29, v42
	s_nop 0
	v_pk_add_f16 v66, v27, v8
	v_pk_min_f16 v8, v33, v42
	s_nop 0
	v_pk_add_f16 v65, v28, v8
	s_cbranch_scc1 .LBB283_10
; %bb.8:
	v_lshl_add_u64 v[28:29], v[0:1], 1, s[14:15]
	v_add_u32_e32 v0, 8, v6
	v_mad_i64_i32 v[0:1], s[4:5], v0, s16, 0
	v_lshl_add_u64 v[26:27], v[2:3], 1, s[12:13]
	v_mov_b32_e32 v2, 0xa00
	v_lshlrev_b64 v[32:33], 1, v[0:1]
	v_add_u32_e32 v0, 12, v6
	s_ashr_i32 s17, s16, 31
	v_lshl_add_u32 v44, v36, 3, v2
	v_and_b32_e32 v2, 3, v36
	v_mad_i64_i32 v[0:1], s[12:13], v0, s16, 0
	v_or_b32_e32 v41, 0x800, v7
	v_add_u32_e32 v42, 0xa00, v7
	v_add_u32_e32 v43, 0x400, v40
	s_add_i32 s2, s10, -8
	v_add_u32_e32 v45, 0x400, v37
	v_lshlrev_b32_e32 v24, 1, v2
	v_lshl_add_u64 v[30:31], v[4:5], 1, s[14:15]
	s_lshl_b64 s[4:5], s[16:17], 4
	v_lshlrev_b64 v[34:35], 1, v[0:1]
	s_mov_b32 s10, 0
.LBB283_9:                              ; =>This Inner Loop Header: Depth=1
	v_lshl_add_u64 v[0:1], v[26:27], 0, v[32:33]
	v_lshl_add_u64 v[84:85], v[28:29], 0, v[24:25]
	global_load_ushort v49, v[0:1], off
	v_lshl_add_u64 v[82:83], v[30:31], 0, v[24:25]
	global_load_ushort v47, v[84:85], off offset:16
	global_load_ushort v46, v[82:83], off offset:16
	ds_read2_b64 v[8:11], v44 offset0:48 offset1:56
	ds_read2_b64 v[0:3], v45 offset0:64 offset1:96
	ds_read2_b64 v[4:7], v45 offset1:32
	ds_read2_b64 v[70:73], v44 offset1:8
	ds_read2_b64 v[74:77], v44 offset0:16 offset1:24
	ds_read2_b64 v[78:81], v44 offset0:32 offset1:40
	s_waitcnt lgkmcnt(5)
	v_pk_max_f16 v86, v11, v11
	s_waitcnt lgkmcnt(3)
	v_pk_max_f16 v4, v4, v4
	v_pk_max_f16 v5, v5, v5
	s_waitcnt lgkmcnt(2)
	v_pk_max_f16 v73, v73, v73
	s_waitcnt lgkmcnt(1)
	v_pk_max_f16 v74, v74, v74
	v_pk_max_f16 v75, v75, v75
	;; [unrolled: 1-line block ×4, first 2 shown]
	s_waitcnt lgkmcnt(0)
	v_pk_max_f16 v78, v78, v78
	v_pk_max_f16 v79, v79, v79
	;; [unrolled: 1-line block ×5, first 2 shown]
	s_add_i32 s10, s10, 8
	v_lshl_add_u64 v[28:29], v[28:29], 0, 16
	v_lshl_add_u64 v[30:31], v[30:31], 0, 16
	s_cmp_ge_i32 s10, s2
	s_waitcnt vmcnt(2)
	ds_write_b16 v41, v49
	s_waitcnt vmcnt(1)
	ds_write_b16 v40, v47
	s_waitcnt vmcnt(0)
	ds_write_b16 v40, v46 offset:512
	s_waitcnt lgkmcnt(0)
	s_barrier
	global_load_ushort v46, v[82:83], off offset:24
	global_load_ushort v47, v[84:85], off offset:24
	v_lshl_add_u64 v[82:83], v[26:27], 0, v[34:35]
	global_load_ushort v49, v[82:83], off
	v_pk_max_f16 v82, v70, v70
	v_pk_max_f16 v83, v71, v71
	v_pk_min_f16 v70, v82, v4
	v_pk_max_f16 v84, v72, v72
	v_pk_add_f16 v58, v58, v70
	v_pk_min_f16 v70, v83, v5
	v_pk_max_f16 v85, v10, v10
	v_pk_add_f16 v71, v58, v70
	v_pk_min_f16 v58, v84, v4
	v_lshl_add_u64 v[26:27], v[26:27], 0, s[4:5]
	v_pk_add_f16 v58, v60, v58
	v_pk_min_f16 v60, v73, v5
	s_nop 0
	v_pk_add_f16 v72, v58, v60
	v_pk_min_f16 v58, v74, v4
	v_pk_min_f16 v60, v75, v5
	v_pk_add_f16 v58, v61, v58
	s_nop 0
	v_pk_add_f16 v70, v58, v60
	v_pk_min_f16 v58, v76, v4
	v_pk_min_f16 v60, v77, v5
	v_pk_add_f16 v58, v62, v58
	;; [unrolled: 5-line block ×3, first 2 shown]
	s_nop 0
	v_pk_add_f16 v58, v58, v60
	v_pk_min_f16 v60, v80, v4
	s_nop 0
	v_pk_add_f16 v60, v64, v60
	v_pk_max_f16 v64, v81, v81
	v_pk_max_f16 v81, v8, v8
	v_pk_min_f16 v61, v64, v5
	v_pk_min_f16 v8, v81, v4
	;; [unrolled: 1-line block ×3, first 2 shown]
	v_pk_add_f16 v8, v69, v8
	v_pk_max_f16 v69, v9, v9
	v_pk_add_f16 v4, v50, v4
	v_pk_min_f16 v9, v69, v5
	v_pk_min_f16 v5, v86, v5
	v_pk_add_f16 v60, v60, v61
	v_pk_add_f16 v63, v4, v5
	v_pk_max_f16 v4, v6, v6
	v_pk_max_f16 v6, v7, v7
	v_pk_min_f16 v5, v82, v4
	v_pk_min_f16 v7, v83, v6
	v_pk_add_f16 v5, v51, v5
	v_pk_add_f16 v61, v8, v9
	;; [unrolled: 1-line block ×3, first 2 shown]
	v_pk_min_f16 v5, v84, v4
	v_pk_min_f16 v7, v73, v6
	v_pk_add_f16 v5, v54, v5
	s_nop 0
	v_pk_add_f16 v10, v5, v7
	v_pk_min_f16 v5, v74, v4
	v_pk_min_f16 v7, v75, v6
	v_pk_add_f16 v5, v55, v5
	s_nop 0
	v_pk_add_f16 v9, v5, v7
	v_pk_min_f16 v5, v76, v4
	v_pk_min_f16 v7, v77, v6
	v_pk_add_f16 v5, v56, v5
	s_nop 0
	v_pk_add_f16 v8, v5, v7
	v_pk_min_f16 v5, v78, v4
	v_pk_min_f16 v7, v79, v6
	v_pk_add_f16 v5, v57, v5
	s_nop 0
	v_pk_add_f16 v54, v5, v7
	v_pk_min_f16 v5, v80, v4
	v_pk_min_f16 v7, v64, v6
	v_pk_add_f16 v5, v59, v5
	s_nop 0
	v_pk_add_f16 v51, v5, v7
	v_pk_min_f16 v5, v81, v4
	v_pk_min_f16 v7, v69, v6
	v_pk_add_f16 v5, v68, v5
	v_pk_min_f16 v4, v85, v4
	v_pk_add_f16 v50, v5, v7
	v_pk_add_f16 v4, v22, v4
	v_pk_min_f16 v5, v86, v6
	s_nop 0
	v_pk_add_f16 v55, v4, v5
	v_pk_min_f16 v4, v82, v0
	v_pk_min_f16 v5, v83, v1
	v_pk_add_f16 v4, v20, v4
	s_nop 0
	v_pk_add_f16 v57, v4, v5
	v_pk_min_f16 v4, v84, v0
	v_pk_min_f16 v5, v73, v1
	v_pk_add_f16 v4, v19, v4
	;; [unrolled: 5-line block ×6, first 2 shown]
	s_nop 0
	v_pk_add_f16 v53, v4, v5
	v_pk_min_f16 v4, v81, v0
	v_pk_min_f16 v0, v85, v0
	;; [unrolled: 1-line block ×3, first 2 shown]
	v_pk_add_f16 v0, v16, v0
	v_pk_min_f16 v1, v86, v1
	v_pk_add_f16 v4, v67, v4
	v_pk_add_f16 v16, v0, v1
	v_pk_max_f16 v0, v2, v2
	v_pk_max_f16 v2, v3, v3
	v_pk_min_f16 v1, v82, v0
	v_pk_min_f16 v3, v83, v2
	v_pk_add_f16 v1, v14, v1
	v_pk_add_f16 v52, v4, v5
	;; [unrolled: 1-line block ×3, first 2 shown]
	v_pk_min_f16 v1, v84, v0
	v_pk_min_f16 v3, v73, v2
	v_pk_add_f16 v1, v12, v1
	s_nop 0
	v_pk_add_f16 v12, v1, v3
	v_pk_min_f16 v1, v74, v0
	v_pk_min_f16 v3, v75, v2
	v_pk_add_f16 v1, v13, v1
	s_nop 0
	v_pk_add_f16 v67, v1, v3
	;; [unrolled: 5-line block ×5, first 2 shown]
	v_pk_min_f16 v1, v81, v0
	v_pk_min_f16 v3, v69, v2
	v_pk_add_f16 v1, v66, v1
	v_pk_min_f16 v0, v85, v0
	v_pk_add_f16 v66, v1, v3
	v_pk_add_f16 v0, v65, v0
	v_pk_min_f16 v1, v86, v2
	s_nop 0
	v_pk_add_f16 v65, v0, v1
	ds_read2_b64 v[0:3], v39 offset0:48 offset1:56
	ds_read2_b64 v[4:7], v37 offset0:64 offset1:96
	ds_read2_b64 v[20:23], v37 offset1:32
	s_waitcnt lgkmcnt(2)
	v_pk_max_f16 v69, v2, v2
	s_waitcnt lgkmcnt(1)
	v_pk_max_f16 v4, v4, v4
	;; [unrolled: 2-line block ×3, first 2 shown]
	v_pk_max_f16 v0, v0, v0
	v_pk_min_f16 v2, v69, v20
	v_pk_max_f16 v3, v3, v3
	v_pk_add_f16 v63, v63, v2
	v_pk_max_f16 v2, v22, v22
	v_pk_max_f16 v5, v5, v5
	v_pk_min_f16 v13, v69, v2
	v_pk_max_f16 v7, v7, v7
	v_pk_add_f16 v22, v55, v13
	v_pk_min_f16 v13, v69, v4
	v_pk_max_f16 v1, v1, v1
	v_pk_add_f16 v55, v16, v13
	ds_read2_b64 v[16:19], v39 offset1:8
	s_waitcnt lgkmcnt(0)
	v_pk_max_f16 v13, v16, v16
	s_nop 0
	v_pk_min_f16 v15, v13, v20
	v_pk_max_f16 v16, v6, v6
	v_pk_add_f16 v71, v71, v15
	v_pk_min_f16 v15, v13, v2
	v_pk_min_f16 v6, v13, v16
	v_pk_add_f16 v75, v11, v15
	v_pk_min_f16 v11, v13, v4
	v_pk_add_f16 v76, v14, v6
	v_pk_max_f16 v6, v18, v18
	v_pk_add_f16 v57, v57, v11
	v_pk_min_f16 v11, v6, v20
	s_nop 0
	v_pk_add_f16 v18, v72, v11
	v_pk_min_f16 v11, v6, v2
	s_nop 0
	v_pk_add_f16 v72, v10, v11
	v_pk_min_f16 v10, v6, v4
	v_pk_min_f16 v6, v6, v16
	v_pk_add_f16 v59, v59, v10
	v_pk_add_f16 v77, v12, v6
	ds_read2_b64 v[12:15], v39 offset0:16 offset1:24
	s_waitcnt lgkmcnt(0)
	v_pk_max_f16 v6, v12, v12
	s_nop 0
	v_pk_min_f16 v10, v6, v20
	v_pk_max_f16 v13, v13, v13
	v_pk_add_f16 v70, v70, v10
	v_pk_min_f16 v10, v6, v2
	v_pk_max_f16 v15, v15, v15
	v_pk_add_f16 v78, v9, v10
	v_pk_min_f16 v9, v6, v4
	v_pk_min_f16 v6, v6, v16
	v_pk_add_f16 v68, v68, v9
	v_pk_add_f16 v67, v67, v6
	v_pk_max_f16 v6, v14, v14
	s_nop 0
	v_pk_min_f16 v9, v6, v20
	s_nop 0
	v_pk_add_f16 v62, v62, v9
	v_pk_min_f16 v9, v6, v2
	s_nop 0
	v_pk_add_f16 v79, v8, v9
	v_pk_min_f16 v8, v6, v4
	v_pk_min_f16 v6, v6, v16
	v_pk_add_f16 v80, v87, v8
	ds_read2_b64 v[8:11], v39 offset0:32 offset1:40
	v_pk_add_f16 v73, v73, v6
	s_waitcnt vmcnt(0)
	ds_write_b16 v42, v49
	ds_write_b16 v43, v47
	ds_write_b16 v43, v46 offset:512
	s_waitcnt lgkmcnt(0)
	s_barrier
	v_pk_max_f16 v6, v8, v8
	v_pk_max_f16 v9, v9, v9
	v_pk_min_f16 v8, v6, v20
	s_nop 0
	v_pk_add_f16 v81, v58, v8
	v_pk_min_f16 v8, v6, v2
	s_nop 0
	v_pk_add_f16 v82, v54, v8
	v_pk_min_f16 v8, v6, v4
	v_pk_min_f16 v6, v6, v16
	v_pk_add_f16 v83, v56, v8
	v_pk_add_f16 v74, v74, v6
	v_pk_max_f16 v6, v10, v10
	v_pk_max_f16 v10, v21, v21
	v_pk_min_f16 v8, v6, v20
	v_pk_min_f16 v12, v3, v10
	v_pk_add_f16 v84, v60, v8
	v_pk_min_f16 v8, v6, v2
	v_pk_min_f16 v2, v0, v2
	v_pk_add_f16 v85, v51, v8
	;; [unrolled: 3-line block ×3, first 2 shown]
	v_pk_add_f16 v86, v64, v6
	v_pk_min_f16 v6, v0, v20
	s_nop 0
	v_pk_add_f16 v8, v61, v6
	v_pk_add_f16 v6, v50, v2
	v_pk_min_f16 v2, v0, v4
	v_pk_min_f16 v0, v0, v16
	v_pk_add_f16 v4, v52, v2
	v_pk_add_f16 v2, v66, v0
	v_pk_min_f16 v0, v69, v16
	v_pk_add_f16 v50, v63, v12
	v_pk_add_f16 v0, v65, v0
	v_pk_max_f16 v65, v23, v23
	s_nop 0
	v_pk_min_f16 v12, v3, v65
	s_nop 0
	v_pk_add_f16 v22, v22, v12
	v_pk_min_f16 v12, v3, v5
	s_nop 0
	v_pk_add_f16 v16, v55, v12
	v_pk_max_f16 v12, v17, v17
	s_nop 0
	v_pk_min_f16 v14, v12, v10
	s_nop 0
	v_pk_add_f16 v58, v71, v14
	v_pk_min_f16 v14, v12, v65
	s_nop 0
	v_pk_add_f16 v51, v75, v14
	v_pk_min_f16 v14, v12, v5
	v_pk_min_f16 v12, v12, v7
	v_pk_add_f16 v20, v57, v14
	v_pk_add_f16 v14, v76, v12
	v_pk_max_f16 v12, v19, v19
	s_nop 0
	v_pk_min_f16 v17, v12, v10
	s_nop 0
	v_pk_add_f16 v60, v18, v17
	v_pk_min_f16 v17, v12, v65
	s_nop 0
	v_pk_add_f16 v54, v72, v17
	v_pk_min_f16 v17, v12, v5
	v_pk_min_f16 v12, v12, v7
	v_pk_add_f16 v19, v59, v17
	v_pk_min_f16 v17, v13, v10
	v_pk_add_f16 v12, v77, v12
	v_pk_add_f16 v61, v70, v17
	v_pk_min_f16 v17, v13, v65
	s_nop 0
	v_pk_add_f16 v55, v78, v17
	v_pk_min_f16 v17, v13, v5
	v_pk_min_f16 v13, v13, v7
	v_pk_add_f16 v21, v68, v17
	v_pk_min_f16 v17, v15, v10
	v_pk_add_f16 v13, v67, v13
	;; [unrolled: 9-line block ×3, first 2 shown]
	v_pk_add_f16 v63, v81, v17
	v_pk_min_f16 v17, v9, v65
	s_nop 0
	v_pk_add_f16 v57, v82, v17
	v_pk_min_f16 v17, v9, v5
	v_pk_min_f16 v9, v9, v7
	v_pk_add_f16 v52, v83, v17
	v_pk_add_f16 v17, v74, v9
	v_pk_max_f16 v9, v11, v11
	s_nop 0
	v_pk_min_f16 v11, v9, v10
	s_nop 0
	v_pk_add_f16 v64, v84, v11
	v_pk_min_f16 v11, v9, v65
	s_nop 0
	v_pk_add_f16 v59, v85, v11
	v_pk_min_f16 v11, v9, v5
	v_pk_min_f16 v9, v9, v7
	v_pk_min_f16 v5, v1, v5
	v_pk_add_f16 v18, v86, v9
	v_pk_min_f16 v9, v1, v10
	v_pk_add_f16 v53, v53, v11
	v_pk_add_f16 v69, v8, v9
	v_pk_min_f16 v8, v1, v65
	v_pk_min_f16 v1, v1, v7
	v_pk_add_f16 v68, v6, v8
	v_pk_add_f16 v66, v2, v1
	v_pk_min_f16 v1, v3, v7
	v_pk_add_f16 v67, v4, v5
	v_pk_add_f16 v65, v0, v1
	s_cbranch_scc0 .LBB283_9
.LBB283_10:
	s_load_dwordx2 s[14:15], s[0:1], 0x70
	s_load_dword s10, s[0:1], 0x50
	s_load_dword s12, s[0:1], 0x68
	v_add_u32_e32 v32, 0x800, v38
	ds_read2_b64 v[0:3], v37 offset0:128 offset1:160
	ds_read2_b64 v[4:7], v32 offset0:112 offset1:120
	;; [unrolled: 1-line block ×3, first 2 shown]
	s_waitcnt lgkmcnt(0)
	s_mul_i32 s1, s15, s3
	s_mul_hi_u32 s2, s14, s3
	v_pk_max_f16 v0, v0, v0
	v_pk_max_f16 v6, v6, v6
	;; [unrolled: 1-line block ×3, first 2 shown]
	v_pk_min_f16 v24, v6, v0
	v_pk_min_f16 v28, v6, v2
	v_pk_add_f16 v49, v50, v24
	ds_read2_b64 v[24:27], v32 offset0:64 offset1:72
	v_pk_max_f16 v8, v8, v8
	v_pk_add_f16 v22, v22, v28
	v_pk_min_f16 v28, v6, v8
	v_pk_max_f16 v10, v10, v10
	s_waitcnt lgkmcnt(0)
	v_pk_max_f16 v24, v24, v24
	v_pk_add_f16 v16, v16, v28
	v_pk_min_f16 v28, v24, v0
	v_pk_max_f16 v4, v4, v4
	v_pk_add_f16 v50, v58, v28
	v_pk_min_f16 v28, v24, v2
	;; [unrolled: 3-line block ×3, first 2 shown]
	v_pk_min_f16 v24, v24, v10
	v_pk_add_f16 v20, v20, v28
	v_pk_add_f16 v14, v14, v24
	v_pk_max_f16 v24, v26, v26
	s_mul_i32 s0, s14, s3
	v_pk_min_f16 v28, v24, v2
	v_pk_min_f16 v26, v24, v0
	v_pk_add_f16 v54, v54, v28
	ds_read2_b64 v[28:31], v32 offset0:80 offset1:88
	v_pk_min_f16 v33, v24, v8
	v_pk_min_f16 v24, v24, v10
	v_pk_add_f16 v19, v19, v33
	v_pk_add_f16 v12, v12, v24
	s_waitcnt lgkmcnt(0)
	v_pk_max_f16 v24, v28, v28
	v_pk_add_f16 v26, v60, v26
	v_pk_min_f16 v33, v24, v2
	v_pk_min_f16 v28, v24, v0
	v_pk_add_f16 v55, v55, v33
	v_pk_min_f16 v33, v24, v8
	v_pk_min_f16 v24, v24, v10
	v_pk_add_f16 v21, v21, v33
	v_pk_add_f16 v24, v13, v24
	v_pk_max_f16 v13, v30, v30
	v_pk_add_f16 v28, v61, v28
	v_pk_min_f16 v33, v13, v2
	v_pk_min_f16 v30, v13, v0
	v_pk_add_f16 v56, v56, v33
	ds_read2_b64 v[32:35], v32 offset0:96 offset1:104
	v_pk_min_f16 v37, v13, v8
	v_pk_min_f16 v13, v13, v10
	v_pk_add_f16 v30, v62, v30
	v_pk_add_f16 v58, v15, v13
	s_waitcnt lgkmcnt(0)
	v_pk_max_f16 v13, v32, v32
	s_add_i32 s1, s2, s1
	v_pk_min_f16 v15, v13, v0
	s_lshl_b64 s[0:1], s[0:1], 1
	v_pk_add_f16 v60, v63, v15
	v_pk_min_f16 v15, v13, v2
	v_pk_max_f16 v5, v5, v5
	v_pk_add_f16 v57, v57, v15
	v_pk_min_f16 v15, v13, v8
	v_pk_min_f16 v13, v13, v10
	v_pk_add_f16 v61, v52, v15
	v_pk_add_f16 v62, v17, v13
	v_pk_max_f16 v13, v34, v34
	v_add_u32_e32 v32, s19, v36
	v_pk_min_f16 v15, v13, v0
	v_pk_min_f16 v0, v4, v0
	v_pk_add_f16 v63, v64, v15
	v_pk_add_f16 v69, v69, v0
	v_pk_min_f16 v0, v4, v2
	v_pk_min_f16 v15, v13, v2
	v_pk_add_f16 v68, v68, v0
	v_pk_min_f16 v0, v4, v8
	v_pk_add_f16 v59, v59, v15
	v_pk_add_f16 v67, v67, v0
	v_pk_min_f16 v0, v4, v10
	v_pk_min_f16 v15, v13, v8
	v_pk_add_f16 v66, v66, v0
	v_pk_min_f16 v0, v6, v10
	v_pk_min_f16 v13, v13, v10
	v_pk_add_f16 v65, v65, v0
	v_pk_max_f16 v0, v1, v1
	v_pk_max_f16 v1, v7, v7
	;; [unrolled: 1-line block ×5, first 2 shown]
	v_pk_add_f16 v64, v18, v13
	v_pk_min_f16 v10, v7, v0
	v_pk_min_f16 v13, v7, v3
	;; [unrolled: 1-line block ×4, first 2 shown]
	v_pk_max_f16 v7, v27, v27
	s_add_u32 s2, s6, s0
	v_pk_min_f16 v18, v7, v0
	v_pk_min_f16 v25, v7, v3
	;; [unrolled: 1-line block ×4, first 2 shown]
	v_pk_max_f16 v7, v29, v29
	v_pk_add_f16 v23, v23, v37
	v_pk_min_f16 v29, v7, v0
	v_pk_min_f16 v71, v7, v3
	;; [unrolled: 1-line block ×4, first 2 shown]
	v_pk_max_f16 v7, v31, v31
	v_pk_add_f16 v53, v53, v15
	v_pk_min_f16 v31, v7, v0
	v_pk_min_f16 v74, v7, v3
	;; [unrolled: 1-line block ×4, first 2 shown]
	v_pk_max_f16 v7, v33, v33
	v_pk_min_f16 v2, v1, v0
	v_pk_min_f16 v77, v7, v0
	v_pk_min_f16 v78, v7, v3
	v_pk_min_f16 v79, v7, v6
	v_pk_min_f16 v80, v7, v9
	v_pk_max_f16 v7, v35, v35
	v_pk_min_f16 v4, v1, v3
	v_pk_min_f16 v8, v1, v6
	;; [unrolled: 1-line block ×11, first 2 shown]
	v_add_u32_e32 v34, 8, v32
	v_add_u32_e32 v36, 16, v32
	;; [unrolled: 1-line block ×7, first 2 shown]
	v_cmp_neq_f16_e64 s[4:5], s11, 0
	s_addc_u32 s3, s7, s1
	v_ashrrev_i32_e32 v33, 31, v32
	v_ashrrev_i32_e32 v35, 31, v34
	;; [unrolled: 1-line block ×8, first 2 shown]
	v_add_u32_e32 v52, s18, v48
	s_mov_b64 s[6:7], 15
	v_pk_add_f16 v7, v49, v2
	v_pk_add_f16 v15, v22, v4
	v_pk_add_f16 v9, v16, v8
	v_pk_add_f16 v0, v50, v10
	v_pk_add_f16 v8, v51, v13
	v_pk_add_f16 v2, v20, v17
	v_pk_add_f16 v10, v14, v11
	v_pk_add_f16 v1, v26, v18
	v_pk_add_f16 v11, v54, v25
	v_pk_add_f16 v3, v19, v27
	v_pk_add_f16 v13, v12, v70
	v_pk_add_f16 v4, v28, v29
	v_pk_add_f16 v12, v55, v71
	v_pk_add_f16 v6, v21, v72
	v_pk_add_f16 v14, v24, v73
	v_pk_add_f16 v5, v30, v31
	v_pk_add_f16 v17, v56, v74
	v_pk_add_f16 v19, v23, v75
	v_pk_add_f16 v21, v58, v76
	v_pk_add_f16 v16, v60, v77
	v_pk_add_f16 v18, v57, v78
	v_pk_add_f16 v20, v61, v79
	v_pk_add_f16 v22, v62, v80
	v_pk_add_f16 v23, v63, v81
	v_pk_add_f16 v25, v59, v82
	v_pk_add_f16 v27, v53, v83
	v_pk_add_f16 v29, v64, v84
	v_pk_add_f16 v24, v69, v85
	v_pk_add_f16 v26, v68, v86
	v_pk_add_f16 v28, v67, v87
	v_pk_add_f16 v30, v66, v88
	v_pk_add_f16 v31, v65, v89
	s_branch .LBB283_12
.LBB283_11:                             ;   in Loop: Header=BB283_12 Depth=1
	s_add_i32 s0, s6, -1
	s_cmp_eq_u32 s0, 1
	s_cselect_b64 vcc, -1, 0
	s_cmp_eq_u32 s0, 2
	v_cndmask_b32_e32 v48, v0, v53, vcc
	s_cselect_b64 vcc, -1, 0
	s_cmp_eq_u32 s0, 3
	v_cndmask_b32_e32 v48, v48, v1, vcc
	;; [unrolled: 3-line block ×62, first 2 shown]
	s_cselect_b64 vcc, -1, 0
	s_cmp_eq_u32 s6, 1
	s_cselect_b64 s[0:1], -1, 0
	s_cmp_eq_u32 s6, 2
	v_cndmask_b32_e64 v49, v0, v53, s[0:1]
	s_cselect_b64 s[0:1], -1, 0
	s_cmp_eq_u32 s6, 3
	v_cndmask_b32_e64 v49, v49, v1, s[0:1]
	;; [unrolled: 3-line block ×61, first 2 shown]
	v_cndmask_b32_e32 v48, v48, v84, vcc
	s_cselect_b64 vcc, -1, 0
	s_cmp_eq_u32 s6, 63
	v_cndmask_b32_e32 v49, v49, v31, vcc
	s_cselect_b64 vcc, -1, 0
	v_cndmask_b32_e32 v49, v49, v84, vcc
	s_add_u32 s6, s6, 16
	v_add_f16_e32 v48, v48, v49
	s_addc_u32 s7, s7, 0
	v_add_f16_e32 v53, v48, v85
	v_lshl_add_u64 v[48:49], v[46:47], 1, v[50:51]
	s_cmpk_lg_i32 s6, 0x4f
	v_add_u32_e32 v52, 32, v52
	global_store_short v[48:49], v53, off
	s_cbranch_scc0 .LBB283_28
.LBB283_12:                             ; =>This Inner Loop Header: Depth=1
	v_mad_i64_i32 v[48:49], s[0:1], v52, s10, 0
	v_cndmask_b32_e64 v50, 0, 1, s[4:5]
	v_lshl_add_u64 v[48:49], v[48:49], 1, s[8:9]
	v_mov_b32_e32 v85, 0
	v_cmp_ne_u32_e64 s[0:1], 1, v50
	s_andn2_b64 vcc, exec, s[4:5]
	v_mov_b32_e32 v50, 0
	s_cbranch_vccnz .LBB283_14
; %bb.13:                               ;   in Loop: Header=BB283_12 Depth=1
	v_lshl_add_u64 v[50:51], v[32:33], 1, v[48:49]
	global_load_ushort v50, v[50:51], off
	s_waitcnt vmcnt(0)
	v_mul_f16_e32 v50, s11, v50
.LBB283_14:                             ;   in Loop: Header=BB283_12 Depth=1
	s_add_i32 s13, s6, -15
	s_cmp_eq_u32 s13, 1
	v_lshrrev_b32_e32 v53, 16, v0
	s_cselect_b64 vcc, -1, 0
	s_cmp_eq_u32 s13, 2
	v_cndmask_b32_e32 v51, v0, v53, vcc
	s_cselect_b64 vcc, -1, 0
	s_cmp_eq_u32 s13, 3
	v_cndmask_b32_e32 v51, v51, v1, vcc
	v_lshrrev_b32_e32 v54, 16, v1
	s_cselect_b64 vcc, -1, 0
	s_cmp_eq_u32 s13, 4
	v_cndmask_b32_e32 v51, v51, v54, vcc
	s_cselect_b64 vcc, -1, 0
	s_cmp_eq_u32 s13, 5
	v_cndmask_b32_e32 v51, v51, v4, vcc
	;; [unrolled: 7-line block ×31, first 2 shown]
	s_cselect_b64 vcc, -1, 0
	s_add_i32 s13, s6, -14
	v_lshrrev_b32_e32 v84, 16, v31
	s_cmp_eq_u32 s13, 1
	v_cndmask_b32_e32 v51, v51, v84, vcc
	s_cselect_b64 vcc, -1, 0
	s_cmp_eq_u32 s13, 2
	v_cndmask_b32_e32 v86, v0, v53, vcc
	s_cselect_b64 vcc, -1, 0
	;; [unrolled: 3-line block ×63, first 2 shown]
	v_cndmask_b32_e32 v86, v86, v84, vcc
	v_add_f16_e32 v51, v51, v86
	v_add_f16_e32 v88, v51, v50
	v_mad_i64_i32 v[50:51], s[14:15], v52, s12, 0
	v_lshl_add_u64 v[50:51], v[50:51], 1, s[2:3]
	v_lshl_add_u64 v[86:87], v[32:33], 1, v[50:51]
	s_and_b64 vcc, exec, s[0:1]
	global_store_short v[86:87], v88, off
	s_cbranch_vccnz .LBB283_16
; %bb.15:                               ;   in Loop: Header=BB283_12 Depth=1
	v_lshl_add_u64 v[86:87], v[34:35], 1, v[48:49]
	global_load_ushort v85, v[86:87], off
	s_waitcnt vmcnt(0)
	v_mul_f16_e32 v85, s11, v85
.LBB283_16:                             ;   in Loop: Header=BB283_12 Depth=1
	s_add_i32 s13, s6, -13
	s_cmp_eq_u32 s13, 1
	s_cselect_b64 vcc, -1, 0
	s_cmp_eq_u32 s13, 2
	v_cndmask_b32_e32 v86, v0, v53, vcc
	s_cselect_b64 vcc, -1, 0
	s_cmp_eq_u32 s13, 3
	v_cndmask_b32_e32 v86, v86, v1, vcc
	;; [unrolled: 3-line block ×62, first 2 shown]
	s_cselect_b64 vcc, -1, 0
	s_add_i32 s13, s6, -12
	s_cmp_eq_u32 s13, 1
	v_cndmask_b32_e32 v86, v86, v84, vcc
	s_cselect_b64 vcc, -1, 0
	s_cmp_eq_u32 s13, 2
	v_cndmask_b32_e32 v87, v0, v53, vcc
	s_cselect_b64 vcc, -1, 0
	;; [unrolled: 3-line block ×63, first 2 shown]
	v_cndmask_b32_e32 v87, v87, v84, vcc
	v_add_f16_e32 v86, v86, v87
	v_add_f16_e32 v85, v86, v85
	v_lshl_add_u64 v[86:87], v[34:35], 1, v[50:51]
	global_store_short v[86:87], v85, off
	s_and_b64 vcc, exec, s[0:1]
	v_mov_b32_e32 v85, 0
	v_mov_b32_e32 v86, 0
	s_cbranch_vccnz .LBB283_18
; %bb.17:                               ;   in Loop: Header=BB283_12 Depth=1
	v_lshl_add_u64 v[86:87], v[36:37], 1, v[48:49]
	global_load_ushort v86, v[86:87], off
	s_waitcnt vmcnt(0)
	v_mul_f16_e32 v86, s11, v86
.LBB283_18:                             ;   in Loop: Header=BB283_12 Depth=1
	s_add_i32 s13, s6, -11
	s_cmp_eq_u32 s13, 1
	s_cselect_b64 vcc, -1, 0
	s_cmp_eq_u32 s13, 2
	v_cndmask_b32_e32 v87, v0, v53, vcc
	s_cselect_b64 vcc, -1, 0
	s_cmp_eq_u32 s13, 3
	v_cndmask_b32_e32 v87, v87, v1, vcc
	;; [unrolled: 3-line block ×62, first 2 shown]
	s_cselect_b64 vcc, -1, 0
	s_add_i32 s13, s6, -10
	s_cmp_eq_u32 s13, 1
	v_cndmask_b32_e32 v87, v87, v84, vcc
	s_cselect_b64 vcc, -1, 0
	s_cmp_eq_u32 s13, 2
	v_cndmask_b32_e32 v88, v0, v53, vcc
	s_cselect_b64 vcc, -1, 0
	;; [unrolled: 3-line block ×63, first 2 shown]
	v_cndmask_b32_e32 v88, v88, v84, vcc
	v_add_f16_e32 v87, v87, v88
	v_add_f16_e32 v88, v87, v86
	v_lshl_add_u64 v[86:87], v[36:37], 1, v[50:51]
	s_and_b64 vcc, exec, s[0:1]
	global_store_short v[86:87], v88, off
	s_cbranch_vccnz .LBB283_20
; %bb.19:                               ;   in Loop: Header=BB283_12 Depth=1
	v_lshl_add_u64 v[86:87], v[38:39], 1, v[48:49]
	global_load_ushort v85, v[86:87], off
	s_waitcnt vmcnt(0)
	v_mul_f16_e32 v85, s11, v85
.LBB283_20:                             ;   in Loop: Header=BB283_12 Depth=1
	s_add_i32 s13, s6, -9
	s_cmp_eq_u32 s13, 1
	s_cselect_b64 vcc, -1, 0
	s_cmp_eq_u32 s13, 2
	v_cndmask_b32_e32 v86, v0, v53, vcc
	s_cselect_b64 vcc, -1, 0
	s_cmp_eq_u32 s13, 3
	v_cndmask_b32_e32 v86, v86, v1, vcc
	;; [unrolled: 3-line block ×62, first 2 shown]
	s_cselect_b64 vcc, -1, 0
	s_add_i32 s13, s6, -8
	s_cmp_eq_u32 s13, 1
	v_cndmask_b32_e32 v86, v86, v84, vcc
	s_cselect_b64 vcc, -1, 0
	s_cmp_eq_u32 s13, 2
	v_cndmask_b32_e32 v87, v0, v53, vcc
	s_cselect_b64 vcc, -1, 0
	;; [unrolled: 3-line block ×63, first 2 shown]
	v_cndmask_b32_e32 v87, v87, v84, vcc
	v_add_f16_e32 v86, v86, v87
	v_add_f16_e32 v85, v86, v85
	v_lshl_add_u64 v[86:87], v[38:39], 1, v[50:51]
	global_store_short v[86:87], v85, off
	s_and_b64 vcc, exec, s[0:1]
	v_mov_b32_e32 v85, 0
	v_mov_b32_e32 v86, 0
	s_cbranch_vccnz .LBB283_22
; %bb.21:                               ;   in Loop: Header=BB283_12 Depth=1
	v_lshl_add_u64 v[86:87], v[40:41], 1, v[48:49]
	global_load_ushort v86, v[86:87], off
	s_waitcnt vmcnt(0)
	v_mul_f16_e32 v86, s11, v86
.LBB283_22:                             ;   in Loop: Header=BB283_12 Depth=1
	s_add_i32 s13, s6, -7
	s_cmp_eq_u32 s13, 1
	s_cselect_b64 vcc, -1, 0
	s_cmp_eq_u32 s13, 2
	v_cndmask_b32_e32 v87, v0, v53, vcc
	s_cselect_b64 vcc, -1, 0
	s_cmp_eq_u32 s13, 3
	v_cndmask_b32_e32 v87, v87, v1, vcc
	;; [unrolled: 3-line block ×62, first 2 shown]
	s_cselect_b64 vcc, -1, 0
	s_add_i32 s13, s6, -6
	s_cmp_eq_u32 s13, 1
	v_cndmask_b32_e32 v87, v87, v84, vcc
	s_cselect_b64 vcc, -1, 0
	s_cmp_eq_u32 s13, 2
	v_cndmask_b32_e32 v88, v0, v53, vcc
	s_cselect_b64 vcc, -1, 0
	s_cmp_eq_u32 s13, 3
	v_cndmask_b32_e32 v88, v88, v1, vcc
	s_cselect_b64 vcc, -1, 0
	s_cmp_eq_u32 s13, 4
	v_cndmask_b32_e32 v88, v88, v54, vcc
	s_cselect_b64 vcc, -1, 0
	s_cmp_eq_u32 s13, 5
	v_cndmask_b32_e32 v88, v88, v4, vcc
	s_cselect_b64 vcc, -1, 0
	s_cmp_eq_u32 s13, 6
	v_cndmask_b32_e32 v88, v88, v55, vcc
	s_cselect_b64 vcc, -1, 0
	s_cmp_eq_u32 s13, 7
	v_cndmask_b32_e32 v88, v88, v5, vcc
	s_cselect_b64 vcc, -1, 0
	s_cmp_eq_u32 s13, 8
	v_cndmask_b32_e32 v88, v88, v56, vcc
	s_cselect_b64 vcc, -1, 0
	s_cmp_eq_u32 s13, 9
	v_cndmask_b32_e32 v88, v88, v16, vcc
	s_cselect_b64 vcc, -1, 0
	s_cmp_eq_u32 s13, 10
	v_cndmask_b32_e32 v88, v88, v57, vcc
	s_cselect_b64 vcc, -1, 0
	s_cmp_eq_u32 s13, 11
	v_cndmask_b32_e32 v88, v88, v23, vcc
	s_cselect_b64 vcc, -1, 0
	s_cmp_eq_u32 s13, 12
	v_cndmask_b32_e32 v88, v88, v58, vcc
	s_cselect_b64 vcc, -1, 0
	s_cmp_eq_u32 s13, 13
	v_cndmask_b32_e32 v88, v88, v24, vcc
	s_cselect_b64 vcc, -1, 0
	s_cmp_eq_u32 s13, 14
	v_cndmask_b32_e32 v88, v88, v59, vcc
	s_cselect_b64 vcc, -1, 0
	s_cmp_eq_u32 s13, 15
	v_cndmask_b32_e32 v88, v88, v7, vcc
	s_cselect_b64 vcc, -1, 0
	s_cmp_eq_u32 s13, 16
	v_cndmask_b32_e32 v88, v88, v60, vcc
	s_cselect_b64 vcc, -1, 0
	s_cmp_eq_u32 s13, 17
	v_cndmask_b32_e32 v88, v88, v8, vcc
	s_cselect_b64 vcc, -1, 0
	s_cmp_eq_u32 s13, 18
	v_cndmask_b32_e32 v88, v88, v61, vcc
	s_cselect_b64 vcc, -1, 0
	s_cmp_eq_u32 s13, 19
	v_cndmask_b32_e32 v88, v88, v11, vcc
	s_cselect_b64 vcc, -1, 0
	s_cmp_eq_u32 s13, 20
	v_cndmask_b32_e32 v88, v88, v62, vcc
	s_cselect_b64 vcc, -1, 0
	s_cmp_eq_u32 s13, 21
	v_cndmask_b32_e32 v88, v88, v12, vcc
	s_cselect_b64 vcc, -1, 0
	s_cmp_eq_u32 s13, 22
	v_cndmask_b32_e32 v88, v88, v63, vcc
	s_cselect_b64 vcc, -1, 0
	s_cmp_eq_u32 s13, 23
	v_cndmask_b32_e32 v88, v88, v17, vcc
	s_cselect_b64 vcc, -1, 0
	s_cmp_eq_u32 s13, 24
	v_cndmask_b32_e32 v88, v88, v64, vcc
	s_cselect_b64 vcc, -1, 0
	s_cmp_eq_u32 s13, 25
	v_cndmask_b32_e32 v88, v88, v18, vcc
	s_cselect_b64 vcc, -1, 0
	s_cmp_eq_u32 s13, 26
	v_cndmask_b32_e32 v88, v88, v65, vcc
	s_cselect_b64 vcc, -1, 0
	s_cmp_eq_u32 s13, 27
	v_cndmask_b32_e32 v88, v88, v25, vcc
	s_cselect_b64 vcc, -1, 0
	s_cmp_eq_u32 s13, 28
	v_cndmask_b32_e32 v88, v88, v66, vcc
	s_cselect_b64 vcc, -1, 0
	s_cmp_eq_u32 s13, 29
	v_cndmask_b32_e32 v88, v88, v26, vcc
	s_cselect_b64 vcc, -1, 0
	s_cmp_eq_u32 s13, 30
	v_cndmask_b32_e32 v88, v88, v67, vcc
	s_cselect_b64 vcc, -1, 0
	s_cmp_eq_u32 s13, 31
	v_cndmask_b32_e32 v88, v88, v15, vcc
	s_cselect_b64 vcc, -1, 0
	s_cmp_eq_u32 s13, 32
	v_cndmask_b32_e32 v88, v88, v68, vcc
	s_cselect_b64 vcc, -1, 0
	s_cmp_eq_u32 s13, 33
	v_cndmask_b32_e32 v88, v88, v2, vcc
	s_cselect_b64 vcc, -1, 0
	s_cmp_eq_u32 s13, 34
	v_cndmask_b32_e32 v88, v88, v69, vcc
	s_cselect_b64 vcc, -1, 0
	s_cmp_eq_u32 s13, 35
	v_cndmask_b32_e32 v88, v88, v3, vcc
	s_cselect_b64 vcc, -1, 0
	s_cmp_eq_u32 s13, 36
	v_cndmask_b32_e32 v88, v88, v70, vcc
	s_cselect_b64 vcc, -1, 0
	s_cmp_eq_u32 s13, 37
	v_cndmask_b32_e32 v88, v88, v6, vcc
	s_cselect_b64 vcc, -1, 0
	s_cmp_eq_u32 s13, 38
	v_cndmask_b32_e32 v88, v88, v71, vcc
	s_cselect_b64 vcc, -1, 0
	s_cmp_eq_u32 s13, 39
	v_cndmask_b32_e32 v88, v88, v19, vcc
	s_cselect_b64 vcc, -1, 0
	s_cmp_eq_u32 s13, 40
	v_cndmask_b32_e32 v88, v88, v72, vcc
	s_cselect_b64 vcc, -1, 0
	s_cmp_eq_u32 s13, 41
	v_cndmask_b32_e32 v88, v88, v20, vcc
	s_cselect_b64 vcc, -1, 0
	s_cmp_eq_u32 s13, 42
	v_cndmask_b32_e32 v88, v88, v73, vcc
	s_cselect_b64 vcc, -1, 0
	s_cmp_eq_u32 s13, 43
	v_cndmask_b32_e32 v88, v88, v27, vcc
	s_cselect_b64 vcc, -1, 0
	s_cmp_eq_u32 s13, 44
	v_cndmask_b32_e32 v88, v88, v74, vcc
	s_cselect_b64 vcc, -1, 0
	s_cmp_eq_u32 s13, 45
	v_cndmask_b32_e32 v88, v88, v28, vcc
	s_cselect_b64 vcc, -1, 0
	s_cmp_eq_u32 s13, 46
	v_cndmask_b32_e32 v88, v88, v75, vcc
	s_cselect_b64 vcc, -1, 0
	s_cmp_eq_u32 s13, 47
	v_cndmask_b32_e32 v88, v88, v9, vcc
	s_cselect_b64 vcc, -1, 0
	s_cmp_eq_u32 s13, 48
	v_cndmask_b32_e32 v88, v88, v76, vcc
	s_cselect_b64 vcc, -1, 0
	s_cmp_eq_u32 s13, 49
	v_cndmask_b32_e32 v88, v88, v10, vcc
	s_cselect_b64 vcc, -1, 0
	s_cmp_eq_u32 s13, 50
	v_cndmask_b32_e32 v88, v88, v77, vcc
	s_cselect_b64 vcc, -1, 0
	s_cmp_eq_u32 s13, 51
	v_cndmask_b32_e32 v88, v88, v13, vcc
	s_cselect_b64 vcc, -1, 0
	s_cmp_eq_u32 s13, 52
	v_cndmask_b32_e32 v88, v88, v78, vcc
	s_cselect_b64 vcc, -1, 0
	s_cmp_eq_u32 s13, 53
	v_cndmask_b32_e32 v88, v88, v14, vcc
	s_cselect_b64 vcc, -1, 0
	s_cmp_eq_u32 s13, 54
	v_cndmask_b32_e32 v88, v88, v79, vcc
	s_cselect_b64 vcc, -1, 0
	s_cmp_eq_u32 s13, 55
	v_cndmask_b32_e32 v88, v88, v21, vcc
	s_cselect_b64 vcc, -1, 0
	s_cmp_eq_u32 s13, 56
	v_cndmask_b32_e32 v88, v88, v80, vcc
	s_cselect_b64 vcc, -1, 0
	s_cmp_eq_u32 s13, 57
	v_cndmask_b32_e32 v88, v88, v22, vcc
	s_cselect_b64 vcc, -1, 0
	s_cmp_eq_u32 s13, 58
	v_cndmask_b32_e32 v88, v88, v81, vcc
	s_cselect_b64 vcc, -1, 0
	s_cmp_eq_u32 s13, 59
	v_cndmask_b32_e32 v88, v88, v29, vcc
	s_cselect_b64 vcc, -1, 0
	s_cmp_eq_u32 s13, 60
	v_cndmask_b32_e32 v88, v88, v82, vcc
	s_cselect_b64 vcc, -1, 0
	s_cmp_eq_u32 s13, 61
	v_cndmask_b32_e32 v88, v88, v30, vcc
	s_cselect_b64 vcc, -1, 0
	s_cmp_eq_u32 s13, 62
	v_cndmask_b32_e32 v88, v88, v83, vcc
	s_cselect_b64 vcc, -1, 0
	s_cmp_eq_u32 s13, 63
	v_cndmask_b32_e32 v88, v88, v31, vcc
	s_cselect_b64 vcc, -1, 0
	v_cndmask_b32_e32 v88, v88, v84, vcc
	v_add_f16_e32 v87, v87, v88
	v_add_f16_e32 v88, v87, v86
	v_lshl_add_u64 v[86:87], v[40:41], 1, v[50:51]
	s_and_b64 vcc, exec, s[0:1]
	global_store_short v[86:87], v88, off
	s_cbranch_vccnz .LBB283_24
; %bb.23:                               ;   in Loop: Header=BB283_12 Depth=1
	v_lshl_add_u64 v[86:87], v[42:43], 1, v[48:49]
	global_load_ushort v85, v[86:87], off
	s_waitcnt vmcnt(0)
	v_mul_f16_e32 v85, s11, v85
.LBB283_24:                             ;   in Loop: Header=BB283_12 Depth=1
	s_add_i32 s13, s6, -5
	s_cmp_eq_u32 s13, 1
	s_cselect_b64 vcc, -1, 0
	s_cmp_eq_u32 s13, 2
	v_cndmask_b32_e32 v86, v0, v53, vcc
	s_cselect_b64 vcc, -1, 0
	s_cmp_eq_u32 s13, 3
	v_cndmask_b32_e32 v86, v86, v1, vcc
	;; [unrolled: 3-line block ×62, first 2 shown]
	s_cselect_b64 vcc, -1, 0
	s_add_i32 s13, s6, -4
	s_cmp_eq_u32 s13, 1
	v_cndmask_b32_e32 v86, v86, v84, vcc
	s_cselect_b64 vcc, -1, 0
	s_cmp_eq_u32 s13, 2
	v_cndmask_b32_e32 v87, v0, v53, vcc
	s_cselect_b64 vcc, -1, 0
	;; [unrolled: 3-line block ×63, first 2 shown]
	v_cndmask_b32_e32 v87, v87, v84, vcc
	v_add_f16_e32 v86, v86, v87
	v_add_f16_e32 v85, v86, v85
	v_lshl_add_u64 v[86:87], v[42:43], 1, v[50:51]
	global_store_short v[86:87], v85, off
	s_and_b64 vcc, exec, s[0:1]
	v_mov_b32_e32 v85, 0
	v_mov_b32_e32 v86, 0
	s_cbranch_vccnz .LBB283_26
; %bb.25:                               ;   in Loop: Header=BB283_12 Depth=1
	v_lshl_add_u64 v[86:87], v[44:45], 1, v[48:49]
	global_load_ushort v86, v[86:87], off
	s_waitcnt vmcnt(0)
	v_mul_f16_e32 v86, s11, v86
.LBB283_26:                             ;   in Loop: Header=BB283_12 Depth=1
	s_add_i32 s13, s6, -3
	s_cmp_eq_u32 s13, 1
	s_cselect_b64 vcc, -1, 0
	s_cmp_eq_u32 s13, 2
	v_cndmask_b32_e32 v87, v0, v53, vcc
	s_cselect_b64 vcc, -1, 0
	s_cmp_eq_u32 s13, 3
	v_cndmask_b32_e32 v87, v87, v1, vcc
	;; [unrolled: 3-line block ×62, first 2 shown]
	s_cselect_b64 vcc, -1, 0
	s_add_i32 s13, s6, -2
	s_cmp_eq_u32 s13, 1
	v_cndmask_b32_e32 v87, v87, v84, vcc
	s_cselect_b64 vcc, -1, 0
	s_cmp_eq_u32 s13, 2
	v_cndmask_b32_e32 v88, v0, v53, vcc
	s_cselect_b64 vcc, -1, 0
	;; [unrolled: 3-line block ×63, first 2 shown]
	v_cndmask_b32_e32 v88, v88, v84, vcc
	v_add_f16_e32 v87, v87, v88
	v_add_f16_e32 v88, v87, v86
	v_lshl_add_u64 v[86:87], v[44:45], 1, v[50:51]
	s_and_b64 vcc, exec, s[0:1]
	global_store_short v[86:87], v88, off
	s_cbranch_vccnz .LBB283_11
; %bb.27:                               ;   in Loop: Header=BB283_12 Depth=1
	v_lshl_add_u64 v[48:49], v[46:47], 1, v[48:49]
	global_load_ushort v48, v[48:49], off
	s_waitcnt vmcnt(0)
	v_mul_f16_e32 v85, s11, v48
	s_branch .LBB283_11
.LBB283_28:
	s_endpgm
.LBB283_29:
	s_mov_b64 s[12:13], 0
	s_andn2_b64 vcc, exec, s[8:9]
	s_mov_b64 s[4:5], -1
	s_cbranch_vccz .LBB283_2
	s_branch .LBB283_3
	.section	.rodata,"a",@progbits
	.p2align	6, 0x0
	.amdhsa_kernel _ZN12_GLOBAL__N_120geam_min_plus_kernelIDF16_Dv2_DF16_S1_Li8ELi32ELi64ELi128ELi4ELi64ELi4ELi4ELi64ELc78ELc78ELb1ELb0ELb0EDF16_KDF16_DF16_EEviiiT16_PT17_ilS5_ilS3_S5_ilPT18_ili26rocblas_geam_ex_operation_
		.amdhsa_group_segment_fixed_size 3072
		.amdhsa_private_segment_fixed_size 0
		.amdhsa_kernarg_size 128
		.amdhsa_user_sgpr_count 2
		.amdhsa_user_sgpr_dispatch_ptr 0
		.amdhsa_user_sgpr_queue_ptr 0
		.amdhsa_user_sgpr_kernarg_segment_ptr 1
		.amdhsa_user_sgpr_dispatch_id 0
		.amdhsa_user_sgpr_kernarg_preload_length 0
		.amdhsa_user_sgpr_kernarg_preload_offset 0
		.amdhsa_user_sgpr_private_segment_size 0
		.amdhsa_uses_dynamic_stack 0
		.amdhsa_enable_private_segment 0
		.amdhsa_system_sgpr_workgroup_id_x 1
		.amdhsa_system_sgpr_workgroup_id_y 0
		.amdhsa_system_sgpr_workgroup_id_z 1
		.amdhsa_system_sgpr_workgroup_info 0
		.amdhsa_system_vgpr_workitem_id 1
		.amdhsa_next_free_vgpr 90
		.amdhsa_next_free_sgpr 21
		.amdhsa_accum_offset 92
		.amdhsa_reserve_vcc 1
		.amdhsa_float_round_mode_32 0
		.amdhsa_float_round_mode_16_64 0
		.amdhsa_float_denorm_mode_32 3
		.amdhsa_float_denorm_mode_16_64 3
		.amdhsa_dx10_clamp 1
		.amdhsa_ieee_mode 1
		.amdhsa_fp16_overflow 0
		.amdhsa_tg_split 0
		.amdhsa_exception_fp_ieee_invalid_op 0
		.amdhsa_exception_fp_denorm_src 0
		.amdhsa_exception_fp_ieee_div_zero 0
		.amdhsa_exception_fp_ieee_overflow 0
		.amdhsa_exception_fp_ieee_underflow 0
		.amdhsa_exception_fp_ieee_inexact 0
		.amdhsa_exception_int_div_zero 0
	.end_amdhsa_kernel
	.section	.text._ZN12_GLOBAL__N_120geam_min_plus_kernelIDF16_Dv2_DF16_S1_Li8ELi32ELi64ELi128ELi4ELi64ELi4ELi4ELi64ELc78ELc78ELb1ELb0ELb0EDF16_KDF16_DF16_EEviiiT16_PT17_ilS5_ilS3_S5_ilPT18_ili26rocblas_geam_ex_operation_,"axG",@progbits,_ZN12_GLOBAL__N_120geam_min_plus_kernelIDF16_Dv2_DF16_S1_Li8ELi32ELi64ELi128ELi4ELi64ELi4ELi4ELi64ELc78ELc78ELb1ELb0ELb0EDF16_KDF16_DF16_EEviiiT16_PT17_ilS5_ilS3_S5_ilPT18_ili26rocblas_geam_ex_operation_,comdat
.Lfunc_end283:
	.size	_ZN12_GLOBAL__N_120geam_min_plus_kernelIDF16_Dv2_DF16_S1_Li8ELi32ELi64ELi128ELi4ELi64ELi4ELi4ELi64ELc78ELc78ELb1ELb0ELb0EDF16_KDF16_DF16_EEviiiT16_PT17_ilS5_ilS3_S5_ilPT18_ili26rocblas_geam_ex_operation_, .Lfunc_end283-_ZN12_GLOBAL__N_120geam_min_plus_kernelIDF16_Dv2_DF16_S1_Li8ELi32ELi64ELi128ELi4ELi64ELi4ELi4ELi64ELc78ELc78ELb1ELb0ELb0EDF16_KDF16_DF16_EEviiiT16_PT17_ilS5_ilS3_S5_ilPT18_ili26rocblas_geam_ex_operation_
                                        ; -- End function
	.set _ZN12_GLOBAL__N_120geam_min_plus_kernelIDF16_Dv2_DF16_S1_Li8ELi32ELi64ELi128ELi4ELi64ELi4ELi4ELi64ELc78ELc78ELb1ELb0ELb0EDF16_KDF16_DF16_EEviiiT16_PT17_ilS5_ilS3_S5_ilPT18_ili26rocblas_geam_ex_operation_.num_vgpr, 90
	.set _ZN12_GLOBAL__N_120geam_min_plus_kernelIDF16_Dv2_DF16_S1_Li8ELi32ELi64ELi128ELi4ELi64ELi4ELi4ELi64ELc78ELc78ELb1ELb0ELb0EDF16_KDF16_DF16_EEviiiT16_PT17_ilS5_ilS3_S5_ilPT18_ili26rocblas_geam_ex_operation_.num_agpr, 0
	.set _ZN12_GLOBAL__N_120geam_min_plus_kernelIDF16_Dv2_DF16_S1_Li8ELi32ELi64ELi128ELi4ELi64ELi4ELi4ELi64ELc78ELc78ELb1ELb0ELb0EDF16_KDF16_DF16_EEviiiT16_PT17_ilS5_ilS3_S5_ilPT18_ili26rocblas_geam_ex_operation_.numbered_sgpr, 21
	.set _ZN12_GLOBAL__N_120geam_min_plus_kernelIDF16_Dv2_DF16_S1_Li8ELi32ELi64ELi128ELi4ELi64ELi4ELi4ELi64ELc78ELc78ELb1ELb0ELb0EDF16_KDF16_DF16_EEviiiT16_PT17_ilS5_ilS3_S5_ilPT18_ili26rocblas_geam_ex_operation_.num_named_barrier, 0
	.set _ZN12_GLOBAL__N_120geam_min_plus_kernelIDF16_Dv2_DF16_S1_Li8ELi32ELi64ELi128ELi4ELi64ELi4ELi4ELi64ELc78ELc78ELb1ELb0ELb0EDF16_KDF16_DF16_EEviiiT16_PT17_ilS5_ilS3_S5_ilPT18_ili26rocblas_geam_ex_operation_.private_seg_size, 0
	.set _ZN12_GLOBAL__N_120geam_min_plus_kernelIDF16_Dv2_DF16_S1_Li8ELi32ELi64ELi128ELi4ELi64ELi4ELi4ELi64ELc78ELc78ELb1ELb0ELb0EDF16_KDF16_DF16_EEviiiT16_PT17_ilS5_ilS3_S5_ilPT18_ili26rocblas_geam_ex_operation_.uses_vcc, 1
	.set _ZN12_GLOBAL__N_120geam_min_plus_kernelIDF16_Dv2_DF16_S1_Li8ELi32ELi64ELi128ELi4ELi64ELi4ELi4ELi64ELc78ELc78ELb1ELb0ELb0EDF16_KDF16_DF16_EEviiiT16_PT17_ilS5_ilS3_S5_ilPT18_ili26rocblas_geam_ex_operation_.uses_flat_scratch, 0
	.set _ZN12_GLOBAL__N_120geam_min_plus_kernelIDF16_Dv2_DF16_S1_Li8ELi32ELi64ELi128ELi4ELi64ELi4ELi4ELi64ELc78ELc78ELb1ELb0ELb0EDF16_KDF16_DF16_EEviiiT16_PT17_ilS5_ilS3_S5_ilPT18_ili26rocblas_geam_ex_operation_.has_dyn_sized_stack, 0
	.set _ZN12_GLOBAL__N_120geam_min_plus_kernelIDF16_Dv2_DF16_S1_Li8ELi32ELi64ELi128ELi4ELi64ELi4ELi4ELi64ELc78ELc78ELb1ELb0ELb0EDF16_KDF16_DF16_EEviiiT16_PT17_ilS5_ilS3_S5_ilPT18_ili26rocblas_geam_ex_operation_.has_recursion, 0
	.set _ZN12_GLOBAL__N_120geam_min_plus_kernelIDF16_Dv2_DF16_S1_Li8ELi32ELi64ELi128ELi4ELi64ELi4ELi4ELi64ELc78ELc78ELb1ELb0ELb0EDF16_KDF16_DF16_EEviiiT16_PT17_ilS5_ilS3_S5_ilPT18_ili26rocblas_geam_ex_operation_.has_indirect_call, 0
	.section	.AMDGPU.csdata,"",@progbits
; Kernel info:
; codeLenInByte = 19664
; TotalNumSgprs: 27
; NumVgprs: 90
; NumAgprs: 0
; TotalNumVgprs: 90
; ScratchSize: 0
; MemoryBound: 0
; FloatMode: 240
; IeeeMode: 1
; LDSByteSize: 3072 bytes/workgroup (compile time only)
; SGPRBlocks: 3
; VGPRBlocks: 11
; NumSGPRsForWavesPerEU: 27
; NumVGPRsForWavesPerEU: 90
; AccumOffset: 92
; Occupancy: 5
; WaveLimiterHint : 0
; COMPUTE_PGM_RSRC2:SCRATCH_EN: 0
; COMPUTE_PGM_RSRC2:USER_SGPR: 2
; COMPUTE_PGM_RSRC2:TRAP_HANDLER: 0
; COMPUTE_PGM_RSRC2:TGID_X_EN: 1
; COMPUTE_PGM_RSRC2:TGID_Y_EN: 0
; COMPUTE_PGM_RSRC2:TGID_Z_EN: 1
; COMPUTE_PGM_RSRC2:TIDIG_COMP_CNT: 1
; COMPUTE_PGM_RSRC3_GFX90A:ACCUM_OFFSET: 22
; COMPUTE_PGM_RSRC3_GFX90A:TG_SPLIT: 0
	.section	.text._ZN12_GLOBAL__N_120geam_min_plus_kernelIDF16_Dv2_DF16_S1_Li8ELi32ELi64ELi128ELi4ELi64ELi4ELi4ELi64ELc78ELc78ELb0ELb0ELb0EDF16_KDF16_DF16_EEviiiT16_PT17_ilS5_ilS3_S5_ilPT18_ili26rocblas_geam_ex_operation_,"axG",@progbits,_ZN12_GLOBAL__N_120geam_min_plus_kernelIDF16_Dv2_DF16_S1_Li8ELi32ELi64ELi128ELi4ELi64ELi4ELi4ELi64ELc78ELc78ELb0ELb0ELb0EDF16_KDF16_DF16_EEviiiT16_PT17_ilS5_ilS3_S5_ilPT18_ili26rocblas_geam_ex_operation_,comdat
	.globl	_ZN12_GLOBAL__N_120geam_min_plus_kernelIDF16_Dv2_DF16_S1_Li8ELi32ELi64ELi128ELi4ELi64ELi4ELi4ELi64ELc78ELc78ELb0ELb0ELb0EDF16_KDF16_DF16_EEviiiT16_PT17_ilS5_ilS3_S5_ilPT18_ili26rocblas_geam_ex_operation_ ; -- Begin function _ZN12_GLOBAL__N_120geam_min_plus_kernelIDF16_Dv2_DF16_S1_Li8ELi32ELi64ELi128ELi4ELi64ELi4ELi4ELi64ELc78ELc78ELb0ELb0ELb0EDF16_KDF16_DF16_EEviiiT16_PT17_ilS5_ilS3_S5_ilPT18_ili26rocblas_geam_ex_operation_
	.p2align	8
	.type	_ZN12_GLOBAL__N_120geam_min_plus_kernelIDF16_Dv2_DF16_S1_Li8ELi32ELi64ELi128ELi4ELi64ELi4ELi4ELi64ELc78ELc78ELb0ELb0ELb0EDF16_KDF16_DF16_EEviiiT16_PT17_ilS5_ilS3_S5_ilPT18_ili26rocblas_geam_ex_operation_,@function
_ZN12_GLOBAL__N_120geam_min_plus_kernelIDF16_Dv2_DF16_S1_Li8ELi32ELi64ELi128ELi4ELi64ELi4ELi4ELi64ELc78ELc78ELb0ELb0ELb0EDF16_KDF16_DF16_EEviiiT16_PT17_ilS5_ilS3_S5_ilPT18_ili26rocblas_geam_ex_operation_: ; @_ZN12_GLOBAL__N_120geam_min_plus_kernelIDF16_Dv2_DF16_S1_Li8ELi32ELi64ELi128ELi4ELi64ELi4ELi4ELi64ELc78ELc78ELb0ELb0ELb0EDF16_KDF16_DF16_EEviiiT16_PT17_ilS5_ilS3_S5_ilPT18_ili26rocblas_geam_ex_operation_
; %bb.0:
	s_load_dwordx2 s[14:15], s[0:1], 0x8
	s_load_dwordx4 s[8:11], s[0:1], 0x20
	s_waitcnt lgkmcnt(0)
	v_cmp_eq_f16_e64 s[4:5], s15, 0
	s_and_b64 s[6:7], exec, s[4:5]
	s_mov_b64 vcc, s[6:7]
	s_cbranch_vccnz .LBB284_10
; %bb.1:
	s_load_dwordx2 s[12:13], s[0:1], 0x10
	s_mul_i32 s9, s9, s3
	s_mul_hi_u32 s16, s8, s3
	s_add_i32 s9, s16, s9
	s_mul_i32 s8, s8, s3
	s_lshl_b64 s[8:9], s[8:9], 1
	s_waitcnt lgkmcnt(0)
	s_add_u32 s16, s12, s8
	s_addc_u32 s17, s13, s9
	s_andn2_b64 vcc, exec, s[4:5]
	s_mov_b64 s[4:5], -1
	s_cbranch_vccnz .LBB284_3
.LBB284_2:
	s_mov_b64 s[4:5], 0
.LBB284_3:
	s_mov_b64 s[12:13], 0
	s_andn2_b64 vcc, exec, s[4:5]
	s_mov_b64 s[18:19], 0
	s_cbranch_vccnz .LBB284_5
; %bb.4:
	s_load_dwordx2 s[4:5], s[0:1], 0x38
	s_waitcnt lgkmcnt(0)
	s_mul_i32 s5, s5, s3
	s_mul_hi_u32 s8, s4, s3
	s_add_i32 s5, s8, s5
	s_mul_i32 s4, s4, s3
	s_lshl_b64 s[4:5], s[4:5], 1
	s_add_u32 s18, s10, s4
	s_addc_u32 s19, s11, s5
.LBB284_5:
	s_load_dword s22, s[0:1], 0x40
	s_load_dwordx4 s[8:11], s[0:1], 0x58
	v_cmp_neq_f16_e64 s[20:21], s15, 0
	s_waitcnt lgkmcnt(0)
	v_cmp_eq_f16_e64 s[4:5], s22, 0
	s_and_b64 vcc, exec, s[4:5]
	s_cbranch_vccnz .LBB284_7
; %bb.6:
	s_load_dwordx2 s[4:5], s[0:1], 0x48
	s_mul_i32 s9, s9, s3
	s_mul_hi_u32 s12, s8, s3
	s_add_i32 s9, s12, s9
	s_mul_i32 s8, s8, s3
	s_lshl_b64 s[8:9], s[8:9], 1
	s_waitcnt lgkmcnt(0)
	s_add_u32 s12, s4, s8
	s_addc_u32 s13, s5, s9
.LBB284_7:
	s_load_dword s4, s[0:1], 0x0
	s_load_dword s8, s[0:1], 0x18
	;; [unrolled: 1-line block ×3, first 2 shown]
	v_and_b32_e32 v40, 0x3ff, v0
	v_bfe_u32 v48, v0, 10, 10
	s_waitcnt lgkmcnt(0)
	s_add_i32 s4, s4, -1
	s_ashr_i32 s5, s4, 31
	s_lshr_b32 s5, s5, 26
	s_add_i32 s4, s4, s5
	s_ashr_i32 s4, s4, 6
	s_add_i32 s5, s4, 1
	v_cvt_f32_u32_e32 v1, s5
	v_and_b32_e32 v11, 3, v0
	s_not_b32 s4, s4
	s_ashr_i32 s9, s8, 31
	v_rcp_iflag_f32_e32 v0, v1
	v_lshl_add_u32 v1, v48, 3, v40
	v_and_b32_e32 v5, 63, v1
	v_lshrrev_b32_e32 v12, 2, v1
	v_mul_f32_e32 v0, 0x4f7ffffe, v0
	v_cvt_u32_f32_e32 v0, v0
	v_lshrrev_b32_e32 v4, 6, v1
	v_mov_b32_e32 v10, 0
	v_readfirstlane_b32 s23, v0
	s_mul_i32 s4, s4, s23
	s_mul_hi_u32 s4, s23, s4
	s_add_i32 s23, s23, s4
	s_mul_hi_u32 s4, s2, s23
	s_mul_i32 s23, s4, s5
	s_sub_i32 s23, s2, s23
	s_add_i32 s24, s4, 1
	s_sub_i32 s26, s23, s5
	s_cmp_ge_u32 s23, s5
	s_cselect_b32 s4, s24, s4
	s_cselect_b32 s23, s26, s23
	s_add_i32 s24, s4, 1
	s_cmp_ge_u32 s23, s5
	s_cselect_b32 s4, s24, s4
	s_mul_i32 s26, s4, s5
	s_sub_i32 s5, s2, s26
	s_lshl_b32 s24, s5, 6
	s_lshl_b32 s23, s4, 7
	v_cndmask_b32_e64 v0, 0, 1, s[20:21]
	v_or_b32_e32 v2, s24, v5
	v_add_u32_e32 v7, s23, v12
	v_cmp_ne_u32_e64 s[4:5], 1, v0
	s_andn2_b64 vcc, exec, s[20:21]
	v_ashrrev_i32_e32 v3, 31, v2
	v_lshlrev_b32_e32 v0, 1, v11
	v_add_u32_e32 v6, 64, v7
	s_cbranch_vccnz .LBB284_11
; %bb.8:
	v_mad_i64_i32 v[8:9], s[20:21], s8, v4, 0
	v_lshl_add_u64 v[8:9], v[8:9], 1, s[16:17]
	v_lshl_add_u64 v[8:9], v[2:3], 1, v[8:9]
	v_mov_b32_e32 v1, 0
	global_load_ushort v13, v[8:9], off
	v_lshl_add_u64 v[8:9], s[18:19], 0, v[0:1]
	v_mad_i64_i32 v[14:15], s[20:21], v7, s25, 0
	v_lshl_add_u64 v[14:15], v[14:15], 1, v[8:9]
	global_load_ushort v1, v[14:15], off
	v_mad_i64_i32 v[14:15], s[20:21], v6, s25, 0
	v_lshl_add_u64 v[8:9], v[14:15], 1, v[8:9]
	global_load_ushort v9, v[8:9], off
	s_waitcnt vmcnt(2)
	v_mul_f16_e32 v13, s15, v13
	s_waitcnt vmcnt(1)
	v_mul_f16_e32 v1, s15, v1
	v_pack_b32_f16 v8, v1, 0
	s_waitcnt vmcnt(0)
	v_mul_f16_e32 v9, s15, v9
	s_and_b64 vcc, exec, s[4:5]
	s_cbranch_vccnz .LBB284_12
.LBB284_9:
	v_add_u32_e32 v1, 4, v4
	v_mad_i64_i32 v[14:15], s[4:5], s8, v1, 0
	v_lshl_add_u64 v[14:15], v[14:15], 1, s[16:17]
	v_lshl_add_u64 v[2:3], v[2:3], 1, v[14:15]
	v_mov_b32_e32 v1, 0
	global_load_ushort v10, v[2:3], off
	v_lshl_add_u64 v[0:1], s[18:19], 0, v[0:1]
	v_mad_i64_i32 v[2:3], s[4:5], v7, s25, 0
	v_lshl_add_u64 v[2:3], v[2:3], 1, v[0:1]
	global_load_ushort v14, v[2:3], off offset:8
	v_mad_i64_i32 v[2:3], s[4:5], v6, s25, 0
	v_lshl_add_u64 v[0:1], v[2:3], 1, v[0:1]
	global_load_ushort v0, v[0:1], off offset:8
	s_waitcnt vmcnt(2)
	v_mul_f16_e32 v10, s15, v10
	s_waitcnt vmcnt(1)
	v_mul_f16_e32 v1, s15, v14
	v_pack_b32_f16 v1, v1, 0
	s_waitcnt vmcnt(0)
	v_mul_f16_e32 v2, s15, v0
	s_branch .LBB284_13
.LBB284_10:
	s_mov_b64 s[16:17], 0
	s_andn2_b64 vcc, exec, s[4:5]
	s_mov_b64 s[4:5], -1
	s_cbranch_vccz .LBB284_2
	s_branch .LBB284_3
.LBB284_11:
	v_mov_b32_e32 v8, 0
	v_mov_b32_e32 v13, 0
	;; [unrolled: 1-line block ×3, first 2 shown]
	s_and_b64 vcc, exec, s[4:5]
	s_cbranch_vccz .LBB284_9
.LBB284_12:
	v_mov_b32_e32 v1, 0
	v_mov_b32_e32 v2, 0
.LBB284_13:
	v_lshlrev_b32_e32 v0, 3, v5
	v_lshlrev_b32_e32 v3, 3, v12
	v_lshl_add_u32 v0, v4, 1, v0
	v_lshl_or_b32 v43, v11, 1, v3
	v_lshlrev_b32_e32 v42, 3, v40
	v_lshlrev_b32_e32 v41, 3, v48
	ds_write_b16 v0, v13 offset:2048
	ds_write_b16 v43, v8
	ds_write_b16 v43, v9 offset:512
	s_waitcnt lgkmcnt(0)
	s_barrier
	ds_read2_b64 v[12:15], v41 offset1:32
	v_add_u32_e32 v44, 0x800, v42
	ds_read2_b64 v[16:19], v44 offset0:48 offset1:56
	ds_read2_b64 v[20:23], v41 offset0:64 offset1:96
	ds_read2_b64 v[24:27], v44 offset1:8
	ds_read2_b64 v[28:31], v44 offset0:16 offset1:24
	ds_read2_b64 v[32:35], v44 offset0:32 offset1:40
	s_waitcnt lgkmcnt(5)
	v_pk_max_f16 v3, v12, v12
	s_waitcnt lgkmcnt(4)
	v_pk_max_f16 v11, v18, v18
	v_pk_max_f16 v14, v14, v14
	v_pk_min_f16 v12, v11, v3
	s_waitcnt lgkmcnt(3)
	v_pk_max_f16 v18, v20, v20
	s_waitcnt lgkmcnt(2)
	v_pk_max_f16 v20, v24, v24
	v_pk_max_f16 v22, v22, v22
	v_pk_max_f16 v26, v26, v26
	s_waitcnt lgkmcnt(1)
	v_pk_max_f16 v28, v28, v28
	v_pk_max_f16 v30, v30, v30
	;; [unrolled: 4-line block ×3, first 2 shown]
	v_pk_max_f16 v16, v16, v16
	v_pk_max_f16 v19, v19, v19
	v_pk_min_f16 v24, v20, v3
	v_pk_min_f16 v36, v20, v14
	;; [unrolled: 1-line block ×14, first 2 shown]
	v_pk_max_f16 v15, v15, v15
	v_pk_min_f16 v65, v30, v18
	v_pk_min_f16 v30, v30, v22
	;; [unrolled: 1-line block ×17, first 2 shown]
	v_pk_add_f16 v12, v12, 0
	v_pk_min_f16 v22, v19, v13
	v_pk_max_f16 v21, v21, v21
	v_pk_add_f16 v49, v12, v22
	v_pk_add_f16 v12, v45, 0
	v_pk_min_f16 v22, v19, v15
	v_pk_max_f16 v25, v25, v25
	v_pk_add_f16 v45, v12, v22
	;; [unrolled: 4-line block ×6, first 2 shown]
	v_pk_add_f16 v12, v20, 0
	v_pk_min_f16 v20, v25, v23
	v_pk_min_f16 v22, v31, v23
	v_pk_add_f16 v52, v12, v20
	v_pk_add_f16 v12, v38, 0
	v_pk_min_f16 v20, v27, v13
	v_pk_add_f16 v24, v70, 0
	v_pk_add_f16 v54, v12, v20
	v_pk_add_f16 v12, v39, 0
	v_pk_min_f16 v20, v27, v15
	v_pk_add_f16 v3, v3, 0
	;; [unrolled: 4-line block ×8, first 2 shown]
	v_pk_add_f16 v60, v12, v20
	v_pk_add_f16 v12, v61, 0
	v_pk_min_f16 v20, v31, v13
	s_cmp_lt_i32 s14, 9
	v_pk_add_f16 v62, v12, v20
	v_pk_add_f16 v12, v63, 0
	v_pk_min_f16 v20, v31, v15
	ds_write_b16 v0, v10 offset:2560
	ds_write_b16 v43, v1 offset:1024
	;; [unrolled: 1-line block ×3, first 2 shown]
	v_pk_add_f16 v64, v12, v20
	v_pk_add_f16 v12, v65, 0
	v_pk_min_f16 v20, v31, v21
	s_waitcnt lgkmcnt(0)
	v_pk_add_f16 v61, v12, v20
	v_pk_add_f16 v12, v30, 0
	;; [unrolled: 1-line block ×4, first 2 shown]
	v_pk_max_f16 v12, v33, v33
	s_barrier
	v_pk_min_f16 v22, v12, v13
	s_nop 0
	v_pk_add_f16 v63, v20, v22
	v_pk_add_f16 v20, v67, 0
	v_pk_min_f16 v22, v12, v15
	s_nop 0
	v_pk_add_f16 v66, v20, v22
	v_pk_add_f16 v20, v68, 0
	v_pk_min_f16 v22, v12, v21
	v_pk_min_f16 v12, v12, v23
	v_pk_add_f16 v67, v20, v22
	v_pk_add_f16 v20, v32, 0
	;; [unrolled: 1-line block ×4, first 2 shown]
	v_pk_max_f16 v12, v35, v35
	s_nop 0
	v_pk_min_f16 v20, v12, v13
	s_nop 0
	v_pk_add_f16 v69, v22, v20
	v_pk_min_f16 v20, v12, v15
	s_nop 0
	v_pk_add_f16 v70, v24, v20
	v_pk_min_f16 v20, v12, v21
	v_pk_min_f16 v12, v12, v23
	v_pk_add_f16 v71, v25, v20
	v_pk_add_f16 v72, v26, v12
	v_pk_max_f16 v12, v17, v17
	s_nop 0
	v_pk_min_f16 v13, v12, v13
	s_nop 0
	v_pk_add_f16 v73, v3, v13
	v_pk_min_f16 v3, v12, v15
	s_nop 0
	v_pk_add_f16 v74, v14, v3
	;; [unrolled: 3-line block ×5, first 2 shown]
	s_cbranch_scc1 .LBB284_24
; %bb.14:
	s_mov_b32 s20, 0x5040100
	v_perm_b32 v88, v2, v1, s20
	v_mov_b32_e32 v1, 0xa00
	v_lshl_add_u32 v81, v40, 3, v1
	v_mov_b32_e32 v1, 0x400
	v_lshl_add_u32 v82, v48, 3, v1
	v_and_b32_e32 v1, 3, v40
	v_mad_i64_i32 v[2:3], s[4:5], s25, v7, 0
	v_lshlrev_b32_e32 v24, 1, v1
	v_lshl_add_u64 v[26:27], v[2:3], 1, s[18:19]
	v_mad_i64_i32 v[2:3], s[4:5], s25, v6, 0
	v_add_u32_e32 v1, 8, v4
	v_lshl_add_u64 v[28:29], v[2:3], 1, s[18:19]
	v_mad_i64_i32 v[2:3], s[4:5], v1, s8, 0
	v_lshl_or_b32 v1, s2, 6, v5
	s_lshl_b32 s2, s26, 6
	v_lshlrev_b64 v[30:31], 1, v[2:3]
	v_subrev_u32_e32 v2, s2, v1
	v_ashrrev_i32_e32 v3, 31, v2
	v_add_u32_e32 v1, 12, v4
	v_lshl_add_u64 v[32:33], v[2:3], 1, s[16:17]
	s_lshl_b64 s[4:5], s[8:9], 4
	v_mad_i64_i32 v[2:3], s[8:9], v1, s8, 0
	v_or_b32_e32 v78, 0x800, v0
	v_add_u32_e32 v79, 0xa00, v0
	v_add_u32_e32 v80, 0x400, v43
	s_add_i32 s14, s14, -8
	v_perm_b32 v0, v9, v8, s20
	v_mov_b32_e32 v25, 0
	v_lshlrev_b64 v[34:35], 1, v[2:3]
	s_mov_b32 s2, 0
	s_mov_b32 s16, 0xffff
	s_branch .LBB284_16
.LBB284_15:                             ;   in Loop: Header=BB284_16 Depth=1
	v_pk_max_f16 v2, v2, v2
	v_pk_max_f16 v20, v20, v20
	;; [unrolled: 1-line block ×12, first 2 shown]
	v_pk_min_f16 v90, v8, v20
	v_pk_max_f16 v17, v17, v17
	v_pk_max_f16 v19, v19, v19
	v_pk_min_f16 v91, v8, v22
	v_pk_min_f16 v92, v8, v16
	v_pk_min_f16 v8, v8, v18
	v_pk_max_f16 v13, v13, v13
	v_pk_max_f16 v15, v15, v15
	;; [unrolled: 1-line block ×10, first 2 shown]
	v_pk_min_f16 v96, v4, v20
	v_pk_min_f16 v97, v4, v22
	;; [unrolled: 1-line block ×60, first 2 shown]
	v_pk_add_f16 v3, v49, v102
	v_pk_add_f16 v8, v60, v8
	v_pk_add_f16 v4, v68, v4
	v_pk_add_f16 v6, v72, v6
	v_pk_add_f16 v38, v51, v38
	v_pk_add_f16 v49, v53, v89
	v_pk_add_f16 v14, v56, v14
	v_pk_add_f16 v51, v58, v91
	v_pk_add_f16 v53, v62, v93
	v_pk_add_f16 v10, v65, v10
	v_pk_add_f16 v56, v63, v96
	v_pk_add_f16 v58, v67, v98
	v_pk_add_f16 v62, v77, v2
	v_pk_add_f16 v63, v3, v122
	v_pk_add_f16 v65, v8, v9
	v_pk_add_f16 v67, v4, v5
	v_pk_add_f16 v68, v6, v7
	ds_read2_b64 v[2:5], v44 offset0:48 offset1:56
	ds_read2_b64 v[6:9], v41 offset1:32
	v_pk_add_f16 v36, v46, v36
	v_pk_add_f16 v37, v50, v37
	;; [unrolled: 1-line block ×3, first 2 shown]
	s_waitcnt lgkmcnt(1)
	v_pk_max_f16 v4, v4, v4
	s_waitcnt lgkmcnt(0)
	v_pk_max_f16 v6, v6, v6
	v_pk_add_f16 v39, v54, v39
	v_pk_add_f16 v46, v57, v88
	;; [unrolled: 1-line block ×12, first 2 shown]
	ds_read2_b64 v[10:13], v41 offset0:64 offset1:96
	v_pk_min_f16 v14, v4, v6
	v_pk_add_f16 v22, v22, v23
	v_pk_add_f16 v23, v16, v17
	;; [unrolled: 1-line block ×3, first 2 shown]
	ds_read2_b64 v[14:17], v44 offset1:8
	v_pk_add_f16 v45, v45, v103
	v_pk_max_f16 v8, v8, v8
	v_pk_add_f16 v47, v47, v104
	v_pk_add_f16 v45, v45, v123
	;; [unrolled: 1-line block ×3, first 2 shown]
	v_pk_min_f16 v19, v4, v8
	s_waitcnt lgkmcnt(1)
	v_pk_max_f16 v10, v10, v10
	v_pk_add_f16 v47, v47, v124
	v_pk_add_f16 v45, v45, v19
	v_pk_min_f16 v19, v4, v10
	s_waitcnt lgkmcnt(0)
	v_pk_max_f16 v14, v14, v14
	v_pk_add_f16 v47, v47, v19
	v_pk_min_f16 v19, v14, v6
	v_pk_add_f16 v60, v70, v100
	v_pk_add_f16 v70, v18, v19
	v_pk_min_f16 v18, v14, v8
	v_pk_add_f16 v50, v55, v90
	v_pk_add_f16 v55, v61, v95
	;; [unrolled: 1-line block ×4, first 2 shown]
	v_pk_min_f16 v18, v14, v10
	v_pk_max_f16 v16, v16, v16
	v_pk_add_f16 v39, v39, v107
	v_pk_add_f16 v72, v37, v18
	v_pk_min_f16 v18, v16, v6
	v_pk_add_f16 v20, v73, v20
	v_pk_add_f16 v46, v46, v108
	;; [unrolled: 1-line block ×3, first 2 shown]
	v_pk_min_f16 v18, v16, v8
	v_pk_add_f16 v52, v59, v92
	v_pk_add_f16 v59, v69, v99
	v_pk_add_f16 v69, v20, v21
	v_pk_add_f16 v74, v46, v18
	ds_read2_b64 v[18:21], v44 offset0:16 offset1:24
	v_pk_add_f16 v49, v49, v109
	v_pk_max_f16 v12, v12, v12
	v_pk_min_f16 v36, v16, v10
	v_pk_add_f16 v50, v50, v110
	s_waitcnt lgkmcnt(0)
	v_pk_max_f16 v18, v18, v18
	v_pk_add_f16 v75, v49, v36
	v_pk_min_f16 v16, v16, v12
	v_pk_min_f16 v36, v18, v6
	v_pk_add_f16 v51, v51, v111
	v_pk_add_f16 v16, v64, v16
	;; [unrolled: 1-line block ×3, first 2 shown]
	v_pk_min_f16 v36, v18, v8
	v_pk_add_f16 v0, v76, v0
	v_pk_add_f16 v52, v52, v112
	;; [unrolled: 1-line block ×3, first 2 shown]
	v_pk_min_f16 v36, v18, v10
	v_pk_max_f16 v20, v20, v20
	v_pk_add_f16 v53, v53, v113
	v_pk_add_f16 v77, v52, v36
	v_pk_min_f16 v18, v18, v12
	v_pk_min_f16 v36, v20, v6
	v_pk_add_f16 v54, v54, v114
	v_pk_min_f16 v14, v14, v12
	v_pk_add_f16 v18, v65, v18
	v_pk_add_f16 v65, v53, v36
	v_pk_min_f16 v36, v20, v8
	v_pk_add_f16 v1, v0, v1
	v_perm_b32 v0, v87, v86, s20
	v_pk_add_f16 v14, v38, v14
	v_pk_add_f16 v86, v54, v36
	ds_read2_b64 v[36:39], v44 offset0:32 offset1:40
	v_pk_add_f16 v55, v55, v115
	v_pk_min_f16 v46, v20, v10
	v_pk_add_f16 v56, v56, v116
	v_pk_add_f16 v87, v55, v46
	s_waitcnt lgkmcnt(0)
	v_pk_max_f16 v36, v36, v36
	v_pk_min_f16 v20, v20, v12
	v_pk_min_f16 v46, v36, v6
	v_pk_add_f16 v57, v57, v117
	v_pk_add_f16 v20, v66, v20
	;; [unrolled: 1-line block ×3, first 2 shown]
	v_pk_min_f16 v46, v36, v8
	v_pk_add_f16 v58, v58, v118
	v_pk_add_f16 v88, v57, v46
	v_pk_min_f16 v46, v36, v10
	v_pk_max_f16 v38, v38, v38
	v_pk_add_f16 v59, v59, v119
	v_pk_add_f16 v89, v58, v46
	v_pk_min_f16 v46, v38, v6
	v_pk_add_f16 v60, v60, v120
	v_pk_add_f16 v90, v59, v46
	v_pk_min_f16 v46, v38, v8
	v_pk_max_f16 v2, v2, v2
	v_pk_add_f16 v91, v60, v46
	v_pk_min_f16 v46, v38, v10
	v_pk_min_f16 v6, v2, v6
	v_pk_min_f16 v8, v2, v8
	v_pk_min_f16 v10, v2, v10
	v_pk_min_f16 v2, v2, v12
	v_pk_add_f16 v61, v61, v121
	v_pk_add_f16 v1, v1, v2
	v_pk_min_f16 v2, v4, v12
	v_pk_max_f16 v4, v5, v5
	v_pk_max_f16 v5, v7, v7
	v_pk_min_f16 v36, v36, v12
	v_pk_min_f16 v7, v4, v5
	;; [unrolled: 1-line block ×3, first 2 shown]
	v_pk_add_f16 v49, v63, v7
	v_pk_max_f16 v7, v9, v9
	v_pk_add_f16 v92, v61, v46
	v_pk_min_f16 v9, v4, v7
	v_pk_add_f16 v2, v62, v2
	v_pk_add_f16 v45, v45, v9
	v_pk_max_f16 v9, v11, v11
	v_pk_add_f16 v36, v67, v36
	v_pk_min_f16 v11, v4, v9
	v_pk_add_f16 v38, v68, v38
	v_pk_add_f16 v47, v47, v11
	v_pk_max_f16 v11, v15, v15
	v_pk_max_f16 v3, v3, v3
	v_pk_min_f16 v12, v11, v5
	v_pk_add_f16 v6, v69, v6
	v_pk_add_f16 v46, v70, v12
	v_pk_min_f16 v12, v11, v7
	v_pk_add_f16 v8, v22, v8
	v_pk_add_f16 v50, v71, v12
	;; [unrolled: 3-line block ×3, first 2 shown]
	v_pk_max_f16 v12, v13, v13
	s_add_i32 s2, s2, 8
	v_pk_min_f16 v11, v11, v12
	v_lshl_add_u64 v[26:27], v[26:27], 0, 16
	v_pk_add_f16 v52, v14, v11
	v_pk_max_f16 v11, v17, v17
	v_lshl_add_u64 v[28:29], v[28:29], 0, 16
	v_pk_min_f16 v13, v11, v5
	s_cmp_ge_i32 s2, s14
	v_pk_add_f16 v54, v73, v13
	v_pk_min_f16 v13, v11, v7
	v_lshl_add_u64 v[32:33], v[32:33], 0, s[4:5]
	v_pk_add_f16 v57, v74, v13
	v_pk_min_f16 v13, v11, v9
	v_pk_min_f16 v11, v11, v12
	v_pk_add_f16 v53, v75, v13
	v_pk_add_f16 v56, v16, v11
	v_pk_max_f16 v11, v19, v19
	ds_write_b16 v79, v84
	ds_write_b16 v80, v83
	ds_write_b16 v80, v85 offset:512
	v_pk_min_f16 v13, v11, v5
	s_waitcnt lgkmcnt(0)
	v_pk_add_f16 v55, v64, v13
	v_pk_min_f16 v13, v11, v7
	s_barrier
	v_pk_add_f16 v58, v76, v13
	v_pk_min_f16 v13, v11, v9
	v_pk_min_f16 v11, v11, v12
	v_pk_add_f16 v59, v77, v13
	v_pk_add_f16 v60, v18, v11
	v_pk_max_f16 v11, v21, v21
	s_nop 0
	v_pk_min_f16 v13, v11, v5
	s_nop 0
	v_pk_add_f16 v62, v65, v13
	v_pk_min_f16 v13, v11, v7
	s_nop 0
	v_pk_add_f16 v64, v86, v13
	v_pk_min_f16 v13, v11, v9
	v_pk_min_f16 v11, v11, v12
	v_pk_add_f16 v61, v87, v13
	v_pk_add_f16 v65, v20, v11
	v_pk_max_f16 v11, v37, v37
	s_nop 0
	v_pk_min_f16 v13, v11, v5
	s_nop 0
	v_pk_add_f16 v63, v66, v13
	v_pk_min_f16 v13, v11, v7
	s_nop 0
	v_pk_add_f16 v66, v88, v13
	v_pk_min_f16 v13, v11, v9
	v_pk_min_f16 v11, v11, v12
	v_pk_add_f16 v67, v89, v13
	v_pk_add_f16 v68, v36, v11
	v_pk_max_f16 v11, v39, v39
	v_perm_b32 v88, v85, v83, s20
	v_pk_min_f16 v13, v11, v5
	v_pk_min_f16 v5, v3, v5
	v_pk_add_f16 v69, v90, v13
	v_pk_add_f16 v73, v6, v5
	v_pk_min_f16 v5, v3, v7
	v_pk_min_f16 v13, v11, v7
	v_pk_add_f16 v74, v8, v5
	v_pk_min_f16 v5, v3, v9
	v_pk_min_f16 v3, v3, v12
	;; [unrolled: 3-line block ×3, first 2 shown]
	v_pk_add_f16 v76, v1, v3
	v_pk_min_f16 v1, v4, v12
	v_pk_add_f16 v71, v92, v13
	v_pk_add_f16 v72, v38, v11
	v_pk_add_f16 v75, v10, v5
	v_pk_add_f16 v77, v2, v1
	s_cbranch_scc1 .LBB284_24
.LBB284_16:                             ; =>This Inner Loop Header: Depth=1
	s_mov_b64 s[8:9], -1
	s_mov_b64 vcc, s[6:7]
                                        ; implicit-def: $vgpr86
	s_cbranch_vccz .LBB284_18
; %bb.17:                               ;   in Loop: Header=BB284_16 Depth=1
	v_and_b32_e32 v86, 0xffff0000, v0
	s_mov_b64 s[8:9], 0
.LBB284_18:                             ;   in Loop: Header=BB284_16 Depth=1
	v_mov_b32_e32 v83, 0
	s_andn2_b64 vcc, exec, s[8:9]
	v_lshl_add_u64 v[36:37], v[26:27], 0, v[24:25]
	v_lshl_add_u64 v[38:39], v[28:29], 0, v[24:25]
	v_mov_b32_e32 v87, 0
	s_cbranch_vccnz .LBB284_20
; %bb.19:                               ;   in Loop: Header=BB284_16 Depth=1
	v_lshl_add_u64 v[2:3], v[32:33], 0, v[30:31]
	global_load_ushort v1, v[2:3], off
	s_waitcnt vmcnt(0)
	v_mul_f16_e32 v83, s15, v1
	global_load_ushort v1, v[36:37], off offset:16
	s_waitcnt vmcnt(0)
	v_mul_f16_e32 v1, s15, v1
	v_bfi_b32 v86, s16, v1, v0
	global_load_ushort v0, v[38:39], off offset:16
	s_waitcnt vmcnt(0)
	v_mul_f16_e32 v87, s15, v0
.LBB284_20:                             ;   in Loop: Header=BB284_16 Depth=1
	ds_read2_b64 v[0:3], v81 offset0:48 offset1:56
	ds_read2_b64 v[16:19], v82 offset0:64 offset1:96
	ds_read2_b64 v[20:23], v82 offset1:32
	ds_read2_b64 v[12:15], v81 offset1:8
	ds_read2_b64 v[8:11], v81 offset0:16 offset1:24
	ds_read2_b64 v[4:7], v81 offset0:32 offset1:40
	s_mov_b64 s[8:9], -1
	s_mov_b64 vcc, s[6:7]
	ds_write_b16 v78, v83
	ds_write_b16 v43, v86
	ds_write_b16 v43, v87 offset:512
	s_waitcnt lgkmcnt(0)
	s_barrier
                                        ; implicit-def: $vgpr83
	s_cbranch_vccz .LBB284_22
; %bb.21:                               ;   in Loop: Header=BB284_16 Depth=1
	v_and_b32_e32 v83, 0xffff0000, v88
	s_mov_b64 s[8:9], 0
.LBB284_22:                             ;   in Loop: Header=BB284_16 Depth=1
	v_mov_b32_e32 v84, 0
	s_andn2_b64 vcc, exec, s[8:9]
	v_mov_b32_e32 v85, 0
	s_cbranch_vccnz .LBB284_15
; %bb.23:                               ;   in Loop: Header=BB284_16 Depth=1
	v_lshl_add_u64 v[84:85], v[32:33], 0, v[34:35]
	global_load_ushort v83, v[36:37], off offset:24
	global_load_ushort v89, v[84:85], off
	global_load_ushort v90, v[38:39], off offset:24
	s_waitcnt vmcnt(2)
	v_mul_f16_e32 v36, s15, v83
	s_waitcnt vmcnt(1)
	v_mul_f16_e32 v84, s15, v89
	v_bfi_b32 v83, s16, v36, v88
	s_waitcnt vmcnt(0)
	v_mul_f16_e32 v85, s15, v90
	s_branch .LBB284_15
.LBB284_24:
	s_load_dwordx2 s[6:7], s[0:1], 0x70
	s_load_dword s8, s[0:1], 0x50
	s_load_dword s9, s[0:1], 0x68
	v_add_u32_e32 v12, 0x800, v42
	ds_read2_b64 v[0:3], v41 offset0:128 offset1:160
	ds_read2_b64 v[4:7], v12 offset0:112 offset1:120
	;; [unrolled: 1-line block ×4, first 2 shown]
	s_waitcnt lgkmcnt(0)
	s_mul_i32 s1, s7, s3
	v_pk_max_f16 v2, v2, v2
	v_pk_max_f16 v6, v6, v6
	;; [unrolled: 1-line block ×4, first 2 shown]
	v_pk_min_f16 v15, v6, v8
	v_pk_max_f16 v10, v10, v10
	v_pk_add_f16 v28, v47, v15
	v_pk_max_f16 v15, v16, v16
	v_pk_min_f16 v13, v6, v0
	v_pk_min_f16 v20, v15, v2
	;; [unrolled: 1-line block ×3, first 2 shown]
	v_pk_add_f16 v29, v50, v20
	v_pk_min_f16 v20, v15, v8
	v_pk_min_f16 v15, v15, v10
	v_pk_add_f16 v30, v51, v20
	v_pk_add_f16 v31, v52, v15
	v_pk_max_f16 v15, v18, v18
	v_pk_add_f16 v13, v49, v13
	v_pk_min_f16 v20, v15, v2
	v_pk_min_f16 v18, v15, v0
	v_pk_add_f16 v49, v57, v20
	ds_read2_b64 v[20:23], v12 offset0:80 offset1:88
	v_pk_min_f16 v24, v15, v8
	v_pk_min_f16 v15, v15, v10
	v_pk_add_f16 v50, v53, v24
	v_pk_add_f16 v51, v56, v15
	s_waitcnt lgkmcnt(0)
	v_pk_max_f16 v15, v20, v20
	v_pk_add_f16 v18, v54, v18
	v_pk_min_f16 v24, v15, v2
	v_pk_min_f16 v20, v15, v0
	v_pk_add_f16 v53, v58, v24
	v_pk_min_f16 v24, v15, v8
	v_pk_min_f16 v15, v15, v10
	v_pk_add_f16 v20, v55, v20
	v_pk_add_f16 v55, v60, v15
	v_pk_max_f16 v15, v22, v22
	v_pk_add_f16 v54, v59, v24
	v_pk_min_f16 v24, v15, v2
	v_pk_min_f16 v22, v15, v0
	v_pk_add_f16 v56, v64, v24
	ds_read2_b64 v[24:27], v12 offset0:96 offset1:104
	v_pk_min_f16 v12, v15, v8
	v_pk_max_f16 v4, v4, v4
	v_pk_add_f16 v57, v61, v12
	v_pk_min_f16 v12, v15, v10
	v_pk_min_f16 v14, v6, v2
	v_pk_add_f16 v58, v65, v12
	s_waitcnt lgkmcnt(0)
	v_pk_max_f16 v12, v24, v24
	v_pk_add_f16 v14, v45, v14
	v_pk_min_f16 v15, v12, v0
	v_pk_add_f16 v22, v62, v22
	v_pk_add_f16 v24, v63, v15
	v_pk_min_f16 v15, v12, v2
	s_mul_hi_u32 s2, s6, s3
	v_pk_add_f16 v59, v66, v15
	v_pk_min_f16 v15, v12, v8
	v_pk_min_f16 v12, v12, v10
	v_pk_add_f16 v60, v67, v15
	v_pk_add_f16 v61, v68, v12
	v_pk_max_f16 v12, v26, v26
	s_mul_i32 s0, s6, s3
	v_pk_min_f16 v15, v12, v0
	v_pk_min_f16 v0, v4, v0
	v_pk_add_f16 v26, v69, v15
	v_pk_add_f16 v65, v73, v0
	v_pk_min_f16 v0, v4, v2
	v_pk_min_f16 v15, v12, v2
	v_pk_add_f16 v66, v74, v0
	v_pk_min_f16 v0, v4, v8
	v_pk_add_f16 v62, v70, v15
	v_pk_add_f16 v67, v75, v0
	v_pk_min_f16 v0, v4, v10
	v_pk_min_f16 v15, v12, v8
	v_pk_add_f16 v68, v76, v0
	v_pk_min_f16 v0, v6, v10
	v_pk_add_f16 v63, v71, v15
	v_pk_add_f16 v69, v77, v0
	v_pk_max_f16 v0, v1, v1
	v_pk_max_f16 v1, v7, v7
	s_add_i32 s1, s2, s1
	v_pk_min_f16 v2, v1, v0
	v_pk_min_f16 v12, v12, v10
	v_pk_add_f16 v7, v13, v2
	v_pk_max_f16 v2, v3, v3
	s_lshl_b64 s[0:1], s[0:1], 1
	v_pk_min_f16 v3, v1, v2
	v_pk_add_f16 v64, v72, v12
	v_pk_add_f16 v15, v14, v3
	v_pk_max_f16 v3, v9, v9
	v_pk_max_f16 v11, v11, v11
	v_pk_min_f16 v4, v1, v3
	v_pk_max_f16 v12, v19, v19
	v_pk_add_f16 v9, v28, v4
	v_pk_max_f16 v4, v17, v17
	v_pk_max_f16 v19, v21, v21
	;; [unrolled: 1-line block ×6, first 2 shown]
	v_add_u32_e32 v32, s24, v40
	s_add_u32 s2, s10, s0
	v_pk_add_f16 v16, v46, v16
	v_pk_min_f16 v6, v4, v0
	v_pk_min_f16 v8, v4, v2
	;; [unrolled: 1-line block ×29, first 2 shown]
	v_add_u32_e32 v34, 8, v32
	v_add_u32_e32 v36, 16, v32
	;; [unrolled: 1-line block ×7, first 2 shown]
	v_cmp_neq_f16_e64 s[4:5], s22, 0
	s_addc_u32 s3, s11, s1
	v_ashrrev_i32_e32 v33, 31, v32
	v_ashrrev_i32_e32 v35, 31, v34
	;; [unrolled: 1-line block ×8, first 2 shown]
	v_add_u32_e32 v52, s23, v48
	s_mov_b64 s[6:7], 15
	v_pk_add_f16 v0, v16, v6
	v_pk_add_f16 v8, v29, v8
	;; [unrolled: 1-line block ×29, first 2 shown]
	s_branch .LBB284_26
.LBB284_25:                             ;   in Loop: Header=BB284_26 Depth=1
	s_add_i32 s0, s6, -1
	s_cmp_eq_u32 s0, 1
	s_cselect_b64 vcc, -1, 0
	s_cmp_eq_u32 s0, 2
	v_cndmask_b32_e32 v48, v0, v53, vcc
	s_cselect_b64 vcc, -1, 0
	s_cmp_eq_u32 s0, 3
	v_cndmask_b32_e32 v48, v48, v1, vcc
	;; [unrolled: 3-line block ×62, first 2 shown]
	s_cselect_b64 vcc, -1, 0
	s_cmp_eq_u32 s6, 1
	s_cselect_b64 s[0:1], -1, 0
	s_cmp_eq_u32 s6, 2
	v_cndmask_b32_e64 v49, v0, v53, s[0:1]
	s_cselect_b64 s[0:1], -1, 0
	s_cmp_eq_u32 s6, 3
	v_cndmask_b32_e64 v49, v49, v1, s[0:1]
	;; [unrolled: 3-line block ×61, first 2 shown]
	v_cndmask_b32_e32 v48, v48, v84, vcc
	s_cselect_b64 vcc, -1, 0
	s_cmp_eq_u32 s6, 63
	v_cndmask_b32_e32 v49, v49, v31, vcc
	s_cselect_b64 vcc, -1, 0
	v_cndmask_b32_e32 v49, v49, v84, vcc
	s_add_u32 s6, s6, 16
	v_add_f16_e32 v48, v48, v49
	s_addc_u32 s7, s7, 0
	v_add_f16_e32 v53, v48, v85
	v_lshl_add_u64 v[48:49], v[46:47], 1, v[50:51]
	s_cmpk_lg_i32 s6, 0x4f
	v_add_u32_e32 v52, 32, v52
	global_store_short v[48:49], v53, off
	s_cbranch_scc0 .LBB284_42
.LBB284_26:                             ; =>This Inner Loop Header: Depth=1
	v_mad_i64_i32 v[48:49], s[0:1], v52, s8, 0
	v_cndmask_b32_e64 v50, 0, 1, s[4:5]
	v_lshl_add_u64 v[48:49], v[48:49], 1, s[12:13]
	v_mov_b32_e32 v85, 0
	v_cmp_ne_u32_e64 s[0:1], 1, v50
	s_andn2_b64 vcc, exec, s[4:5]
	v_mov_b32_e32 v50, 0
	s_cbranch_vccnz .LBB284_28
; %bb.27:                               ;   in Loop: Header=BB284_26 Depth=1
	v_lshl_add_u64 v[50:51], v[32:33], 1, v[48:49]
	global_load_ushort v50, v[50:51], off
	s_waitcnt vmcnt(0)
	v_mul_f16_e32 v50, s22, v50
.LBB284_28:                             ;   in Loop: Header=BB284_26 Depth=1
	s_add_i32 s10, s6, -15
	s_cmp_eq_u32 s10, 1
	v_lshrrev_b32_e32 v53, 16, v0
	s_cselect_b64 vcc, -1, 0
	s_cmp_eq_u32 s10, 2
	v_cndmask_b32_e32 v51, v0, v53, vcc
	s_cselect_b64 vcc, -1, 0
	s_cmp_eq_u32 s10, 3
	v_cndmask_b32_e32 v51, v51, v1, vcc
	v_lshrrev_b32_e32 v54, 16, v1
	s_cselect_b64 vcc, -1, 0
	s_cmp_eq_u32 s10, 4
	v_cndmask_b32_e32 v51, v51, v54, vcc
	s_cselect_b64 vcc, -1, 0
	s_cmp_eq_u32 s10, 5
	v_cndmask_b32_e32 v51, v51, v4, vcc
	;; [unrolled: 7-line block ×31, first 2 shown]
	s_cselect_b64 vcc, -1, 0
	s_add_i32 s10, s6, -14
	v_lshrrev_b32_e32 v84, 16, v31
	s_cmp_eq_u32 s10, 1
	v_cndmask_b32_e32 v51, v51, v84, vcc
	s_cselect_b64 vcc, -1, 0
	s_cmp_eq_u32 s10, 2
	v_cndmask_b32_e32 v86, v0, v53, vcc
	s_cselect_b64 vcc, -1, 0
	;; [unrolled: 3-line block ×63, first 2 shown]
	v_cndmask_b32_e32 v86, v86, v84, vcc
	v_add_f16_e32 v51, v51, v86
	v_add_f16_e32 v88, v51, v50
	v_mad_i64_i32 v[50:51], s[10:11], v52, s9, 0
	v_lshl_add_u64 v[50:51], v[50:51], 1, s[2:3]
	v_lshl_add_u64 v[86:87], v[32:33], 1, v[50:51]
	s_and_b64 vcc, exec, s[0:1]
	global_store_short v[86:87], v88, off
	s_cbranch_vccnz .LBB284_30
; %bb.29:                               ;   in Loop: Header=BB284_26 Depth=1
	v_lshl_add_u64 v[86:87], v[34:35], 1, v[48:49]
	global_load_ushort v85, v[86:87], off
	s_waitcnt vmcnt(0)
	v_mul_f16_e32 v85, s22, v85
.LBB284_30:                             ;   in Loop: Header=BB284_26 Depth=1
	s_add_i32 s10, s6, -13
	s_cmp_eq_u32 s10, 1
	s_cselect_b64 vcc, -1, 0
	s_cmp_eq_u32 s10, 2
	v_cndmask_b32_e32 v86, v0, v53, vcc
	s_cselect_b64 vcc, -1, 0
	s_cmp_eq_u32 s10, 3
	v_cndmask_b32_e32 v86, v86, v1, vcc
	;; [unrolled: 3-line block ×62, first 2 shown]
	s_cselect_b64 vcc, -1, 0
	s_add_i32 s10, s6, -12
	s_cmp_eq_u32 s10, 1
	v_cndmask_b32_e32 v86, v86, v84, vcc
	s_cselect_b64 vcc, -1, 0
	s_cmp_eq_u32 s10, 2
	v_cndmask_b32_e32 v87, v0, v53, vcc
	s_cselect_b64 vcc, -1, 0
	s_cmp_eq_u32 s10, 3
	v_cndmask_b32_e32 v87, v87, v1, vcc
	s_cselect_b64 vcc, -1, 0
	s_cmp_eq_u32 s10, 4
	v_cndmask_b32_e32 v87, v87, v54, vcc
	s_cselect_b64 vcc, -1, 0
	s_cmp_eq_u32 s10, 5
	v_cndmask_b32_e32 v87, v87, v4, vcc
	s_cselect_b64 vcc, -1, 0
	s_cmp_eq_u32 s10, 6
	v_cndmask_b32_e32 v87, v87, v55, vcc
	s_cselect_b64 vcc, -1, 0
	s_cmp_eq_u32 s10, 7
	v_cndmask_b32_e32 v87, v87, v5, vcc
	s_cselect_b64 vcc, -1, 0
	s_cmp_eq_u32 s10, 8
	v_cndmask_b32_e32 v87, v87, v56, vcc
	s_cselect_b64 vcc, -1, 0
	s_cmp_eq_u32 s10, 9
	v_cndmask_b32_e32 v87, v87, v16, vcc
	s_cselect_b64 vcc, -1, 0
	s_cmp_eq_u32 s10, 10
	v_cndmask_b32_e32 v87, v87, v57, vcc
	s_cselect_b64 vcc, -1, 0
	s_cmp_eq_u32 s10, 11
	v_cndmask_b32_e32 v87, v87, v23, vcc
	s_cselect_b64 vcc, -1, 0
	s_cmp_eq_u32 s10, 12
	v_cndmask_b32_e32 v87, v87, v58, vcc
	s_cselect_b64 vcc, -1, 0
	s_cmp_eq_u32 s10, 13
	v_cndmask_b32_e32 v87, v87, v24, vcc
	s_cselect_b64 vcc, -1, 0
	s_cmp_eq_u32 s10, 14
	v_cndmask_b32_e32 v87, v87, v59, vcc
	s_cselect_b64 vcc, -1, 0
	s_cmp_eq_u32 s10, 15
	v_cndmask_b32_e32 v87, v87, v7, vcc
	s_cselect_b64 vcc, -1, 0
	s_cmp_eq_u32 s10, 16
	v_cndmask_b32_e32 v87, v87, v60, vcc
	s_cselect_b64 vcc, -1, 0
	s_cmp_eq_u32 s10, 17
	v_cndmask_b32_e32 v87, v87, v8, vcc
	s_cselect_b64 vcc, -1, 0
	s_cmp_eq_u32 s10, 18
	v_cndmask_b32_e32 v87, v87, v61, vcc
	s_cselect_b64 vcc, -1, 0
	s_cmp_eq_u32 s10, 19
	v_cndmask_b32_e32 v87, v87, v11, vcc
	s_cselect_b64 vcc, -1, 0
	s_cmp_eq_u32 s10, 20
	v_cndmask_b32_e32 v87, v87, v62, vcc
	s_cselect_b64 vcc, -1, 0
	s_cmp_eq_u32 s10, 21
	v_cndmask_b32_e32 v87, v87, v12, vcc
	s_cselect_b64 vcc, -1, 0
	s_cmp_eq_u32 s10, 22
	v_cndmask_b32_e32 v87, v87, v63, vcc
	s_cselect_b64 vcc, -1, 0
	s_cmp_eq_u32 s10, 23
	v_cndmask_b32_e32 v87, v87, v17, vcc
	s_cselect_b64 vcc, -1, 0
	s_cmp_eq_u32 s10, 24
	v_cndmask_b32_e32 v87, v87, v64, vcc
	s_cselect_b64 vcc, -1, 0
	s_cmp_eq_u32 s10, 25
	v_cndmask_b32_e32 v87, v87, v18, vcc
	s_cselect_b64 vcc, -1, 0
	s_cmp_eq_u32 s10, 26
	v_cndmask_b32_e32 v87, v87, v65, vcc
	s_cselect_b64 vcc, -1, 0
	s_cmp_eq_u32 s10, 27
	v_cndmask_b32_e32 v87, v87, v25, vcc
	s_cselect_b64 vcc, -1, 0
	s_cmp_eq_u32 s10, 28
	v_cndmask_b32_e32 v87, v87, v66, vcc
	s_cselect_b64 vcc, -1, 0
	s_cmp_eq_u32 s10, 29
	v_cndmask_b32_e32 v87, v87, v26, vcc
	s_cselect_b64 vcc, -1, 0
	s_cmp_eq_u32 s10, 30
	v_cndmask_b32_e32 v87, v87, v67, vcc
	s_cselect_b64 vcc, -1, 0
	s_cmp_eq_u32 s10, 31
	v_cndmask_b32_e32 v87, v87, v15, vcc
	s_cselect_b64 vcc, -1, 0
	s_cmp_eq_u32 s10, 32
	v_cndmask_b32_e32 v87, v87, v68, vcc
	s_cselect_b64 vcc, -1, 0
	s_cmp_eq_u32 s10, 33
	v_cndmask_b32_e32 v87, v87, v2, vcc
	s_cselect_b64 vcc, -1, 0
	s_cmp_eq_u32 s10, 34
	v_cndmask_b32_e32 v87, v87, v69, vcc
	s_cselect_b64 vcc, -1, 0
	s_cmp_eq_u32 s10, 35
	v_cndmask_b32_e32 v87, v87, v3, vcc
	s_cselect_b64 vcc, -1, 0
	s_cmp_eq_u32 s10, 36
	v_cndmask_b32_e32 v87, v87, v70, vcc
	s_cselect_b64 vcc, -1, 0
	s_cmp_eq_u32 s10, 37
	v_cndmask_b32_e32 v87, v87, v6, vcc
	s_cselect_b64 vcc, -1, 0
	s_cmp_eq_u32 s10, 38
	v_cndmask_b32_e32 v87, v87, v71, vcc
	s_cselect_b64 vcc, -1, 0
	s_cmp_eq_u32 s10, 39
	v_cndmask_b32_e32 v87, v87, v19, vcc
	s_cselect_b64 vcc, -1, 0
	s_cmp_eq_u32 s10, 40
	v_cndmask_b32_e32 v87, v87, v72, vcc
	s_cselect_b64 vcc, -1, 0
	s_cmp_eq_u32 s10, 41
	v_cndmask_b32_e32 v87, v87, v20, vcc
	s_cselect_b64 vcc, -1, 0
	s_cmp_eq_u32 s10, 42
	v_cndmask_b32_e32 v87, v87, v73, vcc
	s_cselect_b64 vcc, -1, 0
	s_cmp_eq_u32 s10, 43
	v_cndmask_b32_e32 v87, v87, v27, vcc
	s_cselect_b64 vcc, -1, 0
	s_cmp_eq_u32 s10, 44
	v_cndmask_b32_e32 v87, v87, v74, vcc
	s_cselect_b64 vcc, -1, 0
	s_cmp_eq_u32 s10, 45
	v_cndmask_b32_e32 v87, v87, v28, vcc
	s_cselect_b64 vcc, -1, 0
	s_cmp_eq_u32 s10, 46
	v_cndmask_b32_e32 v87, v87, v75, vcc
	s_cselect_b64 vcc, -1, 0
	s_cmp_eq_u32 s10, 47
	v_cndmask_b32_e32 v87, v87, v9, vcc
	s_cselect_b64 vcc, -1, 0
	s_cmp_eq_u32 s10, 48
	v_cndmask_b32_e32 v87, v87, v76, vcc
	s_cselect_b64 vcc, -1, 0
	s_cmp_eq_u32 s10, 49
	v_cndmask_b32_e32 v87, v87, v10, vcc
	s_cselect_b64 vcc, -1, 0
	s_cmp_eq_u32 s10, 50
	v_cndmask_b32_e32 v87, v87, v77, vcc
	s_cselect_b64 vcc, -1, 0
	s_cmp_eq_u32 s10, 51
	v_cndmask_b32_e32 v87, v87, v13, vcc
	s_cselect_b64 vcc, -1, 0
	s_cmp_eq_u32 s10, 52
	v_cndmask_b32_e32 v87, v87, v78, vcc
	s_cselect_b64 vcc, -1, 0
	s_cmp_eq_u32 s10, 53
	v_cndmask_b32_e32 v87, v87, v14, vcc
	s_cselect_b64 vcc, -1, 0
	s_cmp_eq_u32 s10, 54
	v_cndmask_b32_e32 v87, v87, v79, vcc
	s_cselect_b64 vcc, -1, 0
	s_cmp_eq_u32 s10, 55
	v_cndmask_b32_e32 v87, v87, v21, vcc
	s_cselect_b64 vcc, -1, 0
	s_cmp_eq_u32 s10, 56
	v_cndmask_b32_e32 v87, v87, v80, vcc
	s_cselect_b64 vcc, -1, 0
	s_cmp_eq_u32 s10, 57
	v_cndmask_b32_e32 v87, v87, v22, vcc
	s_cselect_b64 vcc, -1, 0
	s_cmp_eq_u32 s10, 58
	v_cndmask_b32_e32 v87, v87, v81, vcc
	s_cselect_b64 vcc, -1, 0
	s_cmp_eq_u32 s10, 59
	v_cndmask_b32_e32 v87, v87, v29, vcc
	s_cselect_b64 vcc, -1, 0
	s_cmp_eq_u32 s10, 60
	v_cndmask_b32_e32 v87, v87, v82, vcc
	s_cselect_b64 vcc, -1, 0
	s_cmp_eq_u32 s10, 61
	v_cndmask_b32_e32 v87, v87, v30, vcc
	s_cselect_b64 vcc, -1, 0
	s_cmp_eq_u32 s10, 62
	v_cndmask_b32_e32 v87, v87, v83, vcc
	s_cselect_b64 vcc, -1, 0
	s_cmp_eq_u32 s10, 63
	v_cndmask_b32_e32 v87, v87, v31, vcc
	s_cselect_b64 vcc, -1, 0
	v_cndmask_b32_e32 v87, v87, v84, vcc
	v_add_f16_e32 v86, v86, v87
	v_add_f16_e32 v85, v86, v85
	v_lshl_add_u64 v[86:87], v[34:35], 1, v[50:51]
	global_store_short v[86:87], v85, off
	s_and_b64 vcc, exec, s[0:1]
	v_mov_b32_e32 v85, 0
	v_mov_b32_e32 v86, 0
	s_cbranch_vccnz .LBB284_32
; %bb.31:                               ;   in Loop: Header=BB284_26 Depth=1
	v_lshl_add_u64 v[86:87], v[36:37], 1, v[48:49]
	global_load_ushort v86, v[86:87], off
	s_waitcnt vmcnt(0)
	v_mul_f16_e32 v86, s22, v86
.LBB284_32:                             ;   in Loop: Header=BB284_26 Depth=1
	s_add_i32 s10, s6, -11
	s_cmp_eq_u32 s10, 1
	s_cselect_b64 vcc, -1, 0
	s_cmp_eq_u32 s10, 2
	v_cndmask_b32_e32 v87, v0, v53, vcc
	s_cselect_b64 vcc, -1, 0
	s_cmp_eq_u32 s10, 3
	v_cndmask_b32_e32 v87, v87, v1, vcc
	;; [unrolled: 3-line block ×62, first 2 shown]
	s_cselect_b64 vcc, -1, 0
	s_add_i32 s10, s6, -10
	s_cmp_eq_u32 s10, 1
	v_cndmask_b32_e32 v87, v87, v84, vcc
	s_cselect_b64 vcc, -1, 0
	s_cmp_eq_u32 s10, 2
	v_cndmask_b32_e32 v88, v0, v53, vcc
	s_cselect_b64 vcc, -1, 0
	;; [unrolled: 3-line block ×63, first 2 shown]
	v_cndmask_b32_e32 v88, v88, v84, vcc
	v_add_f16_e32 v87, v87, v88
	v_add_f16_e32 v88, v87, v86
	v_lshl_add_u64 v[86:87], v[36:37], 1, v[50:51]
	s_and_b64 vcc, exec, s[0:1]
	global_store_short v[86:87], v88, off
	s_cbranch_vccnz .LBB284_34
; %bb.33:                               ;   in Loop: Header=BB284_26 Depth=1
	v_lshl_add_u64 v[86:87], v[38:39], 1, v[48:49]
	global_load_ushort v85, v[86:87], off
	s_waitcnt vmcnt(0)
	v_mul_f16_e32 v85, s22, v85
.LBB284_34:                             ;   in Loop: Header=BB284_26 Depth=1
	s_add_i32 s10, s6, -9
	s_cmp_eq_u32 s10, 1
	s_cselect_b64 vcc, -1, 0
	s_cmp_eq_u32 s10, 2
	v_cndmask_b32_e32 v86, v0, v53, vcc
	s_cselect_b64 vcc, -1, 0
	s_cmp_eq_u32 s10, 3
	v_cndmask_b32_e32 v86, v86, v1, vcc
	;; [unrolled: 3-line block ×62, first 2 shown]
	s_cselect_b64 vcc, -1, 0
	s_add_i32 s10, s6, -8
	s_cmp_eq_u32 s10, 1
	v_cndmask_b32_e32 v86, v86, v84, vcc
	s_cselect_b64 vcc, -1, 0
	s_cmp_eq_u32 s10, 2
	v_cndmask_b32_e32 v87, v0, v53, vcc
	s_cselect_b64 vcc, -1, 0
	;; [unrolled: 3-line block ×63, first 2 shown]
	v_cndmask_b32_e32 v87, v87, v84, vcc
	v_add_f16_e32 v86, v86, v87
	v_add_f16_e32 v85, v86, v85
	v_lshl_add_u64 v[86:87], v[38:39], 1, v[50:51]
	global_store_short v[86:87], v85, off
	s_and_b64 vcc, exec, s[0:1]
	v_mov_b32_e32 v85, 0
	v_mov_b32_e32 v86, 0
	s_cbranch_vccnz .LBB284_36
; %bb.35:                               ;   in Loop: Header=BB284_26 Depth=1
	v_lshl_add_u64 v[86:87], v[40:41], 1, v[48:49]
	global_load_ushort v86, v[86:87], off
	s_waitcnt vmcnt(0)
	v_mul_f16_e32 v86, s22, v86
.LBB284_36:                             ;   in Loop: Header=BB284_26 Depth=1
	s_add_i32 s10, s6, -7
	s_cmp_eq_u32 s10, 1
	s_cselect_b64 vcc, -1, 0
	s_cmp_eq_u32 s10, 2
	v_cndmask_b32_e32 v87, v0, v53, vcc
	s_cselect_b64 vcc, -1, 0
	s_cmp_eq_u32 s10, 3
	v_cndmask_b32_e32 v87, v87, v1, vcc
	;; [unrolled: 3-line block ×62, first 2 shown]
	s_cselect_b64 vcc, -1, 0
	s_add_i32 s10, s6, -6
	s_cmp_eq_u32 s10, 1
	v_cndmask_b32_e32 v87, v87, v84, vcc
	s_cselect_b64 vcc, -1, 0
	s_cmp_eq_u32 s10, 2
	v_cndmask_b32_e32 v88, v0, v53, vcc
	s_cselect_b64 vcc, -1, 0
	;; [unrolled: 3-line block ×63, first 2 shown]
	v_cndmask_b32_e32 v88, v88, v84, vcc
	v_add_f16_e32 v87, v87, v88
	v_add_f16_e32 v88, v87, v86
	v_lshl_add_u64 v[86:87], v[40:41], 1, v[50:51]
	s_and_b64 vcc, exec, s[0:1]
	global_store_short v[86:87], v88, off
	s_cbranch_vccnz .LBB284_38
; %bb.37:                               ;   in Loop: Header=BB284_26 Depth=1
	v_lshl_add_u64 v[86:87], v[42:43], 1, v[48:49]
	global_load_ushort v85, v[86:87], off
	s_waitcnt vmcnt(0)
	v_mul_f16_e32 v85, s22, v85
.LBB284_38:                             ;   in Loop: Header=BB284_26 Depth=1
	s_add_i32 s10, s6, -5
	s_cmp_eq_u32 s10, 1
	s_cselect_b64 vcc, -1, 0
	s_cmp_eq_u32 s10, 2
	v_cndmask_b32_e32 v86, v0, v53, vcc
	s_cselect_b64 vcc, -1, 0
	s_cmp_eq_u32 s10, 3
	v_cndmask_b32_e32 v86, v86, v1, vcc
	;; [unrolled: 3-line block ×62, first 2 shown]
	s_cselect_b64 vcc, -1, 0
	s_add_i32 s10, s6, -4
	s_cmp_eq_u32 s10, 1
	v_cndmask_b32_e32 v86, v86, v84, vcc
	s_cselect_b64 vcc, -1, 0
	s_cmp_eq_u32 s10, 2
	v_cndmask_b32_e32 v87, v0, v53, vcc
	s_cselect_b64 vcc, -1, 0
	;; [unrolled: 3-line block ×63, first 2 shown]
	v_cndmask_b32_e32 v87, v87, v84, vcc
	v_add_f16_e32 v86, v86, v87
	v_add_f16_e32 v85, v86, v85
	v_lshl_add_u64 v[86:87], v[42:43], 1, v[50:51]
	global_store_short v[86:87], v85, off
	s_and_b64 vcc, exec, s[0:1]
	v_mov_b32_e32 v85, 0
	v_mov_b32_e32 v86, 0
	s_cbranch_vccnz .LBB284_40
; %bb.39:                               ;   in Loop: Header=BB284_26 Depth=1
	v_lshl_add_u64 v[86:87], v[44:45], 1, v[48:49]
	global_load_ushort v86, v[86:87], off
	s_waitcnt vmcnt(0)
	v_mul_f16_e32 v86, s22, v86
.LBB284_40:                             ;   in Loop: Header=BB284_26 Depth=1
	s_add_i32 s10, s6, -3
	s_cmp_eq_u32 s10, 1
	s_cselect_b64 vcc, -1, 0
	s_cmp_eq_u32 s10, 2
	v_cndmask_b32_e32 v87, v0, v53, vcc
	s_cselect_b64 vcc, -1, 0
	s_cmp_eq_u32 s10, 3
	v_cndmask_b32_e32 v87, v87, v1, vcc
	;; [unrolled: 3-line block ×62, first 2 shown]
	s_cselect_b64 vcc, -1, 0
	s_add_i32 s10, s6, -2
	s_cmp_eq_u32 s10, 1
	v_cndmask_b32_e32 v87, v87, v84, vcc
	s_cselect_b64 vcc, -1, 0
	s_cmp_eq_u32 s10, 2
	v_cndmask_b32_e32 v88, v0, v53, vcc
	s_cselect_b64 vcc, -1, 0
	;; [unrolled: 3-line block ×63, first 2 shown]
	v_cndmask_b32_e32 v88, v88, v84, vcc
	v_add_f16_e32 v87, v87, v88
	v_add_f16_e32 v88, v87, v86
	v_lshl_add_u64 v[86:87], v[44:45], 1, v[50:51]
	s_and_b64 vcc, exec, s[0:1]
	global_store_short v[86:87], v88, off
	s_cbranch_vccnz .LBB284_25
; %bb.41:                               ;   in Loop: Header=BB284_26 Depth=1
	v_lshl_add_u64 v[48:49], v[46:47], 1, v[48:49]
	global_load_ushort v48, v[48:49], off
	s_waitcnt vmcnt(0)
	v_mul_f16_e32 v85, s22, v48
	s_branch .LBB284_25
.LBB284_42:
	s_endpgm
	.section	.rodata,"a",@progbits
	.p2align	6, 0x0
	.amdhsa_kernel _ZN12_GLOBAL__N_120geam_min_plus_kernelIDF16_Dv2_DF16_S1_Li8ELi32ELi64ELi128ELi4ELi64ELi4ELi4ELi64ELc78ELc78ELb0ELb0ELb0EDF16_KDF16_DF16_EEviiiT16_PT17_ilS5_ilS3_S5_ilPT18_ili26rocblas_geam_ex_operation_
		.amdhsa_group_segment_fixed_size 3072
		.amdhsa_private_segment_fixed_size 0
		.amdhsa_kernarg_size 128
		.amdhsa_user_sgpr_count 2
		.amdhsa_user_sgpr_dispatch_ptr 0
		.amdhsa_user_sgpr_queue_ptr 0
		.amdhsa_user_sgpr_kernarg_segment_ptr 1
		.amdhsa_user_sgpr_dispatch_id 0
		.amdhsa_user_sgpr_kernarg_preload_length 0
		.amdhsa_user_sgpr_kernarg_preload_offset 0
		.amdhsa_user_sgpr_private_segment_size 0
		.amdhsa_uses_dynamic_stack 0
		.amdhsa_enable_private_segment 0
		.amdhsa_system_sgpr_workgroup_id_x 1
		.amdhsa_system_sgpr_workgroup_id_y 0
		.amdhsa_system_sgpr_workgroup_id_z 1
		.amdhsa_system_sgpr_workgroup_info 0
		.amdhsa_system_vgpr_workitem_id 1
		.amdhsa_next_free_vgpr 125
		.amdhsa_next_free_sgpr 27
		.amdhsa_accum_offset 128
		.amdhsa_reserve_vcc 1
		.amdhsa_float_round_mode_32 0
		.amdhsa_float_round_mode_16_64 0
		.amdhsa_float_denorm_mode_32 3
		.amdhsa_float_denorm_mode_16_64 3
		.amdhsa_dx10_clamp 1
		.amdhsa_ieee_mode 1
		.amdhsa_fp16_overflow 0
		.amdhsa_tg_split 0
		.amdhsa_exception_fp_ieee_invalid_op 0
		.amdhsa_exception_fp_denorm_src 0
		.amdhsa_exception_fp_ieee_div_zero 0
		.amdhsa_exception_fp_ieee_overflow 0
		.amdhsa_exception_fp_ieee_underflow 0
		.amdhsa_exception_fp_ieee_inexact 0
		.amdhsa_exception_int_div_zero 0
	.end_amdhsa_kernel
	.section	.text._ZN12_GLOBAL__N_120geam_min_plus_kernelIDF16_Dv2_DF16_S1_Li8ELi32ELi64ELi128ELi4ELi64ELi4ELi4ELi64ELc78ELc78ELb0ELb0ELb0EDF16_KDF16_DF16_EEviiiT16_PT17_ilS5_ilS3_S5_ilPT18_ili26rocblas_geam_ex_operation_,"axG",@progbits,_ZN12_GLOBAL__N_120geam_min_plus_kernelIDF16_Dv2_DF16_S1_Li8ELi32ELi64ELi128ELi4ELi64ELi4ELi4ELi64ELc78ELc78ELb0ELb0ELb0EDF16_KDF16_DF16_EEviiiT16_PT17_ilS5_ilS3_S5_ilPT18_ili26rocblas_geam_ex_operation_,comdat
.Lfunc_end284:
	.size	_ZN12_GLOBAL__N_120geam_min_plus_kernelIDF16_Dv2_DF16_S1_Li8ELi32ELi64ELi128ELi4ELi64ELi4ELi4ELi64ELc78ELc78ELb0ELb0ELb0EDF16_KDF16_DF16_EEviiiT16_PT17_ilS5_ilS3_S5_ilPT18_ili26rocblas_geam_ex_operation_, .Lfunc_end284-_ZN12_GLOBAL__N_120geam_min_plus_kernelIDF16_Dv2_DF16_S1_Li8ELi32ELi64ELi128ELi4ELi64ELi4ELi4ELi64ELc78ELc78ELb0ELb0ELb0EDF16_KDF16_DF16_EEviiiT16_PT17_ilS5_ilS3_S5_ilPT18_ili26rocblas_geam_ex_operation_
                                        ; -- End function
	.set _ZN12_GLOBAL__N_120geam_min_plus_kernelIDF16_Dv2_DF16_S1_Li8ELi32ELi64ELi128ELi4ELi64ELi4ELi4ELi64ELc78ELc78ELb0ELb0ELb0EDF16_KDF16_DF16_EEviiiT16_PT17_ilS5_ilS3_S5_ilPT18_ili26rocblas_geam_ex_operation_.num_vgpr, 125
	.set _ZN12_GLOBAL__N_120geam_min_plus_kernelIDF16_Dv2_DF16_S1_Li8ELi32ELi64ELi128ELi4ELi64ELi4ELi4ELi64ELc78ELc78ELb0ELb0ELb0EDF16_KDF16_DF16_EEviiiT16_PT17_ilS5_ilS3_S5_ilPT18_ili26rocblas_geam_ex_operation_.num_agpr, 0
	.set _ZN12_GLOBAL__N_120geam_min_plus_kernelIDF16_Dv2_DF16_S1_Li8ELi32ELi64ELi128ELi4ELi64ELi4ELi4ELi64ELc78ELc78ELb0ELb0ELb0EDF16_KDF16_DF16_EEviiiT16_PT17_ilS5_ilS3_S5_ilPT18_ili26rocblas_geam_ex_operation_.numbered_sgpr, 27
	.set _ZN12_GLOBAL__N_120geam_min_plus_kernelIDF16_Dv2_DF16_S1_Li8ELi32ELi64ELi128ELi4ELi64ELi4ELi4ELi64ELc78ELc78ELb0ELb0ELb0EDF16_KDF16_DF16_EEviiiT16_PT17_ilS5_ilS3_S5_ilPT18_ili26rocblas_geam_ex_operation_.num_named_barrier, 0
	.set _ZN12_GLOBAL__N_120geam_min_plus_kernelIDF16_Dv2_DF16_S1_Li8ELi32ELi64ELi128ELi4ELi64ELi4ELi4ELi64ELc78ELc78ELb0ELb0ELb0EDF16_KDF16_DF16_EEviiiT16_PT17_ilS5_ilS3_S5_ilPT18_ili26rocblas_geam_ex_operation_.private_seg_size, 0
	.set _ZN12_GLOBAL__N_120geam_min_plus_kernelIDF16_Dv2_DF16_S1_Li8ELi32ELi64ELi128ELi4ELi64ELi4ELi4ELi64ELc78ELc78ELb0ELb0ELb0EDF16_KDF16_DF16_EEviiiT16_PT17_ilS5_ilS3_S5_ilPT18_ili26rocblas_geam_ex_operation_.uses_vcc, 1
	.set _ZN12_GLOBAL__N_120geam_min_plus_kernelIDF16_Dv2_DF16_S1_Li8ELi32ELi64ELi128ELi4ELi64ELi4ELi4ELi64ELc78ELc78ELb0ELb0ELb0EDF16_KDF16_DF16_EEviiiT16_PT17_ilS5_ilS3_S5_ilPT18_ili26rocblas_geam_ex_operation_.uses_flat_scratch, 0
	.set _ZN12_GLOBAL__N_120geam_min_plus_kernelIDF16_Dv2_DF16_S1_Li8ELi32ELi64ELi128ELi4ELi64ELi4ELi4ELi64ELc78ELc78ELb0ELb0ELb0EDF16_KDF16_DF16_EEviiiT16_PT17_ilS5_ilS3_S5_ilPT18_ili26rocblas_geam_ex_operation_.has_dyn_sized_stack, 0
	.set _ZN12_GLOBAL__N_120geam_min_plus_kernelIDF16_Dv2_DF16_S1_Li8ELi32ELi64ELi128ELi4ELi64ELi4ELi4ELi64ELc78ELc78ELb0ELb0ELb0EDF16_KDF16_DF16_EEviiiT16_PT17_ilS5_ilS3_S5_ilPT18_ili26rocblas_geam_ex_operation_.has_recursion, 0
	.set _ZN12_GLOBAL__N_120geam_min_plus_kernelIDF16_Dv2_DF16_S1_Li8ELi32ELi64ELi128ELi4ELi64ELi4ELi4ELi64ELc78ELc78ELb0ELb0ELb0EDF16_KDF16_DF16_EEviiiT16_PT17_ilS5_ilS3_S5_ilPT18_ili26rocblas_geam_ex_operation_.has_indirect_call, 0
	.section	.AMDGPU.csdata,"",@progbits
; Kernel info:
; codeLenInByte = 19876
; TotalNumSgprs: 33
; NumVgprs: 125
; NumAgprs: 0
; TotalNumVgprs: 125
; ScratchSize: 0
; MemoryBound: 0
; FloatMode: 240
; IeeeMode: 1
; LDSByteSize: 3072 bytes/workgroup (compile time only)
; SGPRBlocks: 4
; VGPRBlocks: 15
; NumSGPRsForWavesPerEU: 33
; NumVGPRsForWavesPerEU: 125
; AccumOffset: 128
; Occupancy: 4
; WaveLimiterHint : 0
; COMPUTE_PGM_RSRC2:SCRATCH_EN: 0
; COMPUTE_PGM_RSRC2:USER_SGPR: 2
; COMPUTE_PGM_RSRC2:TRAP_HANDLER: 0
; COMPUTE_PGM_RSRC2:TGID_X_EN: 1
; COMPUTE_PGM_RSRC2:TGID_Y_EN: 0
; COMPUTE_PGM_RSRC2:TGID_Z_EN: 1
; COMPUTE_PGM_RSRC2:TIDIG_COMP_CNT: 1
; COMPUTE_PGM_RSRC3_GFX90A:ACCUM_OFFSET: 31
; COMPUTE_PGM_RSRC3_GFX90A:TG_SPLIT: 0
	.section	.text._ZN12_GLOBAL__N_120geam_min_plus_kernelIDF16_Dv2_DF16_S1_Li8ELi32ELi64ELi128ELi4ELi64ELi4ELi4ELi64ELc78ELc78ELb0ELb1ELb0EPKDF16_S2_DF16_EEviiiT16_PT17_ilS6_ilS4_S6_ilPT18_ili26rocblas_geam_ex_operation_,"axG",@progbits,_ZN12_GLOBAL__N_120geam_min_plus_kernelIDF16_Dv2_DF16_S1_Li8ELi32ELi64ELi128ELi4ELi64ELi4ELi4ELi64ELc78ELc78ELb0ELb1ELb0EPKDF16_S2_DF16_EEviiiT16_PT17_ilS6_ilS4_S6_ilPT18_ili26rocblas_geam_ex_operation_,comdat
	.globl	_ZN12_GLOBAL__N_120geam_min_plus_kernelIDF16_Dv2_DF16_S1_Li8ELi32ELi64ELi128ELi4ELi64ELi4ELi4ELi64ELc78ELc78ELb0ELb1ELb0EPKDF16_S2_DF16_EEviiiT16_PT17_ilS6_ilS4_S6_ilPT18_ili26rocblas_geam_ex_operation_ ; -- Begin function _ZN12_GLOBAL__N_120geam_min_plus_kernelIDF16_Dv2_DF16_S1_Li8ELi32ELi64ELi128ELi4ELi64ELi4ELi4ELi64ELc78ELc78ELb0ELb1ELb0EPKDF16_S2_DF16_EEviiiT16_PT17_ilS6_ilS4_S6_ilPT18_ili26rocblas_geam_ex_operation_
	.p2align	8
	.type	_ZN12_GLOBAL__N_120geam_min_plus_kernelIDF16_Dv2_DF16_S1_Li8ELi32ELi64ELi128ELi4ELi64ELi4ELi4ELi64ELc78ELc78ELb0ELb1ELb0EPKDF16_S2_DF16_EEviiiT16_PT17_ilS6_ilS4_S6_ilPT18_ili26rocblas_geam_ex_operation_,@function
_ZN12_GLOBAL__N_120geam_min_plus_kernelIDF16_Dv2_DF16_S1_Li8ELi32ELi64ELi128ELi4ELi64ELi4ELi4ELi64ELc78ELc78ELb0ELb1ELb0EPKDF16_S2_DF16_EEviiiT16_PT17_ilS6_ilS4_S6_ilPT18_ili26rocblas_geam_ex_operation_: ; @_ZN12_GLOBAL__N_120geam_min_plus_kernelIDF16_Dv2_DF16_S1_Li8ELi32ELi64ELi128ELi4ELi64ELi4ELi4ELi64ELc78ELc78ELb0ELb1ELb0EPKDF16_S2_DF16_EEviiiT16_PT17_ilS6_ilS4_S6_ilPT18_ili26rocblas_geam_ex_operation_
; %bb.0:
	s_load_dwordx4 s[4:7], s[0:1], 0x10
	s_load_dwordx4 s[8:11], s[0:1], 0x28
	;; [unrolled: 1-line block ×3, first 2 shown]
	s_mov_b32 s16, s3
	s_mov_b32 s17, 0
	s_lshl_b64 s[18:19], s[16:17], 1
	s_waitcnt lgkmcnt(0)
	s_add_u32 s4, s4, s18
	s_addc_u32 s5, s5, s19
	v_mov_b32_e32 v1, 0
	global_load_ushort v38, v1, s[4:5]
	s_add_u32 s4, s14, s18
	s_addc_u32 s5, s15, s19
	global_load_ushort v44, v1, s[4:5]
	s_load_dwordx2 s[20:21], s[0:1], 0x50
	s_mov_b64 s[18:19], 0
	s_mov_b64 s[26:27], 0
	s_waitcnt vmcnt(1)
	v_cmp_eq_f16_e32 vcc, 0, v38
	v_cmp_neq_f16_e64 s[4:5], 0, v38
	s_cbranch_vccnz .LBB285_2
; %bb.1:
	s_mul_i32 s3, s9, s16
	s_mul_hi_u32 s9, s8, s16
	s_add_i32 s9, s9, s3
	s_mul_i32 s8, s8, s16
	s_lshl_b64 s[8:9], s[8:9], 1
	s_add_u32 s26, s6, s8
	s_addc_u32 s27, s7, s9
.LBB285_2:
	s_andn2_b64 vcc, exec, s[4:5]
	s_cbranch_vccnz .LBB285_4
; %bb.3:
	s_mul_i32 s3, s13, s16
	s_mul_hi_u32 s6, s12, s16
	s_add_i32 s7, s6, s3
	s_mul_i32 s6, s12, s16
	s_lshl_b64 s[6:7], s[6:7], 1
	s_add_u32 s18, s10, s6
	s_addc_u32 s19, s11, s7
.LBB285_4:
	s_load_dwordx4 s[12:15], s[0:1], 0x60
	s_waitcnt vmcnt(0)
	v_cmp_eq_f16_e32 vcc, 0, v44
	v_cmp_neq_f16_e64 s[8:9], 0, v44
	s_cbranch_vccnz .LBB285_6
; %bb.5:
	s_waitcnt lgkmcnt(0)
	s_mul_i32 s3, s13, s16
	s_mul_hi_u32 s6, s12, s16
	s_add_i32 s7, s6, s3
	s_mul_i32 s6, s12, s16
	s_lshl_b64 s[6:7], s[6:7], 1
	s_add_u32 s24, s20, s6
	s_addc_u32 s25, s21, s7
	s_branch .LBB285_7
.LBB285_6:
	s_mov_b64 s[24:25], 0
.LBB285_7:
	s_waitcnt lgkmcnt(0)
	s_load_dwordx4 s[20:23], s[0:1], 0x0
	s_load_dword s28, s[0:1], 0x20
	v_and_b32_e32 v36, 0x3ff, v0
	v_bfe_u32 v37, v0, 10, 10
	v_lshl_add_u32 v2, v37, 3, v36
	s_waitcnt lgkmcnt(0)
	s_add_i32 s3, s20, -1
	s_ashr_i32 s6, s3, 31
	s_lshr_b32 s6, s6, 26
	s_add_i32 s3, s3, s6
	s_ashr_i32 s3, s3, 6
	s_add_i32 s11, s3, 1
	v_cvt_f32_u32_e32 v1, s11
	s_not_b32 s3, s3
	s_ashr_i32 s29, s28, 31
	v_and_b32_e32 v10, 63, v2
	v_rcp_iflag_f32_e32 v0, v1
	v_lshrrev_b32_e32 v39, 6, v2
	v_cmp_gt_i32_e64 s[6:7], s22, v39
	v_mov_b32_e32 v9, 0
	v_mul_f32_e32 v0, 0x4f7ffffe, v0
	v_cvt_u32_f32_e32 v0, v0
	v_mov_b32_e32 v11, 0
	v_readfirstlane_b32 s10, v0
	s_mul_i32 s3, s3, s10
	s_mul_hi_u32 s3, s10, s3
	s_add_i32 s10, s10, s3
	s_mul_hi_u32 s3, s2, s10
	s_mul_i32 s10, s3, s11
	s_sub_i32 s10, s2, s10
	s_add_i32 s12, s3, 1
	s_sub_i32 s13, s10, s11
	s_cmp_ge_u32 s10, s11
	s_cselect_b32 s3, s12, s3
	s_cselect_b32 s10, s13, s10
	s_add_i32 s12, s3, 1
	s_cmp_ge_u32 s10, s11
	s_cselect_b32 s10, s12, s3
	s_mul_i32 s3, s10, s11
	s_sub_i32 s2, s2, s3
	s_lshl_b32 s17, s2, 6
	v_or_b32_e32 v0, s17, v10
	v_cmp_gt_i32_e32 vcc, s20, v0
	s_and_b64 s[2:3], s[6:7], vcc
	v_ashrrev_i32_e32 v1, 31, v0
	s_and_b64 s[6:7], s[4:5], s[2:3]
	s_and_saveexec_b64 s[2:3], s[6:7]
	s_cbranch_execz .LBB285_9
; %bb.8:
	v_mad_i64_i32 v[4:5], s[6:7], s28, v39, 0
	v_lshl_add_u64 v[4:5], v[4:5], 1, s[26:27]
	v_lshl_add_u64 v[4:5], v[0:1], 1, v[4:5]
	global_load_ushort v3, v[4:5], off
	s_waitcnt vmcnt(0)
	v_mul_f16_e32 v11, v38, v3
.LBB285_9:
	s_or_b64 exec, exec, s[2:3]
	s_load_dword s34, s[0:1], 0x38
	v_lshrrev_b32_e32 v12, 2, v2
	s_lshl_b32 s30, s10, 7
	v_and_b32_e32 v40, 3, v36
	v_add_u32_e32 v4, s30, v12
	s_add_i32 s23, s22, -1
	v_min_i32_e32 v2, s23, v40
	v_cmp_le_i32_e64 s[2:3], s21, v4
	s_xor_b64 s[12:13], s[4:5], -1
	v_cmp_le_i32_e64 s[6:7], s22, v40
	v_ashrrev_i32_e32 v3, 31, v2
	s_or_b64 s[10:11], s[2:3], s[12:13]
	v_lshl_add_u64 v[2:3], v[2:3], 1, s[18:19]
	s_nor_b64 s[36:37], s[6:7], s[10:11]
	s_and_saveexec_b64 s[2:3], s[36:37]
	s_cbranch_execz .LBB285_11
; %bb.10:
	s_waitcnt lgkmcnt(0)
	v_mad_i64_i32 v[6:7], s[36:37], v4, s34, 0
	v_lshl_add_u64 v[6:7], v[6:7], 1, v[2:3]
	global_load_ushort v5, v[6:7], off
	s_waitcnt vmcnt(0)
	v_mul_f16_e32 v9, v38, v5
.LBB285_11:
	s_or_b64 exec, exec, s[2:3]
	v_add_u32_e32 v5, 64, v4
	v_cmp_le_i32_e64 s[2:3], s21, v5
	s_or_b64 s[12:13], s[2:3], s[12:13]
	s_nor_b64 s[6:7], s[6:7], s[12:13]
	v_mov_b32_e32 v6, 0
	v_mov_b32_e32 v13, 0
	s_and_saveexec_b64 s[2:3], s[6:7]
	s_cbranch_execz .LBB285_13
; %bb.12:
	s_waitcnt lgkmcnt(0)
	v_mad_i64_i32 v[14:15], s[6:7], v5, s34, 0
	v_lshl_add_u64 v[2:3], v[14:15], 1, v[2:3]
	global_load_ushort v2, v[2:3], off
	s_waitcnt vmcnt(0)
	v_mul_f16_e32 v13, v38, v2
.LBB285_13:
	s_or_b64 exec, exec, s[2:3]
	v_add_u32_e32 v2, 4, v39
	v_cmp_gt_i32_e64 s[2:3], s22, v2
	s_and_b64 s[2:3], vcc, s[2:3]
	s_and_b64 s[6:7], s[4:5], s[2:3]
	s_and_saveexec_b64 s[2:3], s[6:7]
	s_cbranch_execz .LBB285_15
; %bb.14:
	v_mad_u64_u32 v[6:7], s[6:7], s28, v2, 0
	v_mov_b32_e32 v8, v7
	v_mad_u64_u32 v[2:3], s[6:7], s29, v2, v[8:9]
	v_mov_b32_e32 v7, v2
	v_lshl_add_u64 v[2:3], v[6:7], 1, s[26:27]
	v_lshl_add_u64 v[2:3], v[0:1], 1, v[2:3]
	global_load_ushort v2, v[2:3], off
	s_waitcnt vmcnt(0)
	v_mul_f16_e32 v6, v38, v2
.LBB285_15:
	s_or_b64 exec, exec, s[2:3]
	v_or_b32_e32 v2, 4, v40
	v_cmp_le_i32_e64 s[6:7], s22, v2
	v_min_i32_e32 v2, s23, v2
	v_ashrrev_i32_e32 v3, 31, v2
	v_lshl_add_u64 v[2:3], v[2:3], 1, s[18:19]
	s_nor_b64 s[36:37], s[6:7], s[10:11]
	v_mov_b32_e32 v7, 0
	v_mov_b32_e32 v8, 0
	s_and_saveexec_b64 s[2:3], s[36:37]
	s_cbranch_execz .LBB285_17
; %bb.16:
	s_waitcnt lgkmcnt(0)
	v_mad_i64_i32 v[14:15], s[36:37], v4, s34, 0
	v_lshl_add_u64 v[14:15], v[14:15], 1, v[2:3]
	global_load_ushort v8, v[14:15], off
	s_waitcnt vmcnt(0)
	v_mul_f16_e32 v8, v38, v8
.LBB285_17:
	s_or_b64 exec, exec, s[2:3]
	s_nor_b64 s[6:7], s[6:7], s[12:13]
	s_and_saveexec_b64 s[2:3], s[6:7]
	s_cbranch_execz .LBB285_19
; %bb.18:
	s_waitcnt lgkmcnt(0)
	v_mad_i64_i32 v[14:15], s[6:7], v5, s34, 0
	v_lshl_add_u64 v[2:3], v[14:15], 1, v[2:3]
	global_load_ushort v2, v[2:3], off
	s_waitcnt vmcnt(0)
	v_mul_f16_e32 v7, v38, v2
.LBB285_19:
	s_or_b64 exec, exec, s[2:3]
	v_lshlrev_b32_e32 v2, 3, v10
	v_lshlrev_b32_e32 v3, 3, v12
	v_lshlrev_b32_e32 v42, 3, v36
	v_lshl_add_u32 v2, v39, 1, v2
	v_lshl_or_b32 v43, v40, 1, v3
	v_lshlrev_b32_e32 v41, 3, v37
	v_add_u32_e32 v70, 0x800, v42
	ds_write_b16 v2, v11 offset:2048
	ds_write_b16 v43, v9
	ds_write_b16 v43, v13 offset:512
	s_waitcnt lgkmcnt(0)
	s_barrier
	ds_read2_b64 v[10:13], v41 offset1:32
	ds_read2_b64 v[14:17], v70 offset0:48 offset1:56
	ds_read2_b64 v[18:21], v41 offset0:64 offset1:96
	ds_read2_b64 v[22:25], v70 offset1:8
	ds_read2_b64 v[26:29], v70 offset0:16 offset1:24
	ds_read2_b64 v[30:33], v70 offset0:32 offset1:40
	s_waitcnt lgkmcnt(5)
	v_pk_max_f16 v3, v10, v10
	s_waitcnt lgkmcnt(4)
	v_pk_max_f16 v9, v16, v16
	v_pk_max_f16 v12, v12, v12
	v_pk_min_f16 v10, v9, v3
	s_waitcnt lgkmcnt(3)
	v_pk_max_f16 v18, v18, v18
	s_waitcnt lgkmcnt(2)
	v_pk_max_f16 v22, v22, v22
	v_pk_max_f16 v20, v20, v20
	v_pk_max_f16 v24, v24, v24
	s_waitcnt lgkmcnt(1)
	v_pk_max_f16 v26, v26, v26
	v_pk_max_f16 v28, v28, v28
	;; [unrolled: 4-line block ×3, first 2 shown]
	v_pk_max_f16 v14, v14, v14
	v_pk_max_f16 v17, v17, v17
	v_pk_min_f16 v16, v9, v12
	v_pk_min_f16 v34, v22, v3
	;; [unrolled: 1-line block ×17, first 2 shown]
	v_pk_max_f16 v13, v13, v13
	v_pk_min_f16 v57, v30, v3
	v_pk_min_f16 v58, v30, v12
	;; [unrolled: 1-line block ×14, first 2 shown]
	v_pk_add_f16 v10, v10, 0
	v_pk_min_f16 v20, v17, v11
	v_pk_max_f16 v19, v19, v19
	v_pk_add_f16 v69, v10, v20
	v_pk_add_f16 v10, v16, 0
	v_pk_min_f16 v16, v17, v13
	v_pk_max_f16 v23, v23, v23
	v_pk_add_f16 v61, v10, v16
	;; [unrolled: 4-line block ×5, first 2 shown]
	v_pk_add_f16 v10, v45, 0
	v_pk_min_f16 v16, v23, v19
	v_pk_add_f16 v20, v50, 0
	v_pk_add_f16 v60, v10, v16
	;; [unrolled: 1-line block ×3, first 2 shown]
	v_pk_min_f16 v16, v23, v21
	v_pk_add_f16 v22, v51, 0
	v_pk_add_f16 v52, v10, v16
	v_pk_add_f16 v10, v46, 0
	v_pk_min_f16 v16, v25, v11
	v_pk_max_f16 v29, v29, v29
	v_pk_add_f16 v76, v10, v16
	v_pk_add_f16 v10, v47, 0
	v_pk_min_f16 v16, v25, v13
	v_pk_add_f16 v23, v26, 0
	v_pk_add_f16 v67, v10, v16
	;; [unrolled: 1-line block ×3, first 2 shown]
	v_pk_min_f16 v16, v25, v19
	v_pk_min_f16 v25, v25, v21
	v_pk_add_f16 v59, v10, v16
	v_pk_add_f16 v10, v24, 0
	;; [unrolled: 1-line block ×4, first 2 shown]
	v_pk_min_f16 v10, v27, v11
	v_pk_add_f16 v45, v58, 0
	v_pk_add_f16 v75, v16, v10
	v_pk_min_f16 v10, v27, v13
	v_pk_add_f16 v24, v54, 0
	v_pk_add_f16 v66, v20, v10
	;; [unrolled: 3-line block ×8, first 2 shown]
	v_pk_max_f16 v10, v31, v31
	v_pk_add_f16 v54, v64, 0
	v_pk_min_f16 v16, v10, v11
	v_pk_add_f16 v46, v62, 0
	v_pk_add_f16 v73, v35, v16
	v_pk_min_f16 v16, v10, v13
	v_pk_add_f16 v47, v63, 0
	v_pk_add_f16 v64, v45, v16
	v_pk_min_f16 v16, v10, v19
	v_pk_min_f16 v10, v10, v21
	v_pk_add_f16 v56, v46, v16
	v_pk_add_f16 v48, v30, v10
	v_pk_max_f16 v10, v33, v33
	v_pk_add_f16 v32, v32, 0
	v_pk_min_f16 v16, v10, v11
	v_pk_add_f16 v3, v3, 0
	v_pk_add_f16 v72, v47, v16
	v_pk_min_f16 v16, v10, v13
	v_pk_add_f16 v12, v12, 0
	v_pk_add_f16 v63, v54, v16
	v_pk_min_f16 v16, v10, v19
	v_pk_min_f16 v10, v10, v21
	v_pk_add_f16 v18, v18, 0
	v_pk_add_f16 v47, v32, v10
	v_pk_max_f16 v10, v15, v15
	v_pk_add_f16 v14, v14, 0
	v_pk_min_f16 v11, v10, v11
	v_pk_add_f16 v9, v9, 0
	v_pk_add_f16 v71, v3, v11
	v_pk_min_f16 v3, v10, v13
	s_mov_b32 s31, 0
	v_pk_add_f16 v62, v12, v3
	v_pk_min_f16 v3, v10, v19
	v_pk_add_f16 v55, v55, v16
	v_pk_add_f16 v54, v18, v3
	v_pk_min_f16 v3, v10, v21
	s_cmp_lt_i32 s22, 9
	v_pk_add_f16 v46, v14, v3
	v_pk_min_f16 v3, v17, v21
	ds_write_b16 v2, v6 offset:2560
	ds_write_b16 v43, v8 offset:1024
	;; [unrolled: 1-line block ×3, first 2 shown]
	v_pk_add_f16 v45, v9, v3
	s_waitcnt lgkmcnt(0)
	s_barrier
	s_cbranch_scc1 .LBB285_34
; %bb.20:
	v_lshl_add_u64 v[24:25], v[0:1], 1, s[26:27]
	v_mov_b32_e32 v0, 0xa00
	v_lshl_add_u32 v81, v36, 3, v0
	v_add_u32_e32 v0, v41, v36
	v_or_b32_e32 v78, 0x800, v2
	v_add_u32_e32 v79, 0xa00, v2
	v_lshrrev_b32_e32 v2, 6, v0
	v_add_u32_e32 v0, 12, v2
	v_mad_i64_i32 v[0:1], s[2:3], v0, s28, 0
	v_lshlrev_b64 v[30:31], 1, v[0:1]
	v_add_u32_e32 v0, 8, v2
	v_mad_i64_i32 v[0:1], s[2:3], v0, s28, 0
	v_add_u32_e32 v80, 0x400, v43
	s_add_i32 s33, s22, -8
	v_mad_i64_i32 v[26:27], s[2:3], v4, s34, 0
	v_mad_i64_i32 v[28:29], s[2:3], v5, s34, 0
	v_add_u32_e32 v82, 0x400, v41
	s_lshl_b64 s[26:27], s[28:29], 4
	v_lshlrev_b64 v[32:33], 1, v[0:1]
	s_branch .LBB285_22
.LBB285_21:                             ;   in Loop: Header=BB285_22 Depth=1
	s_or_b64 exec, exec, s[2:3]
	v_pk_max_f16 v2, v2, v2
	v_pk_max_f16 v20, v20, v20
	;; [unrolled: 1-line block ×7, first 2 shown]
	v_pk_min_f16 v34, v2, v20
	v_pk_min_f16 v35, v2, v22
	v_pk_max_f16 v12, v12, v12
	v_pk_max_f16 v14, v14, v14
	v_pk_max_f16 v8, v8, v8
	v_pk_max_f16 v21, v21, v21
	v_pk_max_f16 v23, v23, v23
	v_pk_max_f16 v10, v10, v10
	v_pk_max_f16 v17, v17, v17
	v_pk_max_f16 v19, v19, v19
	v_pk_max_f16 v13, v13, v13
	v_pk_max_f16 v15, v15, v15
	v_pk_min_f16 v98, v4, v20
	v_pk_max_f16 v9, v9, v9
	v_pk_max_f16 v11, v11, v11
	v_pk_min_f16 v99, v4, v22
	v_pk_max_f16 v5, v5, v5
	v_pk_max_f16 v7, v7, v7
	v_pk_min_f16 v100, v4, v16
	v_pk_min_f16 v4, v4, v18
	v_pk_max_f16 v0, v0, v0
	v_pk_max_f16 v3, v3, v3
	;; [unrolled: 1-line block ×3, first 2 shown]
	v_pk_min_f16 v101, v6, v20
	v_pk_min_f16 v102, v6, v22
	;; [unrolled: 1-line block ×58, first 2 shown]
	v_pk_add_f16 v1, v69, v34
	v_pk_add_f16 v3, v61, v35
	;; [unrolled: 1-line block ×12, first 2 shown]
	ds_read2_b64 v[0:3], v70 offset0:48 offset1:56
	ds_read2_b64 v[4:7], v41 offset1:32
	v_pk_add_f16 v34, v53, v104
	v_pk_add_f16 v35, v77, v86
	;; [unrolled: 1-line block ×7, first 2 shown]
	s_waitcnt lgkmcnt(1)
	v_pk_max_f16 v2, v2, v2
	s_waitcnt lgkmcnt(0)
	v_pk_max_f16 v4, v4, v4
	v_pk_add_f16 v61, v67, v90
	v_pk_add_f16 v14, v51, v14
	;; [unrolled: 1-line block ×8, first 2 shown]
	ds_read2_b64 v[8:11], v41 offset0:64 offset1:96
	v_pk_min_f16 v12, v2, v4
	v_pk_add_f16 v22, v62, v22
	v_pk_add_f16 v62, v14, v15
	;; [unrolled: 1-line block ×3, first 2 shown]
	ds_read2_b64 v[12:15], v70 offset1:8
	v_pk_max_f16 v6, v6, v6
	v_pk_add_f16 v50, v74, v95
	v_pk_add_f16 v74, v16, v17
	v_pk_min_f16 v16, v2, v6
	s_waitcnt lgkmcnt(1)
	v_pk_max_f16 v8, v8, v8
	v_pk_add_f16 v34, v34, v124
	v_pk_add_f16 v54, v54, v16
	v_pk_min_f16 v16, v2, v8
	s_waitcnt lgkmcnt(0)
	v_pk_max_f16 v12, v12, v12
	v_pk_add_f16 v34, v34, v16
	v_pk_min_f16 v16, v12, v4
	v_pk_add_f16 v51, v75, v92
	v_pk_add_f16 v75, v18, v16
	v_pk_min_f16 v16, v12, v6
	v_pk_add_f16 v52, v76, v89
	v_pk_add_f16 v35, v35, v16
	v_pk_min_f16 v16, v12, v8
	v_pk_max_f16 v14, v14, v14
	v_pk_add_f16 v52, v52, v107
	v_pk_add_f16 v76, v53, v16
	v_pk_min_f16 v16, v14, v4
	v_pk_add_f16 v61, v61, v108
	v_pk_add_f16 v86, v52, v16
	v_pk_min_f16 v16, v14, v6
	v_pk_add_f16 v45, v45, v19
	v_pk_add_f16 v87, v61, v16
	ds_read2_b64 v[16:19], v70 offset0:16 offset1:24
	v_pk_add_f16 v59, v59, v91
	v_pk_add_f16 v48, v72, v101
	;; [unrolled: 1-line block ×4, first 2 shown]
	v_pk_max_f16 v10, v10, v10
	v_pk_min_f16 v20, v14, v8
	s_waitcnt lgkmcnt(0)
	v_pk_max_f16 v16, v16, v16
	v_pk_add_f16 v66, v66, v93
	v_pk_add_f16 v51, v51, v110
	;; [unrolled: 1-line block ×3, first 2 shown]
	v_pk_min_f16 v14, v14, v10
	v_pk_min_f16 v20, v16, v4
	v_pk_add_f16 v58, v58, v94
	v_pk_add_f16 v66, v66, v111
	;; [unrolled: 1-line block ×4, first 2 shown]
	v_pk_min_f16 v20, v16, v6
	v_pk_add_f16 v58, v58, v112
	v_pk_add_f16 v66, v66, v20
	v_pk_min_f16 v20, v16, v8
	v_pk_max_f16 v18, v18, v18
	v_pk_add_f16 v65, v65, v96
	v_pk_add_f16 v50, v50, v113
	;; [unrolled: 1-line block ×3, first 2 shown]
	v_pk_min_f16 v20, v18, v4
	v_pk_add_f16 v65, v65, v114
	v_pk_add_f16 v88, v50, v20
	v_pk_min_f16 v20, v18, v6
	v_pk_add_f16 v49, v73, v98
	v_pk_add_f16 v73, v22, v23
	;; [unrolled: 1-line block ×3, first 2 shown]
	ds_read2_b64 v[20:23], v70 offset0:32 offset1:40
	v_pk_add_f16 v57, v57, v97
	v_pk_min_f16 v50, v18, v8
	v_pk_add_f16 v57, v57, v115
	v_pk_add_f16 v64, v64, v99
	s_waitcnt lgkmcnt(0)
	v_pk_max_f16 v20, v20, v20
	v_pk_add_f16 v49, v49, v116
	v_pk_add_f16 v57, v57, v50
	v_pk_min_f16 v50, v20, v4
	v_pk_add_f16 v56, v56, v100
	v_pk_add_f16 v64, v64, v117
	v_pk_add_f16 v89, v49, v50
	v_pk_min_f16 v49, v20, v6
	v_pk_add_f16 v56, v56, v118
	v_pk_add_f16 v64, v64, v49
	v_pk_min_f16 v49, v20, v8
	v_pk_max_f16 v22, v22, v22
	v_pk_add_f16 v63, v63, v102
	v_pk_add_f16 v48, v48, v119
	v_pk_add_f16 v56, v56, v49
	v_pk_min_f16 v49, v22, v4
	v_pk_add_f16 v63, v63, v120
	v_pk_add_f16 v90, v48, v49
	v_pk_min_f16 v48, v22, v6
	v_pk_max_f16 v0, v0, v0
	v_pk_max_f16 v3, v3, v3
	;; [unrolled: 1-line block ×3, first 2 shown]
	v_pk_min_f16 v12, v12, v10
	v_pk_min_f16 v16, v16, v10
	;; [unrolled: 1-line block ×4, first 2 shown]
	v_pk_add_f16 v63, v63, v48
	v_pk_min_f16 v48, v22, v8
	v_pk_min_f16 v22, v22, v10
	;; [unrolled: 1-line block ×8, first 2 shown]
	v_pk_max_f16 v7, v7, v7
	v_pk_add_f16 v20, v69, v20
	v_pk_add_f16 v69, v47, v10
	v_pk_min_f16 v10, v3, v7
	v_pk_max_f16 v9, v9, v9
	v_pk_add_f16 v61, v54, v10
	v_pk_min_f16 v10, v3, v9
	v_pk_max_f16 v11, v11, v11
	v_pk_add_f16 v53, v34, v10
	v_pk_max_f16 v10, v13, v13
	v_pk_add_f16 v12, v60, v12
	v_pk_min_f16 v13, v10, v5
	v_pk_add_f16 v18, v68, v18
	v_pk_add_f16 v77, v75, v13
	v_pk_min_f16 v13, v10, v7
	v_pk_add_f16 v16, v67, v16
	v_pk_add_f16 v68, v35, v13
	v_pk_min_f16 v13, v10, v9
	v_pk_min_f16 v10, v10, v11
	v_pk_add_f16 v60, v76, v13
	v_pk_add_f16 v52, v12, v10
	v_pk_max_f16 v10, v15, v15
	v_pk_add_f16 v8, v74, v8
	v_pk_min_f16 v12, v10, v5
	v_pk_add_f16 v55, v55, v103
	v_pk_add_f16 v76, v86, v12
	v_pk_min_f16 v12, v10, v7
	v_pk_add_f16 v6, v73, v6
	v_pk_add_f16 v67, v87, v12
	v_pk_min_f16 v12, v10, v9
	v_pk_min_f16 v10, v10, v11
	v_pk_add_f16 v59, v59, v12
	v_pk_add_f16 v51, v14, v10
	v_pk_max_f16 v10, v17, v17
	v_pk_add_f16 v55, v55, v121
	v_pk_min_f16 v12, v10, v5
	v_pk_add_f16 v55, v55, v48
	v_pk_add_f16 v75, v62, v12
	v_pk_min_f16 v12, v10, v7
	v_pk_max_f16 v1, v1, v1
	v_pk_add_f16 v66, v66, v12
	v_pk_min_f16 v12, v10, v9
	v_pk_min_f16 v10, v10, v11
	v_pk_add_f16 v58, v58, v12
	v_pk_add_f16 v50, v16, v10
	v_pk_max_f16 v10, v19, v19
	v_pk_add_f16 v4, v72, v4
	v_pk_min_f16 v12, v10, v5
	v_pk_add_f16 v46, v46, v125
	v_pk_add_f16 v74, v88, v12
	v_pk_min_f16 v12, v10, v7
	v_pk_add_f16 v22, v71, v22
	v_pk_add_f16 v65, v65, v12
	v_pk_min_f16 v12, v10, v9
	v_pk_min_f16 v10, v10, v11
	v_pk_add_f16 v57, v57, v12
	v_pk_add_f16 v49, v18, v10
	v_pk_max_f16 v10, v21, v21
	v_pk_add_f16 v0, v46, v0
	v_pk_min_f16 v12, v10, v5
	v_pk_add_f16 v2, v45, v2
	v_pk_add_f16 v73, v89, v12
	v_pk_min_f16 v12, v10, v7
	s_add_i32 s31, s31, 8
	v_pk_add_f16 v64, v64, v12
	v_pk_min_f16 v12, v10, v9
	v_pk_min_f16 v10, v10, v11
	v_pk_add_f16 v56, v56, v12
	v_pk_add_f16 v48, v20, v10
	v_pk_max_f16 v10, v23, v23
	s_cmp_ge_i32 s31, s33
	v_pk_min_f16 v12, v10, v5
	v_pk_min_f16 v5, v1, v5
	v_pk_add_f16 v72, v90, v12
	v_pk_add_f16 v71, v4, v5
	v_pk_min_f16 v4, v1, v7
	v_pk_min_f16 v12, v10, v7
	v_pk_add_f16 v62, v6, v4
	v_pk_min_f16 v4, v1, v9
	v_pk_min_f16 v1, v1, v11
	;; [unrolled: 3-line block ×3, first 2 shown]
	v_pk_add_f16 v46, v0, v1
	v_pk_min_f16 v0, v3, v11
	v_pk_add_f16 v55, v55, v12
	v_pk_add_f16 v47, v22, v10
	;; [unrolled: 1-line block ×4, first 2 shown]
	v_lshl_add_u64 v[24:25], v[24:25], 0, s[26:27]
	ds_write_b16 v79, v83
	ds_write_b16 v80, v85
	ds_write_b16 v80, v84 offset:512
	s_waitcnt lgkmcnt(0)
	s_barrier
	s_cbranch_scc1 .LBB285_34
.LBB285_22:                             ; =>This Inner Loop Header: Depth=1
	v_add_u32_e32 v34, s31, v39
	v_add_u32_e32 v0, 8, v34
	v_cmp_gt_i32_e64 s[2:3], s22, v0
	s_and_b64 s[2:3], vcc, s[2:3]
	s_and_b64 s[6:7], s[4:5], s[2:3]
	v_mov_b32_e32 v84, 0
	v_mov_b32_e32 v85, 0
	s_and_saveexec_b64 s[2:3], s[6:7]
	s_cbranch_execz .LBB285_24
; %bb.23:                               ;   in Loop: Header=BB285_22 Depth=1
	v_lshl_add_u64 v[0:1], v[24:25], 0, v[32:33]
	global_load_ushort v0, v[0:1], off
	s_waitcnt vmcnt(0)
	v_mul_f16_e32 v85, v38, v0
.LBB285_24:                             ;   in Loop: Header=BB285_22 Depth=1
	s_or_b64 exec, exec, s[2:3]
	v_add_u32_e32 v35, s31, v40
	v_add_u32_e32 v0, 8, v35
	v_cmp_le_i32_e64 s[6:7], s22, v0
	v_min_i32_e32 v0, s23, v0
	v_ashrrev_i32_e32 v1, 31, v0
	v_lshl_add_u64 v[0:1], v[0:1], 1, s[18:19]
	s_nor_b64 s[28:29], s[10:11], s[6:7]
	s_and_saveexec_b64 s[2:3], s[28:29]
	s_cbranch_execz .LBB285_26
; %bb.25:                               ;   in Loop: Header=BB285_22 Depth=1
	v_lshl_add_u64 v[2:3], v[26:27], 1, v[0:1]
	global_load_ushort v2, v[2:3], off
	s_waitcnt vmcnt(0)
	v_mul_f16_e32 v84, v38, v2
.LBB285_26:                             ;   in Loop: Header=BB285_22 Depth=1
	s_or_b64 exec, exec, s[2:3]
	s_nor_b64 s[6:7], s[12:13], s[6:7]
	v_mov_b32_e32 v83, 0
	v_mov_b32_e32 v86, 0
	s_and_saveexec_b64 s[2:3], s[6:7]
	s_cbranch_execz .LBB285_28
; %bb.27:                               ;   in Loop: Header=BB285_22 Depth=1
	v_lshl_add_u64 v[0:1], v[28:29], 1, v[0:1]
	global_load_ushort v0, v[0:1], off
	s_waitcnt vmcnt(0)
	v_mul_f16_e32 v86, v38, v0
.LBB285_28:                             ;   in Loop: Header=BB285_22 Depth=1
	s_or_b64 exec, exec, s[2:3]
	ds_read2_b64 v[0:3], v81 offset0:48 offset1:56
	ds_read2_b64 v[16:19], v82 offset0:64 offset1:96
	ds_read2_b64 v[20:23], v82 offset1:32
	ds_read2_b64 v[12:15], v81 offset1:8
	ds_read2_b64 v[8:11], v81 offset0:16 offset1:24
	ds_read2_b64 v[4:7], v81 offset0:32 offset1:40
	v_add_u32_e32 v34, 12, v34
	v_cmp_gt_i32_e64 s[2:3], s22, v34
	s_and_b64 s[2:3], vcc, s[2:3]
	s_and_b64 s[2:3], s[4:5], s[2:3]
	ds_write_b16 v78, v85
	ds_write_b16 v43, v84
	ds_write_b16 v43, v86 offset:512
	s_waitcnt lgkmcnt(0)
	s_barrier
	s_and_saveexec_b64 s[6:7], s[2:3]
	s_xor_b64 s[2:3], exec, s[6:7]
	s_cbranch_execz .LBB285_30
; %bb.29:                               ;   in Loop: Header=BB285_22 Depth=1
	v_lshl_add_u64 v[84:85], v[24:25], 0, v[30:31]
	global_load_ushort v34, v[84:85], off
	s_waitcnt vmcnt(0)
	v_mul_f16_e32 v83, v38, v34
.LBB285_30:                             ;   in Loop: Header=BB285_22 Depth=1
	s_or_b64 exec, exec, s[2:3]
	v_add_u32_e32 v34, 12, v35
	v_cmp_le_i32_e64 s[6:7], s22, v34
	v_min_i32_e32 v34, s23, v34
	v_ashrrev_i32_e32 v35, 31, v34
	v_lshl_add_u64 v[34:35], v[34:35], 1, s[18:19]
	s_nor_b64 s[28:29], s[10:11], s[6:7]
	v_mov_b32_e32 v84, 0
	v_mov_b32_e32 v85, 0
	s_and_saveexec_b64 s[2:3], s[28:29]
	s_cbranch_execz .LBB285_32
; %bb.31:                               ;   in Loop: Header=BB285_22 Depth=1
	v_lshl_add_u64 v[86:87], v[26:27], 1, v[34:35]
	global_load_ushort v85, v[86:87], off
	s_waitcnt vmcnt(0)
	v_mul_f16_e32 v85, v38, v85
.LBB285_32:                             ;   in Loop: Header=BB285_22 Depth=1
	s_or_b64 exec, exec, s[2:3]
	s_nor_b64 s[6:7], s[12:13], s[6:7]
	s_and_saveexec_b64 s[2:3], s[6:7]
	s_cbranch_execz .LBB285_21
; %bb.33:                               ;   in Loop: Header=BB285_22 Depth=1
	v_lshl_add_u64 v[34:35], v[28:29], 1, v[34:35]
	global_load_ushort v34, v[34:35], off
	s_waitcnt vmcnt(0)
	v_mul_f16_e32 v84, v38, v34
	s_branch .LBB285_21
.LBB285_34:
	s_load_dwordx2 s[2:3], s[0:1], 0x78
	s_load_dword s29, s[0:1], 0x58
	s_load_dword s28, s[0:1], 0x70
	v_add_u32_e32 v8, 0x800, v42
	ds_read2_b64 v[0:3], v8 offset0:112 offset1:120
	ds_read2_b64 v[4:7], v41 offset0:192 offset1:224
	;; [unrolled: 1-line block ×6, first 2 shown]
	s_waitcnt lgkmcnt(0)
	s_mul_i32 s1, s3, s16
	s_mul_hi_u32 s3, s2, s16
	s_mul_i32 s0, s2, s16
	s_add_i32 s1, s3, s1
	s_lshl_b64 s[0:1], s[0:1], 1
	s_add_u32 s22, s14, s0
	v_add_u32_e32 v70, s30, v37
	s_addc_u32 s23, s15, s1
	v_mad_i64_i32 v[26:27], s[0:1], v70, s29, 0
	v_add_u32_e32 v24, s17, v36
	v_lshl_add_u64 v[42:43], v[26:27], 1, s[24:25]
	v_mad_i64_i32 v[26:27], s[0:1], v70, s28, 0
	v_cmp_gt_i32_e64 s[18:19], s21, v70
	v_lshl_add_u64 v[40:41], v[26:27], 1, s[22:23]
	v_cmp_gt_i32_e64 s[4:5], s20, v24
	v_cndmask_b32_e64 v26, 0, 1, s[8:9]
	s_and_b64 s[2:3], s[4:5], s[18:19]
	v_ashrrev_i32_e32 v25, 31, v24
	v_cmp_ne_u32_e64 s[0:1], 1, v26
	s_and_saveexec_b64 s[6:7], s[2:3]
	s_xor_b64 s[2:3], exec, s[6:7]
	s_cbranch_execz .LBB285_39
; %bb.35:
	s_and_b64 vcc, exec, s[0:1]
	s_cbranch_vccnz .LBB285_37
; %bb.36:
	v_lshl_add_u64 v[26:27], v[24:25], 1, v[42:43]
	global_load_ushort v26, v[26:27], off
	s_waitcnt vmcnt(0)
	v_mul_f16_e32 v26, v44, v26
	s_branch .LBB285_38
.LBB285_37:
	v_mov_b32_e32 v26, 0
.LBB285_38:
	v_pk_max_f16 v27, v20, v20
	v_pk_max_f16 v28, v16, v16
	v_pk_max_f16 v29, v17, v17
	v_pk_min_f16 v27, v28, v27
	v_pk_max_f16 v28, v21, v21
	v_pk_add_f16 v27, v77, v27
	v_pk_min_f16 v28, v29, v28
	s_nop 0
	v_pk_add_f16 v27, v27, v28
	s_nop 0
	v_add_f16_sdwa v27, v27, v27 dst_sel:DWORD dst_unused:UNUSED_PAD src0_sel:DWORD src1_sel:WORD_1
	v_add_f16_e32 v28, v27, v26
	v_lshl_add_u64 v[26:27], v[24:25], 1, v[40:41]
	global_store_short v[26:27], v28, off
.LBB285_39:
	s_or_b64 exec, exec, s[2:3]
	v_add_u32_e32 v26, 8, v24
	v_cmp_gt_i32_e64 s[2:3], s20, v26
	s_and_b64 s[8:9], s[2:3], s[18:19]
	v_ashrrev_i32_e32 v27, 31, v26
	s_and_saveexec_b64 s[6:7], s[8:9]
	s_cbranch_execz .LBB285_44
; %bb.40:
	s_and_b64 vcc, exec, s[0:1]
	s_cbranch_vccnz .LBB285_42
; %bb.41:
	v_lshl_add_u64 v[28:29], v[26:27], 1, v[42:43]
	global_load_ushort v28, v[28:29], off
	s_waitcnt vmcnt(0)
	v_mul_f16_e32 v28, v44, v28
	s_branch .LBB285_43
.LBB285_42:
	v_mov_b32_e32 v28, 0
.LBB285_43:
	v_pk_max_f16 v29, v20, v20
	v_pk_max_f16 v30, v18, v18
	v_pk_max_f16 v31, v19, v19
	v_pk_min_f16 v29, v30, v29
	v_pk_max_f16 v30, v21, v21
	v_pk_add_f16 v29, v76, v29
	v_pk_min_f16 v30, v31, v30
	s_nop 0
	v_pk_add_f16 v29, v29, v30
	s_nop 0
	v_add_f16_sdwa v29, v29, v29 dst_sel:DWORD dst_unused:UNUSED_PAD src0_sel:DWORD src1_sel:WORD_1
	v_add_f16_e32 v30, v29, v28
	v_lshl_add_u64 v[28:29], v[26:27], 1, v[40:41]
	global_store_short v[28:29], v30, off
.LBB285_44:
	s_or_b64 exec, exec, s[6:7]
	v_add_u32_e32 v28, 16, v24
	v_cmp_gt_i32_e64 s[6:7], s20, v28
	s_and_b64 s[10:11], s[6:7], s[18:19]
	v_ashrrev_i32_e32 v29, 31, v28
	s_and_saveexec_b64 s[8:9], s[10:11]
	;; [unrolled: 34-line block ×6, first 2 shown]
	s_cbranch_execz .LBB285_69
; %bb.65:
	s_and_b64 vcc, exec, s[0:1]
	s_cbranch_vccnz .LBB285_67
; %bb.66:
	v_lshl_add_u64 v[38:39], v[36:37], 1, v[42:43]
	global_load_ushort v38, v[38:39], off
	s_waitcnt vmcnt(0)
	v_mul_f16_e32 v38, v44, v38
	s_branch .LBB285_68
.LBB285_67:
	v_mov_b32_e32 v38, 0
.LBB285_68:
	v_pk_max_f16 v39, v20, v20
	v_pk_max_f16 v72, v0, v0
	s_nop 0
	v_pk_min_f16 v39, v72, v39
	v_pk_max_f16 v72, v1, v1
	v_pk_add_f16 v39, v71, v39
	v_pk_max_f16 v71, v21, v21
	s_nop 0
	v_pk_min_f16 v71, v72, v71
	s_nop 0
	v_pk_add_f16 v39, v39, v71
	s_nop 0
	v_add_f16_sdwa v39, v39, v39 dst_sel:DWORD dst_unused:UNUSED_PAD src0_sel:DWORD src1_sel:WORD_1
	v_add_f16_e32 v71, v39, v38
	v_lshl_add_u64 v[38:39], v[36:37], 1, v[40:41]
	global_store_short v[38:39], v71, off
.LBB285_69:
	s_or_b64 exec, exec, s[16:17]
	v_add_u32_e32 v38, 56, v24
	v_cmp_gt_i32_e64 s[16:17], s20, v38
	s_and_b64 s[26:27], s[16:17], s[18:19]
	v_ashrrev_i32_e32 v39, 31, v38
	s_and_saveexec_b64 s[18:19], s[26:27]
	s_cbranch_execz .LBB285_74
; %bb.70:
	s_and_b64 vcc, exec, s[0:1]
	s_cbranch_vccnz .LBB285_72
; %bb.71:
	v_lshl_add_u64 v[42:43], v[38:39], 1, v[42:43]
	global_load_ushort v42, v[42:43], off
	s_waitcnt vmcnt(0)
	v_mul_f16_e32 v42, v44, v42
	s_branch .LBB285_73
.LBB285_72:
	v_mov_b32_e32 v42, 0
.LBB285_73:
	v_pk_max_f16 v20, v20, v20
	v_pk_max_f16 v43, v2, v2
	;; [unrolled: 1-line block ×3, first 2 shown]
	v_pk_min_f16 v20, v43, v20
	v_pk_max_f16 v43, v3, v3
	v_pk_add_f16 v20, v69, v20
	v_pk_min_f16 v21, v43, v21
	s_nop 0
	v_pk_add_f16 v20, v20, v21
	s_nop 0
	v_add_f16_sdwa v20, v20, v20 dst_sel:DWORD dst_unused:UNUSED_PAD src0_sel:DWORD src1_sel:WORD_1
	v_add_f16_e32 v42, v20, v42
	v_lshl_add_u64 v[20:21], v[38:39], 1, v[40:41]
	global_store_short v[20:21], v42, off
.LBB285_74:
	s_or_b64 exec, exec, s[18:19]
	v_add_u32_e32 v42, 32, v70
	v_mad_i64_i32 v[20:21], s[26:27], v42, s29, 0
	v_cmp_gt_i32_e64 s[18:19], s21, v42
	v_lshl_add_u64 v[40:41], v[20:21], 1, s[24:25]
	v_mad_i64_i32 v[20:21], s[26:27], v42, s28, 0
	v_lshl_add_u64 v[20:21], v[20:21], 1, s[22:23]
	s_and_b64 s[30:31], s[4:5], s[18:19]
	s_and_saveexec_b64 s[26:27], s[30:31]
	s_cbranch_execnz .LBB285_82
; %bb.75:
	s_or_b64 exec, exec, s[26:27]
	s_and_b64 s[30:31], s[2:3], s[18:19]
	s_and_saveexec_b64 s[26:27], s[30:31]
	s_cbranch_execnz .LBB285_86
.LBB285_76:
	s_or_b64 exec, exec, s[26:27]
	s_and_b64 s[30:31], s[6:7], s[18:19]
	s_and_saveexec_b64 s[26:27], s[30:31]
	s_cbranch_execnz .LBB285_90
.LBB285_77:
	s_or_b64 exec, exec, s[26:27]
	s_and_b64 s[30:31], s[8:9], s[18:19]
	s_and_saveexec_b64 s[26:27], s[30:31]
	s_cbranch_execnz .LBB285_94
.LBB285_78:
	s_or_b64 exec, exec, s[26:27]
	s_and_b64 s[30:31], s[10:11], s[18:19]
	s_and_saveexec_b64 s[26:27], s[30:31]
	s_cbranch_execnz .LBB285_98
.LBB285_79:
	s_or_b64 exec, exec, s[26:27]
	s_and_b64 s[30:31], s[12:13], s[18:19]
	s_and_saveexec_b64 s[26:27], s[30:31]
	s_cbranch_execnz .LBB285_102
.LBB285_80:
	s_or_b64 exec, exec, s[26:27]
	s_and_b64 s[30:31], s[14:15], s[18:19]
	s_and_saveexec_b64 s[26:27], s[30:31]
	s_cbranch_execnz .LBB285_106
.LBB285_81:
	s_or_b64 exec, exec, s[26:27]
	s_and_b64 s[26:27], s[16:17], s[18:19]
	s_and_saveexec_b64 s[18:19], s[26:27]
	s_cbranch_execnz .LBB285_110
	s_branch .LBB285_114
.LBB285_82:
	s_and_b64 vcc, exec, s[0:1]
	s_cbranch_vccnz .LBB285_84
; %bb.83:
	v_lshl_add_u64 v[42:43], v[24:25], 1, v[40:41]
	global_load_ushort v42, v[42:43], off
	s_waitcnt vmcnt(0)
	v_mul_f16_e32 v42, v44, v42
	s_branch .LBB285_85
.LBB285_84:
	v_mov_b32_e32 v42, 0
.LBB285_85:
	v_pk_max_f16 v43, v22, v22
	v_pk_max_f16 v69, v16, v16
	s_nop 0
	v_pk_min_f16 v43, v69, v43
	v_pk_max_f16 v69, v17, v17
	v_pk_add_f16 v43, v68, v43
	v_pk_max_f16 v68, v23, v23
	s_nop 0
	v_pk_min_f16 v68, v69, v68
	s_nop 0
	v_pk_add_f16 v43, v43, v68
	s_nop 0
	v_add_f16_sdwa v43, v43, v43 dst_sel:DWORD dst_unused:UNUSED_PAD src0_sel:DWORD src1_sel:WORD_1
	v_add_f16_e32 v68, v43, v42
	v_lshl_add_u64 v[42:43], v[24:25], 1, v[20:21]
	global_store_short v[42:43], v68, off
	s_or_b64 exec, exec, s[26:27]
	s_and_b64 s[30:31], s[2:3], s[18:19]
	s_and_saveexec_b64 s[26:27], s[30:31]
	s_cbranch_execz .LBB285_76
.LBB285_86:
	s_and_b64 vcc, exec, s[0:1]
	s_cbranch_vccnz .LBB285_88
; %bb.87:
	v_lshl_add_u64 v[42:43], v[26:27], 1, v[40:41]
	global_load_ushort v42, v[42:43], off
	s_waitcnt vmcnt(0)
	v_mul_f16_e32 v42, v44, v42
	s_branch .LBB285_89
.LBB285_88:
	v_mov_b32_e32 v42, 0
.LBB285_89:
	v_pk_max_f16 v43, v22, v22
	v_pk_max_f16 v68, v18, v18
	s_nop 0
	v_pk_min_f16 v43, v68, v43
	v_pk_max_f16 v68, v19, v19
	v_pk_add_f16 v43, v67, v43
	v_pk_max_f16 v67, v23, v23
	s_nop 0
	v_pk_min_f16 v67, v68, v67
	s_nop 0
	v_pk_add_f16 v43, v43, v67
	s_nop 0
	v_add_f16_sdwa v43, v43, v43 dst_sel:DWORD dst_unused:UNUSED_PAD src0_sel:DWORD src1_sel:WORD_1
	v_add_f16_e32 v67, v43, v42
	v_lshl_add_u64 v[42:43], v[26:27], 1, v[20:21]
	global_store_short v[42:43], v67, off
	s_or_b64 exec, exec, s[26:27]
	s_and_b64 s[30:31], s[6:7], s[18:19]
	s_and_saveexec_b64 s[26:27], s[30:31]
	s_cbranch_execz .LBB285_77
.LBB285_90:
	s_and_b64 vcc, exec, s[0:1]
	s_cbranch_vccnz .LBB285_92
; %bb.91:
	v_lshl_add_u64 v[42:43], v[28:29], 1, v[40:41]
	global_load_ushort v42, v[42:43], off
	s_waitcnt vmcnt(0)
	v_mul_f16_e32 v42, v44, v42
	s_branch .LBB285_93
.LBB285_92:
	v_mov_b32_e32 v42, 0
.LBB285_93:
	v_pk_max_f16 v43, v22, v22
	v_pk_max_f16 v67, v12, v12
	s_nop 0
	v_pk_min_f16 v43, v67, v43
	v_pk_max_f16 v67, v13, v13
	v_pk_add_f16 v43, v66, v43
	v_pk_max_f16 v66, v23, v23
	s_nop 0
	v_pk_min_f16 v66, v67, v66
	s_nop 0
	v_pk_add_f16 v43, v43, v66
	s_nop 0
	v_add_f16_sdwa v43, v43, v43 dst_sel:DWORD dst_unused:UNUSED_PAD src0_sel:DWORD src1_sel:WORD_1
	v_add_f16_e32 v66, v43, v42
	v_lshl_add_u64 v[42:43], v[28:29], 1, v[20:21]
	global_store_short v[42:43], v66, off
	s_or_b64 exec, exec, s[26:27]
	s_and_b64 s[30:31], s[8:9], s[18:19]
	s_and_saveexec_b64 s[26:27], s[30:31]
	s_cbranch_execz .LBB285_78
.LBB285_94:
	s_and_b64 vcc, exec, s[0:1]
	s_cbranch_vccnz .LBB285_96
; %bb.95:
	v_lshl_add_u64 v[42:43], v[30:31], 1, v[40:41]
	global_load_ushort v42, v[42:43], off
	s_waitcnt vmcnt(0)
	v_mul_f16_e32 v42, v44, v42
	s_branch .LBB285_97
.LBB285_96:
	v_mov_b32_e32 v42, 0
.LBB285_97:
	v_pk_max_f16 v43, v22, v22
	v_pk_max_f16 v66, v14, v14
	s_nop 0
	v_pk_min_f16 v43, v66, v43
	v_pk_max_f16 v66, v15, v15
	v_pk_add_f16 v43, v65, v43
	v_pk_max_f16 v65, v23, v23
	s_nop 0
	v_pk_min_f16 v65, v66, v65
	s_nop 0
	v_pk_add_f16 v43, v43, v65
	s_nop 0
	v_add_f16_sdwa v43, v43, v43 dst_sel:DWORD dst_unused:UNUSED_PAD src0_sel:DWORD src1_sel:WORD_1
	v_add_f16_e32 v65, v43, v42
	v_lshl_add_u64 v[42:43], v[30:31], 1, v[20:21]
	global_store_short v[42:43], v65, off
	s_or_b64 exec, exec, s[26:27]
	s_and_b64 s[30:31], s[10:11], s[18:19]
	s_and_saveexec_b64 s[26:27], s[30:31]
	s_cbranch_execz .LBB285_79
.LBB285_98:
	s_and_b64 vcc, exec, s[0:1]
	s_cbranch_vccnz .LBB285_100
; %bb.99:
	v_lshl_add_u64 v[42:43], v[32:33], 1, v[40:41]
	global_load_ushort v42, v[42:43], off
	s_waitcnt vmcnt(0)
	v_mul_f16_e32 v42, v44, v42
	s_branch .LBB285_101
.LBB285_100:
	v_mov_b32_e32 v42, 0
.LBB285_101:
	v_pk_max_f16 v43, v22, v22
	v_pk_max_f16 v65, v8, v8
	s_nop 0
	v_pk_min_f16 v43, v65, v43
	v_pk_max_f16 v65, v9, v9
	v_pk_add_f16 v43, v64, v43
	v_pk_max_f16 v64, v23, v23
	s_nop 0
	v_pk_min_f16 v64, v65, v64
	s_nop 0
	v_pk_add_f16 v43, v43, v64
	s_nop 0
	v_add_f16_sdwa v43, v43, v43 dst_sel:DWORD dst_unused:UNUSED_PAD src0_sel:DWORD src1_sel:WORD_1
	v_add_f16_e32 v64, v43, v42
	v_lshl_add_u64 v[42:43], v[32:33], 1, v[20:21]
	global_store_short v[42:43], v64, off
	s_or_b64 exec, exec, s[26:27]
	s_and_b64 s[30:31], s[12:13], s[18:19]
	s_and_saveexec_b64 s[26:27], s[30:31]
	s_cbranch_execz .LBB285_80
.LBB285_102:
	s_and_b64 vcc, exec, s[0:1]
	s_cbranch_vccnz .LBB285_104
; %bb.103:
	v_lshl_add_u64 v[42:43], v[34:35], 1, v[40:41]
	global_load_ushort v42, v[42:43], off
	s_waitcnt vmcnt(0)
	v_mul_f16_e32 v42, v44, v42
	s_branch .LBB285_105
.LBB285_104:
	v_mov_b32_e32 v42, 0
.LBB285_105:
	v_pk_max_f16 v43, v22, v22
	v_pk_max_f16 v64, v10, v10
	s_nop 0
	v_pk_min_f16 v43, v64, v43
	v_pk_max_f16 v64, v11, v11
	v_pk_add_f16 v43, v63, v43
	v_pk_max_f16 v63, v23, v23
	s_nop 0
	v_pk_min_f16 v63, v64, v63
	s_nop 0
	v_pk_add_f16 v43, v43, v63
	s_nop 0
	v_add_f16_sdwa v43, v43, v43 dst_sel:DWORD dst_unused:UNUSED_PAD src0_sel:DWORD src1_sel:WORD_1
	v_add_f16_e32 v63, v43, v42
	v_lshl_add_u64 v[42:43], v[34:35], 1, v[20:21]
	global_store_short v[42:43], v63, off
	s_or_b64 exec, exec, s[26:27]
	s_and_b64 s[30:31], s[14:15], s[18:19]
	s_and_saveexec_b64 s[26:27], s[30:31]
	s_cbranch_execz .LBB285_81
.LBB285_106:
	s_and_b64 vcc, exec, s[0:1]
	s_cbranch_vccnz .LBB285_108
; %bb.107:
	v_lshl_add_u64 v[42:43], v[36:37], 1, v[40:41]
	global_load_ushort v42, v[42:43], off
	s_waitcnt vmcnt(0)
	v_mul_f16_e32 v42, v44, v42
	s_branch .LBB285_109
.LBB285_108:
	v_mov_b32_e32 v42, 0
.LBB285_109:
	v_pk_max_f16 v43, v22, v22
	v_pk_max_f16 v63, v0, v0
	s_nop 0
	v_pk_min_f16 v43, v63, v43
	v_pk_max_f16 v63, v1, v1
	v_pk_add_f16 v43, v62, v43
	v_pk_max_f16 v62, v23, v23
	s_nop 0
	v_pk_min_f16 v62, v63, v62
	s_nop 0
	v_pk_add_f16 v43, v43, v62
	s_nop 0
	v_add_f16_sdwa v43, v43, v43 dst_sel:DWORD dst_unused:UNUSED_PAD src0_sel:DWORD src1_sel:WORD_1
	v_add_f16_e32 v62, v43, v42
	v_lshl_add_u64 v[42:43], v[36:37], 1, v[20:21]
	global_store_short v[42:43], v62, off
	s_or_b64 exec, exec, s[26:27]
	s_and_b64 s[26:27], s[16:17], s[18:19]
	s_and_saveexec_b64 s[18:19], s[26:27]
	s_cbranch_execz .LBB285_114
.LBB285_110:
	s_and_b64 vcc, exec, s[0:1]
	s_cbranch_vccnz .LBB285_112
; %bb.111:
	v_lshl_add_u64 v[40:41], v[38:39], 1, v[40:41]
	global_load_ushort v40, v[40:41], off
	s_waitcnt vmcnt(0)
	v_mul_f16_e32 v40, v44, v40
	s_branch .LBB285_113
.LBB285_112:
	v_mov_b32_e32 v40, 0
.LBB285_113:
	v_pk_max_f16 v22, v22, v22
	v_pk_max_f16 v41, v2, v2
	;; [unrolled: 1-line block ×3, first 2 shown]
	v_pk_min_f16 v22, v41, v22
	v_pk_max_f16 v41, v3, v3
	v_pk_add_f16 v22, v61, v22
	v_pk_min_f16 v23, v41, v23
	v_lshl_add_u64 v[20:21], v[38:39], 1, v[20:21]
	v_pk_add_f16 v22, v22, v23
	s_nop 0
	v_add_f16_sdwa v22, v22, v22 dst_sel:DWORD dst_unused:UNUSED_PAD src0_sel:DWORD src1_sel:WORD_1
	v_add_f16_e32 v22, v22, v40
	global_store_short v[20:21], v22, off
.LBB285_114:
	s_or_b64 exec, exec, s[18:19]
	v_add_u32_e32 v40, 64, v70
	v_mad_i64_i32 v[20:21], s[26:27], v40, s29, 0
	v_cmp_gt_i32_e64 s[18:19], s21, v40
	v_lshl_add_u64 v[22:23], v[20:21], 1, s[24:25]
	v_mad_i64_i32 v[20:21], s[26:27], v40, s28, 0
	v_lshl_add_u64 v[20:21], v[20:21], 1, s[22:23]
	s_and_b64 s[30:31], s[4:5], s[18:19]
	s_and_saveexec_b64 s[26:27], s[30:31]
	s_cbranch_execnz .LBB285_122
; %bb.115:
	s_or_b64 exec, exec, s[26:27]
	s_and_b64 s[30:31], s[2:3], s[18:19]
	s_and_saveexec_b64 s[26:27], s[30:31]
	s_cbranch_execnz .LBB285_126
.LBB285_116:
	s_or_b64 exec, exec, s[26:27]
	s_and_b64 s[30:31], s[6:7], s[18:19]
	s_and_saveexec_b64 s[26:27], s[30:31]
	s_cbranch_execnz .LBB285_130
.LBB285_117:
	s_or_b64 exec, exec, s[26:27]
	s_and_b64 s[30:31], s[8:9], s[18:19]
	s_and_saveexec_b64 s[26:27], s[30:31]
	s_cbranch_execnz .LBB285_134
.LBB285_118:
	s_or_b64 exec, exec, s[26:27]
	s_and_b64 s[30:31], s[10:11], s[18:19]
	s_and_saveexec_b64 s[26:27], s[30:31]
	s_cbranch_execnz .LBB285_138
.LBB285_119:
	s_or_b64 exec, exec, s[26:27]
	s_and_b64 s[30:31], s[12:13], s[18:19]
	s_and_saveexec_b64 s[26:27], s[30:31]
	s_cbranch_execnz .LBB285_142
.LBB285_120:
	s_or_b64 exec, exec, s[26:27]
	s_and_b64 s[30:31], s[14:15], s[18:19]
	s_and_saveexec_b64 s[26:27], s[30:31]
	s_cbranch_execnz .LBB285_146
.LBB285_121:
	s_or_b64 exec, exec, s[26:27]
	s_and_b64 s[26:27], s[16:17], s[18:19]
	s_and_saveexec_b64 s[18:19], s[26:27]
	s_cbranch_execnz .LBB285_150
	s_branch .LBB285_154
.LBB285_122:
	s_and_b64 vcc, exec, s[0:1]
	s_cbranch_vccnz .LBB285_124
; %bb.123:
	v_lshl_add_u64 v[40:41], v[24:25], 1, v[22:23]
	global_load_ushort v40, v[40:41], off
	s_waitcnt vmcnt(0)
	v_mul_f16_e32 v40, v44, v40
	s_branch .LBB285_125
.LBB285_124:
	v_mov_b32_e32 v40, 0
.LBB285_125:
	v_pk_max_f16 v41, v4, v4
	v_pk_max_f16 v42, v16, v16
	v_pk_max_f16 v43, v17, v17
	v_pk_min_f16 v41, v42, v41
	v_pk_max_f16 v42, v5, v5
	v_pk_add_f16 v41, v60, v41
	v_pk_min_f16 v42, v43, v42
	s_nop 0
	v_pk_add_f16 v41, v41, v42
	s_nop 0
	v_add_f16_sdwa v41, v41, v41 dst_sel:DWORD dst_unused:UNUSED_PAD src0_sel:DWORD src1_sel:WORD_1
	v_add_f16_e32 v42, v41, v40
	v_lshl_add_u64 v[40:41], v[24:25], 1, v[20:21]
	global_store_short v[40:41], v42, off
	s_or_b64 exec, exec, s[26:27]
	s_and_b64 s[30:31], s[2:3], s[18:19]
	s_and_saveexec_b64 s[26:27], s[30:31]
	s_cbranch_execz .LBB285_116
.LBB285_126:
	s_and_b64 vcc, exec, s[0:1]
	s_cbranch_vccnz .LBB285_128
; %bb.127:
	v_lshl_add_u64 v[40:41], v[26:27], 1, v[22:23]
	global_load_ushort v40, v[40:41], off
	s_waitcnt vmcnt(0)
	v_mul_f16_e32 v40, v44, v40
	s_branch .LBB285_129
.LBB285_128:
	v_mov_b32_e32 v40, 0
.LBB285_129:
	v_pk_max_f16 v41, v4, v4
	v_pk_max_f16 v42, v18, v18
	;; [unrolled: 1-line block ×3, first 2 shown]
	v_pk_min_f16 v41, v42, v41
	v_pk_max_f16 v42, v5, v5
	v_pk_add_f16 v41, v59, v41
	v_pk_min_f16 v42, v43, v42
	s_nop 0
	v_pk_add_f16 v41, v41, v42
	s_nop 0
	v_add_f16_sdwa v41, v41, v41 dst_sel:DWORD dst_unused:UNUSED_PAD src0_sel:DWORD src1_sel:WORD_1
	v_add_f16_e32 v42, v41, v40
	v_lshl_add_u64 v[40:41], v[26:27], 1, v[20:21]
	global_store_short v[40:41], v42, off
	s_or_b64 exec, exec, s[26:27]
	s_and_b64 s[30:31], s[6:7], s[18:19]
	s_and_saveexec_b64 s[26:27], s[30:31]
	s_cbranch_execz .LBB285_117
.LBB285_130:
	s_and_b64 vcc, exec, s[0:1]
	s_cbranch_vccnz .LBB285_132
; %bb.131:
	v_lshl_add_u64 v[40:41], v[28:29], 1, v[22:23]
	global_load_ushort v40, v[40:41], off
	s_waitcnt vmcnt(0)
	v_mul_f16_e32 v40, v44, v40
	s_branch .LBB285_133
.LBB285_132:
	v_mov_b32_e32 v40, 0
.LBB285_133:
	v_pk_max_f16 v41, v4, v4
	v_pk_max_f16 v42, v12, v12
	;; [unrolled: 1-line block ×3, first 2 shown]
	v_pk_min_f16 v41, v42, v41
	v_pk_max_f16 v42, v5, v5
	v_pk_add_f16 v41, v58, v41
	v_pk_min_f16 v42, v43, v42
	s_nop 0
	v_pk_add_f16 v41, v41, v42
	s_nop 0
	v_add_f16_sdwa v41, v41, v41 dst_sel:DWORD dst_unused:UNUSED_PAD src0_sel:DWORD src1_sel:WORD_1
	v_add_f16_e32 v42, v41, v40
	v_lshl_add_u64 v[40:41], v[28:29], 1, v[20:21]
	global_store_short v[40:41], v42, off
	s_or_b64 exec, exec, s[26:27]
	s_and_b64 s[30:31], s[8:9], s[18:19]
	s_and_saveexec_b64 s[26:27], s[30:31]
	s_cbranch_execz .LBB285_118
.LBB285_134:
	s_and_b64 vcc, exec, s[0:1]
	s_cbranch_vccnz .LBB285_136
; %bb.135:
	v_lshl_add_u64 v[40:41], v[30:31], 1, v[22:23]
	global_load_ushort v40, v[40:41], off
	s_waitcnt vmcnt(0)
	v_mul_f16_e32 v40, v44, v40
	s_branch .LBB285_137
.LBB285_136:
	v_mov_b32_e32 v40, 0
.LBB285_137:
	v_pk_max_f16 v41, v4, v4
	v_pk_max_f16 v42, v14, v14
	;; [unrolled: 1-line block ×3, first 2 shown]
	v_pk_min_f16 v41, v42, v41
	v_pk_max_f16 v42, v5, v5
	v_pk_add_f16 v41, v57, v41
	v_pk_min_f16 v42, v43, v42
	s_nop 0
	v_pk_add_f16 v41, v41, v42
	s_nop 0
	v_add_f16_sdwa v41, v41, v41 dst_sel:DWORD dst_unused:UNUSED_PAD src0_sel:DWORD src1_sel:WORD_1
	v_add_f16_e32 v42, v41, v40
	v_lshl_add_u64 v[40:41], v[30:31], 1, v[20:21]
	global_store_short v[40:41], v42, off
	s_or_b64 exec, exec, s[26:27]
	s_and_b64 s[30:31], s[10:11], s[18:19]
	s_and_saveexec_b64 s[26:27], s[30:31]
	s_cbranch_execz .LBB285_119
.LBB285_138:
	s_and_b64 vcc, exec, s[0:1]
	s_cbranch_vccnz .LBB285_140
; %bb.139:
	v_lshl_add_u64 v[40:41], v[32:33], 1, v[22:23]
	global_load_ushort v40, v[40:41], off
	s_waitcnt vmcnt(0)
	v_mul_f16_e32 v40, v44, v40
	s_branch .LBB285_141
.LBB285_140:
	v_mov_b32_e32 v40, 0
.LBB285_141:
	v_pk_max_f16 v41, v4, v4
	v_pk_max_f16 v42, v8, v8
	;; [unrolled: 1-line block ×3, first 2 shown]
	v_pk_min_f16 v41, v42, v41
	v_pk_max_f16 v42, v5, v5
	v_pk_add_f16 v41, v56, v41
	v_pk_min_f16 v42, v43, v42
	s_nop 0
	v_pk_add_f16 v41, v41, v42
	s_nop 0
	v_add_f16_sdwa v41, v41, v41 dst_sel:DWORD dst_unused:UNUSED_PAD src0_sel:DWORD src1_sel:WORD_1
	v_add_f16_e32 v42, v41, v40
	v_lshl_add_u64 v[40:41], v[32:33], 1, v[20:21]
	global_store_short v[40:41], v42, off
	s_or_b64 exec, exec, s[26:27]
	s_and_b64 s[30:31], s[12:13], s[18:19]
	s_and_saveexec_b64 s[26:27], s[30:31]
	s_cbranch_execz .LBB285_120
.LBB285_142:
	s_and_b64 vcc, exec, s[0:1]
	s_cbranch_vccnz .LBB285_144
; %bb.143:
	v_lshl_add_u64 v[40:41], v[34:35], 1, v[22:23]
	global_load_ushort v40, v[40:41], off
	s_waitcnt vmcnt(0)
	v_mul_f16_e32 v40, v44, v40
	s_branch .LBB285_145
.LBB285_144:
	v_mov_b32_e32 v40, 0
.LBB285_145:
	v_pk_max_f16 v41, v4, v4
	v_pk_max_f16 v42, v10, v10
	;; [unrolled: 1-line block ×3, first 2 shown]
	v_pk_min_f16 v41, v42, v41
	v_pk_max_f16 v42, v5, v5
	v_pk_add_f16 v41, v55, v41
	v_pk_min_f16 v42, v43, v42
	s_nop 0
	v_pk_add_f16 v41, v41, v42
	s_nop 0
	v_add_f16_sdwa v41, v41, v41 dst_sel:DWORD dst_unused:UNUSED_PAD src0_sel:DWORD src1_sel:WORD_1
	v_add_f16_e32 v42, v41, v40
	v_lshl_add_u64 v[40:41], v[34:35], 1, v[20:21]
	global_store_short v[40:41], v42, off
	s_or_b64 exec, exec, s[26:27]
	s_and_b64 s[30:31], s[14:15], s[18:19]
	s_and_saveexec_b64 s[26:27], s[30:31]
	s_cbranch_execz .LBB285_121
.LBB285_146:
	s_and_b64 vcc, exec, s[0:1]
	s_cbranch_vccnz .LBB285_148
; %bb.147:
	v_lshl_add_u64 v[40:41], v[36:37], 1, v[22:23]
	global_load_ushort v40, v[40:41], off
	s_waitcnt vmcnt(0)
	v_mul_f16_e32 v40, v44, v40
	s_branch .LBB285_149
.LBB285_148:
	v_mov_b32_e32 v40, 0
.LBB285_149:
	v_pk_max_f16 v41, v4, v4
	v_pk_max_f16 v42, v0, v0
	;; [unrolled: 1-line block ×3, first 2 shown]
	v_pk_min_f16 v41, v42, v41
	v_pk_max_f16 v42, v5, v5
	v_pk_add_f16 v41, v54, v41
	v_pk_min_f16 v42, v43, v42
	s_nop 0
	v_pk_add_f16 v41, v41, v42
	s_nop 0
	v_add_f16_sdwa v41, v41, v41 dst_sel:DWORD dst_unused:UNUSED_PAD src0_sel:DWORD src1_sel:WORD_1
	v_add_f16_e32 v42, v41, v40
	v_lshl_add_u64 v[40:41], v[36:37], 1, v[20:21]
	global_store_short v[40:41], v42, off
	s_or_b64 exec, exec, s[26:27]
	s_and_b64 s[26:27], s[16:17], s[18:19]
	s_and_saveexec_b64 s[18:19], s[26:27]
	s_cbranch_execz .LBB285_154
.LBB285_150:
	s_and_b64 vcc, exec, s[0:1]
	s_cbranch_vccnz .LBB285_152
; %bb.151:
	v_lshl_add_u64 v[22:23], v[38:39], 1, v[22:23]
	global_load_ushort v22, v[22:23], off
	s_waitcnt vmcnt(0)
	v_mul_f16_e32 v22, v44, v22
	s_branch .LBB285_153
.LBB285_152:
	v_mov_b32_e32 v22, 0
.LBB285_153:
	v_pk_max_f16 v4, v4, v4
	v_pk_max_f16 v23, v2, v2
	;; [unrolled: 1-line block ×3, first 2 shown]
	v_pk_min_f16 v4, v23, v4
	v_pk_max_f16 v23, v3, v3
	v_pk_add_f16 v4, v53, v4
	v_pk_min_f16 v5, v23, v5
	s_nop 0
	v_pk_add_f16 v4, v4, v5
	s_nop 0
	v_add_f16_sdwa v4, v4, v4 dst_sel:DWORD dst_unused:UNUSED_PAD src0_sel:DWORD src1_sel:WORD_1
	v_add_f16_e32 v22, v4, v22
	v_lshl_add_u64 v[4:5], v[38:39], 1, v[20:21]
	global_store_short v[4:5], v22, off
.LBB285_154:
	s_or_b64 exec, exec, s[18:19]
	v_add_u32_e32 v22, 0x60, v70
	v_cmp_gt_i32_e64 s[18:19], s21, v22
	v_mad_i64_i32 v[4:5], s[20:21], v22, s29, 0
	v_lshl_add_u64 v[20:21], v[4:5], 1, s[24:25]
	v_mad_i64_i32 v[4:5], s[20:21], v22, s28, 0
	v_lshl_add_u64 v[4:5], v[4:5], 1, s[22:23]
	s_and_b64 s[20:21], s[4:5], s[18:19]
	s_and_saveexec_b64 s[4:5], s[20:21]
	s_cbranch_execnz .LBB285_163
; %bb.155:
	s_or_b64 exec, exec, s[4:5]
	s_and_b64 s[4:5], s[2:3], s[18:19]
	s_and_saveexec_b64 s[2:3], s[4:5]
	s_cbranch_execnz .LBB285_167
.LBB285_156:
	s_or_b64 exec, exec, s[2:3]
	s_and_b64 s[4:5], s[6:7], s[18:19]
	s_and_saveexec_b64 s[2:3], s[4:5]
	s_cbranch_execnz .LBB285_171
.LBB285_157:
	s_or_b64 exec, exec, s[2:3]
	s_and_b64 s[4:5], s[8:9], s[18:19]
	s_and_saveexec_b64 s[2:3], s[4:5]
	s_cbranch_execnz .LBB285_175
.LBB285_158:
	s_or_b64 exec, exec, s[2:3]
	s_and_b64 s[4:5], s[10:11], s[18:19]
	s_and_saveexec_b64 s[2:3], s[4:5]
	s_cbranch_execnz .LBB285_179
.LBB285_159:
	s_or_b64 exec, exec, s[2:3]
	s_and_b64 s[4:5], s[12:13], s[18:19]
	s_and_saveexec_b64 s[2:3], s[4:5]
	s_cbranch_execnz .LBB285_183
.LBB285_160:
	s_or_b64 exec, exec, s[2:3]
	s_and_b64 s[4:5], s[14:15], s[18:19]
	s_and_saveexec_b64 s[2:3], s[4:5]
	s_cbranch_execnz .LBB285_187
.LBB285_161:
	s_or_b64 exec, exec, s[2:3]
	s_and_b64 s[2:3], s[16:17], s[18:19]
	s_and_saveexec_b64 s[4:5], s[2:3]
	s_cbranch_execnz .LBB285_191
.LBB285_162:
	s_endpgm
.LBB285_163:
	s_and_b64 vcc, exec, s[0:1]
	s_cbranch_vccnz .LBB285_165
; %bb.164:
	v_lshl_add_u64 v[22:23], v[24:25], 1, v[20:21]
	global_load_ushort v22, v[22:23], off
	s_waitcnt vmcnt(0)
	v_mul_f16_e32 v22, v44, v22
	s_branch .LBB285_166
.LBB285_165:
	v_mov_b32_e32 v22, 0
.LBB285_166:
	v_pk_max_f16 v23, v6, v6
	v_pk_max_f16 v16, v16, v16
	;; [unrolled: 1-line block ×3, first 2 shown]
	v_pk_min_f16 v16, v16, v23
	v_pk_max_f16 v23, v7, v7
	v_pk_add_f16 v16, v52, v16
	v_pk_min_f16 v17, v17, v23
	s_nop 0
	v_pk_add_f16 v16, v16, v17
	s_nop 0
	v_add_f16_sdwa v16, v16, v16 dst_sel:DWORD dst_unused:UNUSED_PAD src0_sel:DWORD src1_sel:WORD_1
	v_add_f16_e32 v22, v16, v22
	v_lshl_add_u64 v[16:17], v[24:25], 1, v[4:5]
	global_store_short v[16:17], v22, off
	s_or_b64 exec, exec, s[4:5]
	s_and_b64 s[4:5], s[2:3], s[18:19]
	s_and_saveexec_b64 s[2:3], s[4:5]
	s_cbranch_execz .LBB285_156
.LBB285_167:
	s_and_b64 vcc, exec, s[0:1]
	s_cbranch_vccnz .LBB285_169
; %bb.168:
	v_lshl_add_u64 v[16:17], v[26:27], 1, v[20:21]
	global_load_ushort v16, v[16:17], off
	s_waitcnt vmcnt(0)
	v_mul_f16_e32 v16, v44, v16
	s_branch .LBB285_170
.LBB285_169:
	v_mov_b32_e32 v16, 0
.LBB285_170:
	v_pk_max_f16 v17, v6, v6
	v_pk_max_f16 v18, v18, v18
	;; [unrolled: 1-line block ×3, first 2 shown]
	v_pk_min_f16 v17, v18, v17
	v_pk_max_f16 v18, v7, v7
	v_pk_add_f16 v17, v51, v17
	v_pk_min_f16 v18, v19, v18
	s_nop 0
	v_pk_add_f16 v17, v17, v18
	s_nop 0
	v_add_f16_sdwa v17, v17, v17 dst_sel:DWORD dst_unused:UNUSED_PAD src0_sel:DWORD src1_sel:WORD_1
	v_add_f16_e32 v18, v17, v16
	v_lshl_add_u64 v[16:17], v[26:27], 1, v[4:5]
	global_store_short v[16:17], v18, off
	s_or_b64 exec, exec, s[2:3]
	s_and_b64 s[4:5], s[6:7], s[18:19]
	s_and_saveexec_b64 s[2:3], s[4:5]
	s_cbranch_execz .LBB285_157
.LBB285_171:
	s_and_b64 vcc, exec, s[0:1]
	s_cbranch_vccnz .LBB285_173
; %bb.172:
	v_lshl_add_u64 v[16:17], v[28:29], 1, v[20:21]
	global_load_ushort v16, v[16:17], off
	s_waitcnt vmcnt(0)
	v_mul_f16_e32 v16, v44, v16
	s_branch .LBB285_174
.LBB285_173:
	v_mov_b32_e32 v16, 0
.LBB285_174:
	v_pk_max_f16 v17, v6, v6
	v_pk_max_f16 v12, v12, v12
	;; [unrolled: 1-line block ×3, first 2 shown]
	v_pk_min_f16 v12, v12, v17
	v_pk_max_f16 v17, v7, v7
	v_pk_add_f16 v12, v50, v12
	v_pk_min_f16 v13, v13, v17
	s_nop 0
	v_pk_add_f16 v12, v12, v13
	s_nop 0
	v_add_f16_sdwa v12, v12, v12 dst_sel:DWORD dst_unused:UNUSED_PAD src0_sel:DWORD src1_sel:WORD_1
	v_add_f16_e32 v16, v12, v16
	v_lshl_add_u64 v[12:13], v[28:29], 1, v[4:5]
	global_store_short v[12:13], v16, off
	s_or_b64 exec, exec, s[2:3]
	s_and_b64 s[4:5], s[8:9], s[18:19]
	s_and_saveexec_b64 s[2:3], s[4:5]
	s_cbranch_execz .LBB285_158
.LBB285_175:
	s_and_b64 vcc, exec, s[0:1]
	s_cbranch_vccnz .LBB285_177
; %bb.176:
	v_lshl_add_u64 v[12:13], v[30:31], 1, v[20:21]
	global_load_ushort v12, v[12:13], off
	s_waitcnt vmcnt(0)
	v_mul_f16_e32 v12, v44, v12
	s_branch .LBB285_178
.LBB285_177:
	v_mov_b32_e32 v12, 0
.LBB285_178:
	v_pk_max_f16 v13, v6, v6
	v_pk_max_f16 v14, v14, v14
	;; [unrolled: 1-line block ×3, first 2 shown]
	v_pk_min_f16 v13, v14, v13
	v_pk_max_f16 v14, v7, v7
	v_pk_add_f16 v13, v49, v13
	v_pk_min_f16 v14, v15, v14
	s_nop 0
	v_pk_add_f16 v13, v13, v14
	s_nop 0
	v_add_f16_sdwa v13, v13, v13 dst_sel:DWORD dst_unused:UNUSED_PAD src0_sel:DWORD src1_sel:WORD_1
	v_add_f16_e32 v14, v13, v12
	v_lshl_add_u64 v[12:13], v[30:31], 1, v[4:5]
	global_store_short v[12:13], v14, off
	s_or_b64 exec, exec, s[2:3]
	s_and_b64 s[4:5], s[10:11], s[18:19]
	s_and_saveexec_b64 s[2:3], s[4:5]
	s_cbranch_execz .LBB285_159
.LBB285_179:
	s_and_b64 vcc, exec, s[0:1]
	s_cbranch_vccnz .LBB285_181
; %bb.180:
	v_lshl_add_u64 v[12:13], v[32:33], 1, v[20:21]
	global_load_ushort v12, v[12:13], off
	s_waitcnt vmcnt(0)
	v_mul_f16_e32 v12, v44, v12
	s_branch .LBB285_182
.LBB285_181:
	v_mov_b32_e32 v12, 0
.LBB285_182:
	v_pk_max_f16 v13, v6, v6
	v_pk_max_f16 v8, v8, v8
	;; [unrolled: 1-line block ×3, first 2 shown]
	v_pk_min_f16 v8, v8, v13
	v_pk_max_f16 v13, v7, v7
	v_pk_add_f16 v8, v48, v8
	v_pk_min_f16 v9, v9, v13
	s_nop 0
	v_pk_add_f16 v8, v8, v9
	s_nop 0
	v_add_f16_sdwa v8, v8, v8 dst_sel:DWORD dst_unused:UNUSED_PAD src0_sel:DWORD src1_sel:WORD_1
	v_add_f16_e32 v12, v8, v12
	v_lshl_add_u64 v[8:9], v[32:33], 1, v[4:5]
	global_store_short v[8:9], v12, off
	s_or_b64 exec, exec, s[2:3]
	s_and_b64 s[4:5], s[12:13], s[18:19]
	s_and_saveexec_b64 s[2:3], s[4:5]
	s_cbranch_execz .LBB285_160
.LBB285_183:
	s_and_b64 vcc, exec, s[0:1]
	s_cbranch_vccnz .LBB285_185
; %bb.184:
	v_lshl_add_u64 v[8:9], v[34:35], 1, v[20:21]
	global_load_ushort v8, v[8:9], off
	s_waitcnt vmcnt(0)
	v_mul_f16_e32 v8, v44, v8
	s_branch .LBB285_186
.LBB285_185:
	v_mov_b32_e32 v8, 0
.LBB285_186:
	v_pk_max_f16 v9, v6, v6
	v_pk_max_f16 v10, v10, v10
	v_pk_max_f16 v11, v11, v11
	v_pk_min_f16 v9, v10, v9
	v_pk_max_f16 v10, v7, v7
	v_pk_add_f16 v9, v47, v9
	v_pk_min_f16 v10, v11, v10
	s_nop 0
	v_pk_add_f16 v9, v9, v10
	s_nop 0
	v_add_f16_sdwa v9, v9, v9 dst_sel:DWORD dst_unused:UNUSED_PAD src0_sel:DWORD src1_sel:WORD_1
	v_add_f16_e32 v10, v9, v8
	v_lshl_add_u64 v[8:9], v[34:35], 1, v[4:5]
	global_store_short v[8:9], v10, off
	s_or_b64 exec, exec, s[2:3]
	s_and_b64 s[4:5], s[14:15], s[18:19]
	s_and_saveexec_b64 s[2:3], s[4:5]
	s_cbranch_execz .LBB285_161
.LBB285_187:
	s_and_b64 vcc, exec, s[0:1]
	s_cbranch_vccnz .LBB285_189
; %bb.188:
	v_lshl_add_u64 v[8:9], v[36:37], 1, v[20:21]
	global_load_ushort v8, v[8:9], off
	s_waitcnt vmcnt(0)
	v_mul_f16_e32 v8, v44, v8
	s_branch .LBB285_190
.LBB285_189:
	v_mov_b32_e32 v8, 0
.LBB285_190:
	v_pk_max_f16 v9, v6, v6
	v_pk_max_f16 v0, v0, v0
	;; [unrolled: 1-line block ×3, first 2 shown]
	v_pk_min_f16 v0, v0, v9
	v_pk_max_f16 v9, v7, v7
	v_pk_add_f16 v0, v46, v0
	v_pk_min_f16 v1, v1, v9
	s_nop 0
	v_pk_add_f16 v0, v0, v1
	s_nop 0
	v_add_f16_sdwa v0, v0, v0 dst_sel:DWORD dst_unused:UNUSED_PAD src0_sel:DWORD src1_sel:WORD_1
	v_add_f16_e32 v8, v0, v8
	v_lshl_add_u64 v[0:1], v[36:37], 1, v[4:5]
	global_store_short v[0:1], v8, off
	s_or_b64 exec, exec, s[2:3]
	s_and_b64 s[2:3], s[16:17], s[18:19]
	s_and_saveexec_b64 s[4:5], s[2:3]
	s_cbranch_execz .LBB285_162
.LBB285_191:
	s_and_b64 vcc, exec, s[0:1]
	s_cbranch_vccnz .LBB285_193
; %bb.192:
	v_lshl_add_u64 v[0:1], v[38:39], 1, v[20:21]
	global_load_ushort v0, v[0:1], off
	s_waitcnt vmcnt(0)
	v_mul_f16_e32 v0, v44, v0
	s_branch .LBB285_194
.LBB285_193:
	v_mov_b32_e32 v0, 0
.LBB285_194:
	v_pk_max_f16 v1, v6, v6
	v_pk_max_f16 v2, v2, v2
	;; [unrolled: 1-line block ×3, first 2 shown]
	v_pk_min_f16 v1, v2, v1
	v_pk_max_f16 v2, v7, v7
	v_pk_add_f16 v1, v45, v1
	v_pk_min_f16 v2, v3, v2
	s_nop 0
	v_pk_add_f16 v1, v1, v2
	s_nop 0
	v_add_f16_sdwa v1, v1, v1 dst_sel:DWORD dst_unused:UNUSED_PAD src0_sel:DWORD src1_sel:WORD_1
	v_add_f16_e32 v2, v1, v0
	v_lshl_add_u64 v[0:1], v[38:39], 1, v[4:5]
	global_store_short v[0:1], v2, off
	s_endpgm
	.section	.rodata,"a",@progbits
	.p2align	6, 0x0
	.amdhsa_kernel _ZN12_GLOBAL__N_120geam_min_plus_kernelIDF16_Dv2_DF16_S1_Li8ELi32ELi64ELi128ELi4ELi64ELi4ELi4ELi64ELc78ELc78ELb0ELb1ELb0EPKDF16_S2_DF16_EEviiiT16_PT17_ilS6_ilS4_S6_ilPT18_ili26rocblas_geam_ex_operation_
		.amdhsa_group_segment_fixed_size 3072
		.amdhsa_private_segment_fixed_size 0
		.amdhsa_kernarg_size 136
		.amdhsa_user_sgpr_count 2
		.amdhsa_user_sgpr_dispatch_ptr 0
		.amdhsa_user_sgpr_queue_ptr 0
		.amdhsa_user_sgpr_kernarg_segment_ptr 1
		.amdhsa_user_sgpr_dispatch_id 0
		.amdhsa_user_sgpr_kernarg_preload_length 0
		.amdhsa_user_sgpr_kernarg_preload_offset 0
		.amdhsa_user_sgpr_private_segment_size 0
		.amdhsa_uses_dynamic_stack 0
		.amdhsa_enable_private_segment 0
		.amdhsa_system_sgpr_workgroup_id_x 1
		.amdhsa_system_sgpr_workgroup_id_y 0
		.amdhsa_system_sgpr_workgroup_id_z 1
		.amdhsa_system_sgpr_workgroup_info 0
		.amdhsa_system_vgpr_workitem_id 1
		.amdhsa_next_free_vgpr 126
		.amdhsa_next_free_sgpr 38
		.amdhsa_accum_offset 128
		.amdhsa_reserve_vcc 1
		.amdhsa_float_round_mode_32 0
		.amdhsa_float_round_mode_16_64 0
		.amdhsa_float_denorm_mode_32 3
		.amdhsa_float_denorm_mode_16_64 3
		.amdhsa_dx10_clamp 1
		.amdhsa_ieee_mode 1
		.amdhsa_fp16_overflow 0
		.amdhsa_tg_split 0
		.amdhsa_exception_fp_ieee_invalid_op 0
		.amdhsa_exception_fp_denorm_src 0
		.amdhsa_exception_fp_ieee_div_zero 0
		.amdhsa_exception_fp_ieee_overflow 0
		.amdhsa_exception_fp_ieee_underflow 0
		.amdhsa_exception_fp_ieee_inexact 0
		.amdhsa_exception_int_div_zero 0
	.end_amdhsa_kernel
	.section	.text._ZN12_GLOBAL__N_120geam_min_plus_kernelIDF16_Dv2_DF16_S1_Li8ELi32ELi64ELi128ELi4ELi64ELi4ELi4ELi64ELc78ELc78ELb0ELb1ELb0EPKDF16_S2_DF16_EEviiiT16_PT17_ilS6_ilS4_S6_ilPT18_ili26rocblas_geam_ex_operation_,"axG",@progbits,_ZN12_GLOBAL__N_120geam_min_plus_kernelIDF16_Dv2_DF16_S1_Li8ELi32ELi64ELi128ELi4ELi64ELi4ELi4ELi64ELc78ELc78ELb0ELb1ELb0EPKDF16_S2_DF16_EEviiiT16_PT17_ilS6_ilS4_S6_ilPT18_ili26rocblas_geam_ex_operation_,comdat
.Lfunc_end285:
	.size	_ZN12_GLOBAL__N_120geam_min_plus_kernelIDF16_Dv2_DF16_S1_Li8ELi32ELi64ELi128ELi4ELi64ELi4ELi4ELi64ELc78ELc78ELb0ELb1ELb0EPKDF16_S2_DF16_EEviiiT16_PT17_ilS6_ilS4_S6_ilPT18_ili26rocblas_geam_ex_operation_, .Lfunc_end285-_ZN12_GLOBAL__N_120geam_min_plus_kernelIDF16_Dv2_DF16_S1_Li8ELi32ELi64ELi128ELi4ELi64ELi4ELi4ELi64ELc78ELc78ELb0ELb1ELb0EPKDF16_S2_DF16_EEviiiT16_PT17_ilS6_ilS4_S6_ilPT18_ili26rocblas_geam_ex_operation_
                                        ; -- End function
	.set _ZN12_GLOBAL__N_120geam_min_plus_kernelIDF16_Dv2_DF16_S1_Li8ELi32ELi64ELi128ELi4ELi64ELi4ELi4ELi64ELc78ELc78ELb0ELb1ELb0EPKDF16_S2_DF16_EEviiiT16_PT17_ilS6_ilS4_S6_ilPT18_ili26rocblas_geam_ex_operation_.num_vgpr, 126
	.set _ZN12_GLOBAL__N_120geam_min_plus_kernelIDF16_Dv2_DF16_S1_Li8ELi32ELi64ELi128ELi4ELi64ELi4ELi4ELi64ELc78ELc78ELb0ELb1ELb0EPKDF16_S2_DF16_EEviiiT16_PT17_ilS6_ilS4_S6_ilPT18_ili26rocblas_geam_ex_operation_.num_agpr, 0
	.set _ZN12_GLOBAL__N_120geam_min_plus_kernelIDF16_Dv2_DF16_S1_Li8ELi32ELi64ELi128ELi4ELi64ELi4ELi4ELi64ELc78ELc78ELb0ELb1ELb0EPKDF16_S2_DF16_EEviiiT16_PT17_ilS6_ilS4_S6_ilPT18_ili26rocblas_geam_ex_operation_.numbered_sgpr, 38
	.set _ZN12_GLOBAL__N_120geam_min_plus_kernelIDF16_Dv2_DF16_S1_Li8ELi32ELi64ELi128ELi4ELi64ELi4ELi4ELi64ELc78ELc78ELb0ELb1ELb0EPKDF16_S2_DF16_EEviiiT16_PT17_ilS6_ilS4_S6_ilPT18_ili26rocblas_geam_ex_operation_.num_named_barrier, 0
	.set _ZN12_GLOBAL__N_120geam_min_plus_kernelIDF16_Dv2_DF16_S1_Li8ELi32ELi64ELi128ELi4ELi64ELi4ELi4ELi64ELc78ELc78ELb0ELb1ELb0EPKDF16_S2_DF16_EEviiiT16_PT17_ilS6_ilS4_S6_ilPT18_ili26rocblas_geam_ex_operation_.private_seg_size, 0
	.set _ZN12_GLOBAL__N_120geam_min_plus_kernelIDF16_Dv2_DF16_S1_Li8ELi32ELi64ELi128ELi4ELi64ELi4ELi4ELi64ELc78ELc78ELb0ELb1ELb0EPKDF16_S2_DF16_EEviiiT16_PT17_ilS6_ilS4_S6_ilPT18_ili26rocblas_geam_ex_operation_.uses_vcc, 1
	.set _ZN12_GLOBAL__N_120geam_min_plus_kernelIDF16_Dv2_DF16_S1_Li8ELi32ELi64ELi128ELi4ELi64ELi4ELi4ELi64ELc78ELc78ELb0ELb1ELb0EPKDF16_S2_DF16_EEviiiT16_PT17_ilS6_ilS4_S6_ilPT18_ili26rocblas_geam_ex_operation_.uses_flat_scratch, 0
	.set _ZN12_GLOBAL__N_120geam_min_plus_kernelIDF16_Dv2_DF16_S1_Li8ELi32ELi64ELi128ELi4ELi64ELi4ELi4ELi64ELc78ELc78ELb0ELb1ELb0EPKDF16_S2_DF16_EEviiiT16_PT17_ilS6_ilS4_S6_ilPT18_ili26rocblas_geam_ex_operation_.has_dyn_sized_stack, 0
	.set _ZN12_GLOBAL__N_120geam_min_plus_kernelIDF16_Dv2_DF16_S1_Li8ELi32ELi64ELi128ELi4ELi64ELi4ELi4ELi64ELc78ELc78ELb0ELb1ELb0EPKDF16_S2_DF16_EEviiiT16_PT17_ilS6_ilS4_S6_ilPT18_ili26rocblas_geam_ex_operation_.has_recursion, 0
	.set _ZN12_GLOBAL__N_120geam_min_plus_kernelIDF16_Dv2_DF16_S1_Li8ELi32ELi64ELi128ELi4ELi64ELi4ELi4ELi64ELc78ELc78ELb0ELb1ELb0EPKDF16_S2_DF16_EEviiiT16_PT17_ilS6_ilS4_S6_ilPT18_ili26rocblas_geam_ex_operation_.has_indirect_call, 0
	.section	.AMDGPU.csdata,"",@progbits
; Kernel info:
; codeLenInByte = 11316
; TotalNumSgprs: 44
; NumVgprs: 126
; NumAgprs: 0
; TotalNumVgprs: 126
; ScratchSize: 0
; MemoryBound: 0
; FloatMode: 240
; IeeeMode: 1
; LDSByteSize: 3072 bytes/workgroup (compile time only)
; SGPRBlocks: 5
; VGPRBlocks: 15
; NumSGPRsForWavesPerEU: 44
; NumVGPRsForWavesPerEU: 126
; AccumOffset: 128
; Occupancy: 4
; WaveLimiterHint : 0
; COMPUTE_PGM_RSRC2:SCRATCH_EN: 0
; COMPUTE_PGM_RSRC2:USER_SGPR: 2
; COMPUTE_PGM_RSRC2:TRAP_HANDLER: 0
; COMPUTE_PGM_RSRC2:TGID_X_EN: 1
; COMPUTE_PGM_RSRC2:TGID_Y_EN: 0
; COMPUTE_PGM_RSRC2:TGID_Z_EN: 1
; COMPUTE_PGM_RSRC2:TIDIG_COMP_CNT: 1
; COMPUTE_PGM_RSRC3_GFX90A:ACCUM_OFFSET: 31
; COMPUTE_PGM_RSRC3_GFX90A:TG_SPLIT: 0
	.section	.text._ZN12_GLOBAL__N_120geam_min_plus_kernelIDF16_Dv2_DF16_S1_Li8ELi32ELi64ELi128ELi4ELi64ELi4ELi4ELi64ELc78ELc78ELb1ELb1ELb0EDF16_KDF16_DF16_EEviiiT16_PT17_ilS5_ilS3_S5_ilPT18_ili26rocblas_geam_ex_operation_,"axG",@progbits,_ZN12_GLOBAL__N_120geam_min_plus_kernelIDF16_Dv2_DF16_S1_Li8ELi32ELi64ELi128ELi4ELi64ELi4ELi4ELi64ELc78ELc78ELb1ELb1ELb0EDF16_KDF16_DF16_EEviiiT16_PT17_ilS5_ilS3_S5_ilPT18_ili26rocblas_geam_ex_operation_,comdat
	.globl	_ZN12_GLOBAL__N_120geam_min_plus_kernelIDF16_Dv2_DF16_S1_Li8ELi32ELi64ELi128ELi4ELi64ELi4ELi4ELi64ELc78ELc78ELb1ELb1ELb0EDF16_KDF16_DF16_EEviiiT16_PT17_ilS5_ilS3_S5_ilPT18_ili26rocblas_geam_ex_operation_ ; -- Begin function _ZN12_GLOBAL__N_120geam_min_plus_kernelIDF16_Dv2_DF16_S1_Li8ELi32ELi64ELi128ELi4ELi64ELi4ELi4ELi64ELc78ELc78ELb1ELb1ELb0EDF16_KDF16_DF16_EEviiiT16_PT17_ilS5_ilS3_S5_ilPT18_ili26rocblas_geam_ex_operation_
	.p2align	8
	.type	_ZN12_GLOBAL__N_120geam_min_plus_kernelIDF16_Dv2_DF16_S1_Li8ELi32ELi64ELi128ELi4ELi64ELi4ELi4ELi64ELc78ELc78ELb1ELb1ELb0EDF16_KDF16_DF16_EEviiiT16_PT17_ilS5_ilS3_S5_ilPT18_ili26rocblas_geam_ex_operation_,@function
_ZN12_GLOBAL__N_120geam_min_plus_kernelIDF16_Dv2_DF16_S1_Li8ELi32ELi64ELi128ELi4ELi64ELi4ELi4ELi64ELc78ELc78ELb1ELb1ELb0EDF16_KDF16_DF16_EEviiiT16_PT17_ilS5_ilS3_S5_ilPT18_ili26rocblas_geam_ex_operation_: ; @_ZN12_GLOBAL__N_120geam_min_plus_kernelIDF16_Dv2_DF16_S1_Li8ELi32ELi64ELi128ELi4ELi64ELi4ELi4ELi64ELc78ELc78ELb1ELb1ELb0EDF16_KDF16_DF16_EEviiiT16_PT17_ilS5_ilS3_S5_ilPT18_ili26rocblas_geam_ex_operation_
; %bb.0:
	s_load_dwordx4 s[20:23], s[0:1], 0x0
	s_load_dwordx4 s[4:7], s[0:1], 0x20
	s_waitcnt lgkmcnt(0)
	v_cmp_eq_f16_e64 s[8:9], s23, 0
	s_and_b64 vcc, exec, s[8:9]
	s_cbranch_vccnz .LBB286_37
; %bb.1:
	s_load_dwordx2 s[10:11], s[0:1], 0x10
	s_mul_i32 s5, s5, s3
	s_mul_hi_u32 s12, s4, s3
	s_add_i32 s5, s12, s5
	s_mul_i32 s4, s4, s3
	s_lshl_b64 s[4:5], s[4:5], 1
	s_waitcnt lgkmcnt(0)
	s_add_u32 s16, s10, s4
	s_addc_u32 s17, s11, s5
	s_andn2_b64 vcc, exec, s[8:9]
	s_mov_b64 s[4:5], -1
	s_cbranch_vccnz .LBB286_3
.LBB286_2:
	s_mov_b64 s[4:5], 0
.LBB286_3:
	s_mov_b64 s[24:25], 0
	s_andn2_b64 vcc, exec, s[4:5]
	s_mov_b64 s[18:19], 0
	s_cbranch_vccnz .LBB286_5
; %bb.4:
	s_load_dwordx2 s[4:5], s[0:1], 0x38
	s_waitcnt lgkmcnt(0)
	s_mul_i32 s5, s5, s3
	s_mul_hi_u32 s8, s4, s3
	s_add_i32 s5, s8, s5
	s_mul_i32 s4, s4, s3
	s_lshl_b64 s[4:5], s[4:5], 1
	s_add_u32 s18, s6, s4
	s_addc_u32 s19, s7, s5
.LBB286_5:
	s_load_dword s28, s[0:1], 0x40
	s_load_dwordx4 s[8:11], s[0:1], 0x58
	s_waitcnt lgkmcnt(0)
	v_cmp_eq_f16_e64 s[4:5], s28, 0
	v_cmp_neq_f16_e64 s[12:13], s28, 0
	s_and_b64 vcc, exec, s[4:5]
	s_cbranch_vccnz .LBB286_7
; %bb.6:
	s_load_dwordx2 s[4:5], s[0:1], 0x48
	s_mul_i32 s6, s9, s3
	s_mul_hi_u32 s7, s8, s3
	s_add_i32 s7, s7, s6
	s_mul_i32 s6, s8, s3
	s_lshl_b64 s[6:7], s[6:7], 1
	s_waitcnt lgkmcnt(0)
	s_add_u32 s24, s4, s6
	s_addc_u32 s25, s5, s7
.LBB286_7:
	s_add_i32 s4, s20, -1
	s_ashr_i32 s5, s4, 31
	s_lshr_b32 s5, s5, 26
	s_add_i32 s4, s4, s5
	s_ashr_i32 s4, s4, 6
	s_add_i32 s5, s4, 1
	v_cvt_f32_u32_e32 v1, s5
	v_and_b32_e32 v40, 0x3ff, v0
	v_bfe_u32 v41, v0, 10, 10
	s_not_b32 s4, s4
	v_rcp_iflag_f32_e32 v1, v1
	s_load_dword s26, s[0:1], 0x18
	v_lshl_add_u32 v2, v41, 3, v40
	v_and_b32_e32 v6, 63, v2
	v_mul_f32_e32 v0, 0x4f7ffffe, v1
	v_cvt_u32_f32_e32 v0, v0
	s_waitcnt lgkmcnt(0)
	s_ashr_i32 s27, s26, 31
	v_lshrrev_b32_e32 v42, 6, v2
	v_mov_b32_e32 v25, 0
	v_readfirstlane_b32 s6, v0
	s_mul_i32 s4, s4, s6
	s_mul_hi_u32 s4, s6, s4
	s_add_i32 s6, s6, s4
	s_mul_hi_u32 s4, s2, s6
	s_mul_i32 s6, s4, s5
	s_sub_i32 s6, s2, s6
	s_add_i32 s7, s4, 1
	s_sub_i32 s8, s6, s5
	s_cmp_ge_u32 s6, s5
	s_cselect_b32 s4, s7, s4
	s_cselect_b32 s6, s8, s6
	s_add_i32 s7, s4, 1
	s_cmp_ge_u32 s6, s5
	s_cselect_b32 s8, s7, s4
	s_mul_i32 s4, s8, s5
	s_sub_i32 s2, s2, s4
	s_lshl_b32 s2, s2, 6
	v_or_b32_e32 v0, s2, v6
	v_cmp_gt_i32_e32 vcc, s20, v0
	v_cmp_gt_i32_e64 s[6:7], s22, v42
	v_cmp_le_i32_e64 s[4:5], s20, v0
	s_and_b64 s[14:15], s[6:7], vcc
	v_ashrrev_i32_e32 v1, 31, v0
	v_mov_b32_e32 v11, 0
	s_and_saveexec_b64 s[6:7], s[14:15]
	s_cbranch_execz .LBB286_9
; %bb.8:
	v_mad_i64_i32 v[4:5], s[14:15], s26, v42, 0
	v_lshl_add_u64 v[4:5], v[4:5], 1, s[16:17]
	v_lshl_add_u64 v[4:5], v[0:1], 1, v[4:5]
	global_load_ushort v11, v[4:5], off
.LBB286_9:
	s_or_b64 exec, exec, s[6:7]
	s_load_dword s31, s[0:1], 0x30
	v_lshrrev_b32_e32 v7, 2, v2
	s_lshl_b32 s29, s8, 7
	v_and_b32_e32 v70, 3, v40
	v_add_u32_e32 v4, s29, v7
	v_cmp_le_i32_e64 s[6:7], s22, v70
	v_lshlrev_b32_e32 v24, 1, v70
	v_cmp_le_i32_e32 vcc, s21, v4
	v_lshl_add_u64 v[2:3], s[18:19], 0, v[24:25]
	s_nor_b64 s[14:15], s[6:7], vcc
	s_and_saveexec_b64 s[8:9], s[14:15]
	s_cbranch_execz .LBB286_11
; %bb.10:
	s_waitcnt lgkmcnt(0)
	v_mad_i64_i32 v[8:9], s[14:15], v4, s31, 0
	v_lshl_add_u64 v[8:9], v[8:9], 1, v[2:3]
	global_load_ushort v25, v[8:9], off
.LBB286_11:
	s_or_b64 exec, exec, s[8:9]
	v_add_u32_e32 v5, 64, v4
	v_cmp_le_i32_e64 s[8:9], s21, v5
	s_nor_b64 s[14:15], s[6:7], s[8:9]
	v_mov_b32_e32 v9, 0
	v_mov_b32_e32 v12, 0
	s_and_saveexec_b64 s[6:7], s[14:15]
	s_cbranch_execz .LBB286_13
; %bb.12:
	s_waitcnt lgkmcnt(0)
	v_mad_i64_i32 v[12:13], s[14:15], v5, s31, 0
	v_lshl_add_u64 v[12:13], v[12:13], 1, v[2:3]
	global_load_ushort v12, v[12:13], off
.LBB286_13:
	s_or_b64 exec, exec, s[6:7]
	v_add_u32_e32 v8, 4, v42
	v_cmp_gt_i32_e64 s[6:7], s22, v8
	s_xor_b64 s[14:15], s[4:5], -1
	s_and_b64 s[6:7], s[14:15], s[6:7]
	s_and_saveexec_b64 s[4:5], s[6:7]
	s_cbranch_execz .LBB286_15
; %bb.14:
	v_mad_u64_u32 v[14:15], s[6:7], s26, v8, 0
	v_mov_b32_e32 v10, v15
	s_waitcnt vmcnt(0)
	v_mad_u64_u32 v[8:9], s[6:7], s27, v8, v[10:11]
	v_mov_b32_e32 v15, v8
	v_lshl_add_u64 v[8:9], v[14:15], 1, s[16:17]
	v_lshl_add_u64 v[8:9], v[0:1], 1, v[8:9]
	global_load_ushort v9, v[8:9], off
.LBB286_15:
	s_or_b64 exec, exec, s[4:5]
	v_or_b32_e32 v8, 4, v70
	v_cmp_le_i32_e64 s[4:5], s22, v8
	s_nor_b64 s[34:35], s[4:5], vcc
	v_mov_b32_e32 v8, 0
	v_mov_b32_e32 v10, 0
	s_and_saveexec_b64 s[6:7], s[34:35]
	s_cbranch_execz .LBB286_17
; %bb.16:
	s_waitcnt lgkmcnt(0)
	v_mad_i64_i32 v[14:15], s[34:35], v4, s31, 0
	v_lshl_add_u64 v[14:15], v[14:15], 1, v[2:3]
	global_load_ushort v10, v[14:15], off offset:8
.LBB286_17:
	s_or_b64 exec, exec, s[6:7]
	s_nor_b64 s[6:7], s[4:5], s[8:9]
	s_and_saveexec_b64 s[4:5], s[6:7]
	s_cbranch_execz .LBB286_19
; %bb.18:
	s_waitcnt lgkmcnt(0)
	v_mad_i64_i32 v[14:15], s[6:7], v5, s31, 0
	v_lshl_add_u64 v[2:3], v[14:15], 1, v[2:3]
	global_load_ushort v8, v[2:3], off offset:8
.LBB286_19:
	s_or_b64 exec, exec, s[4:5]
	v_lshlrev_b32_e32 v2, 3, v6
	v_lshlrev_b32_e32 v3, 3, v7
	v_lshl_add_u32 v2, v42, 1, v2
	v_lshl_or_b32 v71, v70, 1, v3
	v_lshlrev_b32_e32 v69, 3, v40
	v_lshlrev_b32_e32 v43, 3, v41
	s_waitcnt vmcnt(0)
	ds_write_b16 v2, v11 offset:2048
	ds_write_b16 v71, v25
	ds_write_b16 v71, v12 offset:512
	s_waitcnt lgkmcnt(0)
	s_barrier
	ds_read2_b64 v[12:15], v43 offset1:32
	v_add_u32_e32 v72, 0x800, v69
	ds_read2_b64 v[16:19], v72 offset0:48 offset1:56
	ds_read2_b64 v[20:23], v43 offset0:64 offset1:96
	ds_read2_b64 v[26:29], v72 offset1:8
	ds_read2_b64 v[30:33], v72 offset0:16 offset1:24
	ds_read2_b64 v[34:37], v72 offset0:32 offset1:40
	s_waitcnt lgkmcnt(5)
	v_pk_max_f16 v3, v12, v12
	s_waitcnt lgkmcnt(4)
	v_pk_max_f16 v6, v18, v18
	v_pk_max_f16 v11, v14, v14
	v_pk_min_f16 v7, v6, v3
	s_waitcnt lgkmcnt(3)
	v_pk_max_f16 v12, v20, v20
	s_waitcnt lgkmcnt(2)
	v_pk_max_f16 v14, v26, v26
	v_pk_max_f16 v22, v22, v22
	;; [unrolled: 1-line block ×3, first 2 shown]
	s_waitcnt lgkmcnt(1)
	v_pk_max_f16 v30, v30, v30
	v_pk_max_f16 v32, v32, v32
	s_waitcnt lgkmcnt(0)
	v_pk_max_f16 v34, v34, v34
	v_pk_max_f16 v13, v13, v13
	;; [unrolled: 1-line block ×5, first 2 shown]
	v_pk_min_f16 v18, v14, v3
	v_pk_min_f16 v20, v14, v11
	;; [unrolled: 1-line block ×17, first 2 shown]
	v_pk_max_f16 v15, v15, v15
	v_pk_min_f16 v55, v34, v11
	v_pk_min_f16 v56, v34, v12
	;; [unrolled: 1-line block ×14, first 2 shown]
	v_pk_add_f16 v7, v7, 0
	v_pk_min_f16 v22, v19, v13
	v_pk_max_f16 v21, v21, v21
	v_pk_add_f16 v68, v7, v22
	v_pk_add_f16 v7, v49, 0
	v_pk_min_f16 v22, v19, v15
	v_pk_max_f16 v27, v27, v27
	v_pk_add_f16 v60, v7, v22
	;; [unrolled: 4-line block ×4, first 2 shown]
	v_pk_add_f16 v7, v20, 0
	v_pk_min_f16 v18, v27, v15
	v_pk_add_f16 v20, v32, 0
	v_pk_add_f16 v67, v7, v18
	;; [unrolled: 1-line block ×3, first 2 shown]
	v_pk_min_f16 v18, v27, v21
	v_pk_max_f16 v32, v33, v33
	v_pk_add_f16 v59, v7, v18
	v_pk_add_f16 v7, v14, 0
	v_pk_min_f16 v14, v27, v23
	v_pk_min_f16 v33, v32, v13
	v_pk_add_f16 v51, v7, v14
	v_pk_add_f16 v7, v28, 0
	v_pk_min_f16 v14, v29, v13
	v_pk_add_f16 v22, v54, 0
	v_pk_add_f16 v78, v7, v14
	v_pk_add_f16 v7, v38, 0
	v_pk_min_f16 v14, v29, v15
	v_pk_add_f16 v25, v55, 0
	;; [unrolled: 4-line block ×4, first 2 shown]
	v_pk_add_f16 v50, v7, v14
	v_pk_max_f16 v14, v31, v31
	v_pk_add_f16 v7, v44, 0
	v_pk_min_f16 v18, v14, v13
	v_pk_add_f16 v28, v61, 0
	v_pk_add_f16 v77, v7, v18
	;; [unrolled: 1-line block ×3, first 2 shown]
	v_pk_min_f16 v18, v14, v15
	v_pk_add_f16 v29, v62, 0
	v_pk_add_f16 v65, v7, v18
	;; [unrolled: 1-line block ×3, first 2 shown]
	v_pk_min_f16 v18, v14, v21
	v_pk_min_f16 v14, v14, v23
	v_pk_add_f16 v57, v7, v18
	v_pk_add_f16 v7, v30, 0
	;; [unrolled: 1-line block ×7, first 2 shown]
	v_pk_min_f16 v7, v32, v15
	v_pk_add_f16 v30, v63, 0
	v_pk_add_f16 v64, v14, v7
	v_pk_min_f16 v7, v32, v21
	v_pk_add_f16 v31, v36, 0
	v_pk_add_f16 v56, v18, v7
	;; [unrolled: 3-line block ×3, first 2 shown]
	v_pk_max_f16 v7, v35, v35
	v_pk_add_f16 v11, v11, 0
	v_pk_min_f16 v14, v7, v13
	v_pk_add_f16 v12, v12, 0
	v_pk_add_f16 v75, v22, v14
	v_pk_min_f16 v14, v7, v15
	v_pk_add_f16 v16, v16, 0
	v_pk_add_f16 v63, v25, v14
	v_pk_min_f16 v14, v7, v21
	v_pk_min_f16 v7, v7, v23
	v_pk_add_f16 v55, v26, v14
	v_pk_add_f16 v47, v27, v7
	v_pk_max_f16 v7, v37, v37
	v_pk_add_f16 v6, v6, 0
	v_pk_min_f16 v14, v7, v13
	s_mov_b32 s23, 0
	v_pk_add_f16 v74, v28, v14
	v_pk_min_f16 v14, v7, v15
	s_cmp_lt_i32 s22, 9
	v_pk_add_f16 v62, v29, v14
	v_pk_min_f16 v14, v7, v21
	v_pk_min_f16 v7, v7, v23
	v_pk_add_f16 v54, v30, v14
	v_pk_add_f16 v46, v31, v7
	v_pk_max_f16 v7, v17, v17
	ds_write_b16 v2, v9 offset:2560
	ds_write_b16 v71, v10 offset:1024
	ds_write_b16 v71, v8 offset:1536
	v_pk_min_f16 v13, v7, v13
	s_waitcnt lgkmcnt(0)
	v_pk_add_f16 v73, v3, v13
	v_pk_min_f16 v3, v7, v15
	s_barrier
	v_pk_add_f16 v61, v11, v3
	v_pk_min_f16 v3, v7, v21
	s_nop 0
	v_pk_add_f16 v53, v12, v3
	v_pk_min_f16 v3, v7, v23
	s_nop 0
	;; [unrolled: 3-line block ×3, first 2 shown]
	v_pk_add_f16 v44, v6, v3
	s_cbranch_scc1 .LBB286_34
; %bb.20:
	v_lshl_add_u64 v[26:27], v[0:1], 1, s[16:17]
	v_mov_b32_e32 v0, 0xa00
	v_lshl_add_u32 v83, v40, 3, v0
	v_mad_i64_i32 v[0:1], s[4:5], s31, v4, 0
	v_lshl_add_u64 v[28:29], v[0:1], 1, s[18:19]
	v_mad_i64_i32 v[0:1], s[4:5], s31, v5, 0
	v_lshl_add_u64 v[30:31], v[0:1], 1, s[18:19]
	v_add_u32_e32 v0, v43, v40
	v_or_b32_e32 v80, 0x800, v2
	v_add_u32_e32 v81, 0xa00, v2
	v_lshrrev_b32_e32 v2, 6, v0
	v_add_u32_e32 v0, 12, v2
	v_mad_i64_i32 v[0:1], s[4:5], v0, s26, 0
	v_lshlrev_b64 v[32:33], 1, v[0:1]
	v_add_u32_e32 v0, 8, v2
	v_mad_i64_i32 v[0:1], s[4:5], v0, s26, 0
	v_add_u32_e32 v82, 0x400, v71
	s_add_i32 s30, s22, -8
	v_add_u32_e32 v84, 0x400, v43
	v_mov_b32_e32 v25, 0
	s_lshl_b64 s[6:7], s[26:27], 4
	v_lshlrev_b64 v[34:35], 1, v[0:1]
	s_branch .LBB286_22
.LBB286_21:                             ;   in Loop: Header=BB286_22 Depth=1
	s_or_b64 exec, exec, s[4:5]
	v_pk_max_f16 v2, v2, v2
	v_pk_max_f16 v20, v20, v20
	;; [unrolled: 1-line block ×7, first 2 shown]
	v_pk_min_f16 v36, v2, v20
	v_pk_max_f16 v12, v12, v12
	v_pk_max_f16 v14, v14, v14
	;; [unrolled: 1-line block ×10, first 2 shown]
	v_pk_min_f16 v97, v4, v20
	v_pk_max_f16 v9, v9, v9
	v_pk_max_f16 v11, v11, v11
	v_pk_min_f16 v98, v4, v22
	v_pk_max_f16 v5, v5, v5
	v_pk_max_f16 v7, v7, v7
	v_pk_min_f16 v99, v4, v16
	v_pk_min_f16 v4, v4, v18
	v_pk_max_f16 v0, v0, v0
	v_pk_max_f16 v3, v3, v3
	;; [unrolled: 1-line block ×3, first 2 shown]
	v_pk_min_f16 v100, v6, v20
	v_pk_min_f16 v101, v6, v22
	;; [unrolled: 1-line block ×59, first 2 shown]
	v_pk_add_f16 v1, v68, v36
	v_pk_add_f16 v3, v60, v103
	;; [unrolled: 1-line block ×12, first 2 shown]
	ds_read2_b64 v[0:3], v72 offset0:48 offset1:56
	ds_read2_b64 v[4:7], v43 offset1:32
	v_pk_add_f16 v36, v52, v104
	v_pk_add_f16 v37, v79, v37
	;; [unrolled: 1-line block ×6, first 2 shown]
	s_waitcnt lgkmcnt(1)
	v_pk_max_f16 v2, v2, v2
	s_waitcnt lgkmcnt(0)
	v_pk_max_f16 v4, v4, v4
	v_pk_add_f16 v59, v66, v89
	v_pk_add_f16 v14, v50, v14
	v_pk_add_f16 v60, v65, v92
	v_pk_add_f16 v18, v37, v18
	v_pk_add_f16 v37, v39, v105
	v_pk_add_f16 v39, v52, v106
	v_pk_add_f16 v52, v12, v13
	v_pk_add_f16 v65, v8, v9
	v_pk_add_f16 v66, v10, v11
	ds_read2_b64 v[8:11], v43 offset0:64 offset1:96
	v_pk_min_f16 v12, v2, v4
	v_pk_add_f16 v22, v61, v22
	v_pk_add_f16 v61, v14, v15
	;; [unrolled: 1-line block ×3, first 2 shown]
	ds_read2_b64 v[12:15], v72 offset1:8
	v_pk_max_f16 v6, v6, v6
	v_pk_add_f16 v48, v75, v97
	v_pk_add_f16 v75, v16, v17
	v_pk_min_f16 v16, v2, v6
	s_waitcnt lgkmcnt(1)
	v_pk_max_f16 v8, v8, v8
	v_pk_add_f16 v36, v36, v124
	v_pk_add_f16 v53, v53, v16
	v_pk_min_f16 v16, v2, v8
	s_waitcnt lgkmcnt(0)
	v_pk_max_f16 v12, v12, v12
	v_pk_add_f16 v36, v36, v16
	v_pk_min_f16 v16, v12, v4
	v_pk_add_f16 v49, v76, v94
	v_pk_add_f16 v76, v18, v16
	v_pk_min_f16 v16, v12, v6
	v_pk_add_f16 v51, v78, v88
	v_pk_add_f16 v37, v37, v16
	v_pk_min_f16 v16, v12, v8
	v_pk_max_f16 v14, v14, v14
	v_pk_add_f16 v51, v51, v107
	v_pk_add_f16 v39, v39, v16
	v_pk_min_f16 v16, v14, v4
	v_pk_add_f16 v50, v77, v91
	v_pk_add_f16 v59, v59, v108
	;; [unrolled: 1-line block ×3, first 2 shown]
	v_pk_min_f16 v16, v14, v6
	v_pk_add_f16 v44, v44, v19
	v_pk_add_f16 v85, v59, v16
	ds_read2_b64 v[16:19], v72 offset0:16 offset1:24
	v_pk_add_f16 v58, v58, v90
	v_pk_add_f16 v20, v73, v20
	;; [unrolled: 1-line block ×4, first 2 shown]
	v_pk_max_f16 v10, v10, v10
	v_pk_min_f16 v20, v14, v8
	s_waitcnt lgkmcnt(0)
	v_pk_max_f16 v16, v16, v16
	v_pk_add_f16 v50, v50, v110
	v_pk_add_f16 v58, v58, v20
	v_pk_min_f16 v14, v14, v10
	v_pk_min_f16 v20, v16, v4
	v_pk_add_f16 v57, v57, v93
	v_pk_add_f16 v60, v60, v111
	;; [unrolled: 1-line block ×4, first 2 shown]
	v_pk_min_f16 v20, v16, v6
	v_pk_add_f16 v57, v57, v112
	v_pk_add_f16 v88, v60, v20
	v_pk_min_f16 v20, v16, v8
	v_pk_max_f16 v18, v18, v18
	v_pk_add_f16 v64, v64, v95
	v_pk_add_f16 v49, v49, v113
	;; [unrolled: 1-line block ×3, first 2 shown]
	v_pk_min_f16 v20, v18, v4
	v_pk_add_f16 v64, v64, v114
	v_pk_add_f16 v89, v49, v20
	v_pk_min_f16 v20, v18, v6
	v_pk_add_f16 v47, v74, v100
	v_pk_add_f16 v74, v22, v23
	;; [unrolled: 1-line block ×3, first 2 shown]
	ds_read2_b64 v[20:23], v72 offset0:32 offset1:40
	v_pk_add_f16 v56, v56, v96
	v_pk_min_f16 v49, v18, v8
	v_pk_add_f16 v56, v56, v115
	v_pk_add_f16 v63, v63, v98
	s_waitcnt lgkmcnt(0)
	v_pk_max_f16 v20, v20, v20
	v_pk_add_f16 v48, v48, v116
	v_pk_add_f16 v56, v56, v49
	v_pk_min_f16 v49, v20, v4
	v_pk_add_f16 v55, v55, v99
	v_pk_add_f16 v63, v63, v117
	;; [unrolled: 1-line block ×3, first 2 shown]
	v_pk_min_f16 v48, v20, v6
	v_pk_add_f16 v55, v55, v118
	v_pk_add_f16 v63, v63, v48
	v_pk_min_f16 v48, v20, v8
	v_pk_max_f16 v22, v22, v22
	v_pk_add_f16 v62, v62, v101
	v_pk_add_f16 v47, v47, v119
	;; [unrolled: 1-line block ×3, first 2 shown]
	v_pk_min_f16 v48, v22, v4
	v_pk_add_f16 v62, v62, v120
	v_pk_add_f16 v91, v47, v48
	v_pk_min_f16 v47, v22, v6
	v_pk_max_f16 v0, v0, v0
	v_pk_max_f16 v3, v3, v3
	;; [unrolled: 1-line block ×3, first 2 shown]
	v_pk_min_f16 v12, v12, v10
	v_pk_min_f16 v16, v16, v10
	v_pk_min_f16 v18, v18, v10
	v_pk_min_f16 v20, v20, v10
	v_pk_add_f16 v62, v62, v47
	v_pk_min_f16 v47, v22, v8
	v_pk_min_f16 v22, v22, v10
	;; [unrolled: 1-line block ×8, first 2 shown]
	v_pk_max_f16 v7, v7, v7
	v_pk_add_f16 v22, v68, v22
	v_pk_add_f16 v68, v46, v10
	v_pk_min_f16 v10, v3, v7
	v_pk_max_f16 v9, v9, v9
	v_pk_add_f16 v60, v53, v10
	v_pk_min_f16 v10, v3, v9
	v_pk_add_f16 v12, v52, v12
	v_pk_add_f16 v52, v36, v10
	v_pk_max_f16 v10, v13, v13
	v_pk_max_f16 v11, v11, v11
	v_pk_min_f16 v13, v10, v5
	v_pk_add_f16 v20, v67, v20
	v_pk_add_f16 v79, v76, v13
	v_pk_min_f16 v13, v10, v7
	v_pk_add_f16 v18, v66, v18
	v_pk_add_f16 v67, v37, v13
	v_pk_min_f16 v13, v10, v9
	v_pk_min_f16 v10, v10, v11
	v_pk_add_f16 v16, v65, v16
	v_pk_add_f16 v51, v12, v10
	v_pk_max_f16 v10, v15, v15
	v_pk_add_f16 v54, v54, v102
	v_pk_min_f16 v12, v10, v5
	v_pk_add_f16 v8, v75, v8
	v_pk_add_f16 v78, v77, v12
	v_pk_min_f16 v12, v10, v7
	v_pk_add_f16 v54, v54, v121
	v_pk_add_f16 v66, v85, v12
	v_pk_min_f16 v12, v10, v9
	v_pk_min_f16 v10, v10, v11
	v_pk_add_f16 v58, v58, v12
	v_pk_add_f16 v50, v14, v10
	v_pk_max_f16 v10, v17, v17
	v_pk_add_f16 v54, v54, v47
	v_pk_min_f16 v12, v10, v5
	v_pk_max_f16 v1, v1, v1
	v_pk_add_f16 v77, v61, v12
	v_pk_min_f16 v12, v10, v7
	v_pk_add_f16 v4, v73, v4
	v_pk_add_f16 v65, v88, v12
	v_pk_min_f16 v12, v10, v9
	v_pk_min_f16 v10, v10, v11
	v_pk_add_f16 v57, v57, v12
	v_pk_add_f16 v49, v16, v10
	v_pk_max_f16 v10, v19, v19
	v_pk_add_f16 v45, v45, v125
	v_pk_min_f16 v12, v10, v5
	v_pk_add_f16 v6, v74, v6
	v_pk_add_f16 v76, v89, v12
	v_pk_min_f16 v12, v10, v7
	v_pk_add_f16 v0, v45, v0
	v_pk_add_f16 v64, v64, v12
	v_pk_min_f16 v12, v10, v9
	v_pk_min_f16 v10, v10, v11
	v_pk_add_f16 v56, v56, v12
	v_pk_add_f16 v48, v18, v10
	v_pk_max_f16 v10, v21, v21
	v_pk_add_f16 v2, v44, v2
	v_pk_min_f16 v12, v10, v5
	s_add_i32 s23, s23, 8
	v_pk_add_f16 v75, v90, v12
	v_pk_min_f16 v12, v10, v7
	v_pk_add_f16 v59, v39, v13
	v_pk_add_f16 v63, v63, v12
	v_pk_min_f16 v12, v10, v9
	v_pk_min_f16 v10, v10, v11
	v_pk_add_f16 v55, v55, v12
	v_pk_add_f16 v47, v20, v10
	v_pk_max_f16 v10, v23, v23
	v_lshl_add_u64 v[28:29], v[28:29], 0, 16
	v_pk_min_f16 v12, v10, v5
	v_pk_min_f16 v5, v1, v5
	v_pk_add_f16 v74, v91, v12
	v_pk_add_f16 v73, v4, v5
	v_pk_min_f16 v4, v1, v7
	v_pk_min_f16 v12, v10, v7
	v_pk_add_f16 v61, v6, v4
	v_pk_min_f16 v4, v1, v9
	v_pk_min_f16 v1, v1, v11
	;; [unrolled: 3-line block ×3, first 2 shown]
	v_pk_add_f16 v45, v0, v1
	v_pk_min_f16 v0, v3, v11
	v_pk_add_f16 v54, v54, v12
	v_pk_add_f16 v46, v22, v10
	;; [unrolled: 1-line block ×4, first 2 shown]
	v_lshl_add_u64 v[30:31], v[30:31], 0, 16
	s_cmp_ge_i32 s23, s30
	v_lshl_add_u64 v[26:27], v[26:27], 0, s[6:7]
	s_waitcnt vmcnt(0)
	ds_write_b16 v81, v87
	ds_write_b16 v82, v86
	ds_write_b16 v82, v38 offset:512
	s_waitcnt lgkmcnt(0)
	s_barrier
	s_cbranch_scc1 .LBB286_34
.LBB286_22:                             ; =>This Inner Loop Header: Depth=1
	v_add_u32_e32 v86, s23, v42
	v_add_u32_e32 v0, 8, v86
	v_cmp_gt_i32_e64 s[4:5], s22, v0
	s_and_b64 s[16:17], s[14:15], s[4:5]
	v_mov_b32_e32 v87, 0
	s_and_saveexec_b64 s[4:5], s[16:17]
	s_cbranch_execz .LBB286_24
; %bb.23:                               ;   in Loop: Header=BB286_22 Depth=1
	v_lshl_add_u64 v[0:1], v[26:27], 0, v[34:35]
	global_load_ushort v87, v[0:1], off
.LBB286_24:                             ;   in Loop: Header=BB286_22 Depth=1
	s_or_b64 exec, exec, s[4:5]
	v_add_u32_e32 v85, s23, v70
	v_add_u32_e32 v0, 8, v85
	v_cmp_le_i32_e64 s[4:5], s22, v0
	s_nor_b64 s[18:19], vcc, s[4:5]
	v_mov_b32_e32 v88, 0
	v_lshl_add_u64 v[38:39], v[28:29], 0, v[24:25]
	v_mov_b32_e32 v89, 0
	s_and_saveexec_b64 s[16:17], s[18:19]
	s_cbranch_execz .LBB286_26
; %bb.25:                               ;   in Loop: Header=BB286_22 Depth=1
	global_load_ushort v89, v[38:39], off offset:16
.LBB286_26:                             ;   in Loop: Header=BB286_22 Depth=1
	s_or_b64 exec, exec, s[16:17]
	s_nor_b64 s[16:17], s[8:9], s[4:5]
	v_lshl_add_u64 v[36:37], v[30:31], 0, v[24:25]
	s_and_saveexec_b64 s[4:5], s[16:17]
	s_cbranch_execz .LBB286_28
; %bb.27:                               ;   in Loop: Header=BB286_22 Depth=1
	global_load_ushort v88, v[36:37], off offset:16
.LBB286_28:                             ;   in Loop: Header=BB286_22 Depth=1
	s_or_b64 exec, exec, s[4:5]
	ds_read2_b64 v[0:3], v83 offset0:48 offset1:56
	ds_read2_b64 v[16:19], v84 offset0:64 offset1:96
	ds_read2_b64 v[20:23], v84 offset1:32
	ds_read2_b64 v[12:15], v83 offset1:8
	ds_read2_b64 v[8:11], v83 offset0:16 offset1:24
	ds_read2_b64 v[4:7], v83 offset0:32 offset1:40
	v_add_u32_e32 v86, 12, v86
	v_cmp_gt_i32_e64 s[4:5], s22, v86
	s_waitcnt vmcnt(0)
	ds_write_b16 v80, v87
	ds_write_b16 v71, v89
	ds_write_b16 v71, v88 offset:512
	s_and_b64 s[4:5], s[14:15], s[4:5]
	v_mov_b32_e32 v86, 0
	v_mov_b32_e32 v87, 0
	s_waitcnt lgkmcnt(0)
	s_barrier
	s_and_saveexec_b64 s[16:17], s[4:5]
	s_xor_b64 s[4:5], exec, s[16:17]
	s_cbranch_execz .LBB286_30
; %bb.29:                               ;   in Loop: Header=BB286_22 Depth=1
	v_lshl_add_u64 v[88:89], v[26:27], 0, v[32:33]
	global_load_ushort v87, v[88:89], off
.LBB286_30:                             ;   in Loop: Header=BB286_22 Depth=1
	s_or_b64 exec, exec, s[4:5]
	v_add_u32_e32 v85, 12, v85
	v_cmp_le_i32_e64 s[4:5], s22, v85
	s_nor_b64 s[18:19], vcc, s[4:5]
	s_and_saveexec_b64 s[16:17], s[18:19]
	s_cbranch_execz .LBB286_32
; %bb.31:                               ;   in Loop: Header=BB286_22 Depth=1
	global_load_ushort v86, v[38:39], off offset:24
.LBB286_32:                             ;   in Loop: Header=BB286_22 Depth=1
	s_or_b64 exec, exec, s[16:17]
	s_nor_b64 s[16:17], s[8:9], s[4:5]
	v_mov_b32_e32 v38, 0
	s_and_saveexec_b64 s[4:5], s[16:17]
	s_cbranch_execz .LBB286_21
; %bb.33:                               ;   in Loop: Header=BB286_22 Depth=1
	global_load_ushort v38, v[36:37], off offset:24
	s_branch .LBB286_21
.LBB286_34:
	s_load_dwordx2 s[4:5], s[0:1], 0x70
	s_load_dword s31, s[0:1], 0x50
	s_load_dword s30, s[0:1], 0x68
	v_add_u32_e32 v8, 0x800, v69
	ds_read2_b64 v[0:3], v8 offset0:112 offset1:120
	ds_read2_b64 v[4:7], v43 offset0:192 offset1:224
	;; [unrolled: 1-line block ×6, first 2 shown]
	s_waitcnt lgkmcnt(0)
	s_mul_i32 s1, s5, s3
	s_mul_hi_u32 s5, s4, s3
	s_mul_i32 s0, s4, s3
	s_add_i32 s1, s5, s1
	s_lshl_b64 s[0:1], s[0:1], 1
	s_add_u32 s22, s10, s0
	v_add_u32_e32 v69, s29, v41
	s_addc_u32 s23, s11, s1
	v_mad_i64_i32 v[26:27], s[0:1], v69, s31, 0
	v_add_u32_e32 v24, s2, v40
	v_lshl_add_u64 v[42:43], v[26:27], 1, s[24:25]
	v_mad_i64_i32 v[26:27], s[0:1], v69, s30, 0
	v_cmp_gt_i32_e64 s[18:19], s21, v69
	v_lshl_add_u64 v[40:41], v[26:27], 1, s[22:23]
	v_cmp_gt_i32_e64 s[2:3], s20, v24
	v_cndmask_b32_e64 v26, 0, 1, s[12:13]
	s_and_b64 s[4:5], s[2:3], s[18:19]
	v_ashrrev_i32_e32 v25, 31, v24
	v_cmp_ne_u32_e64 s[0:1], 1, v26
	s_and_saveexec_b64 s[6:7], s[4:5]
	s_xor_b64 s[4:5], exec, s[6:7]
	s_cbranch_execz .LBB286_40
; %bb.35:
	s_and_b64 vcc, exec, s[0:1]
	s_cbranch_vccnz .LBB286_38
; %bb.36:
	v_lshl_add_u64 v[26:27], v[24:25], 1, v[42:43]
	global_load_ushort v26, v[26:27], off
	s_waitcnt vmcnt(0)
	v_mul_f16_e32 v26, s28, v26
	s_branch .LBB286_39
.LBB286_37:
	s_mov_b64 s[16:17], 0
	s_andn2_b64 vcc, exec, s[8:9]
	s_mov_b64 s[4:5], -1
	s_cbranch_vccz .LBB286_2
	s_branch .LBB286_3
.LBB286_38:
	v_mov_b32_e32 v26, 0
.LBB286_39:
	v_pk_max_f16 v27, v20, v20
	v_pk_max_f16 v28, v16, v16
	;; [unrolled: 1-line block ×3, first 2 shown]
	v_pk_min_f16 v27, v28, v27
	v_pk_max_f16 v28, v21, v21
	v_pk_add_f16 v27, v79, v27
	v_pk_min_f16 v28, v29, v28
	s_nop 0
	v_pk_add_f16 v27, v27, v28
	s_nop 0
	v_add_f16_sdwa v27, v27, v27 dst_sel:DWORD dst_unused:UNUSED_PAD src0_sel:DWORD src1_sel:WORD_1
	v_add_f16_e32 v28, v27, v26
	v_lshl_add_u64 v[26:27], v[24:25], 1, v[40:41]
	global_store_short v[26:27], v28, off
.LBB286_40:
	s_or_b64 exec, exec, s[4:5]
	v_add_u32_e32 v26, 8, v24
	v_cmp_gt_i32_e64 s[4:5], s20, v26
	s_and_b64 s[8:9], s[4:5], s[18:19]
	v_ashrrev_i32_e32 v27, 31, v26
	s_and_saveexec_b64 s[6:7], s[8:9]
	s_cbranch_execz .LBB286_45
; %bb.41:
	s_and_b64 vcc, exec, s[0:1]
	s_cbranch_vccnz .LBB286_43
; %bb.42:
	v_lshl_add_u64 v[28:29], v[26:27], 1, v[42:43]
	global_load_ushort v28, v[28:29], off
	s_waitcnt vmcnt(0)
	v_mul_f16_e32 v28, s28, v28
	s_branch .LBB286_44
.LBB286_43:
	v_mov_b32_e32 v28, 0
.LBB286_44:
	v_pk_max_f16 v29, v20, v20
	v_pk_max_f16 v30, v18, v18
	v_pk_max_f16 v31, v19, v19
	v_pk_min_f16 v29, v30, v29
	v_pk_max_f16 v30, v21, v21
	v_pk_add_f16 v29, v78, v29
	v_pk_min_f16 v30, v31, v30
	s_nop 0
	v_pk_add_f16 v29, v29, v30
	s_nop 0
	v_add_f16_sdwa v29, v29, v29 dst_sel:DWORD dst_unused:UNUSED_PAD src0_sel:DWORD src1_sel:WORD_1
	v_add_f16_e32 v30, v29, v28
	v_lshl_add_u64 v[28:29], v[26:27], 1, v[40:41]
	global_store_short v[28:29], v30, off
.LBB286_45:
	s_or_b64 exec, exec, s[6:7]
	v_add_u32_e32 v28, 16, v24
	v_cmp_gt_i32_e64 s[6:7], s20, v28
	s_and_b64 s[10:11], s[6:7], s[18:19]
	v_ashrrev_i32_e32 v29, 31, v28
	s_and_saveexec_b64 s[8:9], s[10:11]
	s_cbranch_execz .LBB286_50
; %bb.46:
	s_and_b64 vcc, exec, s[0:1]
	s_cbranch_vccnz .LBB286_48
; %bb.47:
	v_lshl_add_u64 v[30:31], v[28:29], 1, v[42:43]
	global_load_ushort v30, v[30:31], off
	s_waitcnt vmcnt(0)
	v_mul_f16_e32 v30, s28, v30
	s_branch .LBB286_49
.LBB286_48:
	v_mov_b32_e32 v30, 0
.LBB286_49:
	v_pk_max_f16 v31, v20, v20
	v_pk_max_f16 v32, v12, v12
	v_pk_max_f16 v33, v13, v13
	v_pk_min_f16 v31, v32, v31
	v_pk_max_f16 v32, v21, v21
	v_pk_add_f16 v31, v77, v31
	v_pk_min_f16 v32, v33, v32
	s_nop 0
	v_pk_add_f16 v31, v31, v32
	s_nop 0
	v_add_f16_sdwa v31, v31, v31 dst_sel:DWORD dst_unused:UNUSED_PAD src0_sel:DWORD src1_sel:WORD_1
	v_add_f16_e32 v32, v31, v30
	v_lshl_add_u64 v[30:31], v[28:29], 1, v[40:41]
	global_store_short v[30:31], v32, off
.LBB286_50:
	;; [unrolled: 34-line block ×7, first 2 shown]
	s_or_b64 exec, exec, s[18:19]
	v_add_u32_e32 v42, 32, v69
	v_mad_i64_i32 v[20:21], s[26:27], v42, s31, 0
	v_cmp_gt_i32_e64 s[18:19], s21, v42
	v_lshl_add_u64 v[40:41], v[20:21], 1, s[24:25]
	v_mad_i64_i32 v[20:21], s[26:27], v42, s30, 0
	v_lshl_add_u64 v[20:21], v[20:21], 1, s[22:23]
	s_and_b64 s[34:35], s[2:3], s[18:19]
	s_and_saveexec_b64 s[26:27], s[34:35]
	s_cbranch_execnz .LBB286_83
; %bb.76:
	s_or_b64 exec, exec, s[26:27]
	s_and_b64 s[34:35], s[4:5], s[18:19]
	s_and_saveexec_b64 s[26:27], s[34:35]
	s_cbranch_execnz .LBB286_87
.LBB286_77:
	s_or_b64 exec, exec, s[26:27]
	s_and_b64 s[34:35], s[6:7], s[18:19]
	s_and_saveexec_b64 s[26:27], s[34:35]
	s_cbranch_execnz .LBB286_91
.LBB286_78:
	s_or_b64 exec, exec, s[26:27]
	s_and_b64 s[34:35], s[8:9], s[18:19]
	s_and_saveexec_b64 s[26:27], s[34:35]
	s_cbranch_execnz .LBB286_95
.LBB286_79:
	s_or_b64 exec, exec, s[26:27]
	s_and_b64 s[34:35], s[10:11], s[18:19]
	s_and_saveexec_b64 s[26:27], s[34:35]
	s_cbranch_execnz .LBB286_99
.LBB286_80:
	s_or_b64 exec, exec, s[26:27]
	s_and_b64 s[34:35], s[12:13], s[18:19]
	s_and_saveexec_b64 s[26:27], s[34:35]
	s_cbranch_execnz .LBB286_103
.LBB286_81:
	s_or_b64 exec, exec, s[26:27]
	s_and_b64 s[34:35], s[14:15], s[18:19]
	s_and_saveexec_b64 s[26:27], s[34:35]
	s_cbranch_execnz .LBB286_107
.LBB286_82:
	s_or_b64 exec, exec, s[26:27]
	s_and_b64 s[26:27], s[16:17], s[18:19]
	s_and_saveexec_b64 s[18:19], s[26:27]
	s_cbranch_execnz .LBB286_111
	s_branch .LBB286_115
.LBB286_83:
	s_and_b64 vcc, exec, s[0:1]
	s_cbranch_vccnz .LBB286_85
; %bb.84:
	v_lshl_add_u64 v[42:43], v[24:25], 1, v[40:41]
	global_load_ushort v42, v[42:43], off
	s_waitcnt vmcnt(0)
	v_mul_f16_e32 v42, s28, v42
	s_branch .LBB286_86
.LBB286_85:
	v_mov_b32_e32 v42, 0
.LBB286_86:
	v_pk_max_f16 v43, v22, v22
	v_pk_max_f16 v68, v16, v16
	s_nop 0
	v_pk_min_f16 v43, v68, v43
	v_pk_max_f16 v68, v17, v17
	v_pk_add_f16 v43, v67, v43
	v_pk_max_f16 v67, v23, v23
	s_nop 0
	v_pk_min_f16 v67, v68, v67
	s_nop 0
	v_pk_add_f16 v43, v43, v67
	s_nop 0
	v_add_f16_sdwa v43, v43, v43 dst_sel:DWORD dst_unused:UNUSED_PAD src0_sel:DWORD src1_sel:WORD_1
	v_add_f16_e32 v67, v43, v42
	v_lshl_add_u64 v[42:43], v[24:25], 1, v[20:21]
	global_store_short v[42:43], v67, off
	s_or_b64 exec, exec, s[26:27]
	s_and_b64 s[34:35], s[4:5], s[18:19]
	s_and_saveexec_b64 s[26:27], s[34:35]
	s_cbranch_execz .LBB286_77
.LBB286_87:
	s_and_b64 vcc, exec, s[0:1]
	s_cbranch_vccnz .LBB286_89
; %bb.88:
	v_lshl_add_u64 v[42:43], v[26:27], 1, v[40:41]
	global_load_ushort v42, v[42:43], off
	s_waitcnt vmcnt(0)
	v_mul_f16_e32 v42, s28, v42
	s_branch .LBB286_90
.LBB286_89:
	v_mov_b32_e32 v42, 0
.LBB286_90:
	v_pk_max_f16 v43, v22, v22
	v_pk_max_f16 v67, v18, v18
	s_nop 0
	v_pk_min_f16 v43, v67, v43
	v_pk_max_f16 v67, v19, v19
	v_pk_add_f16 v43, v66, v43
	v_pk_max_f16 v66, v23, v23
	s_nop 0
	v_pk_min_f16 v66, v67, v66
	s_nop 0
	v_pk_add_f16 v43, v43, v66
	s_nop 0
	v_add_f16_sdwa v43, v43, v43 dst_sel:DWORD dst_unused:UNUSED_PAD src0_sel:DWORD src1_sel:WORD_1
	v_add_f16_e32 v66, v43, v42
	v_lshl_add_u64 v[42:43], v[26:27], 1, v[20:21]
	global_store_short v[42:43], v66, off
	s_or_b64 exec, exec, s[26:27]
	s_and_b64 s[34:35], s[6:7], s[18:19]
	s_and_saveexec_b64 s[26:27], s[34:35]
	s_cbranch_execz .LBB286_78
.LBB286_91:
	s_and_b64 vcc, exec, s[0:1]
	s_cbranch_vccnz .LBB286_93
; %bb.92:
	v_lshl_add_u64 v[42:43], v[28:29], 1, v[40:41]
	global_load_ushort v42, v[42:43], off
	s_waitcnt vmcnt(0)
	v_mul_f16_e32 v42, s28, v42
	s_branch .LBB286_94
.LBB286_93:
	v_mov_b32_e32 v42, 0
.LBB286_94:
	v_pk_max_f16 v43, v22, v22
	v_pk_max_f16 v66, v12, v12
	s_nop 0
	v_pk_min_f16 v43, v66, v43
	v_pk_max_f16 v66, v13, v13
	v_pk_add_f16 v43, v65, v43
	v_pk_max_f16 v65, v23, v23
	s_nop 0
	v_pk_min_f16 v65, v66, v65
	s_nop 0
	v_pk_add_f16 v43, v43, v65
	s_nop 0
	v_add_f16_sdwa v43, v43, v43 dst_sel:DWORD dst_unused:UNUSED_PAD src0_sel:DWORD src1_sel:WORD_1
	v_add_f16_e32 v65, v43, v42
	v_lshl_add_u64 v[42:43], v[28:29], 1, v[20:21]
	global_store_short v[42:43], v65, off
	s_or_b64 exec, exec, s[26:27]
	s_and_b64 s[34:35], s[8:9], s[18:19]
	s_and_saveexec_b64 s[26:27], s[34:35]
	s_cbranch_execz .LBB286_79
.LBB286_95:
	s_and_b64 vcc, exec, s[0:1]
	s_cbranch_vccnz .LBB286_97
; %bb.96:
	v_lshl_add_u64 v[42:43], v[30:31], 1, v[40:41]
	global_load_ushort v42, v[42:43], off
	s_waitcnt vmcnt(0)
	v_mul_f16_e32 v42, s28, v42
	s_branch .LBB286_98
.LBB286_97:
	v_mov_b32_e32 v42, 0
.LBB286_98:
	v_pk_max_f16 v43, v22, v22
	v_pk_max_f16 v65, v14, v14
	s_nop 0
	v_pk_min_f16 v43, v65, v43
	v_pk_max_f16 v65, v15, v15
	v_pk_add_f16 v43, v64, v43
	v_pk_max_f16 v64, v23, v23
	s_nop 0
	v_pk_min_f16 v64, v65, v64
	s_nop 0
	v_pk_add_f16 v43, v43, v64
	s_nop 0
	v_add_f16_sdwa v43, v43, v43 dst_sel:DWORD dst_unused:UNUSED_PAD src0_sel:DWORD src1_sel:WORD_1
	v_add_f16_e32 v64, v43, v42
	v_lshl_add_u64 v[42:43], v[30:31], 1, v[20:21]
	global_store_short v[42:43], v64, off
	s_or_b64 exec, exec, s[26:27]
	s_and_b64 s[34:35], s[10:11], s[18:19]
	s_and_saveexec_b64 s[26:27], s[34:35]
	s_cbranch_execz .LBB286_80
.LBB286_99:
	s_and_b64 vcc, exec, s[0:1]
	s_cbranch_vccnz .LBB286_101
; %bb.100:
	v_lshl_add_u64 v[42:43], v[32:33], 1, v[40:41]
	global_load_ushort v42, v[42:43], off
	s_waitcnt vmcnt(0)
	v_mul_f16_e32 v42, s28, v42
	s_branch .LBB286_102
.LBB286_101:
	v_mov_b32_e32 v42, 0
.LBB286_102:
	v_pk_max_f16 v43, v22, v22
	v_pk_max_f16 v64, v8, v8
	s_nop 0
	v_pk_min_f16 v43, v64, v43
	v_pk_max_f16 v64, v9, v9
	v_pk_add_f16 v43, v63, v43
	v_pk_max_f16 v63, v23, v23
	s_nop 0
	v_pk_min_f16 v63, v64, v63
	s_nop 0
	v_pk_add_f16 v43, v43, v63
	s_nop 0
	v_add_f16_sdwa v43, v43, v43 dst_sel:DWORD dst_unused:UNUSED_PAD src0_sel:DWORD src1_sel:WORD_1
	v_add_f16_e32 v63, v43, v42
	v_lshl_add_u64 v[42:43], v[32:33], 1, v[20:21]
	global_store_short v[42:43], v63, off
	s_or_b64 exec, exec, s[26:27]
	s_and_b64 s[34:35], s[12:13], s[18:19]
	s_and_saveexec_b64 s[26:27], s[34:35]
	s_cbranch_execz .LBB286_81
.LBB286_103:
	s_and_b64 vcc, exec, s[0:1]
	s_cbranch_vccnz .LBB286_105
; %bb.104:
	v_lshl_add_u64 v[42:43], v[34:35], 1, v[40:41]
	global_load_ushort v42, v[42:43], off
	s_waitcnt vmcnt(0)
	v_mul_f16_e32 v42, s28, v42
	s_branch .LBB286_106
.LBB286_105:
	v_mov_b32_e32 v42, 0
.LBB286_106:
	v_pk_max_f16 v43, v22, v22
	v_pk_max_f16 v63, v10, v10
	s_nop 0
	v_pk_min_f16 v43, v63, v43
	v_pk_max_f16 v63, v11, v11
	v_pk_add_f16 v43, v62, v43
	v_pk_max_f16 v62, v23, v23
	s_nop 0
	v_pk_min_f16 v62, v63, v62
	s_nop 0
	v_pk_add_f16 v43, v43, v62
	s_nop 0
	v_add_f16_sdwa v43, v43, v43 dst_sel:DWORD dst_unused:UNUSED_PAD src0_sel:DWORD src1_sel:WORD_1
	v_add_f16_e32 v62, v43, v42
	v_lshl_add_u64 v[42:43], v[34:35], 1, v[20:21]
	global_store_short v[42:43], v62, off
	s_or_b64 exec, exec, s[26:27]
	s_and_b64 s[34:35], s[14:15], s[18:19]
	s_and_saveexec_b64 s[26:27], s[34:35]
	s_cbranch_execz .LBB286_82
.LBB286_107:
	s_and_b64 vcc, exec, s[0:1]
	s_cbranch_vccnz .LBB286_109
; %bb.108:
	v_lshl_add_u64 v[42:43], v[36:37], 1, v[40:41]
	global_load_ushort v42, v[42:43], off
	s_waitcnt vmcnt(0)
	v_mul_f16_e32 v42, s28, v42
	s_branch .LBB286_110
.LBB286_109:
	v_mov_b32_e32 v42, 0
.LBB286_110:
	v_pk_max_f16 v43, v22, v22
	v_pk_max_f16 v62, v0, v0
	s_nop 0
	v_pk_min_f16 v43, v62, v43
	v_pk_max_f16 v62, v1, v1
	v_pk_add_f16 v43, v61, v43
	v_pk_max_f16 v61, v23, v23
	s_nop 0
	v_pk_min_f16 v61, v62, v61
	s_nop 0
	v_pk_add_f16 v43, v43, v61
	s_nop 0
	v_add_f16_sdwa v43, v43, v43 dst_sel:DWORD dst_unused:UNUSED_PAD src0_sel:DWORD src1_sel:WORD_1
	v_add_f16_e32 v61, v43, v42
	v_lshl_add_u64 v[42:43], v[36:37], 1, v[20:21]
	global_store_short v[42:43], v61, off
	s_or_b64 exec, exec, s[26:27]
	s_and_b64 s[26:27], s[16:17], s[18:19]
	s_and_saveexec_b64 s[18:19], s[26:27]
	s_cbranch_execz .LBB286_115
.LBB286_111:
	s_and_b64 vcc, exec, s[0:1]
	s_cbranch_vccnz .LBB286_113
; %bb.112:
	v_lshl_add_u64 v[40:41], v[38:39], 1, v[40:41]
	global_load_ushort v40, v[40:41], off
	s_waitcnt vmcnt(0)
	v_mul_f16_e32 v40, s28, v40
	s_branch .LBB286_114
.LBB286_113:
	v_mov_b32_e32 v40, 0
.LBB286_114:
	v_pk_max_f16 v22, v22, v22
	v_pk_max_f16 v41, v2, v2
	;; [unrolled: 1-line block ×3, first 2 shown]
	v_pk_min_f16 v22, v41, v22
	v_pk_max_f16 v41, v3, v3
	v_pk_add_f16 v22, v60, v22
	v_pk_min_f16 v23, v41, v23
	v_lshl_add_u64 v[20:21], v[38:39], 1, v[20:21]
	v_pk_add_f16 v22, v22, v23
	s_nop 0
	v_add_f16_sdwa v22, v22, v22 dst_sel:DWORD dst_unused:UNUSED_PAD src0_sel:DWORD src1_sel:WORD_1
	v_add_f16_e32 v22, v22, v40
	global_store_short v[20:21], v22, off
.LBB286_115:
	s_or_b64 exec, exec, s[18:19]
	v_add_u32_e32 v40, 64, v69
	v_mad_i64_i32 v[20:21], s[26:27], v40, s31, 0
	v_cmp_gt_i32_e64 s[18:19], s21, v40
	v_lshl_add_u64 v[22:23], v[20:21], 1, s[24:25]
	v_mad_i64_i32 v[20:21], s[26:27], v40, s30, 0
	v_lshl_add_u64 v[20:21], v[20:21], 1, s[22:23]
	s_and_b64 s[34:35], s[2:3], s[18:19]
	s_and_saveexec_b64 s[26:27], s[34:35]
	s_cbranch_execnz .LBB286_123
; %bb.116:
	s_or_b64 exec, exec, s[26:27]
	s_and_b64 s[34:35], s[4:5], s[18:19]
	s_and_saveexec_b64 s[26:27], s[34:35]
	s_cbranch_execnz .LBB286_127
.LBB286_117:
	s_or_b64 exec, exec, s[26:27]
	s_and_b64 s[34:35], s[6:7], s[18:19]
	s_and_saveexec_b64 s[26:27], s[34:35]
	s_cbranch_execnz .LBB286_131
.LBB286_118:
	s_or_b64 exec, exec, s[26:27]
	s_and_b64 s[34:35], s[8:9], s[18:19]
	s_and_saveexec_b64 s[26:27], s[34:35]
	s_cbranch_execnz .LBB286_135
.LBB286_119:
	s_or_b64 exec, exec, s[26:27]
	s_and_b64 s[34:35], s[10:11], s[18:19]
	s_and_saveexec_b64 s[26:27], s[34:35]
	s_cbranch_execnz .LBB286_139
.LBB286_120:
	s_or_b64 exec, exec, s[26:27]
	s_and_b64 s[34:35], s[12:13], s[18:19]
	s_and_saveexec_b64 s[26:27], s[34:35]
	s_cbranch_execnz .LBB286_143
.LBB286_121:
	s_or_b64 exec, exec, s[26:27]
	s_and_b64 s[34:35], s[14:15], s[18:19]
	s_and_saveexec_b64 s[26:27], s[34:35]
	s_cbranch_execnz .LBB286_147
.LBB286_122:
	s_or_b64 exec, exec, s[26:27]
	s_and_b64 s[26:27], s[16:17], s[18:19]
	s_and_saveexec_b64 s[18:19], s[26:27]
	s_cbranch_execnz .LBB286_151
	s_branch .LBB286_155
.LBB286_123:
	s_and_b64 vcc, exec, s[0:1]
	s_cbranch_vccnz .LBB286_125
; %bb.124:
	v_lshl_add_u64 v[40:41], v[24:25], 1, v[22:23]
	global_load_ushort v40, v[40:41], off
	s_waitcnt vmcnt(0)
	v_mul_f16_e32 v40, s28, v40
	s_branch .LBB286_126
.LBB286_125:
	v_mov_b32_e32 v40, 0
.LBB286_126:
	v_pk_max_f16 v41, v4, v4
	v_pk_max_f16 v42, v16, v16
	;; [unrolled: 1-line block ×3, first 2 shown]
	v_pk_min_f16 v41, v42, v41
	v_pk_max_f16 v42, v5, v5
	v_pk_add_f16 v41, v59, v41
	v_pk_min_f16 v42, v43, v42
	s_nop 0
	v_pk_add_f16 v41, v41, v42
	s_nop 0
	v_add_f16_sdwa v41, v41, v41 dst_sel:DWORD dst_unused:UNUSED_PAD src0_sel:DWORD src1_sel:WORD_1
	v_add_f16_e32 v42, v41, v40
	v_lshl_add_u64 v[40:41], v[24:25], 1, v[20:21]
	global_store_short v[40:41], v42, off
	s_or_b64 exec, exec, s[26:27]
	s_and_b64 s[34:35], s[4:5], s[18:19]
	s_and_saveexec_b64 s[26:27], s[34:35]
	s_cbranch_execz .LBB286_117
.LBB286_127:
	s_and_b64 vcc, exec, s[0:1]
	s_cbranch_vccnz .LBB286_129
; %bb.128:
	v_lshl_add_u64 v[40:41], v[26:27], 1, v[22:23]
	global_load_ushort v40, v[40:41], off
	s_waitcnt vmcnt(0)
	v_mul_f16_e32 v40, s28, v40
	s_branch .LBB286_130
.LBB286_129:
	v_mov_b32_e32 v40, 0
.LBB286_130:
	v_pk_max_f16 v41, v4, v4
	v_pk_max_f16 v42, v18, v18
	;; [unrolled: 1-line block ×3, first 2 shown]
	v_pk_min_f16 v41, v42, v41
	v_pk_max_f16 v42, v5, v5
	v_pk_add_f16 v41, v58, v41
	v_pk_min_f16 v42, v43, v42
	s_nop 0
	v_pk_add_f16 v41, v41, v42
	s_nop 0
	v_add_f16_sdwa v41, v41, v41 dst_sel:DWORD dst_unused:UNUSED_PAD src0_sel:DWORD src1_sel:WORD_1
	v_add_f16_e32 v42, v41, v40
	v_lshl_add_u64 v[40:41], v[26:27], 1, v[20:21]
	global_store_short v[40:41], v42, off
	s_or_b64 exec, exec, s[26:27]
	s_and_b64 s[34:35], s[6:7], s[18:19]
	s_and_saveexec_b64 s[26:27], s[34:35]
	s_cbranch_execz .LBB286_118
.LBB286_131:
	s_and_b64 vcc, exec, s[0:1]
	s_cbranch_vccnz .LBB286_133
; %bb.132:
	v_lshl_add_u64 v[40:41], v[28:29], 1, v[22:23]
	global_load_ushort v40, v[40:41], off
	s_waitcnt vmcnt(0)
	v_mul_f16_e32 v40, s28, v40
	s_branch .LBB286_134
.LBB286_133:
	v_mov_b32_e32 v40, 0
.LBB286_134:
	v_pk_max_f16 v41, v4, v4
	v_pk_max_f16 v42, v12, v12
	;; [unrolled: 1-line block ×3, first 2 shown]
	v_pk_min_f16 v41, v42, v41
	v_pk_max_f16 v42, v5, v5
	v_pk_add_f16 v41, v57, v41
	v_pk_min_f16 v42, v43, v42
	s_nop 0
	v_pk_add_f16 v41, v41, v42
	s_nop 0
	v_add_f16_sdwa v41, v41, v41 dst_sel:DWORD dst_unused:UNUSED_PAD src0_sel:DWORD src1_sel:WORD_1
	v_add_f16_e32 v42, v41, v40
	v_lshl_add_u64 v[40:41], v[28:29], 1, v[20:21]
	global_store_short v[40:41], v42, off
	s_or_b64 exec, exec, s[26:27]
	s_and_b64 s[34:35], s[8:9], s[18:19]
	s_and_saveexec_b64 s[26:27], s[34:35]
	s_cbranch_execz .LBB286_119
.LBB286_135:
	s_and_b64 vcc, exec, s[0:1]
	s_cbranch_vccnz .LBB286_137
; %bb.136:
	v_lshl_add_u64 v[40:41], v[30:31], 1, v[22:23]
	global_load_ushort v40, v[40:41], off
	s_waitcnt vmcnt(0)
	v_mul_f16_e32 v40, s28, v40
	s_branch .LBB286_138
.LBB286_137:
	v_mov_b32_e32 v40, 0
.LBB286_138:
	v_pk_max_f16 v41, v4, v4
	v_pk_max_f16 v42, v14, v14
	;; [unrolled: 1-line block ×3, first 2 shown]
	v_pk_min_f16 v41, v42, v41
	v_pk_max_f16 v42, v5, v5
	v_pk_add_f16 v41, v56, v41
	v_pk_min_f16 v42, v43, v42
	s_nop 0
	v_pk_add_f16 v41, v41, v42
	s_nop 0
	v_add_f16_sdwa v41, v41, v41 dst_sel:DWORD dst_unused:UNUSED_PAD src0_sel:DWORD src1_sel:WORD_1
	v_add_f16_e32 v42, v41, v40
	v_lshl_add_u64 v[40:41], v[30:31], 1, v[20:21]
	global_store_short v[40:41], v42, off
	s_or_b64 exec, exec, s[26:27]
	s_and_b64 s[34:35], s[10:11], s[18:19]
	s_and_saveexec_b64 s[26:27], s[34:35]
	s_cbranch_execz .LBB286_120
.LBB286_139:
	s_and_b64 vcc, exec, s[0:1]
	s_cbranch_vccnz .LBB286_141
; %bb.140:
	v_lshl_add_u64 v[40:41], v[32:33], 1, v[22:23]
	global_load_ushort v40, v[40:41], off
	s_waitcnt vmcnt(0)
	v_mul_f16_e32 v40, s28, v40
	s_branch .LBB286_142
.LBB286_141:
	v_mov_b32_e32 v40, 0
.LBB286_142:
	v_pk_max_f16 v41, v4, v4
	v_pk_max_f16 v42, v8, v8
	;; [unrolled: 1-line block ×3, first 2 shown]
	v_pk_min_f16 v41, v42, v41
	v_pk_max_f16 v42, v5, v5
	v_pk_add_f16 v41, v55, v41
	v_pk_min_f16 v42, v43, v42
	s_nop 0
	v_pk_add_f16 v41, v41, v42
	s_nop 0
	v_add_f16_sdwa v41, v41, v41 dst_sel:DWORD dst_unused:UNUSED_PAD src0_sel:DWORD src1_sel:WORD_1
	v_add_f16_e32 v42, v41, v40
	v_lshl_add_u64 v[40:41], v[32:33], 1, v[20:21]
	global_store_short v[40:41], v42, off
	s_or_b64 exec, exec, s[26:27]
	s_and_b64 s[34:35], s[12:13], s[18:19]
	s_and_saveexec_b64 s[26:27], s[34:35]
	s_cbranch_execz .LBB286_121
.LBB286_143:
	s_and_b64 vcc, exec, s[0:1]
	s_cbranch_vccnz .LBB286_145
; %bb.144:
	v_lshl_add_u64 v[40:41], v[34:35], 1, v[22:23]
	global_load_ushort v40, v[40:41], off
	s_waitcnt vmcnt(0)
	v_mul_f16_e32 v40, s28, v40
	s_branch .LBB286_146
.LBB286_145:
	v_mov_b32_e32 v40, 0
.LBB286_146:
	v_pk_max_f16 v41, v4, v4
	v_pk_max_f16 v42, v10, v10
	;; [unrolled: 1-line block ×3, first 2 shown]
	v_pk_min_f16 v41, v42, v41
	v_pk_max_f16 v42, v5, v5
	v_pk_add_f16 v41, v54, v41
	v_pk_min_f16 v42, v43, v42
	s_nop 0
	v_pk_add_f16 v41, v41, v42
	s_nop 0
	v_add_f16_sdwa v41, v41, v41 dst_sel:DWORD dst_unused:UNUSED_PAD src0_sel:DWORD src1_sel:WORD_1
	v_add_f16_e32 v42, v41, v40
	v_lshl_add_u64 v[40:41], v[34:35], 1, v[20:21]
	global_store_short v[40:41], v42, off
	s_or_b64 exec, exec, s[26:27]
	s_and_b64 s[34:35], s[14:15], s[18:19]
	s_and_saveexec_b64 s[26:27], s[34:35]
	s_cbranch_execz .LBB286_122
.LBB286_147:
	s_and_b64 vcc, exec, s[0:1]
	s_cbranch_vccnz .LBB286_149
; %bb.148:
	v_lshl_add_u64 v[40:41], v[36:37], 1, v[22:23]
	global_load_ushort v40, v[40:41], off
	s_waitcnt vmcnt(0)
	v_mul_f16_e32 v40, s28, v40
	s_branch .LBB286_150
.LBB286_149:
	v_mov_b32_e32 v40, 0
.LBB286_150:
	v_pk_max_f16 v41, v4, v4
	v_pk_max_f16 v42, v0, v0
	;; [unrolled: 1-line block ×3, first 2 shown]
	v_pk_min_f16 v41, v42, v41
	v_pk_max_f16 v42, v5, v5
	v_pk_add_f16 v41, v53, v41
	v_pk_min_f16 v42, v43, v42
	s_nop 0
	v_pk_add_f16 v41, v41, v42
	s_nop 0
	v_add_f16_sdwa v41, v41, v41 dst_sel:DWORD dst_unused:UNUSED_PAD src0_sel:DWORD src1_sel:WORD_1
	v_add_f16_e32 v42, v41, v40
	v_lshl_add_u64 v[40:41], v[36:37], 1, v[20:21]
	global_store_short v[40:41], v42, off
	s_or_b64 exec, exec, s[26:27]
	s_and_b64 s[26:27], s[16:17], s[18:19]
	s_and_saveexec_b64 s[18:19], s[26:27]
	s_cbranch_execz .LBB286_155
.LBB286_151:
	s_and_b64 vcc, exec, s[0:1]
	s_cbranch_vccnz .LBB286_153
; %bb.152:
	v_lshl_add_u64 v[22:23], v[38:39], 1, v[22:23]
	global_load_ushort v22, v[22:23], off
	s_waitcnt vmcnt(0)
	v_mul_f16_e32 v22, s28, v22
	s_branch .LBB286_154
.LBB286_153:
	v_mov_b32_e32 v22, 0
.LBB286_154:
	v_pk_max_f16 v4, v4, v4
	v_pk_max_f16 v23, v2, v2
	;; [unrolled: 1-line block ×3, first 2 shown]
	v_pk_min_f16 v4, v23, v4
	v_pk_max_f16 v23, v3, v3
	v_pk_add_f16 v4, v52, v4
	v_pk_min_f16 v5, v23, v5
	s_nop 0
	v_pk_add_f16 v4, v4, v5
	s_nop 0
	v_add_f16_sdwa v4, v4, v4 dst_sel:DWORD dst_unused:UNUSED_PAD src0_sel:DWORD src1_sel:WORD_1
	v_add_f16_e32 v22, v4, v22
	v_lshl_add_u64 v[4:5], v[38:39], 1, v[20:21]
	global_store_short v[4:5], v22, off
.LBB286_155:
	s_or_b64 exec, exec, s[18:19]
	v_add_u32_e32 v22, 0x60, v69
	v_cmp_gt_i32_e64 s[18:19], s21, v22
	v_mad_i64_i32 v[4:5], s[20:21], v22, s31, 0
	v_lshl_add_u64 v[20:21], v[4:5], 1, s[24:25]
	v_mad_i64_i32 v[4:5], s[20:21], v22, s30, 0
	v_lshl_add_u64 v[4:5], v[4:5], 1, s[22:23]
	s_and_b64 s[20:21], s[2:3], s[18:19]
	s_and_saveexec_b64 s[2:3], s[20:21]
	s_cbranch_execnz .LBB286_164
; %bb.156:
	s_or_b64 exec, exec, s[2:3]
	s_and_b64 s[4:5], s[4:5], s[18:19]
	s_and_saveexec_b64 s[2:3], s[4:5]
	s_cbranch_execnz .LBB286_168
.LBB286_157:
	s_or_b64 exec, exec, s[2:3]
	s_and_b64 s[4:5], s[6:7], s[18:19]
	s_and_saveexec_b64 s[2:3], s[4:5]
	s_cbranch_execnz .LBB286_172
.LBB286_158:
	s_or_b64 exec, exec, s[2:3]
	s_and_b64 s[4:5], s[8:9], s[18:19]
	s_and_saveexec_b64 s[2:3], s[4:5]
	s_cbranch_execnz .LBB286_176
.LBB286_159:
	s_or_b64 exec, exec, s[2:3]
	s_and_b64 s[4:5], s[10:11], s[18:19]
	s_and_saveexec_b64 s[2:3], s[4:5]
	s_cbranch_execnz .LBB286_180
.LBB286_160:
	s_or_b64 exec, exec, s[2:3]
	s_and_b64 s[4:5], s[12:13], s[18:19]
	s_and_saveexec_b64 s[2:3], s[4:5]
	s_cbranch_execnz .LBB286_184
.LBB286_161:
	s_or_b64 exec, exec, s[2:3]
	s_and_b64 s[4:5], s[14:15], s[18:19]
	s_and_saveexec_b64 s[2:3], s[4:5]
	s_cbranch_execnz .LBB286_188
.LBB286_162:
	s_or_b64 exec, exec, s[2:3]
	s_and_b64 s[2:3], s[16:17], s[18:19]
	s_and_saveexec_b64 s[4:5], s[2:3]
	s_cbranch_execnz .LBB286_192
.LBB286_163:
	s_endpgm
.LBB286_164:
	s_and_b64 vcc, exec, s[0:1]
	s_cbranch_vccnz .LBB286_166
; %bb.165:
	v_lshl_add_u64 v[22:23], v[24:25], 1, v[20:21]
	global_load_ushort v22, v[22:23], off
	s_waitcnt vmcnt(0)
	v_mul_f16_e32 v22, s28, v22
	s_branch .LBB286_167
.LBB286_166:
	v_mov_b32_e32 v22, 0
.LBB286_167:
	v_pk_max_f16 v23, v6, v6
	v_pk_max_f16 v16, v16, v16
	;; [unrolled: 1-line block ×3, first 2 shown]
	v_pk_min_f16 v16, v16, v23
	v_pk_max_f16 v23, v7, v7
	v_pk_add_f16 v16, v51, v16
	v_pk_min_f16 v17, v17, v23
	s_nop 0
	v_pk_add_f16 v16, v16, v17
	s_nop 0
	v_add_f16_sdwa v16, v16, v16 dst_sel:DWORD dst_unused:UNUSED_PAD src0_sel:DWORD src1_sel:WORD_1
	v_add_f16_e32 v22, v16, v22
	v_lshl_add_u64 v[16:17], v[24:25], 1, v[4:5]
	global_store_short v[16:17], v22, off
	s_or_b64 exec, exec, s[2:3]
	s_and_b64 s[4:5], s[4:5], s[18:19]
	s_and_saveexec_b64 s[2:3], s[4:5]
	s_cbranch_execz .LBB286_157
.LBB286_168:
	s_and_b64 vcc, exec, s[0:1]
	s_cbranch_vccnz .LBB286_170
; %bb.169:
	v_lshl_add_u64 v[16:17], v[26:27], 1, v[20:21]
	global_load_ushort v16, v[16:17], off
	s_waitcnt vmcnt(0)
	v_mul_f16_e32 v16, s28, v16
	s_branch .LBB286_171
.LBB286_170:
	v_mov_b32_e32 v16, 0
.LBB286_171:
	v_pk_max_f16 v17, v6, v6
	v_pk_max_f16 v18, v18, v18
	;; [unrolled: 1-line block ×3, first 2 shown]
	v_pk_min_f16 v17, v18, v17
	v_pk_max_f16 v18, v7, v7
	v_pk_add_f16 v17, v50, v17
	v_pk_min_f16 v18, v19, v18
	s_nop 0
	v_pk_add_f16 v17, v17, v18
	s_nop 0
	v_add_f16_sdwa v17, v17, v17 dst_sel:DWORD dst_unused:UNUSED_PAD src0_sel:DWORD src1_sel:WORD_1
	v_add_f16_e32 v18, v17, v16
	v_lshl_add_u64 v[16:17], v[26:27], 1, v[4:5]
	global_store_short v[16:17], v18, off
	s_or_b64 exec, exec, s[2:3]
	s_and_b64 s[4:5], s[6:7], s[18:19]
	s_and_saveexec_b64 s[2:3], s[4:5]
	s_cbranch_execz .LBB286_158
.LBB286_172:
	s_and_b64 vcc, exec, s[0:1]
	s_cbranch_vccnz .LBB286_174
; %bb.173:
	v_lshl_add_u64 v[16:17], v[28:29], 1, v[20:21]
	global_load_ushort v16, v[16:17], off
	s_waitcnt vmcnt(0)
	v_mul_f16_e32 v16, s28, v16
	s_branch .LBB286_175
.LBB286_174:
	v_mov_b32_e32 v16, 0
.LBB286_175:
	v_pk_max_f16 v17, v6, v6
	v_pk_max_f16 v12, v12, v12
	;; [unrolled: 1-line block ×3, first 2 shown]
	v_pk_min_f16 v12, v12, v17
	v_pk_max_f16 v17, v7, v7
	v_pk_add_f16 v12, v49, v12
	v_pk_min_f16 v13, v13, v17
	s_nop 0
	v_pk_add_f16 v12, v12, v13
	s_nop 0
	v_add_f16_sdwa v12, v12, v12 dst_sel:DWORD dst_unused:UNUSED_PAD src0_sel:DWORD src1_sel:WORD_1
	v_add_f16_e32 v16, v12, v16
	v_lshl_add_u64 v[12:13], v[28:29], 1, v[4:5]
	global_store_short v[12:13], v16, off
	s_or_b64 exec, exec, s[2:3]
	s_and_b64 s[4:5], s[8:9], s[18:19]
	s_and_saveexec_b64 s[2:3], s[4:5]
	s_cbranch_execz .LBB286_159
.LBB286_176:
	s_and_b64 vcc, exec, s[0:1]
	s_cbranch_vccnz .LBB286_178
; %bb.177:
	v_lshl_add_u64 v[12:13], v[30:31], 1, v[20:21]
	global_load_ushort v12, v[12:13], off
	s_waitcnt vmcnt(0)
	v_mul_f16_e32 v12, s28, v12
	s_branch .LBB286_179
.LBB286_178:
	v_mov_b32_e32 v12, 0
.LBB286_179:
	v_pk_max_f16 v13, v6, v6
	v_pk_max_f16 v14, v14, v14
	;; [unrolled: 1-line block ×3, first 2 shown]
	v_pk_min_f16 v13, v14, v13
	v_pk_max_f16 v14, v7, v7
	v_pk_add_f16 v13, v48, v13
	v_pk_min_f16 v14, v15, v14
	s_nop 0
	v_pk_add_f16 v13, v13, v14
	s_nop 0
	v_add_f16_sdwa v13, v13, v13 dst_sel:DWORD dst_unused:UNUSED_PAD src0_sel:DWORD src1_sel:WORD_1
	v_add_f16_e32 v14, v13, v12
	v_lshl_add_u64 v[12:13], v[30:31], 1, v[4:5]
	global_store_short v[12:13], v14, off
	s_or_b64 exec, exec, s[2:3]
	s_and_b64 s[4:5], s[10:11], s[18:19]
	s_and_saveexec_b64 s[2:3], s[4:5]
	s_cbranch_execz .LBB286_160
.LBB286_180:
	s_and_b64 vcc, exec, s[0:1]
	s_cbranch_vccnz .LBB286_182
; %bb.181:
	v_lshl_add_u64 v[12:13], v[32:33], 1, v[20:21]
	global_load_ushort v12, v[12:13], off
	s_waitcnt vmcnt(0)
	v_mul_f16_e32 v12, s28, v12
	s_branch .LBB286_183
.LBB286_182:
	v_mov_b32_e32 v12, 0
.LBB286_183:
	v_pk_max_f16 v13, v6, v6
	v_pk_max_f16 v8, v8, v8
	;; [unrolled: 1-line block ×3, first 2 shown]
	v_pk_min_f16 v8, v8, v13
	v_pk_max_f16 v13, v7, v7
	v_pk_add_f16 v8, v47, v8
	v_pk_min_f16 v9, v9, v13
	s_nop 0
	v_pk_add_f16 v8, v8, v9
	s_nop 0
	v_add_f16_sdwa v8, v8, v8 dst_sel:DWORD dst_unused:UNUSED_PAD src0_sel:DWORD src1_sel:WORD_1
	v_add_f16_e32 v12, v8, v12
	v_lshl_add_u64 v[8:9], v[32:33], 1, v[4:5]
	global_store_short v[8:9], v12, off
	s_or_b64 exec, exec, s[2:3]
	s_and_b64 s[4:5], s[12:13], s[18:19]
	s_and_saveexec_b64 s[2:3], s[4:5]
	s_cbranch_execz .LBB286_161
.LBB286_184:
	s_and_b64 vcc, exec, s[0:1]
	s_cbranch_vccnz .LBB286_186
; %bb.185:
	v_lshl_add_u64 v[8:9], v[34:35], 1, v[20:21]
	global_load_ushort v8, v[8:9], off
	s_waitcnt vmcnt(0)
	v_mul_f16_e32 v8, s28, v8
	s_branch .LBB286_187
.LBB286_186:
	v_mov_b32_e32 v8, 0
.LBB286_187:
	v_pk_max_f16 v9, v6, v6
	v_pk_max_f16 v10, v10, v10
	;; [unrolled: 1-line block ×3, first 2 shown]
	v_pk_min_f16 v9, v10, v9
	v_pk_max_f16 v10, v7, v7
	v_pk_add_f16 v9, v46, v9
	v_pk_min_f16 v10, v11, v10
	s_nop 0
	v_pk_add_f16 v9, v9, v10
	s_nop 0
	v_add_f16_sdwa v9, v9, v9 dst_sel:DWORD dst_unused:UNUSED_PAD src0_sel:DWORD src1_sel:WORD_1
	v_add_f16_e32 v10, v9, v8
	v_lshl_add_u64 v[8:9], v[34:35], 1, v[4:5]
	global_store_short v[8:9], v10, off
	s_or_b64 exec, exec, s[2:3]
	s_and_b64 s[4:5], s[14:15], s[18:19]
	s_and_saveexec_b64 s[2:3], s[4:5]
	s_cbranch_execz .LBB286_162
.LBB286_188:
	s_and_b64 vcc, exec, s[0:1]
	s_cbranch_vccnz .LBB286_190
; %bb.189:
	v_lshl_add_u64 v[8:9], v[36:37], 1, v[20:21]
	global_load_ushort v8, v[8:9], off
	s_waitcnt vmcnt(0)
	v_mul_f16_e32 v8, s28, v8
	s_branch .LBB286_191
.LBB286_190:
	v_mov_b32_e32 v8, 0
.LBB286_191:
	v_pk_max_f16 v9, v6, v6
	v_pk_max_f16 v0, v0, v0
	;; [unrolled: 1-line block ×3, first 2 shown]
	v_pk_min_f16 v0, v0, v9
	v_pk_max_f16 v9, v7, v7
	v_pk_add_f16 v0, v45, v0
	v_pk_min_f16 v1, v1, v9
	s_nop 0
	v_pk_add_f16 v0, v0, v1
	s_nop 0
	v_add_f16_sdwa v0, v0, v0 dst_sel:DWORD dst_unused:UNUSED_PAD src0_sel:DWORD src1_sel:WORD_1
	v_add_f16_e32 v8, v0, v8
	v_lshl_add_u64 v[0:1], v[36:37], 1, v[4:5]
	global_store_short v[0:1], v8, off
	s_or_b64 exec, exec, s[2:3]
	s_and_b64 s[2:3], s[16:17], s[18:19]
	s_and_saveexec_b64 s[4:5], s[2:3]
	s_cbranch_execz .LBB286_163
.LBB286_192:
	s_and_b64 vcc, exec, s[0:1]
	s_cbranch_vccnz .LBB286_194
; %bb.193:
	v_lshl_add_u64 v[0:1], v[38:39], 1, v[20:21]
	global_load_ushort v0, v[0:1], off
	s_waitcnt vmcnt(0)
	v_mul_f16_e32 v0, s28, v0
	s_branch .LBB286_195
.LBB286_194:
	v_mov_b32_e32 v0, 0
.LBB286_195:
	v_pk_max_f16 v1, v6, v6
	v_pk_max_f16 v2, v2, v2
	;; [unrolled: 1-line block ×3, first 2 shown]
	v_pk_min_f16 v1, v2, v1
	v_pk_max_f16 v2, v7, v7
	v_pk_add_f16 v1, v44, v1
	v_pk_min_f16 v2, v3, v2
	s_nop 0
	v_pk_add_f16 v1, v1, v2
	s_nop 0
	v_add_f16_sdwa v1, v1, v1 dst_sel:DWORD dst_unused:UNUSED_PAD src0_sel:DWORD src1_sel:WORD_1
	v_add_f16_e32 v2, v1, v0
	v_lshl_add_u64 v[0:1], v[38:39], 1, v[4:5]
	global_store_short v[0:1], v2, off
	s_endpgm
	.section	.rodata,"a",@progbits
	.p2align	6, 0x0
	.amdhsa_kernel _ZN12_GLOBAL__N_120geam_min_plus_kernelIDF16_Dv2_DF16_S1_Li8ELi32ELi64ELi128ELi4ELi64ELi4ELi4ELi64ELc78ELc78ELb1ELb1ELb0EDF16_KDF16_DF16_EEviiiT16_PT17_ilS5_ilS3_S5_ilPT18_ili26rocblas_geam_ex_operation_
		.amdhsa_group_segment_fixed_size 3072
		.amdhsa_private_segment_fixed_size 0
		.amdhsa_kernarg_size 128
		.amdhsa_user_sgpr_count 2
		.amdhsa_user_sgpr_dispatch_ptr 0
		.amdhsa_user_sgpr_queue_ptr 0
		.amdhsa_user_sgpr_kernarg_segment_ptr 1
		.amdhsa_user_sgpr_dispatch_id 0
		.amdhsa_user_sgpr_kernarg_preload_length 0
		.amdhsa_user_sgpr_kernarg_preload_offset 0
		.amdhsa_user_sgpr_private_segment_size 0
		.amdhsa_uses_dynamic_stack 0
		.amdhsa_enable_private_segment 0
		.amdhsa_system_sgpr_workgroup_id_x 1
		.amdhsa_system_sgpr_workgroup_id_y 0
		.amdhsa_system_sgpr_workgroup_id_z 1
		.amdhsa_system_sgpr_workgroup_info 0
		.amdhsa_system_vgpr_workitem_id 1
		.amdhsa_next_free_vgpr 126
		.amdhsa_next_free_sgpr 36
		.amdhsa_accum_offset 128
		.amdhsa_reserve_vcc 1
		.amdhsa_float_round_mode_32 0
		.amdhsa_float_round_mode_16_64 0
		.amdhsa_float_denorm_mode_32 3
		.amdhsa_float_denorm_mode_16_64 3
		.amdhsa_dx10_clamp 1
		.amdhsa_ieee_mode 1
		.amdhsa_fp16_overflow 0
		.amdhsa_tg_split 0
		.amdhsa_exception_fp_ieee_invalid_op 0
		.amdhsa_exception_fp_denorm_src 0
		.amdhsa_exception_fp_ieee_div_zero 0
		.amdhsa_exception_fp_ieee_overflow 0
		.amdhsa_exception_fp_ieee_underflow 0
		.amdhsa_exception_fp_ieee_inexact 0
		.amdhsa_exception_int_div_zero 0
	.end_amdhsa_kernel
	.section	.text._ZN12_GLOBAL__N_120geam_min_plus_kernelIDF16_Dv2_DF16_S1_Li8ELi32ELi64ELi128ELi4ELi64ELi4ELi4ELi64ELc78ELc78ELb1ELb1ELb0EDF16_KDF16_DF16_EEviiiT16_PT17_ilS5_ilS3_S5_ilPT18_ili26rocblas_geam_ex_operation_,"axG",@progbits,_ZN12_GLOBAL__N_120geam_min_plus_kernelIDF16_Dv2_DF16_S1_Li8ELi32ELi64ELi128ELi4ELi64ELi4ELi4ELi64ELc78ELc78ELb1ELb1ELb0EDF16_KDF16_DF16_EEviiiT16_PT17_ilS5_ilS3_S5_ilPT18_ili26rocblas_geam_ex_operation_,comdat
.Lfunc_end286:
	.size	_ZN12_GLOBAL__N_120geam_min_plus_kernelIDF16_Dv2_DF16_S1_Li8ELi32ELi64ELi128ELi4ELi64ELi4ELi4ELi64ELc78ELc78ELb1ELb1ELb0EDF16_KDF16_DF16_EEviiiT16_PT17_ilS5_ilS3_S5_ilPT18_ili26rocblas_geam_ex_operation_, .Lfunc_end286-_ZN12_GLOBAL__N_120geam_min_plus_kernelIDF16_Dv2_DF16_S1_Li8ELi32ELi64ELi128ELi4ELi64ELi4ELi4ELi64ELc78ELc78ELb1ELb1ELb0EDF16_KDF16_DF16_EEviiiT16_PT17_ilS5_ilS3_S5_ilPT18_ili26rocblas_geam_ex_operation_
                                        ; -- End function
	.set _ZN12_GLOBAL__N_120geam_min_plus_kernelIDF16_Dv2_DF16_S1_Li8ELi32ELi64ELi128ELi4ELi64ELi4ELi4ELi64ELc78ELc78ELb1ELb1ELb0EDF16_KDF16_DF16_EEviiiT16_PT17_ilS5_ilS3_S5_ilPT18_ili26rocblas_geam_ex_operation_.num_vgpr, 126
	.set _ZN12_GLOBAL__N_120geam_min_plus_kernelIDF16_Dv2_DF16_S1_Li8ELi32ELi64ELi128ELi4ELi64ELi4ELi4ELi64ELc78ELc78ELb1ELb1ELb0EDF16_KDF16_DF16_EEviiiT16_PT17_ilS5_ilS3_S5_ilPT18_ili26rocblas_geam_ex_operation_.num_agpr, 0
	.set _ZN12_GLOBAL__N_120geam_min_plus_kernelIDF16_Dv2_DF16_S1_Li8ELi32ELi64ELi128ELi4ELi64ELi4ELi4ELi64ELc78ELc78ELb1ELb1ELb0EDF16_KDF16_DF16_EEviiiT16_PT17_ilS5_ilS3_S5_ilPT18_ili26rocblas_geam_ex_operation_.numbered_sgpr, 36
	.set _ZN12_GLOBAL__N_120geam_min_plus_kernelIDF16_Dv2_DF16_S1_Li8ELi32ELi64ELi128ELi4ELi64ELi4ELi4ELi64ELc78ELc78ELb1ELb1ELb0EDF16_KDF16_DF16_EEviiiT16_PT17_ilS5_ilS3_S5_ilPT18_ili26rocblas_geam_ex_operation_.num_named_barrier, 0
	.set _ZN12_GLOBAL__N_120geam_min_plus_kernelIDF16_Dv2_DF16_S1_Li8ELi32ELi64ELi128ELi4ELi64ELi4ELi4ELi64ELc78ELc78ELb1ELb1ELb0EDF16_KDF16_DF16_EEviiiT16_PT17_ilS5_ilS3_S5_ilPT18_ili26rocblas_geam_ex_operation_.private_seg_size, 0
	.set _ZN12_GLOBAL__N_120geam_min_plus_kernelIDF16_Dv2_DF16_S1_Li8ELi32ELi64ELi128ELi4ELi64ELi4ELi4ELi64ELc78ELc78ELb1ELb1ELb0EDF16_KDF16_DF16_EEviiiT16_PT17_ilS5_ilS3_S5_ilPT18_ili26rocblas_geam_ex_operation_.uses_vcc, 1
	.set _ZN12_GLOBAL__N_120geam_min_plus_kernelIDF16_Dv2_DF16_S1_Li8ELi32ELi64ELi128ELi4ELi64ELi4ELi4ELi64ELc78ELc78ELb1ELb1ELb0EDF16_KDF16_DF16_EEviiiT16_PT17_ilS5_ilS3_S5_ilPT18_ili26rocblas_geam_ex_operation_.uses_flat_scratch, 0
	.set _ZN12_GLOBAL__N_120geam_min_plus_kernelIDF16_Dv2_DF16_S1_Li8ELi32ELi64ELi128ELi4ELi64ELi4ELi4ELi64ELc78ELc78ELb1ELb1ELb0EDF16_KDF16_DF16_EEviiiT16_PT17_ilS5_ilS3_S5_ilPT18_ili26rocblas_geam_ex_operation_.has_dyn_sized_stack, 0
	.set _ZN12_GLOBAL__N_120geam_min_plus_kernelIDF16_Dv2_DF16_S1_Li8ELi32ELi64ELi128ELi4ELi64ELi4ELi4ELi64ELc78ELc78ELb1ELb1ELb0EDF16_KDF16_DF16_EEviiiT16_PT17_ilS5_ilS3_S5_ilPT18_ili26rocblas_geam_ex_operation_.has_recursion, 0
	.set _ZN12_GLOBAL__N_120geam_min_plus_kernelIDF16_Dv2_DF16_S1_Li8ELi32ELi64ELi128ELi4ELi64ELi4ELi4ELi64ELc78ELc78ELb1ELb1ELb0EDF16_KDF16_DF16_EEviiiT16_PT17_ilS5_ilS3_S5_ilPT18_ili26rocblas_geam_ex_operation_.has_indirect_call, 0
	.section	.AMDGPU.csdata,"",@progbits
; Kernel info:
; codeLenInByte = 11180
; TotalNumSgprs: 42
; NumVgprs: 126
; NumAgprs: 0
; TotalNumVgprs: 126
; ScratchSize: 0
; MemoryBound: 0
; FloatMode: 240
; IeeeMode: 1
; LDSByteSize: 3072 bytes/workgroup (compile time only)
; SGPRBlocks: 5
; VGPRBlocks: 15
; NumSGPRsForWavesPerEU: 42
; NumVGPRsForWavesPerEU: 126
; AccumOffset: 128
; Occupancy: 4
; WaveLimiterHint : 0
; COMPUTE_PGM_RSRC2:SCRATCH_EN: 0
; COMPUTE_PGM_RSRC2:USER_SGPR: 2
; COMPUTE_PGM_RSRC2:TRAP_HANDLER: 0
; COMPUTE_PGM_RSRC2:TGID_X_EN: 1
; COMPUTE_PGM_RSRC2:TGID_Y_EN: 0
; COMPUTE_PGM_RSRC2:TGID_Z_EN: 1
; COMPUTE_PGM_RSRC2:TIDIG_COMP_CNT: 1
; COMPUTE_PGM_RSRC3_GFX90A:ACCUM_OFFSET: 31
; COMPUTE_PGM_RSRC3_GFX90A:TG_SPLIT: 0
	.section	.text._ZN12_GLOBAL__N_120geam_min_plus_kernelIDF16_Dv2_DF16_S1_Li8ELi32ELi64ELi128ELi4ELi64ELi4ELi4ELi64ELc78ELc78ELb0ELb1ELb0EDF16_KDF16_DF16_EEviiiT16_PT17_ilS5_ilS3_S5_ilPT18_ili26rocblas_geam_ex_operation_,"axG",@progbits,_ZN12_GLOBAL__N_120geam_min_plus_kernelIDF16_Dv2_DF16_S1_Li8ELi32ELi64ELi128ELi4ELi64ELi4ELi4ELi64ELc78ELc78ELb0ELb1ELb0EDF16_KDF16_DF16_EEviiiT16_PT17_ilS5_ilS3_S5_ilPT18_ili26rocblas_geam_ex_operation_,comdat
	.globl	_ZN12_GLOBAL__N_120geam_min_plus_kernelIDF16_Dv2_DF16_S1_Li8ELi32ELi64ELi128ELi4ELi64ELi4ELi4ELi64ELc78ELc78ELb0ELb1ELb0EDF16_KDF16_DF16_EEviiiT16_PT17_ilS5_ilS3_S5_ilPT18_ili26rocblas_geam_ex_operation_ ; -- Begin function _ZN12_GLOBAL__N_120geam_min_plus_kernelIDF16_Dv2_DF16_S1_Li8ELi32ELi64ELi128ELi4ELi64ELi4ELi4ELi64ELc78ELc78ELb0ELb1ELb0EDF16_KDF16_DF16_EEviiiT16_PT17_ilS5_ilS3_S5_ilPT18_ili26rocblas_geam_ex_operation_
	.p2align	8
	.type	_ZN12_GLOBAL__N_120geam_min_plus_kernelIDF16_Dv2_DF16_S1_Li8ELi32ELi64ELi128ELi4ELi64ELi4ELi4ELi64ELc78ELc78ELb0ELb1ELb0EDF16_KDF16_DF16_EEviiiT16_PT17_ilS5_ilS3_S5_ilPT18_ili26rocblas_geam_ex_operation_,@function
_ZN12_GLOBAL__N_120geam_min_plus_kernelIDF16_Dv2_DF16_S1_Li8ELi32ELi64ELi128ELi4ELi64ELi4ELi4ELi64ELc78ELc78ELb0ELb1ELb0EDF16_KDF16_DF16_EEviiiT16_PT17_ilS5_ilS3_S5_ilPT18_ili26rocblas_geam_ex_operation_: ; @_ZN12_GLOBAL__N_120geam_min_plus_kernelIDF16_Dv2_DF16_S1_Li8ELi32ELi64ELi128ELi4ELi64ELi4ELi4ELi64ELc78ELc78ELb0ELb1ELb0EDF16_KDF16_DF16_EEviiiT16_PT17_ilS5_ilS3_S5_ilPT18_ili26rocblas_geam_ex_operation_
; %bb.0:
	s_load_dwordx4 s[20:23], s[0:1], 0x0
	s_load_dwordx4 s[4:7], s[0:1], 0x20
	s_waitcnt lgkmcnt(0)
	v_cmp_eq_f16_e64 s[8:9], s23, 0
	v_cmp_neq_f16_e64 s[14:15], s23, 0
	s_and_b64 vcc, exec, s[8:9]
	s_cbranch_vccnz .LBB287_37
; %bb.1:
	s_load_dwordx2 s[10:11], s[0:1], 0x10
	s_mul_i32 s5, s5, s3
	s_mul_hi_u32 s12, s4, s3
	s_add_i32 s5, s12, s5
	s_mul_i32 s4, s4, s3
	s_lshl_b64 s[4:5], s[4:5], 1
	s_waitcnt lgkmcnt(0)
	s_add_u32 s18, s10, s4
	s_addc_u32 s19, s11, s5
	s_andn2_b64 vcc, exec, s[8:9]
	s_mov_b64 s[4:5], -1
	s_cbranch_vccnz .LBB287_3
.LBB287_2:
	s_mov_b64 s[4:5], 0
.LBB287_3:
	s_mov_b64 s[24:25], 0
	s_andn2_b64 vcc, exec, s[4:5]
	s_mov_b64 s[16:17], 0
	s_cbranch_vccnz .LBB287_5
; %bb.4:
	s_load_dwordx2 s[4:5], s[0:1], 0x38
	s_waitcnt lgkmcnt(0)
	s_mul_i32 s5, s5, s3
	s_mul_hi_u32 s8, s4, s3
	s_add_i32 s5, s8, s5
	s_mul_i32 s4, s4, s3
	s_lshl_b64 s[4:5], s[4:5], 1
	s_add_u32 s16, s6, s4
	s_addc_u32 s17, s7, s5
.LBB287_5:
	s_load_dword s30, s[0:1], 0x40
	s_load_dwordx4 s[8:11], s[0:1], 0x58
	s_waitcnt lgkmcnt(0)
	v_cmp_eq_f16_e64 s[4:5], s30, 0
	v_cmp_neq_f16_e64 s[12:13], s30, 0
	s_and_b64 vcc, exec, s[4:5]
	s_cbranch_vccnz .LBB287_7
; %bb.6:
	s_load_dwordx2 s[4:5], s[0:1], 0x48
	s_mul_i32 s6, s9, s3
	s_mul_hi_u32 s7, s8, s3
	s_add_i32 s7, s7, s6
	s_mul_i32 s6, s8, s3
	s_lshl_b64 s[6:7], s[6:7], 1
	s_waitcnt lgkmcnt(0)
	s_add_u32 s24, s4, s6
	s_addc_u32 s25, s5, s7
.LBB287_7:
	s_add_i32 s4, s20, -1
	s_ashr_i32 s5, s4, 31
	s_lshr_b32 s5, s5, 26
	s_add_i32 s4, s4, s5
	s_ashr_i32 s4, s4, 6
	s_add_i32 s5, s4, 1
	v_cvt_f32_u32_e32 v1, s5
	v_and_b32_e32 v36, 0x3ff, v0
	v_bfe_u32 v37, v0, 10, 10
	s_not_b32 s4, s4
	v_rcp_iflag_f32_e32 v1, v1
	s_load_dword s26, s[0:1], 0x18
	v_lshl_add_u32 v2, v37, 3, v36
	v_and_b32_e32 v9, 63, v2
	v_mul_f32_e32 v0, 0x4f7ffffe, v1
	v_cvt_u32_f32_e32 v0, v0
	s_waitcnt lgkmcnt(0)
	s_ashr_i32 s27, s26, 31
	v_lshrrev_b32_e32 v38, 6, v2
	v_mov_b32_e32 v10, 0
	v_readfirstlane_b32 s6, v0
	s_mul_i32 s4, s4, s6
	s_mul_hi_u32 s4, s6, s4
	s_add_i32 s6, s6, s4
	s_mul_hi_u32 s4, s2, s6
	s_mul_i32 s6, s4, s5
	s_sub_i32 s6, s2, s6
	s_add_i32 s7, s4, 1
	s_sub_i32 s8, s6, s5
	s_cmp_ge_u32 s6, s5
	s_cselect_b32 s4, s7, s4
	s_cselect_b32 s6, s8, s6
	s_add_i32 s7, s4, 1
	s_cmp_ge_u32 s6, s5
	s_cselect_b32 s6, s7, s4
	s_mul_i32 s4, s6, s5
	s_sub_i32 s2, s2, s4
	s_lshl_b32 s2, s2, 6
	v_or_b32_e32 v0, s2, v9
	v_cmp_gt_i32_e32 vcc, s20, v0
	v_cmp_gt_i32_e64 s[4:5], s22, v38
	s_and_b64 s[4:5], s[4:5], vcc
	s_and_b64 s[8:9], s[14:15], s[4:5]
	v_ashrrev_i32_e32 v1, 31, v0
	v_mov_b32_e32 v11, 0
	s_and_saveexec_b64 s[4:5], s[8:9]
	s_cbranch_execz .LBB287_9
; %bb.8:
	v_mad_i64_i32 v[4:5], s[8:9], s26, v38, 0
	v_lshl_add_u64 v[4:5], v[4:5], 1, s[18:19]
	v_lshl_add_u64 v[4:5], v[0:1], 1, v[4:5]
	global_load_ushort v3, v[4:5], off
	s_waitcnt vmcnt(0)
	v_mul_f16_e32 v11, s23, v3
.LBB287_9:
	s_or_b64 exec, exec, s[4:5]
	s_load_dword s34, s[0:1], 0x30
	v_lshrrev_b32_e32 v12, 2, v2
	s_lshl_b32 s31, s6, 7
	v_and_b32_e32 v39, 3, v36
	v_add_u32_e32 v4, s31, v12
	s_add_i32 s33, s22, -1
	v_min_i32_e32 v2, s33, v39
	v_cmp_le_i32_e64 s[6:7], s21, v4
	s_xor_b64 s[28:29], s[14:15], -1
	v_cmp_le_i32_e64 s[4:5], s22, v39
	v_ashrrev_i32_e32 v3, 31, v2
	s_or_b64 s[8:9], s[6:7], s[28:29]
	v_lshl_add_u64 v[2:3], v[2:3], 1, s[16:17]
	s_nor_b64 s[36:37], s[4:5], s[8:9]
	s_and_saveexec_b64 s[6:7], s[36:37]
	s_cbranch_execz .LBB287_11
; %bb.10:
	s_waitcnt lgkmcnt(0)
	v_mad_i64_i32 v[6:7], s[36:37], v4, s34, 0
	v_lshl_add_u64 v[6:7], v[6:7], 1, v[2:3]
	global_load_ushort v5, v[6:7], off
	s_waitcnt vmcnt(0)
	v_mul_f16_e32 v10, s23, v5
.LBB287_11:
	s_or_b64 exec, exec, s[6:7]
	v_add_u32_e32 v5, 64, v4
	v_cmp_le_i32_e64 s[6:7], s21, v5
	s_or_b64 s[6:7], s[6:7], s[28:29]
	s_nor_b64 s[28:29], s[4:5], s[6:7]
	v_mov_b32_e32 v6, 0
	v_mov_b32_e32 v13, 0
	s_and_saveexec_b64 s[4:5], s[28:29]
	s_cbranch_execz .LBB287_13
; %bb.12:
	s_waitcnt lgkmcnt(0)
	v_mad_i64_i32 v[14:15], s[28:29], v5, s34, 0
	v_lshl_add_u64 v[2:3], v[14:15], 1, v[2:3]
	global_load_ushort v2, v[2:3], off
	s_waitcnt vmcnt(0)
	v_mul_f16_e32 v13, s23, v2
.LBB287_13:
	s_or_b64 exec, exec, s[4:5]
	v_add_u32_e32 v2, 4, v38
	v_cmp_gt_i32_e64 s[4:5], s22, v2
	s_and_b64 s[4:5], vcc, s[4:5]
	s_and_b64 s[28:29], s[14:15], s[4:5]
	s_and_saveexec_b64 s[4:5], s[28:29]
	s_cbranch_execz .LBB287_15
; %bb.14:
	v_mad_u64_u32 v[6:7], s[28:29], s26, v2, 0
	v_mov_b32_e32 v8, v7
	v_mad_u64_u32 v[2:3], s[28:29], s27, v2, v[8:9]
	v_mov_b32_e32 v7, v2
	v_lshl_add_u64 v[2:3], v[6:7], 1, s[18:19]
	v_lshl_add_u64 v[2:3], v[0:1], 1, v[2:3]
	global_load_ushort v2, v[2:3], off
	s_waitcnt vmcnt(0)
	v_mul_f16_e32 v6, s23, v2
.LBB287_15:
	s_or_b64 exec, exec, s[4:5]
	v_or_b32_e32 v2, 4, v39
	v_cmp_le_i32_e64 s[4:5], s22, v2
	v_min_i32_e32 v2, s33, v2
	v_ashrrev_i32_e32 v3, 31, v2
	v_lshl_add_u64 v[2:3], v[2:3], 1, s[16:17]
	s_nor_b64 s[36:37], s[4:5], s[8:9]
	v_mov_b32_e32 v7, 0
	v_mov_b32_e32 v8, 0
	s_and_saveexec_b64 s[28:29], s[36:37]
	s_cbranch_execz .LBB287_17
; %bb.16:
	s_waitcnt lgkmcnt(0)
	v_mad_i64_i32 v[14:15], s[36:37], v4, s34, 0
	v_lshl_add_u64 v[14:15], v[14:15], 1, v[2:3]
	global_load_ushort v8, v[14:15], off
	s_waitcnt vmcnt(0)
	v_mul_f16_e32 v8, s23, v8
.LBB287_17:
	s_or_b64 exec, exec, s[28:29]
	s_nor_b64 s[28:29], s[4:5], s[6:7]
	s_and_saveexec_b64 s[4:5], s[28:29]
	s_cbranch_execz .LBB287_19
; %bb.18:
	s_waitcnt lgkmcnt(0)
	v_mad_i64_i32 v[14:15], s[28:29], v5, s34, 0
	v_lshl_add_u64 v[2:3], v[14:15], 1, v[2:3]
	global_load_ushort v2, v[2:3], off
	s_waitcnt vmcnt(0)
	v_mul_f16_e32 v7, s23, v2
.LBB287_19:
	s_or_b64 exec, exec, s[4:5]
	v_lshlrev_b32_e32 v2, 3, v9
	v_lshlrev_b32_e32 v3, 3, v12
	;; [unrolled: 1-line block ×3, first 2 shown]
	v_lshl_add_u32 v2, v38, 1, v2
	v_lshl_or_b32 v42, v39, 1, v3
	v_lshlrev_b32_e32 v40, 3, v37
	v_add_u32_e32 v43, 0x800, v41
	ds_write_b16 v2, v11 offset:2048
	ds_write_b16 v42, v10
	ds_write_b16 v42, v13 offset:512
	s_waitcnt lgkmcnt(0)
	s_barrier
	ds_read2_b64 v[10:13], v40 offset1:32
	ds_read2_b64 v[14:17], v43 offset0:48 offset1:56
	ds_read2_b64 v[18:21], v40 offset0:64 offset1:96
	ds_read2_b64 v[22:25], v43 offset1:8
	ds_read2_b64 v[26:29], v43 offset0:16 offset1:24
	ds_read2_b64 v[30:33], v43 offset0:32 offset1:40
	s_waitcnt lgkmcnt(5)
	v_pk_max_f16 v3, v10, v10
	s_waitcnt lgkmcnt(4)
	v_pk_max_f16 v9, v16, v16
	v_pk_max_f16 v12, v12, v12
	v_pk_min_f16 v10, v9, v3
	s_waitcnt lgkmcnt(3)
	v_pk_max_f16 v18, v18, v18
	s_waitcnt lgkmcnt(2)
	v_pk_max_f16 v22, v22, v22
	v_pk_max_f16 v20, v20, v20
	v_pk_max_f16 v24, v24, v24
	s_waitcnt lgkmcnt(1)
	v_pk_max_f16 v26, v26, v26
	v_pk_max_f16 v28, v28, v28
	;; [unrolled: 4-line block ×3, first 2 shown]
	v_pk_max_f16 v14, v14, v14
	v_pk_max_f16 v17, v17, v17
	v_pk_min_f16 v16, v9, v12
	v_pk_min_f16 v34, v22, v3
	v_pk_min_f16 v35, v22, v12
	v_pk_min_f16 v44, v22, v18
	v_pk_min_f16 v22, v22, v20
	v_pk_min_f16 v45, v24, v3
	v_pk_min_f16 v46, v24, v12
	v_pk_min_f16 v47, v24, v18
	v_pk_min_f16 v24, v24, v20
	v_pk_min_f16 v48, v26, v3
	v_pk_min_f16 v49, v26, v12
	v_pk_min_f16 v50, v26, v18
	v_pk_min_f16 v26, v26, v20
	v_pk_min_f16 v53, v28, v3
	v_pk_min_f16 v54, v28, v12
	v_pk_min_f16 v55, v28, v18
	v_pk_min_f16 v28, v28, v20
	v_pk_max_f16 v13, v13, v13
	v_pk_min_f16 v56, v30, v3
	v_pk_min_f16 v57, v30, v12
	;; [unrolled: 1-line block ×14, first 2 shown]
	v_pk_add_f16 v10, v10, 0
	v_pk_min_f16 v20, v17, v11
	v_pk_max_f16 v19, v19, v19
	v_pk_add_f16 v68, v10, v20
	v_pk_add_f16 v10, v16, 0
	v_pk_min_f16 v16, v17, v13
	v_pk_max_f16 v23, v23, v23
	v_pk_add_f16 v60, v10, v16
	;; [unrolled: 4-line block ×5, first 2 shown]
	v_pk_add_f16 v10, v44, 0
	v_pk_min_f16 v16, v23, v19
	v_pk_add_f16 v20, v49, 0
	v_pk_add_f16 v59, v10, v16
	v_pk_add_f16 v10, v22, 0
	v_pk_min_f16 v16, v23, v21
	v_pk_add_f16 v22, v50, 0
	v_pk_add_f16 v51, v10, v16
	;; [unrolled: 1-line block ×3, first 2 shown]
	v_pk_min_f16 v16, v25, v11
	v_pk_max_f16 v29, v29, v29
	v_pk_add_f16 v75, v10, v16
	v_pk_add_f16 v10, v46, 0
	v_pk_min_f16 v16, v25, v13
	v_pk_add_f16 v23, v26, 0
	v_pk_add_f16 v66, v10, v16
	;; [unrolled: 1-line block ×3, first 2 shown]
	v_pk_min_f16 v16, v25, v19
	v_pk_min_f16 v25, v25, v21
	v_pk_add_f16 v58, v10, v16
	v_pk_add_f16 v10, v24, 0
	;; [unrolled: 1-line block ×4, first 2 shown]
	v_pk_min_f16 v10, v27, v11
	v_pk_add_f16 v44, v57, 0
	v_pk_add_f16 v74, v16, v10
	v_pk_min_f16 v10, v27, v13
	v_pk_add_f16 v24, v53, 0
	v_pk_add_f16 v65, v20, v10
	;; [unrolled: 3-line block ×8, first 2 shown]
	v_pk_max_f16 v10, v31, v31
	v_pk_add_f16 v53, v63, 0
	v_pk_min_f16 v16, v10, v11
	v_pk_add_f16 v45, v61, 0
	v_pk_add_f16 v72, v35, v16
	v_pk_min_f16 v16, v10, v13
	v_pk_add_f16 v46, v62, 0
	v_pk_add_f16 v63, v44, v16
	v_pk_min_f16 v16, v10, v19
	v_pk_min_f16 v10, v10, v21
	v_pk_add_f16 v55, v45, v16
	v_pk_add_f16 v47, v30, v10
	v_pk_max_f16 v10, v33, v33
	v_pk_add_f16 v32, v32, 0
	v_pk_min_f16 v16, v10, v11
	v_pk_add_f16 v3, v3, 0
	v_pk_add_f16 v71, v46, v16
	v_pk_min_f16 v16, v10, v13
	v_pk_add_f16 v12, v12, 0
	v_pk_add_f16 v62, v53, v16
	v_pk_min_f16 v16, v10, v19
	v_pk_min_f16 v10, v10, v21
	v_pk_add_f16 v18, v18, 0
	v_pk_add_f16 v46, v32, v10
	v_pk_max_f16 v10, v15, v15
	v_pk_add_f16 v14, v14, 0
	v_pk_min_f16 v11, v10, v11
	v_pk_add_f16 v9, v9, 0
	v_pk_add_f16 v70, v3, v11
	v_pk_min_f16 v3, v10, v13
	s_mov_b32 s28, 0
	v_pk_add_f16 v61, v12, v3
	v_pk_min_f16 v3, v10, v19
	v_pk_add_f16 v54, v54, v16
	v_pk_add_f16 v53, v18, v3
	v_pk_min_f16 v3, v10, v21
	s_cmp_lt_i32 s22, 9
	v_pk_add_f16 v45, v14, v3
	v_pk_min_f16 v3, v17, v21
	ds_write_b16 v2, v6 offset:2560
	ds_write_b16 v42, v8 offset:1024
	;; [unrolled: 1-line block ×3, first 2 shown]
	v_pk_add_f16 v44, v9, v3
	s_waitcnt lgkmcnt(0)
	s_barrier
	s_cbranch_scc1 .LBB287_34
; %bb.20:
	v_lshl_add_u64 v[24:25], v[0:1], 1, s[18:19]
	v_mov_b32_e32 v0, 0xa00
	v_lshl_add_u32 v79, v36, 3, v0
	v_add_u32_e32 v0, v40, v36
	v_or_b32_e32 v69, 0x800, v2
	v_add_u32_e32 v77, 0xa00, v2
	v_lshrrev_b32_e32 v2, 6, v0
	v_add_u32_e32 v0, 12, v2
	v_mad_i64_i32 v[0:1], s[4:5], v0, s26, 0
	v_lshlrev_b64 v[30:31], 1, v[0:1]
	v_add_u32_e32 v0, 8, v2
	v_mad_i64_i32 v[0:1], s[4:5], v0, s26, 0
	v_add_u32_e32 v78, 0x400, v42
	s_add_i32 s29, s22, -8
	v_mad_i64_i32 v[26:27], s[4:5], v4, s34, 0
	v_mad_i64_i32 v[28:29], s[4:5], v5, s34, 0
	v_add_u32_e32 v80, 0x400, v40
	s_lshl_b64 s[18:19], s[26:27], 4
	v_lshlrev_b64 v[32:33], 1, v[0:1]
	s_branch .LBB287_22
.LBB287_21:                             ;   in Loop: Header=BB287_22 Depth=1
	s_or_b64 exec, exec, s[4:5]
	v_pk_max_f16 v2, v2, v2
	v_pk_max_f16 v20, v20, v20
	;; [unrolled: 1-line block ×7, first 2 shown]
	v_pk_min_f16 v34, v2, v20
	v_pk_min_f16 v35, v2, v22
	v_pk_max_f16 v12, v12, v12
	v_pk_max_f16 v14, v14, v14
	;; [unrolled: 1-line block ×10, first 2 shown]
	v_pk_min_f16 v96, v4, v20
	v_pk_max_f16 v9, v9, v9
	v_pk_max_f16 v11, v11, v11
	v_pk_min_f16 v97, v4, v22
	v_pk_max_f16 v5, v5, v5
	v_pk_max_f16 v7, v7, v7
	v_pk_min_f16 v98, v4, v16
	v_pk_min_f16 v4, v4, v18
	v_pk_max_f16 v0, v0, v0
	v_pk_max_f16 v3, v3, v3
	;; [unrolled: 1-line block ×3, first 2 shown]
	v_pk_min_f16 v99, v6, v20
	v_pk_min_f16 v100, v6, v22
	;; [unrolled: 1-line block ×58, first 2 shown]
	v_pk_add_f16 v1, v68, v34
	v_pk_add_f16 v3, v60, v35
	;; [unrolled: 1-line block ×12, first 2 shown]
	ds_read2_b64 v[0:3], v43 offset0:48 offset1:56
	ds_read2_b64 v[4:7], v40 offset1:32
	v_pk_add_f16 v34, v52, v102
	v_pk_add_f16 v35, v76, v84
	;; [unrolled: 1-line block ×7, first 2 shown]
	s_waitcnt lgkmcnt(1)
	v_pk_max_f16 v2, v2, v2
	s_waitcnt lgkmcnt(0)
	v_pk_max_f16 v4, v4, v4
	v_pk_add_f16 v60, v66, v88
	v_pk_add_f16 v14, v50, v14
	;; [unrolled: 1-line block ×8, first 2 shown]
	ds_read2_b64 v[8:11], v40 offset0:64 offset1:96
	v_pk_min_f16 v12, v2, v4
	v_pk_add_f16 v22, v61, v22
	v_pk_add_f16 v61, v14, v15
	;; [unrolled: 1-line block ×3, first 2 shown]
	ds_read2_b64 v[12:15], v43 offset1:8
	v_pk_max_f16 v6, v6, v6
	v_pk_add_f16 v49, v73, v93
	v_pk_add_f16 v73, v16, v17
	v_pk_min_f16 v16, v2, v6
	s_waitcnt lgkmcnt(1)
	v_pk_max_f16 v8, v8, v8
	v_pk_add_f16 v34, v34, v122
	v_pk_add_f16 v53, v53, v16
	v_pk_min_f16 v16, v2, v8
	s_waitcnt lgkmcnt(0)
	v_pk_max_f16 v12, v12, v12
	v_pk_add_f16 v34, v34, v16
	v_pk_min_f16 v16, v12, v4
	v_pk_add_f16 v50, v74, v90
	v_pk_add_f16 v74, v18, v16
	v_pk_min_f16 v16, v12, v6
	v_pk_add_f16 v51, v75, v87
	v_pk_add_f16 v35, v35, v16
	v_pk_min_f16 v16, v12, v8
	v_pk_max_f16 v14, v14, v14
	v_pk_add_f16 v51, v51, v105
	v_pk_add_f16 v75, v52, v16
	v_pk_min_f16 v16, v14, v4
	v_pk_add_f16 v60, v60, v106
	v_pk_add_f16 v84, v51, v16
	v_pk_min_f16 v16, v14, v6
	v_pk_add_f16 v44, v44, v19
	v_pk_add_f16 v85, v60, v16
	ds_read2_b64 v[16:19], v43 offset0:16 offset1:24
	v_pk_add_f16 v58, v58, v89
	v_pk_add_f16 v47, v71, v99
	;; [unrolled: 1-line block ×4, first 2 shown]
	v_pk_max_f16 v10, v10, v10
	v_pk_min_f16 v20, v14, v8
	s_waitcnt lgkmcnt(0)
	v_pk_max_f16 v16, v16, v16
	v_pk_add_f16 v65, v65, v91
	v_pk_add_f16 v50, v50, v108
	;; [unrolled: 1-line block ×3, first 2 shown]
	v_pk_min_f16 v14, v14, v10
	v_pk_min_f16 v20, v16, v4
	v_pk_add_f16 v57, v57, v92
	v_pk_add_f16 v65, v65, v109
	;; [unrolled: 1-line block ×4, first 2 shown]
	v_pk_min_f16 v20, v16, v6
	v_pk_add_f16 v57, v57, v110
	v_pk_add_f16 v65, v65, v20
	v_pk_min_f16 v20, v16, v8
	v_pk_max_f16 v18, v18, v18
	v_pk_add_f16 v64, v64, v94
	v_pk_add_f16 v49, v49, v111
	;; [unrolled: 1-line block ×3, first 2 shown]
	v_pk_min_f16 v20, v18, v4
	v_pk_add_f16 v64, v64, v112
	v_pk_add_f16 v86, v49, v20
	v_pk_min_f16 v20, v18, v6
	v_pk_add_f16 v48, v72, v96
	v_pk_add_f16 v72, v22, v23
	;; [unrolled: 1-line block ×3, first 2 shown]
	ds_read2_b64 v[20:23], v43 offset0:32 offset1:40
	v_pk_add_f16 v56, v56, v95
	v_pk_min_f16 v49, v18, v8
	v_pk_add_f16 v56, v56, v113
	v_pk_add_f16 v63, v63, v97
	s_waitcnt lgkmcnt(0)
	v_pk_max_f16 v20, v20, v20
	v_pk_add_f16 v48, v48, v114
	v_pk_add_f16 v56, v56, v49
	v_pk_min_f16 v49, v20, v4
	v_pk_add_f16 v55, v55, v98
	v_pk_add_f16 v63, v63, v115
	;; [unrolled: 1-line block ×3, first 2 shown]
	v_pk_min_f16 v48, v20, v6
	v_pk_add_f16 v55, v55, v116
	v_pk_add_f16 v63, v63, v48
	v_pk_min_f16 v48, v20, v8
	v_pk_max_f16 v22, v22, v22
	v_pk_add_f16 v62, v62, v100
	v_pk_add_f16 v47, v47, v117
	;; [unrolled: 1-line block ×3, first 2 shown]
	v_pk_min_f16 v48, v22, v4
	v_pk_add_f16 v62, v62, v118
	v_pk_add_f16 v88, v47, v48
	v_pk_min_f16 v47, v22, v6
	v_pk_max_f16 v0, v0, v0
	v_pk_max_f16 v3, v3, v3
	;; [unrolled: 1-line block ×3, first 2 shown]
	v_pk_min_f16 v12, v12, v10
	v_pk_min_f16 v16, v16, v10
	v_pk_min_f16 v18, v18, v10
	v_pk_min_f16 v20, v20, v10
	v_pk_add_f16 v62, v62, v47
	v_pk_min_f16 v47, v22, v8
	v_pk_min_f16 v22, v22, v10
	;; [unrolled: 1-line block ×8, first 2 shown]
	v_pk_max_f16 v7, v7, v7
	v_pk_add_f16 v20, v68, v20
	v_pk_add_f16 v68, v46, v10
	v_pk_min_f16 v10, v3, v7
	v_pk_max_f16 v9, v9, v9
	v_pk_add_f16 v60, v53, v10
	v_pk_min_f16 v10, v3, v9
	v_pk_max_f16 v11, v11, v11
	v_pk_add_f16 v52, v34, v10
	v_pk_max_f16 v10, v13, v13
	v_pk_add_f16 v12, v59, v12
	v_pk_min_f16 v13, v10, v5
	v_pk_add_f16 v18, v67, v18
	v_pk_add_f16 v76, v74, v13
	v_pk_min_f16 v13, v10, v7
	v_pk_add_f16 v16, v66, v16
	v_pk_add_f16 v67, v35, v13
	v_pk_min_f16 v13, v10, v9
	v_pk_min_f16 v10, v10, v11
	v_pk_add_f16 v59, v75, v13
	v_pk_add_f16 v51, v12, v10
	v_pk_max_f16 v10, v15, v15
	v_pk_add_f16 v8, v73, v8
	v_pk_min_f16 v12, v10, v5
	v_pk_add_f16 v54, v54, v101
	v_pk_add_f16 v75, v84, v12
	v_pk_min_f16 v12, v10, v7
	v_pk_add_f16 v6, v72, v6
	v_pk_add_f16 v66, v85, v12
	v_pk_min_f16 v12, v10, v9
	v_pk_min_f16 v10, v10, v11
	v_pk_add_f16 v58, v58, v12
	v_pk_add_f16 v50, v14, v10
	v_pk_max_f16 v10, v17, v17
	v_pk_add_f16 v54, v54, v119
	v_pk_min_f16 v12, v10, v5
	v_pk_add_f16 v54, v54, v47
	v_pk_add_f16 v74, v61, v12
	v_pk_min_f16 v12, v10, v7
	v_pk_max_f16 v1, v1, v1
	v_pk_add_f16 v65, v65, v12
	v_pk_min_f16 v12, v10, v9
	v_pk_min_f16 v10, v10, v11
	v_pk_add_f16 v57, v57, v12
	v_pk_add_f16 v49, v16, v10
	v_pk_max_f16 v10, v19, v19
	v_pk_add_f16 v4, v71, v4
	v_pk_min_f16 v12, v10, v5
	v_pk_add_f16 v45, v45, v123
	v_pk_add_f16 v73, v86, v12
	v_pk_min_f16 v12, v10, v7
	v_pk_add_f16 v22, v70, v22
	v_pk_add_f16 v64, v64, v12
	v_pk_min_f16 v12, v10, v9
	v_pk_min_f16 v10, v10, v11
	v_pk_add_f16 v56, v56, v12
	v_pk_add_f16 v48, v18, v10
	v_pk_max_f16 v10, v21, v21
	v_pk_add_f16 v0, v45, v0
	v_pk_min_f16 v12, v10, v5
	v_pk_add_f16 v2, v44, v2
	v_pk_add_f16 v72, v87, v12
	v_pk_min_f16 v12, v10, v7
	s_add_i32 s28, s28, 8
	v_pk_add_f16 v63, v63, v12
	v_pk_min_f16 v12, v10, v9
	v_pk_min_f16 v10, v10, v11
	v_pk_add_f16 v55, v55, v12
	v_pk_add_f16 v47, v20, v10
	v_pk_max_f16 v10, v23, v23
	s_cmp_ge_i32 s28, s29
	v_pk_min_f16 v12, v10, v5
	v_pk_min_f16 v5, v1, v5
	v_pk_add_f16 v71, v88, v12
	v_pk_add_f16 v70, v4, v5
	v_pk_min_f16 v4, v1, v7
	v_pk_min_f16 v12, v10, v7
	v_pk_add_f16 v61, v6, v4
	v_pk_min_f16 v4, v1, v9
	v_pk_min_f16 v1, v1, v11
	;; [unrolled: 3-line block ×3, first 2 shown]
	v_pk_add_f16 v45, v0, v1
	v_pk_min_f16 v0, v3, v11
	v_pk_add_f16 v54, v54, v12
	v_pk_add_f16 v46, v22, v10
	;; [unrolled: 1-line block ×4, first 2 shown]
	v_lshl_add_u64 v[24:25], v[24:25], 0, s[18:19]
	ds_write_b16 v77, v81
	ds_write_b16 v78, v83
	ds_write_b16 v78, v82 offset:512
	s_waitcnt lgkmcnt(0)
	s_barrier
	s_cbranch_scc1 .LBB287_34
.LBB287_22:                             ; =>This Inner Loop Header: Depth=1
	v_add_u32_e32 v34, s28, v38
	v_add_u32_e32 v0, 8, v34
	v_cmp_gt_i32_e64 s[4:5], s22, v0
	s_and_b64 s[4:5], vcc, s[4:5]
	s_and_b64 s[26:27], s[14:15], s[4:5]
	v_mov_b32_e32 v82, 0
	v_mov_b32_e32 v83, 0
	s_and_saveexec_b64 s[4:5], s[26:27]
	s_cbranch_execz .LBB287_24
; %bb.23:                               ;   in Loop: Header=BB287_22 Depth=1
	v_lshl_add_u64 v[0:1], v[24:25], 0, v[32:33]
	global_load_ushort v0, v[0:1], off
	s_waitcnt vmcnt(0)
	v_mul_f16_e32 v83, s23, v0
.LBB287_24:                             ;   in Loop: Header=BB287_22 Depth=1
	s_or_b64 exec, exec, s[4:5]
	v_add_u32_e32 v35, s28, v39
	v_add_u32_e32 v0, 8, v35
	v_cmp_le_i32_e64 s[4:5], s22, v0
	v_min_i32_e32 v0, s33, v0
	v_ashrrev_i32_e32 v1, 31, v0
	v_lshl_add_u64 v[0:1], v[0:1], 1, s[16:17]
	s_nor_b64 s[34:35], s[8:9], s[4:5]
	s_and_saveexec_b64 s[26:27], s[34:35]
	s_cbranch_execz .LBB287_26
; %bb.25:                               ;   in Loop: Header=BB287_22 Depth=1
	v_lshl_add_u64 v[2:3], v[26:27], 1, v[0:1]
	global_load_ushort v2, v[2:3], off
	s_waitcnt vmcnt(0)
	v_mul_f16_e32 v82, s23, v2
.LBB287_26:                             ;   in Loop: Header=BB287_22 Depth=1
	s_or_b64 exec, exec, s[26:27]
	s_nor_b64 s[26:27], s[6:7], s[4:5]
	v_mov_b32_e32 v81, 0
	v_mov_b32_e32 v84, 0
	s_and_saveexec_b64 s[4:5], s[26:27]
	s_cbranch_execz .LBB287_28
; %bb.27:                               ;   in Loop: Header=BB287_22 Depth=1
	v_lshl_add_u64 v[0:1], v[28:29], 1, v[0:1]
	global_load_ushort v0, v[0:1], off
	s_waitcnt vmcnt(0)
	v_mul_f16_e32 v84, s23, v0
.LBB287_28:                             ;   in Loop: Header=BB287_22 Depth=1
	s_or_b64 exec, exec, s[4:5]
	ds_read2_b64 v[0:3], v79 offset0:48 offset1:56
	ds_read2_b64 v[16:19], v80 offset0:64 offset1:96
	ds_read2_b64 v[20:23], v80 offset1:32
	ds_read2_b64 v[12:15], v79 offset1:8
	ds_read2_b64 v[8:11], v79 offset0:16 offset1:24
	ds_read2_b64 v[4:7], v79 offset0:32 offset1:40
	v_add_u32_e32 v34, 12, v34
	v_cmp_gt_i32_e64 s[4:5], s22, v34
	s_and_b64 s[4:5], vcc, s[4:5]
	s_and_b64 s[4:5], s[14:15], s[4:5]
	ds_write_b16 v69, v83
	ds_write_b16 v42, v82
	ds_write_b16 v42, v84 offset:512
	s_waitcnt lgkmcnt(0)
	s_barrier
	s_and_saveexec_b64 s[26:27], s[4:5]
	s_xor_b64 s[4:5], exec, s[26:27]
	s_cbranch_execz .LBB287_30
; %bb.29:                               ;   in Loop: Header=BB287_22 Depth=1
	v_lshl_add_u64 v[82:83], v[24:25], 0, v[30:31]
	global_load_ushort v34, v[82:83], off
	s_waitcnt vmcnt(0)
	v_mul_f16_e32 v81, s23, v34
.LBB287_30:                             ;   in Loop: Header=BB287_22 Depth=1
	s_or_b64 exec, exec, s[4:5]
	v_add_u32_e32 v34, 12, v35
	v_cmp_le_i32_e64 s[4:5], s22, v34
	v_min_i32_e32 v34, s33, v34
	v_ashrrev_i32_e32 v35, 31, v34
	v_lshl_add_u64 v[34:35], v[34:35], 1, s[16:17]
	s_nor_b64 s[34:35], s[8:9], s[4:5]
	v_mov_b32_e32 v82, 0
	v_mov_b32_e32 v83, 0
	s_and_saveexec_b64 s[26:27], s[34:35]
	s_cbranch_execz .LBB287_32
; %bb.31:                               ;   in Loop: Header=BB287_22 Depth=1
	v_lshl_add_u64 v[84:85], v[26:27], 1, v[34:35]
	global_load_ushort v83, v[84:85], off
	s_waitcnt vmcnt(0)
	v_mul_f16_e32 v83, s23, v83
.LBB287_32:                             ;   in Loop: Header=BB287_22 Depth=1
	s_or_b64 exec, exec, s[26:27]
	s_nor_b64 s[26:27], s[6:7], s[4:5]
	s_and_saveexec_b64 s[4:5], s[26:27]
	s_cbranch_execz .LBB287_21
; %bb.33:                               ;   in Loop: Header=BB287_22 Depth=1
	v_lshl_add_u64 v[34:35], v[28:29], 1, v[34:35]
	global_load_ushort v34, v[34:35], off
	s_waitcnt vmcnt(0)
	v_mul_f16_e32 v82, s23, v34
	s_branch .LBB287_21
.LBB287_34:
	s_load_dwordx2 s[4:5], s[0:1], 0x70
	s_load_dword s29, s[0:1], 0x50
	s_load_dword s28, s[0:1], 0x68
	v_add_u32_e32 v8, 0x800, v41
	ds_read2_b64 v[0:3], v8 offset0:112 offset1:120
	ds_read2_b64 v[4:7], v40 offset0:192 offset1:224
	ds_read2_b64 v[20:23], v40 offset0:128 offset1:160
	ds_read2_b64 v[16:19], v8 offset0:64 offset1:72
	ds_read2_b64 v[12:15], v8 offset0:80 offset1:88
	ds_read2_b64 v[8:11], v8 offset0:96 offset1:104
	s_waitcnt lgkmcnt(0)
	s_mul_i32 s1, s5, s3
	s_mul_hi_u32 s5, s4, s3
	s_mul_i32 s0, s4, s3
	s_add_i32 s1, s5, s1
	s_lshl_b64 s[0:1], s[0:1], 1
	s_add_u32 s22, s10, s0
	v_add_u32_e32 v69, s31, v37
	s_addc_u32 s23, s11, s1
	v_mad_i64_i32 v[26:27], s[0:1], v69, s29, 0
	v_add_u32_e32 v24, s2, v36
	v_lshl_add_u64 v[42:43], v[26:27], 1, s[24:25]
	v_mad_i64_i32 v[26:27], s[0:1], v69, s28, 0
	v_cmp_gt_i32_e64 s[18:19], s21, v69
	v_lshl_add_u64 v[40:41], v[26:27], 1, s[22:23]
	v_cmp_gt_i32_e64 s[2:3], s20, v24
	v_cndmask_b32_e64 v26, 0, 1, s[12:13]
	s_and_b64 s[4:5], s[2:3], s[18:19]
	v_ashrrev_i32_e32 v25, 31, v24
	v_cmp_ne_u32_e64 s[0:1], 1, v26
	s_and_saveexec_b64 s[6:7], s[4:5]
	s_xor_b64 s[4:5], exec, s[6:7]
	s_cbranch_execz .LBB287_40
; %bb.35:
	s_and_b64 vcc, exec, s[0:1]
	s_cbranch_vccnz .LBB287_38
; %bb.36:
	v_lshl_add_u64 v[26:27], v[24:25], 1, v[42:43]
	global_load_ushort v26, v[26:27], off
	s_waitcnt vmcnt(0)
	v_mul_f16_e32 v26, s30, v26
	s_branch .LBB287_39
.LBB287_37:
	s_mov_b64 s[18:19], 0
	s_andn2_b64 vcc, exec, s[8:9]
	s_mov_b64 s[4:5], -1
	s_cbranch_vccz .LBB287_2
	s_branch .LBB287_3
.LBB287_38:
	v_mov_b32_e32 v26, 0
.LBB287_39:
	v_pk_max_f16 v27, v20, v20
	v_pk_max_f16 v28, v16, v16
	v_pk_max_f16 v29, v17, v17
	v_pk_min_f16 v27, v28, v27
	v_pk_max_f16 v28, v21, v21
	v_pk_add_f16 v27, v76, v27
	v_pk_min_f16 v28, v29, v28
	s_nop 0
	v_pk_add_f16 v27, v27, v28
	s_nop 0
	v_add_f16_sdwa v27, v27, v27 dst_sel:DWORD dst_unused:UNUSED_PAD src0_sel:DWORD src1_sel:WORD_1
	v_add_f16_e32 v28, v27, v26
	v_lshl_add_u64 v[26:27], v[24:25], 1, v[40:41]
	global_store_short v[26:27], v28, off
.LBB287_40:
	s_or_b64 exec, exec, s[4:5]
	v_add_u32_e32 v26, 8, v24
	v_cmp_gt_i32_e64 s[4:5], s20, v26
	s_and_b64 s[8:9], s[4:5], s[18:19]
	v_ashrrev_i32_e32 v27, 31, v26
	s_and_saveexec_b64 s[6:7], s[8:9]
	s_cbranch_execz .LBB287_45
; %bb.41:
	s_and_b64 vcc, exec, s[0:1]
	s_cbranch_vccnz .LBB287_43
; %bb.42:
	v_lshl_add_u64 v[28:29], v[26:27], 1, v[42:43]
	global_load_ushort v28, v[28:29], off
	s_waitcnt vmcnt(0)
	v_mul_f16_e32 v28, s30, v28
	s_branch .LBB287_44
.LBB287_43:
	v_mov_b32_e32 v28, 0
.LBB287_44:
	v_pk_max_f16 v29, v20, v20
	v_pk_max_f16 v30, v18, v18
	v_pk_max_f16 v31, v19, v19
	v_pk_min_f16 v29, v30, v29
	v_pk_max_f16 v30, v21, v21
	v_pk_add_f16 v29, v75, v29
	v_pk_min_f16 v30, v31, v30
	s_nop 0
	v_pk_add_f16 v29, v29, v30
	s_nop 0
	v_add_f16_sdwa v29, v29, v29 dst_sel:DWORD dst_unused:UNUSED_PAD src0_sel:DWORD src1_sel:WORD_1
	v_add_f16_e32 v30, v29, v28
	v_lshl_add_u64 v[28:29], v[26:27], 1, v[40:41]
	global_store_short v[28:29], v30, off
.LBB287_45:
	s_or_b64 exec, exec, s[6:7]
	v_add_u32_e32 v28, 16, v24
	v_cmp_gt_i32_e64 s[6:7], s20, v28
	s_and_b64 s[10:11], s[6:7], s[18:19]
	v_ashrrev_i32_e32 v29, 31, v28
	s_and_saveexec_b64 s[8:9], s[10:11]
	s_cbranch_execz .LBB287_50
; %bb.46:
	s_and_b64 vcc, exec, s[0:1]
	s_cbranch_vccnz .LBB287_48
; %bb.47:
	v_lshl_add_u64 v[30:31], v[28:29], 1, v[42:43]
	global_load_ushort v30, v[30:31], off
	s_waitcnt vmcnt(0)
	v_mul_f16_e32 v30, s30, v30
	s_branch .LBB287_49
.LBB287_48:
	v_mov_b32_e32 v30, 0
.LBB287_49:
	v_pk_max_f16 v31, v20, v20
	v_pk_max_f16 v32, v12, v12
	v_pk_max_f16 v33, v13, v13
	v_pk_min_f16 v31, v32, v31
	v_pk_max_f16 v32, v21, v21
	v_pk_add_f16 v31, v74, v31
	v_pk_min_f16 v32, v33, v32
	s_nop 0
	v_pk_add_f16 v31, v31, v32
	s_nop 0
	v_add_f16_sdwa v31, v31, v31 dst_sel:DWORD dst_unused:UNUSED_PAD src0_sel:DWORD src1_sel:WORD_1
	v_add_f16_e32 v32, v31, v30
	v_lshl_add_u64 v[30:31], v[28:29], 1, v[40:41]
	global_store_short v[30:31], v32, off
.LBB287_50:
	;; [unrolled: 34-line block ×5, first 2 shown]
	s_or_b64 exec, exec, s[14:15]
	v_add_u32_e32 v36, 48, v24
	v_cmp_gt_i32_e64 s[14:15], s20, v36
	s_and_b64 s[26:27], s[14:15], s[18:19]
	v_ashrrev_i32_e32 v37, 31, v36
	s_and_saveexec_b64 s[16:17], s[26:27]
	s_cbranch_execz .LBB287_70
; %bb.66:
	s_and_b64 vcc, exec, s[0:1]
	s_cbranch_vccnz .LBB287_68
; %bb.67:
	v_lshl_add_u64 v[38:39], v[36:37], 1, v[42:43]
	global_load_ushort v38, v[38:39], off
	s_waitcnt vmcnt(0)
	v_mul_f16_e32 v38, s30, v38
	s_branch .LBB287_69
.LBB287_68:
	v_mov_b32_e32 v38, 0
.LBB287_69:
	v_pk_max_f16 v39, v20, v20
	v_pk_max_f16 v71, v0, v0
	s_nop 0
	v_pk_min_f16 v39, v71, v39
	v_pk_max_f16 v71, v1, v1
	v_pk_add_f16 v39, v70, v39
	v_pk_max_f16 v70, v21, v21
	s_nop 0
	v_pk_min_f16 v70, v71, v70
	s_nop 0
	v_pk_add_f16 v39, v39, v70
	s_nop 0
	v_add_f16_sdwa v39, v39, v39 dst_sel:DWORD dst_unused:UNUSED_PAD src0_sel:DWORD src1_sel:WORD_1
	v_add_f16_e32 v70, v39, v38
	v_lshl_add_u64 v[38:39], v[36:37], 1, v[40:41]
	global_store_short v[38:39], v70, off
.LBB287_70:
	s_or_b64 exec, exec, s[16:17]
	v_add_u32_e32 v38, 56, v24
	v_cmp_gt_i32_e64 s[16:17], s20, v38
	s_and_b64 s[26:27], s[16:17], s[18:19]
	v_ashrrev_i32_e32 v39, 31, v38
	s_and_saveexec_b64 s[18:19], s[26:27]
	s_cbranch_execz .LBB287_75
; %bb.71:
	s_and_b64 vcc, exec, s[0:1]
	s_cbranch_vccnz .LBB287_73
; %bb.72:
	v_lshl_add_u64 v[42:43], v[38:39], 1, v[42:43]
	global_load_ushort v42, v[42:43], off
	s_waitcnt vmcnt(0)
	v_mul_f16_e32 v42, s30, v42
	s_branch .LBB287_74
.LBB287_73:
	v_mov_b32_e32 v42, 0
.LBB287_74:
	v_pk_max_f16 v20, v20, v20
	v_pk_max_f16 v43, v2, v2
	;; [unrolled: 1-line block ×3, first 2 shown]
	v_pk_min_f16 v20, v43, v20
	v_pk_max_f16 v43, v3, v3
	v_pk_add_f16 v20, v68, v20
	v_pk_min_f16 v21, v43, v21
	s_nop 0
	v_pk_add_f16 v20, v20, v21
	s_nop 0
	v_add_f16_sdwa v20, v20, v20 dst_sel:DWORD dst_unused:UNUSED_PAD src0_sel:DWORD src1_sel:WORD_1
	v_add_f16_e32 v42, v20, v42
	v_lshl_add_u64 v[20:21], v[38:39], 1, v[40:41]
	global_store_short v[20:21], v42, off
.LBB287_75:
	s_or_b64 exec, exec, s[18:19]
	v_add_u32_e32 v42, 32, v69
	v_mad_i64_i32 v[20:21], s[26:27], v42, s29, 0
	v_cmp_gt_i32_e64 s[18:19], s21, v42
	v_lshl_add_u64 v[40:41], v[20:21], 1, s[24:25]
	v_mad_i64_i32 v[20:21], s[26:27], v42, s28, 0
	v_lshl_add_u64 v[20:21], v[20:21], 1, s[22:23]
	s_and_b64 s[34:35], s[2:3], s[18:19]
	s_and_saveexec_b64 s[26:27], s[34:35]
	s_cbranch_execnz .LBB287_83
; %bb.76:
	s_or_b64 exec, exec, s[26:27]
	s_and_b64 s[34:35], s[4:5], s[18:19]
	s_and_saveexec_b64 s[26:27], s[34:35]
	s_cbranch_execnz .LBB287_87
.LBB287_77:
	s_or_b64 exec, exec, s[26:27]
	s_and_b64 s[34:35], s[6:7], s[18:19]
	s_and_saveexec_b64 s[26:27], s[34:35]
	s_cbranch_execnz .LBB287_91
.LBB287_78:
	s_or_b64 exec, exec, s[26:27]
	s_and_b64 s[34:35], s[8:9], s[18:19]
	s_and_saveexec_b64 s[26:27], s[34:35]
	s_cbranch_execnz .LBB287_95
.LBB287_79:
	s_or_b64 exec, exec, s[26:27]
	s_and_b64 s[34:35], s[10:11], s[18:19]
	s_and_saveexec_b64 s[26:27], s[34:35]
	s_cbranch_execnz .LBB287_99
.LBB287_80:
	s_or_b64 exec, exec, s[26:27]
	s_and_b64 s[34:35], s[12:13], s[18:19]
	s_and_saveexec_b64 s[26:27], s[34:35]
	s_cbranch_execnz .LBB287_103
.LBB287_81:
	s_or_b64 exec, exec, s[26:27]
	s_and_b64 s[34:35], s[14:15], s[18:19]
	s_and_saveexec_b64 s[26:27], s[34:35]
	s_cbranch_execnz .LBB287_107
.LBB287_82:
	s_or_b64 exec, exec, s[26:27]
	s_and_b64 s[26:27], s[16:17], s[18:19]
	s_and_saveexec_b64 s[18:19], s[26:27]
	s_cbranch_execnz .LBB287_111
	s_branch .LBB287_115
.LBB287_83:
	s_and_b64 vcc, exec, s[0:1]
	s_cbranch_vccnz .LBB287_85
; %bb.84:
	v_lshl_add_u64 v[42:43], v[24:25], 1, v[40:41]
	global_load_ushort v42, v[42:43], off
	s_waitcnt vmcnt(0)
	v_mul_f16_e32 v42, s30, v42
	s_branch .LBB287_86
.LBB287_85:
	v_mov_b32_e32 v42, 0
.LBB287_86:
	v_pk_max_f16 v43, v22, v22
	v_pk_max_f16 v68, v16, v16
	s_nop 0
	v_pk_min_f16 v43, v68, v43
	v_pk_max_f16 v68, v17, v17
	v_pk_add_f16 v43, v67, v43
	v_pk_max_f16 v67, v23, v23
	s_nop 0
	v_pk_min_f16 v67, v68, v67
	s_nop 0
	v_pk_add_f16 v43, v43, v67
	s_nop 0
	v_add_f16_sdwa v43, v43, v43 dst_sel:DWORD dst_unused:UNUSED_PAD src0_sel:DWORD src1_sel:WORD_1
	v_add_f16_e32 v67, v43, v42
	v_lshl_add_u64 v[42:43], v[24:25], 1, v[20:21]
	global_store_short v[42:43], v67, off
	s_or_b64 exec, exec, s[26:27]
	s_and_b64 s[34:35], s[4:5], s[18:19]
	s_and_saveexec_b64 s[26:27], s[34:35]
	s_cbranch_execz .LBB287_77
.LBB287_87:
	s_and_b64 vcc, exec, s[0:1]
	s_cbranch_vccnz .LBB287_89
; %bb.88:
	v_lshl_add_u64 v[42:43], v[26:27], 1, v[40:41]
	global_load_ushort v42, v[42:43], off
	s_waitcnt vmcnt(0)
	v_mul_f16_e32 v42, s30, v42
	s_branch .LBB287_90
.LBB287_89:
	v_mov_b32_e32 v42, 0
.LBB287_90:
	v_pk_max_f16 v43, v22, v22
	v_pk_max_f16 v67, v18, v18
	s_nop 0
	v_pk_min_f16 v43, v67, v43
	v_pk_max_f16 v67, v19, v19
	v_pk_add_f16 v43, v66, v43
	v_pk_max_f16 v66, v23, v23
	s_nop 0
	v_pk_min_f16 v66, v67, v66
	s_nop 0
	v_pk_add_f16 v43, v43, v66
	s_nop 0
	v_add_f16_sdwa v43, v43, v43 dst_sel:DWORD dst_unused:UNUSED_PAD src0_sel:DWORD src1_sel:WORD_1
	v_add_f16_e32 v66, v43, v42
	v_lshl_add_u64 v[42:43], v[26:27], 1, v[20:21]
	global_store_short v[42:43], v66, off
	s_or_b64 exec, exec, s[26:27]
	s_and_b64 s[34:35], s[6:7], s[18:19]
	s_and_saveexec_b64 s[26:27], s[34:35]
	s_cbranch_execz .LBB287_78
.LBB287_91:
	s_and_b64 vcc, exec, s[0:1]
	s_cbranch_vccnz .LBB287_93
; %bb.92:
	v_lshl_add_u64 v[42:43], v[28:29], 1, v[40:41]
	global_load_ushort v42, v[42:43], off
	s_waitcnt vmcnt(0)
	v_mul_f16_e32 v42, s30, v42
	s_branch .LBB287_94
.LBB287_93:
	v_mov_b32_e32 v42, 0
.LBB287_94:
	v_pk_max_f16 v43, v22, v22
	v_pk_max_f16 v66, v12, v12
	s_nop 0
	v_pk_min_f16 v43, v66, v43
	v_pk_max_f16 v66, v13, v13
	v_pk_add_f16 v43, v65, v43
	v_pk_max_f16 v65, v23, v23
	s_nop 0
	v_pk_min_f16 v65, v66, v65
	s_nop 0
	v_pk_add_f16 v43, v43, v65
	s_nop 0
	v_add_f16_sdwa v43, v43, v43 dst_sel:DWORD dst_unused:UNUSED_PAD src0_sel:DWORD src1_sel:WORD_1
	v_add_f16_e32 v65, v43, v42
	v_lshl_add_u64 v[42:43], v[28:29], 1, v[20:21]
	global_store_short v[42:43], v65, off
	s_or_b64 exec, exec, s[26:27]
	s_and_b64 s[34:35], s[8:9], s[18:19]
	s_and_saveexec_b64 s[26:27], s[34:35]
	s_cbranch_execz .LBB287_79
.LBB287_95:
	s_and_b64 vcc, exec, s[0:1]
	s_cbranch_vccnz .LBB287_97
; %bb.96:
	v_lshl_add_u64 v[42:43], v[30:31], 1, v[40:41]
	global_load_ushort v42, v[42:43], off
	s_waitcnt vmcnt(0)
	v_mul_f16_e32 v42, s30, v42
	s_branch .LBB287_98
.LBB287_97:
	v_mov_b32_e32 v42, 0
.LBB287_98:
	v_pk_max_f16 v43, v22, v22
	v_pk_max_f16 v65, v14, v14
	s_nop 0
	v_pk_min_f16 v43, v65, v43
	v_pk_max_f16 v65, v15, v15
	v_pk_add_f16 v43, v64, v43
	v_pk_max_f16 v64, v23, v23
	s_nop 0
	v_pk_min_f16 v64, v65, v64
	s_nop 0
	v_pk_add_f16 v43, v43, v64
	s_nop 0
	v_add_f16_sdwa v43, v43, v43 dst_sel:DWORD dst_unused:UNUSED_PAD src0_sel:DWORD src1_sel:WORD_1
	v_add_f16_e32 v64, v43, v42
	v_lshl_add_u64 v[42:43], v[30:31], 1, v[20:21]
	global_store_short v[42:43], v64, off
	s_or_b64 exec, exec, s[26:27]
	s_and_b64 s[34:35], s[10:11], s[18:19]
	s_and_saveexec_b64 s[26:27], s[34:35]
	s_cbranch_execz .LBB287_80
.LBB287_99:
	s_and_b64 vcc, exec, s[0:1]
	s_cbranch_vccnz .LBB287_101
; %bb.100:
	v_lshl_add_u64 v[42:43], v[32:33], 1, v[40:41]
	global_load_ushort v42, v[42:43], off
	s_waitcnt vmcnt(0)
	v_mul_f16_e32 v42, s30, v42
	s_branch .LBB287_102
.LBB287_101:
	v_mov_b32_e32 v42, 0
.LBB287_102:
	v_pk_max_f16 v43, v22, v22
	v_pk_max_f16 v64, v8, v8
	s_nop 0
	v_pk_min_f16 v43, v64, v43
	v_pk_max_f16 v64, v9, v9
	v_pk_add_f16 v43, v63, v43
	v_pk_max_f16 v63, v23, v23
	s_nop 0
	v_pk_min_f16 v63, v64, v63
	s_nop 0
	v_pk_add_f16 v43, v43, v63
	s_nop 0
	v_add_f16_sdwa v43, v43, v43 dst_sel:DWORD dst_unused:UNUSED_PAD src0_sel:DWORD src1_sel:WORD_1
	v_add_f16_e32 v63, v43, v42
	v_lshl_add_u64 v[42:43], v[32:33], 1, v[20:21]
	global_store_short v[42:43], v63, off
	s_or_b64 exec, exec, s[26:27]
	s_and_b64 s[34:35], s[12:13], s[18:19]
	s_and_saveexec_b64 s[26:27], s[34:35]
	s_cbranch_execz .LBB287_81
.LBB287_103:
	s_and_b64 vcc, exec, s[0:1]
	s_cbranch_vccnz .LBB287_105
; %bb.104:
	v_lshl_add_u64 v[42:43], v[34:35], 1, v[40:41]
	global_load_ushort v42, v[42:43], off
	s_waitcnt vmcnt(0)
	v_mul_f16_e32 v42, s30, v42
	s_branch .LBB287_106
.LBB287_105:
	v_mov_b32_e32 v42, 0
.LBB287_106:
	v_pk_max_f16 v43, v22, v22
	v_pk_max_f16 v63, v10, v10
	s_nop 0
	v_pk_min_f16 v43, v63, v43
	v_pk_max_f16 v63, v11, v11
	v_pk_add_f16 v43, v62, v43
	v_pk_max_f16 v62, v23, v23
	s_nop 0
	v_pk_min_f16 v62, v63, v62
	s_nop 0
	v_pk_add_f16 v43, v43, v62
	s_nop 0
	v_add_f16_sdwa v43, v43, v43 dst_sel:DWORD dst_unused:UNUSED_PAD src0_sel:DWORD src1_sel:WORD_1
	v_add_f16_e32 v62, v43, v42
	v_lshl_add_u64 v[42:43], v[34:35], 1, v[20:21]
	global_store_short v[42:43], v62, off
	s_or_b64 exec, exec, s[26:27]
	s_and_b64 s[34:35], s[14:15], s[18:19]
	s_and_saveexec_b64 s[26:27], s[34:35]
	s_cbranch_execz .LBB287_82
.LBB287_107:
	s_and_b64 vcc, exec, s[0:1]
	s_cbranch_vccnz .LBB287_109
; %bb.108:
	v_lshl_add_u64 v[42:43], v[36:37], 1, v[40:41]
	global_load_ushort v42, v[42:43], off
	s_waitcnt vmcnt(0)
	v_mul_f16_e32 v42, s30, v42
	s_branch .LBB287_110
.LBB287_109:
	v_mov_b32_e32 v42, 0
.LBB287_110:
	v_pk_max_f16 v43, v22, v22
	v_pk_max_f16 v62, v0, v0
	s_nop 0
	v_pk_min_f16 v43, v62, v43
	v_pk_max_f16 v62, v1, v1
	v_pk_add_f16 v43, v61, v43
	v_pk_max_f16 v61, v23, v23
	s_nop 0
	v_pk_min_f16 v61, v62, v61
	s_nop 0
	v_pk_add_f16 v43, v43, v61
	s_nop 0
	v_add_f16_sdwa v43, v43, v43 dst_sel:DWORD dst_unused:UNUSED_PAD src0_sel:DWORD src1_sel:WORD_1
	v_add_f16_e32 v61, v43, v42
	v_lshl_add_u64 v[42:43], v[36:37], 1, v[20:21]
	global_store_short v[42:43], v61, off
	s_or_b64 exec, exec, s[26:27]
	s_and_b64 s[26:27], s[16:17], s[18:19]
	s_and_saveexec_b64 s[18:19], s[26:27]
	s_cbranch_execz .LBB287_115
.LBB287_111:
	s_and_b64 vcc, exec, s[0:1]
	s_cbranch_vccnz .LBB287_113
; %bb.112:
	v_lshl_add_u64 v[40:41], v[38:39], 1, v[40:41]
	global_load_ushort v40, v[40:41], off
	s_waitcnt vmcnt(0)
	v_mul_f16_e32 v40, s30, v40
	s_branch .LBB287_114
.LBB287_113:
	v_mov_b32_e32 v40, 0
.LBB287_114:
	v_pk_max_f16 v22, v22, v22
	v_pk_max_f16 v41, v2, v2
	;; [unrolled: 1-line block ×3, first 2 shown]
	v_pk_min_f16 v22, v41, v22
	v_pk_max_f16 v41, v3, v3
	v_pk_add_f16 v22, v60, v22
	v_pk_min_f16 v23, v41, v23
	v_lshl_add_u64 v[20:21], v[38:39], 1, v[20:21]
	v_pk_add_f16 v22, v22, v23
	s_nop 0
	v_add_f16_sdwa v22, v22, v22 dst_sel:DWORD dst_unused:UNUSED_PAD src0_sel:DWORD src1_sel:WORD_1
	v_add_f16_e32 v22, v22, v40
	global_store_short v[20:21], v22, off
.LBB287_115:
	s_or_b64 exec, exec, s[18:19]
	v_add_u32_e32 v40, 64, v69
	v_mad_i64_i32 v[20:21], s[26:27], v40, s29, 0
	v_cmp_gt_i32_e64 s[18:19], s21, v40
	v_lshl_add_u64 v[22:23], v[20:21], 1, s[24:25]
	v_mad_i64_i32 v[20:21], s[26:27], v40, s28, 0
	v_lshl_add_u64 v[20:21], v[20:21], 1, s[22:23]
	s_and_b64 s[34:35], s[2:3], s[18:19]
	s_and_saveexec_b64 s[26:27], s[34:35]
	s_cbranch_execnz .LBB287_123
; %bb.116:
	s_or_b64 exec, exec, s[26:27]
	s_and_b64 s[34:35], s[4:5], s[18:19]
	s_and_saveexec_b64 s[26:27], s[34:35]
	s_cbranch_execnz .LBB287_127
.LBB287_117:
	s_or_b64 exec, exec, s[26:27]
	s_and_b64 s[34:35], s[6:7], s[18:19]
	s_and_saveexec_b64 s[26:27], s[34:35]
	s_cbranch_execnz .LBB287_131
.LBB287_118:
	s_or_b64 exec, exec, s[26:27]
	s_and_b64 s[34:35], s[8:9], s[18:19]
	s_and_saveexec_b64 s[26:27], s[34:35]
	s_cbranch_execnz .LBB287_135
.LBB287_119:
	s_or_b64 exec, exec, s[26:27]
	s_and_b64 s[34:35], s[10:11], s[18:19]
	s_and_saveexec_b64 s[26:27], s[34:35]
	s_cbranch_execnz .LBB287_139
.LBB287_120:
	s_or_b64 exec, exec, s[26:27]
	s_and_b64 s[34:35], s[12:13], s[18:19]
	s_and_saveexec_b64 s[26:27], s[34:35]
	s_cbranch_execnz .LBB287_143
.LBB287_121:
	s_or_b64 exec, exec, s[26:27]
	s_and_b64 s[34:35], s[14:15], s[18:19]
	s_and_saveexec_b64 s[26:27], s[34:35]
	s_cbranch_execnz .LBB287_147
.LBB287_122:
	s_or_b64 exec, exec, s[26:27]
	s_and_b64 s[26:27], s[16:17], s[18:19]
	s_and_saveexec_b64 s[18:19], s[26:27]
	s_cbranch_execnz .LBB287_151
	s_branch .LBB287_155
.LBB287_123:
	s_and_b64 vcc, exec, s[0:1]
	s_cbranch_vccnz .LBB287_125
; %bb.124:
	v_lshl_add_u64 v[40:41], v[24:25], 1, v[22:23]
	global_load_ushort v40, v[40:41], off
	s_waitcnt vmcnt(0)
	v_mul_f16_e32 v40, s30, v40
	s_branch .LBB287_126
.LBB287_125:
	v_mov_b32_e32 v40, 0
.LBB287_126:
	v_pk_max_f16 v41, v4, v4
	v_pk_max_f16 v42, v16, v16
	v_pk_max_f16 v43, v17, v17
	v_pk_min_f16 v41, v42, v41
	v_pk_max_f16 v42, v5, v5
	v_pk_add_f16 v41, v59, v41
	v_pk_min_f16 v42, v43, v42
	s_nop 0
	v_pk_add_f16 v41, v41, v42
	s_nop 0
	v_add_f16_sdwa v41, v41, v41 dst_sel:DWORD dst_unused:UNUSED_PAD src0_sel:DWORD src1_sel:WORD_1
	v_add_f16_e32 v42, v41, v40
	v_lshl_add_u64 v[40:41], v[24:25], 1, v[20:21]
	global_store_short v[40:41], v42, off
	s_or_b64 exec, exec, s[26:27]
	s_and_b64 s[34:35], s[4:5], s[18:19]
	s_and_saveexec_b64 s[26:27], s[34:35]
	s_cbranch_execz .LBB287_117
.LBB287_127:
	s_and_b64 vcc, exec, s[0:1]
	s_cbranch_vccnz .LBB287_129
; %bb.128:
	v_lshl_add_u64 v[40:41], v[26:27], 1, v[22:23]
	global_load_ushort v40, v[40:41], off
	s_waitcnt vmcnt(0)
	v_mul_f16_e32 v40, s30, v40
	s_branch .LBB287_130
.LBB287_129:
	v_mov_b32_e32 v40, 0
.LBB287_130:
	v_pk_max_f16 v41, v4, v4
	v_pk_max_f16 v42, v18, v18
	;; [unrolled: 1-line block ×3, first 2 shown]
	v_pk_min_f16 v41, v42, v41
	v_pk_max_f16 v42, v5, v5
	v_pk_add_f16 v41, v58, v41
	v_pk_min_f16 v42, v43, v42
	s_nop 0
	v_pk_add_f16 v41, v41, v42
	s_nop 0
	v_add_f16_sdwa v41, v41, v41 dst_sel:DWORD dst_unused:UNUSED_PAD src0_sel:DWORD src1_sel:WORD_1
	v_add_f16_e32 v42, v41, v40
	v_lshl_add_u64 v[40:41], v[26:27], 1, v[20:21]
	global_store_short v[40:41], v42, off
	s_or_b64 exec, exec, s[26:27]
	s_and_b64 s[34:35], s[6:7], s[18:19]
	s_and_saveexec_b64 s[26:27], s[34:35]
	s_cbranch_execz .LBB287_118
.LBB287_131:
	s_and_b64 vcc, exec, s[0:1]
	s_cbranch_vccnz .LBB287_133
; %bb.132:
	v_lshl_add_u64 v[40:41], v[28:29], 1, v[22:23]
	global_load_ushort v40, v[40:41], off
	s_waitcnt vmcnt(0)
	v_mul_f16_e32 v40, s30, v40
	s_branch .LBB287_134
.LBB287_133:
	v_mov_b32_e32 v40, 0
.LBB287_134:
	v_pk_max_f16 v41, v4, v4
	v_pk_max_f16 v42, v12, v12
	;; [unrolled: 1-line block ×3, first 2 shown]
	v_pk_min_f16 v41, v42, v41
	v_pk_max_f16 v42, v5, v5
	v_pk_add_f16 v41, v57, v41
	v_pk_min_f16 v42, v43, v42
	s_nop 0
	v_pk_add_f16 v41, v41, v42
	s_nop 0
	v_add_f16_sdwa v41, v41, v41 dst_sel:DWORD dst_unused:UNUSED_PAD src0_sel:DWORD src1_sel:WORD_1
	v_add_f16_e32 v42, v41, v40
	v_lshl_add_u64 v[40:41], v[28:29], 1, v[20:21]
	global_store_short v[40:41], v42, off
	s_or_b64 exec, exec, s[26:27]
	s_and_b64 s[34:35], s[8:9], s[18:19]
	s_and_saveexec_b64 s[26:27], s[34:35]
	s_cbranch_execz .LBB287_119
.LBB287_135:
	s_and_b64 vcc, exec, s[0:1]
	s_cbranch_vccnz .LBB287_137
; %bb.136:
	v_lshl_add_u64 v[40:41], v[30:31], 1, v[22:23]
	global_load_ushort v40, v[40:41], off
	s_waitcnt vmcnt(0)
	v_mul_f16_e32 v40, s30, v40
	s_branch .LBB287_138
.LBB287_137:
	v_mov_b32_e32 v40, 0
.LBB287_138:
	v_pk_max_f16 v41, v4, v4
	v_pk_max_f16 v42, v14, v14
	;; [unrolled: 1-line block ×3, first 2 shown]
	v_pk_min_f16 v41, v42, v41
	v_pk_max_f16 v42, v5, v5
	v_pk_add_f16 v41, v56, v41
	v_pk_min_f16 v42, v43, v42
	s_nop 0
	v_pk_add_f16 v41, v41, v42
	s_nop 0
	v_add_f16_sdwa v41, v41, v41 dst_sel:DWORD dst_unused:UNUSED_PAD src0_sel:DWORD src1_sel:WORD_1
	v_add_f16_e32 v42, v41, v40
	v_lshl_add_u64 v[40:41], v[30:31], 1, v[20:21]
	global_store_short v[40:41], v42, off
	s_or_b64 exec, exec, s[26:27]
	s_and_b64 s[34:35], s[10:11], s[18:19]
	s_and_saveexec_b64 s[26:27], s[34:35]
	s_cbranch_execz .LBB287_120
.LBB287_139:
	s_and_b64 vcc, exec, s[0:1]
	s_cbranch_vccnz .LBB287_141
; %bb.140:
	v_lshl_add_u64 v[40:41], v[32:33], 1, v[22:23]
	global_load_ushort v40, v[40:41], off
	s_waitcnt vmcnt(0)
	v_mul_f16_e32 v40, s30, v40
	s_branch .LBB287_142
.LBB287_141:
	v_mov_b32_e32 v40, 0
.LBB287_142:
	v_pk_max_f16 v41, v4, v4
	v_pk_max_f16 v42, v8, v8
	;; [unrolled: 1-line block ×3, first 2 shown]
	v_pk_min_f16 v41, v42, v41
	v_pk_max_f16 v42, v5, v5
	v_pk_add_f16 v41, v55, v41
	v_pk_min_f16 v42, v43, v42
	s_nop 0
	v_pk_add_f16 v41, v41, v42
	s_nop 0
	v_add_f16_sdwa v41, v41, v41 dst_sel:DWORD dst_unused:UNUSED_PAD src0_sel:DWORD src1_sel:WORD_1
	v_add_f16_e32 v42, v41, v40
	v_lshl_add_u64 v[40:41], v[32:33], 1, v[20:21]
	global_store_short v[40:41], v42, off
	s_or_b64 exec, exec, s[26:27]
	s_and_b64 s[34:35], s[12:13], s[18:19]
	s_and_saveexec_b64 s[26:27], s[34:35]
	s_cbranch_execz .LBB287_121
.LBB287_143:
	s_and_b64 vcc, exec, s[0:1]
	s_cbranch_vccnz .LBB287_145
; %bb.144:
	v_lshl_add_u64 v[40:41], v[34:35], 1, v[22:23]
	global_load_ushort v40, v[40:41], off
	s_waitcnt vmcnt(0)
	v_mul_f16_e32 v40, s30, v40
	s_branch .LBB287_146
.LBB287_145:
	v_mov_b32_e32 v40, 0
.LBB287_146:
	v_pk_max_f16 v41, v4, v4
	v_pk_max_f16 v42, v10, v10
	;; [unrolled: 1-line block ×3, first 2 shown]
	v_pk_min_f16 v41, v42, v41
	v_pk_max_f16 v42, v5, v5
	v_pk_add_f16 v41, v54, v41
	v_pk_min_f16 v42, v43, v42
	s_nop 0
	v_pk_add_f16 v41, v41, v42
	s_nop 0
	v_add_f16_sdwa v41, v41, v41 dst_sel:DWORD dst_unused:UNUSED_PAD src0_sel:DWORD src1_sel:WORD_1
	v_add_f16_e32 v42, v41, v40
	v_lshl_add_u64 v[40:41], v[34:35], 1, v[20:21]
	global_store_short v[40:41], v42, off
	s_or_b64 exec, exec, s[26:27]
	s_and_b64 s[34:35], s[14:15], s[18:19]
	s_and_saveexec_b64 s[26:27], s[34:35]
	s_cbranch_execz .LBB287_122
.LBB287_147:
	s_and_b64 vcc, exec, s[0:1]
	s_cbranch_vccnz .LBB287_149
; %bb.148:
	v_lshl_add_u64 v[40:41], v[36:37], 1, v[22:23]
	global_load_ushort v40, v[40:41], off
	s_waitcnt vmcnt(0)
	v_mul_f16_e32 v40, s30, v40
	s_branch .LBB287_150
.LBB287_149:
	v_mov_b32_e32 v40, 0
.LBB287_150:
	v_pk_max_f16 v41, v4, v4
	v_pk_max_f16 v42, v0, v0
	;; [unrolled: 1-line block ×3, first 2 shown]
	v_pk_min_f16 v41, v42, v41
	v_pk_max_f16 v42, v5, v5
	v_pk_add_f16 v41, v53, v41
	v_pk_min_f16 v42, v43, v42
	s_nop 0
	v_pk_add_f16 v41, v41, v42
	s_nop 0
	v_add_f16_sdwa v41, v41, v41 dst_sel:DWORD dst_unused:UNUSED_PAD src0_sel:DWORD src1_sel:WORD_1
	v_add_f16_e32 v42, v41, v40
	v_lshl_add_u64 v[40:41], v[36:37], 1, v[20:21]
	global_store_short v[40:41], v42, off
	s_or_b64 exec, exec, s[26:27]
	s_and_b64 s[26:27], s[16:17], s[18:19]
	s_and_saveexec_b64 s[18:19], s[26:27]
	s_cbranch_execz .LBB287_155
.LBB287_151:
	s_and_b64 vcc, exec, s[0:1]
	s_cbranch_vccnz .LBB287_153
; %bb.152:
	v_lshl_add_u64 v[22:23], v[38:39], 1, v[22:23]
	global_load_ushort v22, v[22:23], off
	s_waitcnt vmcnt(0)
	v_mul_f16_e32 v22, s30, v22
	s_branch .LBB287_154
.LBB287_153:
	v_mov_b32_e32 v22, 0
.LBB287_154:
	v_pk_max_f16 v4, v4, v4
	v_pk_max_f16 v23, v2, v2
	;; [unrolled: 1-line block ×3, first 2 shown]
	v_pk_min_f16 v4, v23, v4
	v_pk_max_f16 v23, v3, v3
	v_pk_add_f16 v4, v52, v4
	v_pk_min_f16 v5, v23, v5
	s_nop 0
	v_pk_add_f16 v4, v4, v5
	s_nop 0
	v_add_f16_sdwa v4, v4, v4 dst_sel:DWORD dst_unused:UNUSED_PAD src0_sel:DWORD src1_sel:WORD_1
	v_add_f16_e32 v22, v4, v22
	v_lshl_add_u64 v[4:5], v[38:39], 1, v[20:21]
	global_store_short v[4:5], v22, off
.LBB287_155:
	s_or_b64 exec, exec, s[18:19]
	v_add_u32_e32 v22, 0x60, v69
	v_cmp_gt_i32_e64 s[18:19], s21, v22
	v_mad_i64_i32 v[4:5], s[20:21], v22, s29, 0
	v_lshl_add_u64 v[20:21], v[4:5], 1, s[24:25]
	v_mad_i64_i32 v[4:5], s[20:21], v22, s28, 0
	v_lshl_add_u64 v[4:5], v[4:5], 1, s[22:23]
	s_and_b64 s[20:21], s[2:3], s[18:19]
	s_and_saveexec_b64 s[2:3], s[20:21]
	s_cbranch_execnz .LBB287_164
; %bb.156:
	s_or_b64 exec, exec, s[2:3]
	s_and_b64 s[4:5], s[4:5], s[18:19]
	s_and_saveexec_b64 s[2:3], s[4:5]
	s_cbranch_execnz .LBB287_168
.LBB287_157:
	s_or_b64 exec, exec, s[2:3]
	s_and_b64 s[4:5], s[6:7], s[18:19]
	s_and_saveexec_b64 s[2:3], s[4:5]
	s_cbranch_execnz .LBB287_172
.LBB287_158:
	s_or_b64 exec, exec, s[2:3]
	s_and_b64 s[4:5], s[8:9], s[18:19]
	s_and_saveexec_b64 s[2:3], s[4:5]
	s_cbranch_execnz .LBB287_176
.LBB287_159:
	s_or_b64 exec, exec, s[2:3]
	s_and_b64 s[4:5], s[10:11], s[18:19]
	s_and_saveexec_b64 s[2:3], s[4:5]
	s_cbranch_execnz .LBB287_180
.LBB287_160:
	s_or_b64 exec, exec, s[2:3]
	s_and_b64 s[4:5], s[12:13], s[18:19]
	s_and_saveexec_b64 s[2:3], s[4:5]
	s_cbranch_execnz .LBB287_184
.LBB287_161:
	s_or_b64 exec, exec, s[2:3]
	s_and_b64 s[4:5], s[14:15], s[18:19]
	s_and_saveexec_b64 s[2:3], s[4:5]
	s_cbranch_execnz .LBB287_188
.LBB287_162:
	s_or_b64 exec, exec, s[2:3]
	s_and_b64 s[2:3], s[16:17], s[18:19]
	s_and_saveexec_b64 s[4:5], s[2:3]
	s_cbranch_execnz .LBB287_192
.LBB287_163:
	s_endpgm
.LBB287_164:
	s_and_b64 vcc, exec, s[0:1]
	s_cbranch_vccnz .LBB287_166
; %bb.165:
	v_lshl_add_u64 v[22:23], v[24:25], 1, v[20:21]
	global_load_ushort v22, v[22:23], off
	s_waitcnt vmcnt(0)
	v_mul_f16_e32 v22, s30, v22
	s_branch .LBB287_167
.LBB287_166:
	v_mov_b32_e32 v22, 0
.LBB287_167:
	v_pk_max_f16 v23, v6, v6
	v_pk_max_f16 v16, v16, v16
	v_pk_max_f16 v17, v17, v17
	v_pk_min_f16 v16, v16, v23
	v_pk_max_f16 v23, v7, v7
	v_pk_add_f16 v16, v51, v16
	v_pk_min_f16 v17, v17, v23
	s_nop 0
	v_pk_add_f16 v16, v16, v17
	s_nop 0
	v_add_f16_sdwa v16, v16, v16 dst_sel:DWORD dst_unused:UNUSED_PAD src0_sel:DWORD src1_sel:WORD_1
	v_add_f16_e32 v22, v16, v22
	v_lshl_add_u64 v[16:17], v[24:25], 1, v[4:5]
	global_store_short v[16:17], v22, off
	s_or_b64 exec, exec, s[2:3]
	s_and_b64 s[4:5], s[4:5], s[18:19]
	s_and_saveexec_b64 s[2:3], s[4:5]
	s_cbranch_execz .LBB287_157
.LBB287_168:
	s_and_b64 vcc, exec, s[0:1]
	s_cbranch_vccnz .LBB287_170
; %bb.169:
	v_lshl_add_u64 v[16:17], v[26:27], 1, v[20:21]
	global_load_ushort v16, v[16:17], off
	s_waitcnt vmcnt(0)
	v_mul_f16_e32 v16, s30, v16
	s_branch .LBB287_171
.LBB287_170:
	v_mov_b32_e32 v16, 0
.LBB287_171:
	v_pk_max_f16 v17, v6, v6
	v_pk_max_f16 v18, v18, v18
	;; [unrolled: 1-line block ×3, first 2 shown]
	v_pk_min_f16 v17, v18, v17
	v_pk_max_f16 v18, v7, v7
	v_pk_add_f16 v17, v50, v17
	v_pk_min_f16 v18, v19, v18
	s_nop 0
	v_pk_add_f16 v17, v17, v18
	s_nop 0
	v_add_f16_sdwa v17, v17, v17 dst_sel:DWORD dst_unused:UNUSED_PAD src0_sel:DWORD src1_sel:WORD_1
	v_add_f16_e32 v18, v17, v16
	v_lshl_add_u64 v[16:17], v[26:27], 1, v[4:5]
	global_store_short v[16:17], v18, off
	s_or_b64 exec, exec, s[2:3]
	s_and_b64 s[4:5], s[6:7], s[18:19]
	s_and_saveexec_b64 s[2:3], s[4:5]
	s_cbranch_execz .LBB287_158
.LBB287_172:
	s_and_b64 vcc, exec, s[0:1]
	s_cbranch_vccnz .LBB287_174
; %bb.173:
	v_lshl_add_u64 v[16:17], v[28:29], 1, v[20:21]
	global_load_ushort v16, v[16:17], off
	s_waitcnt vmcnt(0)
	v_mul_f16_e32 v16, s30, v16
	s_branch .LBB287_175
.LBB287_174:
	v_mov_b32_e32 v16, 0
.LBB287_175:
	v_pk_max_f16 v17, v6, v6
	v_pk_max_f16 v12, v12, v12
	;; [unrolled: 1-line block ×3, first 2 shown]
	v_pk_min_f16 v12, v12, v17
	v_pk_max_f16 v17, v7, v7
	v_pk_add_f16 v12, v49, v12
	v_pk_min_f16 v13, v13, v17
	s_nop 0
	v_pk_add_f16 v12, v12, v13
	s_nop 0
	v_add_f16_sdwa v12, v12, v12 dst_sel:DWORD dst_unused:UNUSED_PAD src0_sel:DWORD src1_sel:WORD_1
	v_add_f16_e32 v16, v12, v16
	v_lshl_add_u64 v[12:13], v[28:29], 1, v[4:5]
	global_store_short v[12:13], v16, off
	s_or_b64 exec, exec, s[2:3]
	s_and_b64 s[4:5], s[8:9], s[18:19]
	s_and_saveexec_b64 s[2:3], s[4:5]
	s_cbranch_execz .LBB287_159
.LBB287_176:
	s_and_b64 vcc, exec, s[0:1]
	s_cbranch_vccnz .LBB287_178
; %bb.177:
	v_lshl_add_u64 v[12:13], v[30:31], 1, v[20:21]
	global_load_ushort v12, v[12:13], off
	s_waitcnt vmcnt(0)
	v_mul_f16_e32 v12, s30, v12
	s_branch .LBB287_179
.LBB287_178:
	v_mov_b32_e32 v12, 0
.LBB287_179:
	v_pk_max_f16 v13, v6, v6
	v_pk_max_f16 v14, v14, v14
	;; [unrolled: 1-line block ×3, first 2 shown]
	v_pk_min_f16 v13, v14, v13
	v_pk_max_f16 v14, v7, v7
	v_pk_add_f16 v13, v48, v13
	v_pk_min_f16 v14, v15, v14
	s_nop 0
	v_pk_add_f16 v13, v13, v14
	s_nop 0
	v_add_f16_sdwa v13, v13, v13 dst_sel:DWORD dst_unused:UNUSED_PAD src0_sel:DWORD src1_sel:WORD_1
	v_add_f16_e32 v14, v13, v12
	v_lshl_add_u64 v[12:13], v[30:31], 1, v[4:5]
	global_store_short v[12:13], v14, off
	s_or_b64 exec, exec, s[2:3]
	s_and_b64 s[4:5], s[10:11], s[18:19]
	s_and_saveexec_b64 s[2:3], s[4:5]
	s_cbranch_execz .LBB287_160
.LBB287_180:
	s_and_b64 vcc, exec, s[0:1]
	s_cbranch_vccnz .LBB287_182
; %bb.181:
	v_lshl_add_u64 v[12:13], v[32:33], 1, v[20:21]
	global_load_ushort v12, v[12:13], off
	s_waitcnt vmcnt(0)
	v_mul_f16_e32 v12, s30, v12
	s_branch .LBB287_183
.LBB287_182:
	v_mov_b32_e32 v12, 0
.LBB287_183:
	v_pk_max_f16 v13, v6, v6
	v_pk_max_f16 v8, v8, v8
	;; [unrolled: 1-line block ×3, first 2 shown]
	v_pk_min_f16 v8, v8, v13
	v_pk_max_f16 v13, v7, v7
	v_pk_add_f16 v8, v47, v8
	v_pk_min_f16 v9, v9, v13
	s_nop 0
	v_pk_add_f16 v8, v8, v9
	s_nop 0
	v_add_f16_sdwa v8, v8, v8 dst_sel:DWORD dst_unused:UNUSED_PAD src0_sel:DWORD src1_sel:WORD_1
	v_add_f16_e32 v12, v8, v12
	v_lshl_add_u64 v[8:9], v[32:33], 1, v[4:5]
	global_store_short v[8:9], v12, off
	s_or_b64 exec, exec, s[2:3]
	s_and_b64 s[4:5], s[12:13], s[18:19]
	s_and_saveexec_b64 s[2:3], s[4:5]
	s_cbranch_execz .LBB287_161
.LBB287_184:
	s_and_b64 vcc, exec, s[0:1]
	s_cbranch_vccnz .LBB287_186
; %bb.185:
	v_lshl_add_u64 v[8:9], v[34:35], 1, v[20:21]
	global_load_ushort v8, v[8:9], off
	s_waitcnt vmcnt(0)
	v_mul_f16_e32 v8, s30, v8
	s_branch .LBB287_187
.LBB287_186:
	v_mov_b32_e32 v8, 0
.LBB287_187:
	v_pk_max_f16 v9, v6, v6
	v_pk_max_f16 v10, v10, v10
	v_pk_max_f16 v11, v11, v11
	v_pk_min_f16 v9, v10, v9
	v_pk_max_f16 v10, v7, v7
	v_pk_add_f16 v9, v46, v9
	v_pk_min_f16 v10, v11, v10
	s_nop 0
	v_pk_add_f16 v9, v9, v10
	s_nop 0
	v_add_f16_sdwa v9, v9, v9 dst_sel:DWORD dst_unused:UNUSED_PAD src0_sel:DWORD src1_sel:WORD_1
	v_add_f16_e32 v10, v9, v8
	v_lshl_add_u64 v[8:9], v[34:35], 1, v[4:5]
	global_store_short v[8:9], v10, off
	s_or_b64 exec, exec, s[2:3]
	s_and_b64 s[4:5], s[14:15], s[18:19]
	s_and_saveexec_b64 s[2:3], s[4:5]
	s_cbranch_execz .LBB287_162
.LBB287_188:
	s_and_b64 vcc, exec, s[0:1]
	s_cbranch_vccnz .LBB287_190
; %bb.189:
	v_lshl_add_u64 v[8:9], v[36:37], 1, v[20:21]
	global_load_ushort v8, v[8:9], off
	s_waitcnt vmcnt(0)
	v_mul_f16_e32 v8, s30, v8
	s_branch .LBB287_191
.LBB287_190:
	v_mov_b32_e32 v8, 0
.LBB287_191:
	v_pk_max_f16 v9, v6, v6
	v_pk_max_f16 v0, v0, v0
	;; [unrolled: 1-line block ×3, first 2 shown]
	v_pk_min_f16 v0, v0, v9
	v_pk_max_f16 v9, v7, v7
	v_pk_add_f16 v0, v45, v0
	v_pk_min_f16 v1, v1, v9
	s_nop 0
	v_pk_add_f16 v0, v0, v1
	s_nop 0
	v_add_f16_sdwa v0, v0, v0 dst_sel:DWORD dst_unused:UNUSED_PAD src0_sel:DWORD src1_sel:WORD_1
	v_add_f16_e32 v8, v0, v8
	v_lshl_add_u64 v[0:1], v[36:37], 1, v[4:5]
	global_store_short v[0:1], v8, off
	s_or_b64 exec, exec, s[2:3]
	s_and_b64 s[2:3], s[16:17], s[18:19]
	s_and_saveexec_b64 s[4:5], s[2:3]
	s_cbranch_execz .LBB287_163
.LBB287_192:
	s_and_b64 vcc, exec, s[0:1]
	s_cbranch_vccnz .LBB287_194
; %bb.193:
	v_lshl_add_u64 v[0:1], v[38:39], 1, v[20:21]
	global_load_ushort v0, v[0:1], off
	s_waitcnt vmcnt(0)
	v_mul_f16_e32 v0, s30, v0
	s_branch .LBB287_195
.LBB287_194:
	v_mov_b32_e32 v0, 0
.LBB287_195:
	v_pk_max_f16 v1, v6, v6
	v_pk_max_f16 v2, v2, v2
	;; [unrolled: 1-line block ×3, first 2 shown]
	v_pk_min_f16 v1, v2, v1
	v_pk_max_f16 v2, v7, v7
	v_pk_add_f16 v1, v44, v1
	v_pk_min_f16 v2, v3, v2
	s_nop 0
	v_pk_add_f16 v1, v1, v2
	s_nop 0
	v_add_f16_sdwa v1, v1, v1 dst_sel:DWORD dst_unused:UNUSED_PAD src0_sel:DWORD src1_sel:WORD_1
	v_add_f16_e32 v2, v1, v0
	v_lshl_add_u64 v[0:1], v[38:39], 1, v[4:5]
	global_store_short v[0:1], v2, off
	s_endpgm
	.section	.rodata,"a",@progbits
	.p2align	6, 0x0
	.amdhsa_kernel _ZN12_GLOBAL__N_120geam_min_plus_kernelIDF16_Dv2_DF16_S1_Li8ELi32ELi64ELi128ELi4ELi64ELi4ELi4ELi64ELc78ELc78ELb0ELb1ELb0EDF16_KDF16_DF16_EEviiiT16_PT17_ilS5_ilS3_S5_ilPT18_ili26rocblas_geam_ex_operation_
		.amdhsa_group_segment_fixed_size 3072
		.amdhsa_private_segment_fixed_size 0
		.amdhsa_kernarg_size 128
		.amdhsa_user_sgpr_count 2
		.amdhsa_user_sgpr_dispatch_ptr 0
		.amdhsa_user_sgpr_queue_ptr 0
		.amdhsa_user_sgpr_kernarg_segment_ptr 1
		.amdhsa_user_sgpr_dispatch_id 0
		.amdhsa_user_sgpr_kernarg_preload_length 0
		.amdhsa_user_sgpr_kernarg_preload_offset 0
		.amdhsa_user_sgpr_private_segment_size 0
		.amdhsa_uses_dynamic_stack 0
		.amdhsa_enable_private_segment 0
		.amdhsa_system_sgpr_workgroup_id_x 1
		.amdhsa_system_sgpr_workgroup_id_y 0
		.amdhsa_system_sgpr_workgroup_id_z 1
		.amdhsa_system_sgpr_workgroup_info 0
		.amdhsa_system_vgpr_workitem_id 1
		.amdhsa_next_free_vgpr 124
		.amdhsa_next_free_sgpr 38
		.amdhsa_accum_offset 124
		.amdhsa_reserve_vcc 1
		.amdhsa_float_round_mode_32 0
		.amdhsa_float_round_mode_16_64 0
		.amdhsa_float_denorm_mode_32 3
		.amdhsa_float_denorm_mode_16_64 3
		.amdhsa_dx10_clamp 1
		.amdhsa_ieee_mode 1
		.amdhsa_fp16_overflow 0
		.amdhsa_tg_split 0
		.amdhsa_exception_fp_ieee_invalid_op 0
		.amdhsa_exception_fp_denorm_src 0
		.amdhsa_exception_fp_ieee_div_zero 0
		.amdhsa_exception_fp_ieee_overflow 0
		.amdhsa_exception_fp_ieee_underflow 0
		.amdhsa_exception_fp_ieee_inexact 0
		.amdhsa_exception_int_div_zero 0
	.end_amdhsa_kernel
	.section	.text._ZN12_GLOBAL__N_120geam_min_plus_kernelIDF16_Dv2_DF16_S1_Li8ELi32ELi64ELi128ELi4ELi64ELi4ELi4ELi64ELc78ELc78ELb0ELb1ELb0EDF16_KDF16_DF16_EEviiiT16_PT17_ilS5_ilS3_S5_ilPT18_ili26rocblas_geam_ex_operation_,"axG",@progbits,_ZN12_GLOBAL__N_120geam_min_plus_kernelIDF16_Dv2_DF16_S1_Li8ELi32ELi64ELi128ELi4ELi64ELi4ELi4ELi64ELc78ELc78ELb0ELb1ELb0EDF16_KDF16_DF16_EEviiiT16_PT17_ilS5_ilS3_S5_ilPT18_ili26rocblas_geam_ex_operation_,comdat
.Lfunc_end287:
	.size	_ZN12_GLOBAL__N_120geam_min_plus_kernelIDF16_Dv2_DF16_S1_Li8ELi32ELi64ELi128ELi4ELi64ELi4ELi4ELi64ELc78ELc78ELb0ELb1ELb0EDF16_KDF16_DF16_EEviiiT16_PT17_ilS5_ilS3_S5_ilPT18_ili26rocblas_geam_ex_operation_, .Lfunc_end287-_ZN12_GLOBAL__N_120geam_min_plus_kernelIDF16_Dv2_DF16_S1_Li8ELi32ELi64ELi128ELi4ELi64ELi4ELi4ELi64ELc78ELc78ELb0ELb1ELb0EDF16_KDF16_DF16_EEviiiT16_PT17_ilS5_ilS3_S5_ilPT18_ili26rocblas_geam_ex_operation_
                                        ; -- End function
	.set _ZN12_GLOBAL__N_120geam_min_plus_kernelIDF16_Dv2_DF16_S1_Li8ELi32ELi64ELi128ELi4ELi64ELi4ELi4ELi64ELc78ELc78ELb0ELb1ELb0EDF16_KDF16_DF16_EEviiiT16_PT17_ilS5_ilS3_S5_ilPT18_ili26rocblas_geam_ex_operation_.num_vgpr, 124
	.set _ZN12_GLOBAL__N_120geam_min_plus_kernelIDF16_Dv2_DF16_S1_Li8ELi32ELi64ELi128ELi4ELi64ELi4ELi4ELi64ELc78ELc78ELb0ELb1ELb0EDF16_KDF16_DF16_EEviiiT16_PT17_ilS5_ilS3_S5_ilPT18_ili26rocblas_geam_ex_operation_.num_agpr, 0
	.set _ZN12_GLOBAL__N_120geam_min_plus_kernelIDF16_Dv2_DF16_S1_Li8ELi32ELi64ELi128ELi4ELi64ELi4ELi4ELi64ELc78ELc78ELb0ELb1ELb0EDF16_KDF16_DF16_EEviiiT16_PT17_ilS5_ilS3_S5_ilPT18_ili26rocblas_geam_ex_operation_.numbered_sgpr, 38
	.set _ZN12_GLOBAL__N_120geam_min_plus_kernelIDF16_Dv2_DF16_S1_Li8ELi32ELi64ELi128ELi4ELi64ELi4ELi4ELi64ELc78ELc78ELb0ELb1ELb0EDF16_KDF16_DF16_EEviiiT16_PT17_ilS5_ilS3_S5_ilPT18_ili26rocblas_geam_ex_operation_.num_named_barrier, 0
	.set _ZN12_GLOBAL__N_120geam_min_plus_kernelIDF16_Dv2_DF16_S1_Li8ELi32ELi64ELi128ELi4ELi64ELi4ELi4ELi64ELc78ELc78ELb0ELb1ELb0EDF16_KDF16_DF16_EEviiiT16_PT17_ilS5_ilS3_S5_ilPT18_ili26rocblas_geam_ex_operation_.private_seg_size, 0
	.set _ZN12_GLOBAL__N_120geam_min_plus_kernelIDF16_Dv2_DF16_S1_Li8ELi32ELi64ELi128ELi4ELi64ELi4ELi4ELi64ELc78ELc78ELb0ELb1ELb0EDF16_KDF16_DF16_EEviiiT16_PT17_ilS5_ilS3_S5_ilPT18_ili26rocblas_geam_ex_operation_.uses_vcc, 1
	.set _ZN12_GLOBAL__N_120geam_min_plus_kernelIDF16_Dv2_DF16_S1_Li8ELi32ELi64ELi128ELi4ELi64ELi4ELi4ELi64ELc78ELc78ELb0ELb1ELb0EDF16_KDF16_DF16_EEviiiT16_PT17_ilS5_ilS3_S5_ilPT18_ili26rocblas_geam_ex_operation_.uses_flat_scratch, 0
	.set _ZN12_GLOBAL__N_120geam_min_plus_kernelIDF16_Dv2_DF16_S1_Li8ELi32ELi64ELi128ELi4ELi64ELi4ELi4ELi64ELc78ELc78ELb0ELb1ELb0EDF16_KDF16_DF16_EEviiiT16_PT17_ilS5_ilS3_S5_ilPT18_ili26rocblas_geam_ex_operation_.has_dyn_sized_stack, 0
	.set _ZN12_GLOBAL__N_120geam_min_plus_kernelIDF16_Dv2_DF16_S1_Li8ELi32ELi64ELi128ELi4ELi64ELi4ELi4ELi64ELc78ELc78ELb0ELb1ELb0EDF16_KDF16_DF16_EEviiiT16_PT17_ilS5_ilS3_S5_ilPT18_ili26rocblas_geam_ex_operation_.has_recursion, 0
	.set _ZN12_GLOBAL__N_120geam_min_plus_kernelIDF16_Dv2_DF16_S1_Li8ELi32ELi64ELi128ELi4ELi64ELi4ELi4ELi64ELc78ELc78ELb0ELb1ELb0EDF16_KDF16_DF16_EEviiiT16_PT17_ilS5_ilS3_S5_ilPT18_ili26rocblas_geam_ex_operation_.has_indirect_call, 0
	.section	.AMDGPU.csdata,"",@progbits
; Kernel info:
; codeLenInByte = 11320
; TotalNumSgprs: 44
; NumVgprs: 124
; NumAgprs: 0
; TotalNumVgprs: 124
; ScratchSize: 0
; MemoryBound: 0
; FloatMode: 240
; IeeeMode: 1
; LDSByteSize: 3072 bytes/workgroup (compile time only)
; SGPRBlocks: 5
; VGPRBlocks: 15
; NumSGPRsForWavesPerEU: 44
; NumVGPRsForWavesPerEU: 124
; AccumOffset: 124
; Occupancy: 4
; WaveLimiterHint : 0
; COMPUTE_PGM_RSRC2:SCRATCH_EN: 0
; COMPUTE_PGM_RSRC2:USER_SGPR: 2
; COMPUTE_PGM_RSRC2:TRAP_HANDLER: 0
; COMPUTE_PGM_RSRC2:TGID_X_EN: 1
; COMPUTE_PGM_RSRC2:TGID_Y_EN: 0
; COMPUTE_PGM_RSRC2:TGID_Z_EN: 1
; COMPUTE_PGM_RSRC2:TIDIG_COMP_CNT: 1
; COMPUTE_PGM_RSRC3_GFX90A:ACCUM_OFFSET: 30
; COMPUTE_PGM_RSRC3_GFX90A:TG_SPLIT: 0
	.section	.text._ZN12_GLOBAL__N_120geam_min_plus_kernelIDF16_Dv2_DF16_S1_Li8ELi32ELi64ELi128ELi4ELi4ELi64ELi4ELi64ELc84ELc78ELb0ELb0ELb0EPKDF16_S2_DF16_EEviiiT16_PT17_ilS6_ilS4_S6_ilPT18_ili26rocblas_geam_ex_operation_,"axG",@progbits,_ZN12_GLOBAL__N_120geam_min_plus_kernelIDF16_Dv2_DF16_S1_Li8ELi32ELi64ELi128ELi4ELi4ELi64ELi4ELi64ELc84ELc78ELb0ELb0ELb0EPKDF16_S2_DF16_EEviiiT16_PT17_ilS6_ilS4_S6_ilPT18_ili26rocblas_geam_ex_operation_,comdat
	.globl	_ZN12_GLOBAL__N_120geam_min_plus_kernelIDF16_Dv2_DF16_S1_Li8ELi32ELi64ELi128ELi4ELi4ELi64ELi4ELi64ELc84ELc78ELb0ELb0ELb0EPKDF16_S2_DF16_EEviiiT16_PT17_ilS6_ilS4_S6_ilPT18_ili26rocblas_geam_ex_operation_ ; -- Begin function _ZN12_GLOBAL__N_120geam_min_plus_kernelIDF16_Dv2_DF16_S1_Li8ELi32ELi64ELi128ELi4ELi4ELi64ELi4ELi64ELc84ELc78ELb0ELb0ELb0EPKDF16_S2_DF16_EEviiiT16_PT17_ilS6_ilS4_S6_ilPT18_ili26rocblas_geam_ex_operation_
	.p2align	8
	.type	_ZN12_GLOBAL__N_120geam_min_plus_kernelIDF16_Dv2_DF16_S1_Li8ELi32ELi64ELi128ELi4ELi4ELi64ELi4ELi64ELc84ELc78ELb0ELb0ELb0EPKDF16_S2_DF16_EEviiiT16_PT17_ilS6_ilS4_S6_ilPT18_ili26rocblas_geam_ex_operation_,@function
_ZN12_GLOBAL__N_120geam_min_plus_kernelIDF16_Dv2_DF16_S1_Li8ELi32ELi64ELi128ELi4ELi4ELi64ELi4ELi64ELc84ELc78ELb0ELb0ELb0EPKDF16_S2_DF16_EEviiiT16_PT17_ilS6_ilS4_S6_ilPT18_ili26rocblas_geam_ex_operation_: ; @_ZN12_GLOBAL__N_120geam_min_plus_kernelIDF16_Dv2_DF16_S1_Li8ELi32ELi64ELi128ELi4ELi4ELi64ELi4ELi64ELc84ELc78ELb0ELb0ELb0EPKDF16_S2_DF16_EEviiiT16_PT17_ilS6_ilS4_S6_ilPT18_ili26rocblas_geam_ex_operation_
; %bb.0:
	s_load_dwordx4 s[8:11], s[0:1], 0x10
	s_load_dwordx4 s[12:15], s[0:1], 0x28
	s_mov_b32 s20, s3
	s_mov_b32 s21, 0
	s_lshl_b64 s[4:5], s[20:21], 1
	s_waitcnt lgkmcnt(0)
	s_add_u32 s6, s8, s4
	s_addc_u32 s7, s9, s5
	v_mov_b32_e32 v1, 0
	global_load_ushort v39, v1, s[6:7]
	s_load_dwordx4 s[16:19], s[0:1], 0x40
	s_load_dwordx2 s[24:25], s[0:1], 0x50
	s_mov_b64 s[22:23], 0
	s_waitcnt lgkmcnt(0)
	s_add_u32 s4, s18, s4
	s_addc_u32 s5, s19, s5
	s_mov_b64 s[18:19], 0
	s_waitcnt vmcnt(0)
	v_cmp_eq_f16_e32 vcc, 0, v39
	s_and_b64 s[8:9], exec, vcc
	v_cmp_neq_f16_e64 s[6:7], 0, v39
	s_mov_b64 vcc, s[8:9]
	s_cbranch_vccnz .LBB288_2
; %bb.1:
	s_mul_i32 s3, s13, s20
	s_mul_hi_u32 s13, s12, s20
	s_add_i32 s13, s13, s3
	s_mul_i32 s12, s12, s20
	s_lshl_b64 s[12:13], s[12:13], 1
	s_add_u32 s18, s10, s12
	s_addc_u32 s19, s11, s13
.LBB288_2:
	global_load_ushort v52, v1, s[4:5]
	v_cndmask_b32_e64 v1, 0, 1, s[6:7]
	v_cmp_ne_u32_e64 s[4:5], 1, v1
	s_andn2_b64 vcc, exec, s[6:7]
	s_cbranch_vccnz .LBB288_4
; %bb.3:
	s_mul_i32 s3, s17, s20
	s_mul_hi_u32 s6, s16, s20
	s_add_i32 s7, s6, s3
	s_mul_i32 s6, s16, s20
	s_lshl_b64 s[6:7], s[6:7], 1
	s_add_u32 s22, s14, s6
	s_addc_u32 s23, s15, s7
.LBB288_4:
	s_load_dwordx4 s[12:15], s[0:1], 0x60
	s_waitcnt vmcnt(0)
	v_cmp_eq_f16_e32 vcc, 0, v52
	s_cbranch_vccnz .LBB288_6
; %bb.5:
	s_waitcnt lgkmcnt(0)
	s_mul_i32 s3, s13, s20
	s_mul_hi_u32 s6, s12, s20
	s_add_i32 s7, s6, s3
	s_mul_i32 s6, s12, s20
	s_lshl_b64 s[6:7], s[6:7], 1
	s_add_u32 s6, s24, s6
	s_addc_u32 s7, s25, s7
	s_branch .LBB288_7
.LBB288_6:
	s_mov_b64 s[6:7], 0
.LBB288_7:
	s_load_dword s10, s[0:1], 0x0
	s_waitcnt lgkmcnt(0)
	s_load_dword s12, s[0:1], 0x20
	s_load_dword s3, s[0:1], 0x38
	v_and_b32_e32 v38, 0x3ff, v0
	v_bfe_u32 v48, v0, 10, 10
	s_add_i32 s10, s10, -1
	s_ashr_i32 s11, s10, 31
	s_lshr_b32 s11, s11, 26
	s_add_i32 s10, s10, s11
	s_ashr_i32 s10, s10, 6
	s_add_i32 s11, s10, 1
	v_cvt_f32_u32_e32 v1, s11
	v_and_b32_e32 v9, 3, v0
	s_not_b32 s10, s10
	v_mov_b32_e32 v5, 0
	v_rcp_iflag_f32_e32 v1, v1
	s_nop 0
	v_mul_f32_e32 v0, 0x4f7ffffe, v1
	v_cvt_u32_f32_e32 v0, v0
	v_lshl_add_u32 v1, v48, 3, v38
	v_lshrrev_b32_e32 v10, 2, v1
	v_readfirstlane_b32 s13, v0
	s_mul_i32 s10, s10, s13
	s_mul_hi_u32 s10, s13, s10
	s_add_i32 s13, s13, s10
	s_mul_hi_u32 s10, s2, s13
	s_mul_i32 s13, s10, s11
	s_sub_i32 s13, s2, s13
	s_add_i32 s16, s10, 1
	s_sub_i32 s17, s13, s11
	s_cmp_ge_u32 s13, s11
	s_cselect_b32 s10, s16, s10
	s_cselect_b32 s13, s17, s13
	s_add_i32 s16, s10, 1
	s_cmp_ge_u32 s13, s11
	s_cselect_b32 s10, s16, s10
	s_mul_i32 s11, s10, s11
	s_lshl_b32 s10, s10, 7
	s_sub_i32 s2, s2, s11
	s_lshl_b32 s11, s2, 6
	v_add_u32_e32 v2, s10, v10
	s_and_b64 vcc, exec, s[4:5]
	v_add_u32_e32 v4, s11, v10
	v_lshlrev_b32_e32 v0, 1, v9
	v_add_u32_e32 v3, 64, v2
	s_cbranch_vccnz .LBB288_10
; %bb.8:
	s_waitcnt lgkmcnt(0)
	v_mad_i64_i32 v[6:7], s[16:17], v4, s12, 0
	v_lshl_add_u64 v[6:7], v[6:7], 1, s[18:19]
	v_mov_b32_e32 v1, 0
	v_lshl_add_u64 v[6:7], v[6:7], 0, v[0:1]
	global_load_ushort v8, v[6:7], off
	v_lshl_add_u64 v[6:7], s[22:23], 0, v[0:1]
	v_mad_i64_i32 v[12:13], s[16:17], v2, s3, 0
	v_lshl_add_u64 v[12:13], v[12:13], 1, v[6:7]
	global_load_ushort v1, v[12:13], off
	v_mad_i64_i32 v[12:13], s[16:17], v3, s3, 0
	v_lshl_add_u64 v[6:7], v[12:13], 1, v[6:7]
	global_load_ushort v7, v[6:7], off
	s_waitcnt vmcnt(2)
	v_mul_f16_e32 v11, v39, v8
	s_waitcnt vmcnt(1)
	v_mul_f16_e32 v1, v39, v1
	v_pack_b32_f16 v6, v1, 0
	s_waitcnt vmcnt(0)
	v_mul_f16_e32 v7, v39, v7
	s_and_b64 vcc, exec, s[4:5]
	s_cbranch_vccnz .LBB288_11
.LBB288_9:
	s_waitcnt lgkmcnt(0)
	v_mad_i64_i32 v[12:13], s[4:5], v4, s12, 0
	v_lshl_add_u64 v[12:13], v[12:13], 1, s[18:19]
	v_mov_b32_e32 v1, 0
	v_lshl_add_u64 v[12:13], v[12:13], 0, v[0:1]
	global_load_ushort v5, v[12:13], off offset:8
	v_lshl_add_u64 v[0:1], s[22:23], 0, v[0:1]
	v_mad_i64_i32 v[12:13], s[4:5], v2, s3, 0
	v_lshl_add_u64 v[12:13], v[12:13], 1, v[0:1]
	global_load_ushort v8, v[12:13], off offset:8
	v_mad_i64_i32 v[12:13], s[4:5], v3, s3, 0
	v_lshl_add_u64 v[0:1], v[12:13], 1, v[0:1]
	global_load_ushort v0, v[0:1], off offset:8
	s_waitcnt vmcnt(2)
	v_mul_f16_e32 v5, v39, v5
	s_waitcnt vmcnt(1)
	v_mul_f16_e32 v1, v39, v8
	v_pack_b32_f16 v1, v1, 0
	s_waitcnt vmcnt(0)
	v_mul_f16_e32 v8, v39, v0
	s_branch .LBB288_12
.LBB288_10:
	v_mov_b32_e32 v6, 0
	v_mov_b32_e32 v11, 0
	;; [unrolled: 1-line block ×3, first 2 shown]
	s_and_b64 vcc, exec, s[4:5]
	s_cbranch_vccz .LBB288_9
.LBB288_11:
	v_mov_b32_e32 v1, 0
	v_mov_b32_e32 v8, 0
.LBB288_12:
	v_lshlrev_b32_e32 v0, 3, v10
	v_lshl_or_b32 v42, v9, 1, v0
	v_lshlrev_b32_e32 v41, 3, v38
	v_lshlrev_b32_e32 v40, 3, v48
	ds_write_b16 v42, v11 offset:2048
	ds_write_b16 v42, v6
	ds_write_b16 v42, v7 offset:512
	s_waitcnt lgkmcnt(0)
	s_barrier
	ds_read2_b64 v[10:13], v40 offset1:32
	v_add_u32_e32 v43, 0x800, v41
	ds_read2_b64 v[14:17], v43 offset0:48 offset1:56
	ds_read2_b64 v[18:21], v40 offset0:64 offset1:96
	ds_read2_b64 v[22:25], v43 offset1:8
	ds_read2_b64 v[26:29], v43 offset0:16 offset1:24
	ds_read2_b64 v[30:33], v43 offset0:32 offset1:40
	s_waitcnt lgkmcnt(5)
	v_pk_max_f16 v0, v10, v10
	s_waitcnt lgkmcnt(4)
	v_pk_max_f16 v9, v16, v16
	v_pk_max_f16 v12, v12, v12
	v_pk_min_f16 v10, v9, v0
	s_waitcnt lgkmcnt(3)
	v_pk_max_f16 v16, v18, v18
	s_waitcnt lgkmcnt(2)
	v_pk_max_f16 v18, v22, v22
	v_pk_max_f16 v20, v20, v20
	;; [unrolled: 1-line block ×3, first 2 shown]
	s_waitcnt lgkmcnt(1)
	v_pk_max_f16 v26, v26, v26
	v_pk_max_f16 v28, v28, v28
	s_waitcnt lgkmcnt(0)
	v_pk_max_f16 v30, v30, v30
	v_pk_max_f16 v11, v11, v11
	;; [unrolled: 1-line block ×5, first 2 shown]
	v_pk_min_f16 v22, v18, v0
	v_pk_min_f16 v34, v18, v12
	;; [unrolled: 1-line block ×17, first 2 shown]
	v_pk_max_f16 v13, v13, v13
	v_pk_min_f16 v65, v30, v12
	v_pk_min_f16 v66, v30, v16
	;; [unrolled: 1-line block ×14, first 2 shown]
	v_pk_add_f16 v10, v10, 0
	v_pk_min_f16 v20, v17, v11
	v_pk_max_f16 v19, v19, v19
	v_pk_add_f16 v47, v10, v20
	v_pk_add_f16 v10, v44, 0
	v_pk_min_f16 v20, v17, v13
	v_pk_max_f16 v23, v23, v23
	v_pk_add_f16 v44, v10, v20
	;; [unrolled: 4-line block ×5, first 2 shown]
	v_pk_add_f16 v10, v35, 0
	v_pk_min_f16 v20, v23, v19
	v_pk_min_f16 v34, v29, v11
	v_pk_add_f16 v50, v10, v20
	v_pk_add_f16 v10, v18, 0
	v_pk_min_f16 v18, v23, v21
	v_pk_add_f16 v22, v28, 0
	v_pk_add_f16 v51, v10, v18
	v_pk_add_f16 v10, v36, 0
	v_pk_min_f16 v18, v25, v11
	v_pk_add_f16 v23, v64, 0
	;; [unrolled: 4-line block ×5, first 2 shown]
	v_pk_add_f16 v55, v10, v18
	v_pk_max_f16 v18, v27, v27
	v_pk_add_f16 v10, v56, 0
	v_pk_min_f16 v20, v18, v11
	v_pk_add_f16 v27, v67, 0
	v_pk_add_f16 v56, v10, v20
	;; [unrolled: 1-line block ×3, first 2 shown]
	v_pk_min_f16 v20, v18, v13
	v_pk_add_f16 v25, v66, 0
	v_pk_add_f16 v58, v10, v20
	;; [unrolled: 1-line block ×3, first 2 shown]
	v_pk_min_f16 v20, v18, v19
	v_pk_min_f16 v18, v18, v21
	v_pk_add_f16 v59, v10, v20
	v_pk_add_f16 v10, v26, 0
	;; [unrolled: 1-line block ×7, first 2 shown]
	v_pk_min_f16 v10, v29, v13
	v_pk_add_f16 v26, v30, 0
	v_pk_add_f16 v67, v18, v10
	v_pk_min_f16 v10, v29, v19
	v_pk_add_f16 v30, v69, 0
	v_pk_add_f16 v61, v20, v10
	v_pk_min_f16 v10, v29, v21
	s_load_dword s4, s[0:1], 0x8
	v_pk_add_f16 v63, v22, v10
	v_pk_max_f16 v10, v31, v31
	v_pk_add_f16 v0, v0, 0
	v_pk_min_f16 v18, v10, v11
	v_pk_add_f16 v12, v12, 0
	v_pk_add_f16 v62, v23, v18
	v_pk_min_f16 v18, v10, v13
	v_pk_add_f16 v16, v16, 0
	v_pk_add_f16 v64, v24, v18
	v_pk_min_f16 v18, v10, v19
	v_pk_min_f16 v10, v10, v21
	v_pk_add_f16 v66, v25, v18
	v_pk_add_f16 v68, v26, v10
	v_pk_max_f16 v10, v33, v33
	v_pk_add_f16 v14, v14, 0
	v_pk_min_f16 v18, v10, v11
	v_pk_add_f16 v9, v9, 0
	v_pk_add_f16 v69, v27, v18
	v_pk_min_f16 v18, v10, v13
	s_waitcnt lgkmcnt(0)
	s_cmp_lt_i32 s4, 9
	v_pk_add_f16 v70, v28, v18
	v_pk_min_f16 v18, v10, v19
	v_pk_min_f16 v10, v10, v21
	v_pk_add_f16 v71, v30, v18
	v_pk_add_f16 v72, v32, v10
	v_pk_max_f16 v10, v15, v15
	ds_write_b16 v42, v5 offset:2560
	ds_write_b16 v42, v1 offset:1024
	;; [unrolled: 1-line block ×3, first 2 shown]
	v_pk_min_f16 v11, v10, v11
	s_waitcnt lgkmcnt(0)
	v_pk_add_f16 v73, v0, v11
	v_pk_min_f16 v0, v10, v13
	s_barrier
	v_pk_add_f16 v74, v12, v0
	v_pk_min_f16 v0, v10, v19
	s_nop 0
	v_pk_add_f16 v75, v16, v0
	v_pk_min_f16 v0, v10, v21
	s_nop 0
	;; [unrolled: 3-line block ×3, first 2 shown]
	v_pk_add_f16 v77, v9, v0
	s_cbranch_scc1 .LBB288_23
; %bb.13:
	s_mov_b32 s5, 0x5040100
	v_perm_b32 v88, v8, v1, s5
	v_mov_b32_e32 v1, 0xa00
	v_mad_i64_i32 v[4:5], s[12:13], v4, s12, 0
	v_lshl_add_u32 v81, v38, 3, v1
	v_mov_b32_e32 v1, 0x400
	v_lshl_add_u64 v[24:25], v[4:5], 1, s[18:19]
	v_lshl_add_u32 v82, v48, 3, v1
	v_and_b32_e32 v1, 3, v38
	v_mad_i64_i32 v[4:5], s[12:13], s3, v3, 0
	v_mad_i64_i32 v[2:3], s[2:3], s3, v2, 0
	v_add_u32_e32 v78, 0x800, v42
	v_add_u32_e32 v79, 0xa00, v42
	;; [unrolled: 1-line block ×3, first 2 shown]
	s_add_i32 s4, s4, -8
	v_perm_b32 v0, v7, v6, s5
	v_lshlrev_b32_e32 v26, 1, v1
	v_mov_b32_e32 v27, 0
	v_lshl_add_u64 v[28:29], v[4:5], 1, s[22:23]
	v_lshl_add_u64 v[30:31], v[2:3], 1, s[22:23]
	s_mov_b32 s12, 0
	s_mov_b32 s13, 0xffff
	s_branch .LBB288_15
.LBB288_14:                             ;   in Loop: Header=BB288_15 Depth=1
	v_pk_max_f16 v2, v2, v2
	v_pk_max_f16 v20, v20, v20
	v_pk_max_f16 v22, v22, v22
	v_pk_max_f16 v16, v16, v16
	v_pk_max_f16 v18, v18, v18
	v_pk_max_f16 v8, v8, v8
	v_pk_max_f16 v4, v4, v4
	v_pk_max_f16 v6, v6, v6
	v_pk_max_f16 v12, v12, v12
	v_pk_max_f16 v14, v14, v14
	v_pk_max_f16 v21, v21, v21
	v_pk_max_f16 v23, v23, v23
	v_pk_min_f16 v88, v8, v20
	v_pk_max_f16 v17, v17, v17
	v_pk_max_f16 v19, v19, v19
	v_pk_min_f16 v89, v8, v22
	v_pk_min_f16 v90, v8, v16
	;; [unrolled: 1-line block ×3, first 2 shown]
	v_pk_max_f16 v13, v13, v13
	v_pk_max_f16 v15, v15, v15
	;; [unrolled: 1-line block ×10, first 2 shown]
	v_pk_min_f16 v94, v4, v20
	v_pk_min_f16 v95, v4, v22
	;; [unrolled: 1-line block ×60, first 2 shown]
	v_pk_add_f16 v3, v47, v100
	v_pk_add_f16 v8, v60, v8
	;; [unrolled: 1-line block ×17, first 2 shown]
	ds_read2_b64 v[2:5], v43 offset0:48 offset1:56
	ds_read2_b64 v[6:9], v40 offset1:32
	v_pk_add_f16 v33, v49, v33
	v_pk_add_f16 v12, v51, v12
	;; [unrolled: 1-line block ×3, first 2 shown]
	s_waitcnt lgkmcnt(1)
	v_pk_max_f16 v4, v4, v4
	s_waitcnt lgkmcnt(0)
	v_pk_max_f16 v6, v6, v6
	v_pk_add_f16 v35, v54, v35
	v_pk_add_f16 v54, v62, v94
	;; [unrolled: 1-line block ×11, first 2 shown]
	ds_read2_b64 v[10:13], v40 offset0:64 offset1:96
	v_pk_min_f16 v14, v4, v6
	v_pk_add_f16 v22, v22, v23
	v_pk_add_f16 v23, v16, v17
	;; [unrolled: 1-line block ×3, first 2 shown]
	ds_read2_b64 v[14:17], v43 offset1:8
	v_pk_add_f16 v44, v44, v101
	v_pk_max_f16 v8, v8, v8
	v_pk_add_f16 v46, v46, v102
	v_pk_add_f16 v44, v44, v121
	;; [unrolled: 1-line block ×3, first 2 shown]
	v_pk_min_f16 v19, v4, v8
	s_waitcnt lgkmcnt(1)
	v_pk_max_f16 v10, v10, v10
	v_pk_add_f16 v46, v46, v122
	v_pk_add_f16 v44, v44, v19
	v_pk_min_f16 v19, v4, v10
	s_waitcnt lgkmcnt(0)
	v_pk_max_f16 v14, v14, v14
	v_pk_add_f16 v46, v46, v19
	v_pk_min_f16 v19, v14, v6
	v_pk_add_f16 v36, v57, v36
	v_pk_add_f16 v68, v18, v19
	v_pk_min_f16 v18, v14, v8
	v_pk_add_f16 v57, v69, v97
	v_pk_add_f16 v69, v32, v18
	v_pk_min_f16 v18, v14, v10
	v_pk_max_f16 v16, v16, v16
	v_pk_add_f16 v47, v58, v89
	v_pk_add_f16 v58, v70, v98
	;; [unrolled: 1-line block ×4, first 2 shown]
	v_pk_min_f16 v18, v16, v6
	v_pk_add_f16 v49, v59, v90
	v_pk_add_f16 v59, v71, v99
	;; [unrolled: 1-line block ×5, first 2 shown]
	v_pk_min_f16 v18, v16, v8
	v_pk_add_f16 v51, v67, v92
	v_pk_add_f16 v67, v20, v21
	;; [unrolled: 1-line block ×3, first 2 shown]
	ds_read2_b64 v[18:21], v43 offset0:16 offset1:24
	v_pk_add_f16 v37, v37, v107
	v_pk_max_f16 v12, v12, v12
	v_pk_min_f16 v32, v16, v10
	v_pk_add_f16 v45, v45, v108
	s_waitcnt lgkmcnt(0)
	v_pk_max_f16 v18, v18, v18
	v_pk_add_f16 v37, v37, v32
	v_pk_min_f16 v16, v16, v12
	v_pk_min_f16 v32, v18, v6
	v_pk_add_f16 v47, v47, v109
	v_pk_add_f16 v16, v62, v16
	;; [unrolled: 1-line block ×3, first 2 shown]
	v_pk_min_f16 v32, v18, v8
	v_pk_add_f16 v49, v49, v110
	v_pk_add_f16 v72, v47, v32
	v_pk_min_f16 v32, v18, v10
	v_pk_max_f16 v20, v20, v20
	v_pk_add_f16 v50, v50, v111
	v_pk_add_f16 v73, v49, v32
	v_pk_min_f16 v18, v18, v12
	v_pk_min_f16 v32, v20, v6
	v_pk_add_f16 v51, v51, v112
	v_pk_min_f16 v14, v14, v12
	v_pk_add_f16 v18, v63, v18
	v_pk_add_f16 v63, v50, v32
	v_pk_min_f16 v32, v20, v8
	v_pk_add_f16 v14, v34, v14
	v_pk_add_f16 v74, v51, v32
	ds_read2_b64 v[32:35], v43 offset0:32 offset1:40
	v_pk_add_f16 v53, v53, v113
	v_pk_min_f16 v45, v20, v10
	v_pk_add_f16 v54, v54, v114
	v_pk_add_f16 v75, v53, v45
	s_waitcnt lgkmcnt(0)
	v_pk_max_f16 v32, v32, v32
	v_pk_min_f16 v20, v20, v12
	v_pk_min_f16 v45, v32, v6
	v_pk_add_f16 v55, v55, v115
	v_pk_add_f16 v20, v64, v20
	;; [unrolled: 1-line block ×3, first 2 shown]
	v_pk_min_f16 v45, v32, v8
	v_pk_add_f16 v0, v76, v0
	v_pk_add_f16 v56, v56, v116
	;; [unrolled: 1-line block ×3, first 2 shown]
	v_pk_min_f16 v45, v32, v10
	v_pk_max_f16 v34, v34, v34
	v_pk_add_f16 v57, v57, v117
	v_pk_add_f16 v77, v56, v45
	v_pk_min_f16 v45, v34, v6
	v_pk_add_f16 v58, v58, v118
	v_pk_add_f16 v1, v0, v1
	v_perm_b32 v0, v87, v86, s5
	v_pk_add_f16 v86, v57, v45
	v_pk_min_f16 v45, v34, v8
	v_pk_max_f16 v2, v2, v2
	v_pk_add_f16 v87, v58, v45
	v_pk_min_f16 v45, v34, v10
	v_pk_min_f16 v6, v2, v6
	v_pk_min_f16 v8, v2, v8
	v_pk_min_f16 v10, v2, v10
	v_pk_min_f16 v2, v2, v12
	v_pk_add_f16 v59, v59, v119
	v_pk_add_f16 v1, v1, v2
	v_pk_min_f16 v2, v4, v12
	v_pk_max_f16 v4, v5, v5
	v_pk_max_f16 v5, v7, v7
	v_pk_min_f16 v32, v32, v12
	v_pk_min_f16 v7, v4, v5
	;; [unrolled: 1-line block ×3, first 2 shown]
	v_pk_add_f16 v47, v61, v7
	v_pk_max_f16 v7, v9, v9
	v_pk_add_f16 v88, v59, v45
	v_pk_min_f16 v9, v4, v7
	v_pk_add_f16 v2, v60, v2
	v_pk_add_f16 v44, v44, v9
	v_pk_max_f16 v9, v11, v11
	v_pk_add_f16 v32, v65, v32
	v_pk_min_f16 v11, v4, v9
	v_pk_add_f16 v6, v67, v6
	v_pk_add_f16 v46, v46, v11
	v_pk_max_f16 v11, v15, v15
	v_pk_max_f16 v3, v3, v3
	v_pk_min_f16 v12, v11, v5
	v_pk_add_f16 v34, v66, v34
	v_pk_add_f16 v45, v68, v12
	v_pk_min_f16 v12, v11, v7
	v_pk_add_f16 v8, v22, v8
	v_pk_add_f16 v49, v69, v12
	;; [unrolled: 3-line block ×3, first 2 shown]
	v_pk_max_f16 v12, v13, v13
	s_add_i32 s12, s12, 8
	v_pk_min_f16 v11, v11, v12
	v_lshl_add_u64 v[28:29], v[28:29], 0, 16
	v_pk_add_f16 v51, v14, v11
	v_pk_max_f16 v11, v17, v17
	v_lshl_add_u64 v[30:31], v[30:31], 0, 16
	v_pk_min_f16 v13, v11, v5
	s_cmp_ge_i32 s12, s4
	v_pk_add_f16 v54, v71, v13
	v_pk_min_f16 v13, v11, v7
	v_lshl_add_u64 v[24:25], v[24:25], 0, 16
	v_pk_add_f16 v57, v36, v13
	v_pk_min_f16 v13, v11, v9
	v_pk_min_f16 v11, v11, v12
	v_pk_add_f16 v53, v37, v13
	v_pk_add_f16 v55, v16, v11
	v_pk_max_f16 v11, v19, v19
	ds_write_b16 v79, v84
	ds_write_b16 v80, v83
	ds_write_b16 v80, v85 offset:512
	v_pk_min_f16 v13, v11, v5
	s_waitcnt lgkmcnt(0)
	v_pk_add_f16 v56, v62, v13
	v_pk_min_f16 v13, v11, v7
	s_barrier
	v_pk_add_f16 v58, v72, v13
	v_pk_min_f16 v13, v11, v9
	v_pk_min_f16 v11, v11, v12
	v_pk_add_f16 v59, v73, v13
	v_pk_add_f16 v60, v18, v11
	v_pk_max_f16 v11, v21, v21
	s_nop 0
	v_pk_min_f16 v13, v11, v5
	s_nop 0
	v_pk_add_f16 v65, v63, v13
	v_pk_min_f16 v13, v11, v7
	s_nop 0
	v_pk_add_f16 v67, v74, v13
	v_pk_min_f16 v13, v11, v9
	v_pk_min_f16 v11, v11, v12
	v_pk_add_f16 v61, v75, v13
	v_pk_add_f16 v63, v20, v11
	v_pk_max_f16 v11, v33, v33
	s_nop 0
	v_pk_min_f16 v13, v11, v5
	s_nop 0
	v_pk_add_f16 v62, v64, v13
	v_pk_min_f16 v13, v11, v7
	s_nop 0
	v_pk_add_f16 v64, v76, v13
	v_pk_min_f16 v13, v11, v9
	v_pk_min_f16 v11, v11, v12
	v_pk_add_f16 v66, v77, v13
	v_pk_add_f16 v68, v32, v11
	v_pk_max_f16 v11, v35, v35
	s_nop 0
	v_pk_min_f16 v13, v11, v5
	v_pk_min_f16 v5, v3, v5
	v_pk_add_f16 v69, v86, v13
	v_pk_add_f16 v73, v6, v5
	v_pk_min_f16 v5, v3, v7
	v_pk_min_f16 v13, v11, v7
	v_pk_add_f16 v74, v8, v5
	v_pk_min_f16 v5, v3, v9
	v_pk_min_f16 v3, v3, v12
	;; [unrolled: 3-line block ×3, first 2 shown]
	v_pk_add_f16 v76, v1, v3
	v_pk_min_f16 v1, v4, v12
	v_pk_add_f16 v71, v88, v13
	v_pk_add_f16 v72, v34, v11
	;; [unrolled: 1-line block ×4, first 2 shown]
	v_perm_b32 v88, v85, v83, s5
	s_cbranch_scc1 .LBB288_23
.LBB288_15:                             ; =>This Inner Loop Header: Depth=1
	s_mov_b64 s[2:3], -1
	s_mov_b64 vcc, s[8:9]
                                        ; implicit-def: $vgpr86
	s_cbranch_vccz .LBB288_17
; %bb.16:                               ;   in Loop: Header=BB288_15 Depth=1
	v_and_b32_e32 v86, 0xffff0000, v0
	s_mov_b64 s[2:3], 0
.LBB288_17:                             ;   in Loop: Header=BB288_15 Depth=1
	v_mov_b32_e32 v83, 0
	s_andn2_b64 vcc, exec, s[2:3]
	v_lshl_add_u64 v[32:33], v[24:25], 0, v[26:27]
	v_lshl_add_u64 v[34:35], v[30:31], 0, v[26:27]
	;; [unrolled: 1-line block ×3, first 2 shown]
	v_mov_b32_e32 v87, 0
	s_cbranch_vccnz .LBB288_19
; %bb.18:                               ;   in Loop: Header=BB288_15 Depth=1
	global_load_ushort v1, v[32:33], off offset:16
	s_waitcnt vmcnt(0)
	v_mul_f16_e32 v83, v39, v1
	global_load_ushort v1, v[34:35], off offset:16
	s_waitcnt vmcnt(0)
	v_mul_f16_e32 v1, v39, v1
	v_bfi_b32 v86, s13, v1, v0
	global_load_ushort v0, v[36:37], off offset:16
	s_waitcnt vmcnt(0)
	v_mul_f16_e32 v87, v39, v0
.LBB288_19:                             ;   in Loop: Header=BB288_15 Depth=1
	ds_read2_b64 v[0:3], v81 offset0:48 offset1:56
	ds_read2_b64 v[16:19], v82 offset0:64 offset1:96
	ds_read2_b64 v[20:23], v82 offset1:32
	ds_read2_b64 v[12:15], v81 offset1:8
	ds_read2_b64 v[8:11], v81 offset0:16 offset1:24
	ds_read2_b64 v[4:7], v81 offset0:32 offset1:40
	s_mov_b64 s[2:3], -1
	s_mov_b64 vcc, s[8:9]
	ds_write_b16 v78, v83
	ds_write_b16 v42, v86
	ds_write_b16 v42, v87 offset:512
	s_waitcnt lgkmcnt(0)
	s_barrier
                                        ; implicit-def: $vgpr83
	s_cbranch_vccz .LBB288_21
; %bb.20:                               ;   in Loop: Header=BB288_15 Depth=1
	v_and_b32_e32 v83, 0xffff0000, v88
	s_mov_b64 s[2:3], 0
.LBB288_21:                             ;   in Loop: Header=BB288_15 Depth=1
	v_mov_b32_e32 v84, 0
	s_andn2_b64 vcc, exec, s[2:3]
	v_mov_b32_e32 v85, 0
	s_cbranch_vccnz .LBB288_14
; %bb.22:                               ;   in Loop: Header=BB288_15 Depth=1
	global_load_ushort v83, v[32:33], off offset:24
	global_load_ushort v85, v[34:35], off offset:24
	;; [unrolled: 1-line block ×3, first 2 shown]
	s_waitcnt vmcnt(2)
	v_mul_f16_e32 v84, v39, v83
	s_waitcnt vmcnt(1)
	v_mul_f16_e32 v32, v39, v85
	v_bfi_b32 v83, s13, v32, v88
	s_waitcnt vmcnt(0)
	v_mul_f16_e32 v85, v39, v89
	s_branch .LBB288_14
.LBB288_23:
	s_load_dwordx2 s[2:3], s[0:1], 0x78
	s_load_dword s12, s[0:1], 0x58
	s_load_dword s13, s[0:1], 0x70
	v_add_u32_e32 v12, 0x800, v41
	ds_read2_b64 v[0:3], v40 offset0:128 offset1:160
	ds_read2_b64 v[4:7], v12 offset0:112 offset1:120
	;; [unrolled: 1-line block ×4, first 2 shown]
	s_waitcnt lgkmcnt(0)
	s_mul_i32 s1, s3, s20
	v_pk_max_f16 v2, v2, v2
	v_pk_max_f16 v6, v6, v6
	;; [unrolled: 1-line block ×4, first 2 shown]
	v_pk_min_f16 v15, v6, v8
	v_pk_max_f16 v10, v10, v10
	v_pk_add_f16 v28, v46, v15
	v_pk_max_f16 v15, v16, v16
	v_pk_max_f16 v4, v4, v4
	v_pk_min_f16 v20, v15, v2
	v_pk_min_f16 v16, v15, v0
	v_pk_add_f16 v29, v49, v20
	v_pk_min_f16 v20, v15, v8
	v_pk_min_f16 v15, v15, v10
	v_pk_add_f16 v30, v50, v20
	v_pk_add_f16 v31, v51, v15
	v_pk_max_f16 v15, v18, v18
	v_pk_min_f16 v13, v6, v0
	v_pk_min_f16 v20, v15, v2
	;; [unrolled: 1-line block ×3, first 2 shown]
	v_pk_add_f16 v49, v57, v20
	ds_read2_b64 v[20:23], v12 offset0:80 offset1:88
	v_pk_min_f16 v24, v15, v8
	v_pk_min_f16 v15, v15, v10
	v_pk_add_f16 v50, v53, v24
	v_pk_add_f16 v51, v55, v15
	s_waitcnt lgkmcnt(0)
	v_pk_max_f16 v15, v20, v20
	v_pk_add_f16 v18, v54, v18
	v_pk_min_f16 v24, v15, v2
	v_pk_min_f16 v20, v15, v0
	v_pk_add_f16 v54, v58, v24
	v_pk_min_f16 v24, v15, v8
	v_pk_min_f16 v15, v15, v10
	v_pk_add_f16 v20, v56, v20
	v_pk_add_f16 v56, v60, v15
	v_pk_max_f16 v15, v22, v22
	v_pk_add_f16 v55, v59, v24
	v_pk_min_f16 v24, v15, v2
	v_pk_min_f16 v22, v15, v0
	v_pk_add_f16 v57, v67, v24
	ds_read2_b64 v[24:27], v12 offset0:96 offset1:104
	v_pk_min_f16 v12, v15, v8
	v_pk_add_f16 v13, v47, v13
	v_pk_add_f16 v58, v61, v12
	v_pk_min_f16 v12, v15, v10
	v_pk_min_f16 v14, v6, v2
	v_pk_add_f16 v59, v63, v12
	s_waitcnt lgkmcnt(0)
	v_pk_max_f16 v12, v24, v24
	v_pk_add_f16 v14, v44, v14
	v_pk_min_f16 v15, v12, v0
	s_mul_hi_u32 s3, s2, s20
	v_pk_add_f16 v24, v62, v15
	v_pk_min_f16 v15, v12, v2
	s_mul_i32 s0, s2, s20
	v_pk_add_f16 v60, v64, v15
	v_pk_min_f16 v15, v12, v8
	v_pk_min_f16 v12, v12, v10
	v_pk_add_f16 v61, v66, v15
	v_pk_add_f16 v62, v68, v12
	v_pk_max_f16 v12, v26, v26
	s_add_i32 s1, s3, s1
	v_pk_min_f16 v15, v12, v0
	v_pk_min_f16 v0, v4, v0
	v_pk_add_f16 v26, v69, v15
	v_pk_add_f16 v66, v73, v0
	v_pk_min_f16 v0, v4, v2
	v_pk_min_f16 v15, v12, v2
	v_pk_add_f16 v67, v74, v0
	v_pk_min_f16 v0, v4, v8
	v_pk_add_f16 v63, v70, v15
	v_pk_add_f16 v68, v75, v0
	v_pk_min_f16 v0, v4, v10
	v_pk_min_f16 v15, v12, v8
	v_pk_add_f16 v69, v76, v0
	v_pk_min_f16 v0, v6, v10
	v_pk_add_f16 v64, v71, v15
	v_pk_add_f16 v70, v77, v0
	v_pk_max_f16 v0, v1, v1
	v_pk_max_f16 v1, v7, v7
	v_pk_min_f16 v12, v12, v10
	v_pk_min_f16 v2, v1, v0
	s_lshl_b64 s[0:1], s[0:1], 1
	v_pk_add_f16 v7, v13, v2
	v_pk_max_f16 v2, v3, v3
	v_pk_add_f16 v22, v65, v22
	v_pk_min_f16 v3, v1, v2
	v_pk_add_f16 v65, v72, v12
	v_pk_add_f16 v15, v14, v3
	v_pk_max_f16 v3, v9, v9
	v_pk_max_f16 v11, v11, v11
	v_pk_min_f16 v4, v1, v3
	v_pk_max_f16 v12, v19, v19
	v_pk_add_f16 v9, v28, v4
	v_pk_max_f16 v4, v17, v17
	v_pk_max_f16 v19, v21, v21
	;; [unrolled: 1-line block ×6, first 2 shown]
	v_add_u32_e32 v32, s11, v38
	s_add_u32 s8, s14, s0
	v_pk_add_f16 v16, v45, v16
	v_pk_min_f16 v6, v4, v0
	v_pk_min_f16 v8, v4, v2
	;; [unrolled: 1-line block ×29, first 2 shown]
	v_add_u32_e32 v34, 8, v32
	v_add_u32_e32 v36, 16, v32
	;; [unrolled: 1-line block ×7, first 2 shown]
	v_cmp_neq_f16_e64 s[4:5], 0, v52
	s_addc_u32 s9, s15, s1
	v_ashrrev_i32_e32 v33, 31, v32
	v_ashrrev_i32_e32 v35, 31, v34
	;; [unrolled: 1-line block ×8, first 2 shown]
	v_add_u32_e32 v53, s10, v48
	s_mov_b64 s[10:11], 15
	v_pk_add_f16 v0, v16, v6
	v_pk_add_f16 v8, v29, v8
	;; [unrolled: 1-line block ×29, first 2 shown]
	s_branch .LBB288_25
.LBB288_24:                             ;   in Loop: Header=BB288_25 Depth=1
	s_add_i32 s0, s10, -1
	s_cmp_eq_u32 s0, 1
	s_cselect_b64 vcc, -1, 0
	s_cmp_eq_u32 s0, 2
	v_cndmask_b32_e32 v48, v0, v54, vcc
	s_cselect_b64 vcc, -1, 0
	s_cmp_eq_u32 s0, 3
	v_cndmask_b32_e32 v48, v48, v1, vcc
	s_cselect_b64 vcc, -1, 0
	s_cmp_eq_u32 s0, 4
	v_cndmask_b32_e32 v48, v48, v55, vcc
	s_cselect_b64 vcc, -1, 0
	s_cmp_eq_u32 s0, 5
	v_cndmask_b32_e32 v48, v48, v4, vcc
	s_cselect_b64 vcc, -1, 0
	s_cmp_eq_u32 s0, 6
	v_cndmask_b32_e32 v48, v48, v56, vcc
	s_cselect_b64 vcc, -1, 0
	s_cmp_eq_u32 s0, 7
	v_cndmask_b32_e32 v48, v48, v5, vcc
	s_cselect_b64 vcc, -1, 0
	s_cmp_eq_u32 s0, 8
	v_cndmask_b32_e32 v48, v48, v57, vcc
	s_cselect_b64 vcc, -1, 0
	s_cmp_eq_u32 s0, 9
	v_cndmask_b32_e32 v48, v48, v16, vcc
	s_cselect_b64 vcc, -1, 0
	s_cmp_eq_u32 s0, 10
	v_cndmask_b32_e32 v48, v48, v58, vcc
	s_cselect_b64 vcc, -1, 0
	s_cmp_eq_u32 s0, 11
	v_cndmask_b32_e32 v48, v48, v23, vcc
	s_cselect_b64 vcc, -1, 0
	s_cmp_eq_u32 s0, 12
	v_cndmask_b32_e32 v48, v48, v59, vcc
	s_cselect_b64 vcc, -1, 0
	s_cmp_eq_u32 s0, 13
	v_cndmask_b32_e32 v48, v48, v24, vcc
	s_cselect_b64 vcc, -1, 0
	s_cmp_eq_u32 s0, 14
	v_cndmask_b32_e32 v48, v48, v60, vcc
	s_cselect_b64 vcc, -1, 0
	s_cmp_eq_u32 s0, 15
	v_cndmask_b32_e32 v48, v48, v7, vcc
	s_cselect_b64 vcc, -1, 0
	s_cmp_eq_u32 s0, 16
	v_cndmask_b32_e32 v48, v48, v61, vcc
	s_cselect_b64 vcc, -1, 0
	s_cmp_eq_u32 s0, 17
	v_cndmask_b32_e32 v48, v48, v8, vcc
	s_cselect_b64 vcc, -1, 0
	s_cmp_eq_u32 s0, 18
	v_cndmask_b32_e32 v48, v48, v62, vcc
	s_cselect_b64 vcc, -1, 0
	s_cmp_eq_u32 s0, 19
	v_cndmask_b32_e32 v48, v48, v11, vcc
	s_cselect_b64 vcc, -1, 0
	s_cmp_eq_u32 s0, 20
	v_cndmask_b32_e32 v48, v48, v63, vcc
	s_cselect_b64 vcc, -1, 0
	s_cmp_eq_u32 s0, 21
	v_cndmask_b32_e32 v48, v48, v12, vcc
	s_cselect_b64 vcc, -1, 0
	s_cmp_eq_u32 s0, 22
	v_cndmask_b32_e32 v48, v48, v64, vcc
	s_cselect_b64 vcc, -1, 0
	s_cmp_eq_u32 s0, 23
	v_cndmask_b32_e32 v48, v48, v17, vcc
	s_cselect_b64 vcc, -1, 0
	s_cmp_eq_u32 s0, 24
	v_cndmask_b32_e32 v48, v48, v65, vcc
	s_cselect_b64 vcc, -1, 0
	s_cmp_eq_u32 s0, 25
	v_cndmask_b32_e32 v48, v48, v18, vcc
	s_cselect_b64 vcc, -1, 0
	s_cmp_eq_u32 s0, 26
	v_cndmask_b32_e32 v48, v48, v66, vcc
	s_cselect_b64 vcc, -1, 0
	s_cmp_eq_u32 s0, 27
	v_cndmask_b32_e32 v48, v48, v25, vcc
	s_cselect_b64 vcc, -1, 0
	s_cmp_eq_u32 s0, 28
	v_cndmask_b32_e32 v48, v48, v67, vcc
	s_cselect_b64 vcc, -1, 0
	s_cmp_eq_u32 s0, 29
	v_cndmask_b32_e32 v48, v48, v26, vcc
	s_cselect_b64 vcc, -1, 0
	s_cmp_eq_u32 s0, 30
	v_cndmask_b32_e32 v48, v48, v68, vcc
	s_cselect_b64 vcc, -1, 0
	s_cmp_eq_u32 s0, 31
	v_cndmask_b32_e32 v48, v48, v15, vcc
	s_cselect_b64 vcc, -1, 0
	s_cmp_eq_u32 s0, 32
	v_cndmask_b32_e32 v48, v48, v69, vcc
	s_cselect_b64 vcc, -1, 0
	s_cmp_eq_u32 s0, 33
	v_cndmask_b32_e32 v48, v48, v2, vcc
	s_cselect_b64 vcc, -1, 0
	s_cmp_eq_u32 s0, 34
	v_cndmask_b32_e32 v48, v48, v70, vcc
	s_cselect_b64 vcc, -1, 0
	s_cmp_eq_u32 s0, 35
	v_cndmask_b32_e32 v48, v48, v3, vcc
	s_cselect_b64 vcc, -1, 0
	s_cmp_eq_u32 s0, 36
	v_cndmask_b32_e32 v48, v48, v71, vcc
	s_cselect_b64 vcc, -1, 0
	s_cmp_eq_u32 s0, 37
	v_cndmask_b32_e32 v48, v48, v6, vcc
	s_cselect_b64 vcc, -1, 0
	s_cmp_eq_u32 s0, 38
	v_cndmask_b32_e32 v48, v48, v72, vcc
	s_cselect_b64 vcc, -1, 0
	s_cmp_eq_u32 s0, 39
	v_cndmask_b32_e32 v48, v48, v19, vcc
	s_cselect_b64 vcc, -1, 0
	s_cmp_eq_u32 s0, 40
	v_cndmask_b32_e32 v48, v48, v73, vcc
	s_cselect_b64 vcc, -1, 0
	s_cmp_eq_u32 s0, 41
	v_cndmask_b32_e32 v48, v48, v20, vcc
	s_cselect_b64 vcc, -1, 0
	s_cmp_eq_u32 s0, 42
	v_cndmask_b32_e32 v48, v48, v74, vcc
	s_cselect_b64 vcc, -1, 0
	s_cmp_eq_u32 s0, 43
	v_cndmask_b32_e32 v48, v48, v27, vcc
	s_cselect_b64 vcc, -1, 0
	s_cmp_eq_u32 s0, 44
	v_cndmask_b32_e32 v48, v48, v75, vcc
	s_cselect_b64 vcc, -1, 0
	s_cmp_eq_u32 s0, 45
	v_cndmask_b32_e32 v48, v48, v28, vcc
	s_cselect_b64 vcc, -1, 0
	s_cmp_eq_u32 s0, 46
	v_cndmask_b32_e32 v48, v48, v76, vcc
	s_cselect_b64 vcc, -1, 0
	s_cmp_eq_u32 s0, 47
	v_cndmask_b32_e32 v48, v48, v9, vcc
	s_cselect_b64 vcc, -1, 0
	s_cmp_eq_u32 s0, 48
	v_cndmask_b32_e32 v48, v48, v77, vcc
	s_cselect_b64 vcc, -1, 0
	s_cmp_eq_u32 s0, 49
	v_cndmask_b32_e32 v48, v48, v10, vcc
	s_cselect_b64 vcc, -1, 0
	s_cmp_eq_u32 s0, 50
	v_cndmask_b32_e32 v48, v48, v78, vcc
	s_cselect_b64 vcc, -1, 0
	s_cmp_eq_u32 s0, 51
	v_cndmask_b32_e32 v48, v48, v13, vcc
	s_cselect_b64 vcc, -1, 0
	s_cmp_eq_u32 s0, 52
	v_cndmask_b32_e32 v48, v48, v79, vcc
	s_cselect_b64 vcc, -1, 0
	s_cmp_eq_u32 s0, 53
	v_cndmask_b32_e32 v48, v48, v14, vcc
	s_cselect_b64 vcc, -1, 0
	s_cmp_eq_u32 s0, 54
	v_cndmask_b32_e32 v48, v48, v80, vcc
	s_cselect_b64 vcc, -1, 0
	s_cmp_eq_u32 s0, 55
	v_cndmask_b32_e32 v48, v48, v21, vcc
	s_cselect_b64 vcc, -1, 0
	s_cmp_eq_u32 s0, 56
	v_cndmask_b32_e32 v48, v48, v81, vcc
	s_cselect_b64 vcc, -1, 0
	s_cmp_eq_u32 s0, 57
	v_cndmask_b32_e32 v48, v48, v22, vcc
	s_cselect_b64 vcc, -1, 0
	s_cmp_eq_u32 s0, 58
	v_cndmask_b32_e32 v48, v48, v82, vcc
	s_cselect_b64 vcc, -1, 0
	s_cmp_eq_u32 s0, 59
	v_cndmask_b32_e32 v48, v48, v29, vcc
	s_cselect_b64 vcc, -1, 0
	s_cmp_eq_u32 s0, 60
	v_cndmask_b32_e32 v48, v48, v83, vcc
	s_cselect_b64 vcc, -1, 0
	s_cmp_eq_u32 s0, 61
	v_cndmask_b32_e32 v48, v48, v30, vcc
	s_cselect_b64 vcc, -1, 0
	s_cmp_eq_u32 s0, 62
	v_cndmask_b32_e32 v48, v48, v84, vcc
	s_cselect_b64 vcc, -1, 0
	s_cmp_eq_u32 s0, 63
	v_cndmask_b32_e32 v48, v48, v31, vcc
	s_cselect_b64 vcc, -1, 0
	s_cmp_eq_u32 s10, 1
	s_cselect_b64 s[0:1], -1, 0
	s_cmp_eq_u32 s10, 2
	v_cndmask_b32_e64 v49, v0, v54, s[0:1]
	s_cselect_b64 s[0:1], -1, 0
	s_cmp_eq_u32 s10, 3
	v_cndmask_b32_e64 v49, v49, v1, s[0:1]
	;; [unrolled: 3-line block ×61, first 2 shown]
	v_cndmask_b32_e32 v48, v48, v85, vcc
	s_cselect_b64 vcc, -1, 0
	s_cmp_eq_u32 s10, 63
	v_cndmask_b32_e32 v49, v49, v31, vcc
	s_cselect_b64 vcc, -1, 0
	v_cndmask_b32_e32 v49, v49, v85, vcc
	s_add_u32 s10, s10, 16
	v_add_f16_e32 v48, v48, v49
	s_addc_u32 s11, s11, 0
	v_add_f16_e32 v54, v48, v86
	v_lshl_add_u64 v[48:49], v[46:47], 1, v[50:51]
	s_cmpk_lg_i32 s10, 0x4f
	v_add_u32_e32 v53, 32, v53
	global_store_short v[48:49], v54, off
	s_cbranch_scc0 .LBB288_41
.LBB288_25:                             ; =>This Inner Loop Header: Depth=1
	v_mad_i64_i32 v[48:49], s[0:1], v53, s12, 0
	v_cndmask_b32_e64 v50, 0, 1, s[4:5]
	v_lshl_add_u64 v[48:49], v[48:49], 1, s[6:7]
	v_mov_b32_e32 v86, 0
	v_cmp_ne_u32_e64 s[2:3], 1, v50
	s_andn2_b64 vcc, exec, s[4:5]
	v_mov_b32_e32 v50, 0
	s_cbranch_vccnz .LBB288_27
; %bb.26:                               ;   in Loop: Header=BB288_25 Depth=1
	v_lshl_add_u64 v[50:51], v[32:33], 1, v[48:49]
	global_load_ushort v50, v[50:51], off
	s_waitcnt vmcnt(0)
	v_mul_f16_e32 v50, v52, v50
.LBB288_27:                             ;   in Loop: Header=BB288_25 Depth=1
	s_add_i32 s0, s10, -15
	s_cmp_eq_u32 s0, 1
	v_lshrrev_b32_e32 v54, 16, v0
	s_cselect_b64 vcc, -1, 0
	s_cmp_eq_u32 s0, 2
	v_cndmask_b32_e32 v51, v0, v54, vcc
	s_cselect_b64 vcc, -1, 0
	s_cmp_eq_u32 s0, 3
	v_cndmask_b32_e32 v51, v51, v1, vcc
	v_lshrrev_b32_e32 v55, 16, v1
	s_cselect_b64 vcc, -1, 0
	s_cmp_eq_u32 s0, 4
	v_cndmask_b32_e32 v51, v51, v55, vcc
	s_cselect_b64 vcc, -1, 0
	s_cmp_eq_u32 s0, 5
	v_cndmask_b32_e32 v51, v51, v4, vcc
	;; [unrolled: 7-line block ×31, first 2 shown]
	s_cselect_b64 vcc, -1, 0
	s_add_i32 s0, s10, -14
	v_lshrrev_b32_e32 v85, 16, v31
	s_cmp_eq_u32 s0, 1
	v_cndmask_b32_e32 v51, v51, v85, vcc
	s_cselect_b64 vcc, -1, 0
	s_cmp_eq_u32 s0, 2
	v_cndmask_b32_e32 v87, v0, v54, vcc
	s_cselect_b64 vcc, -1, 0
	;; [unrolled: 3-line block ×63, first 2 shown]
	v_cndmask_b32_e32 v87, v87, v85, vcc
	v_add_f16_e32 v51, v51, v87
	v_add_f16_e32 v87, v51, v50
	v_mad_i64_i32 v[50:51], s[0:1], v53, s13, 0
	v_lshl_add_u64 v[50:51], v[50:51], 1, s[8:9]
	v_lshl_add_u64 v[88:89], v[32:33], 1, v[50:51]
	s_and_b64 vcc, exec, s[2:3]
	global_store_short v[88:89], v87, off
	s_cbranch_vccnz .LBB288_29
; %bb.28:                               ;   in Loop: Header=BB288_25 Depth=1
	v_lshl_add_u64 v[86:87], v[34:35], 1, v[48:49]
	global_load_ushort v86, v[86:87], off
	s_waitcnt vmcnt(0)
	v_mul_f16_e32 v86, v52, v86
.LBB288_29:                             ;   in Loop: Header=BB288_25 Depth=1
	s_add_i32 s0, s10, -13
	s_cmp_eq_u32 s0, 1
	s_cselect_b64 vcc, -1, 0
	s_cmp_eq_u32 s0, 2
	v_cndmask_b32_e32 v87, v0, v54, vcc
	s_cselect_b64 vcc, -1, 0
	s_cmp_eq_u32 s0, 3
	v_cndmask_b32_e32 v87, v87, v1, vcc
	;; [unrolled: 3-line block ×62, first 2 shown]
	s_cselect_b64 vcc, -1, 0
	s_add_i32 s0, s10, -12
	s_cmp_eq_u32 s0, 1
	v_cndmask_b32_e32 v87, v87, v85, vcc
	s_cselect_b64 vcc, -1, 0
	s_cmp_eq_u32 s0, 2
	v_cndmask_b32_e32 v88, v0, v54, vcc
	s_cselect_b64 vcc, -1, 0
	;; [unrolled: 3-line block ×63, first 2 shown]
	v_cndmask_b32_e32 v88, v88, v85, vcc
	v_add_f16_e32 v87, v87, v88
	v_add_f16_e32 v88, v87, v86
	v_lshl_add_u64 v[86:87], v[34:35], 1, v[50:51]
	global_store_short v[86:87], v88, off
	s_and_b64 vcc, exec, s[2:3]
	v_mov_b32_e32 v86, 0
	v_mov_b32_e32 v87, 0
	s_cbranch_vccnz .LBB288_31
; %bb.30:                               ;   in Loop: Header=BB288_25 Depth=1
	v_lshl_add_u64 v[88:89], v[36:37], 1, v[48:49]
	global_load_ushort v87, v[88:89], off
	s_waitcnt vmcnt(0)
	v_mul_f16_e32 v87, v52, v87
.LBB288_31:                             ;   in Loop: Header=BB288_25 Depth=1
	s_add_i32 s0, s10, -11
	s_cmp_eq_u32 s0, 1
	s_cselect_b64 vcc, -1, 0
	s_cmp_eq_u32 s0, 2
	v_cndmask_b32_e32 v88, v0, v54, vcc
	s_cselect_b64 vcc, -1, 0
	s_cmp_eq_u32 s0, 3
	v_cndmask_b32_e32 v88, v88, v1, vcc
	s_cselect_b64 vcc, -1, 0
	s_cmp_eq_u32 s0, 4
	v_cndmask_b32_e32 v88, v88, v55, vcc
	s_cselect_b64 vcc, -1, 0
	s_cmp_eq_u32 s0, 5
	v_cndmask_b32_e32 v88, v88, v4, vcc
	s_cselect_b64 vcc, -1, 0
	s_cmp_eq_u32 s0, 6
	v_cndmask_b32_e32 v88, v88, v56, vcc
	s_cselect_b64 vcc, -1, 0
	s_cmp_eq_u32 s0, 7
	v_cndmask_b32_e32 v88, v88, v5, vcc
	s_cselect_b64 vcc, -1, 0
	s_cmp_eq_u32 s0, 8
	v_cndmask_b32_e32 v88, v88, v57, vcc
	s_cselect_b64 vcc, -1, 0
	s_cmp_eq_u32 s0, 9
	v_cndmask_b32_e32 v88, v88, v16, vcc
	s_cselect_b64 vcc, -1, 0
	s_cmp_eq_u32 s0, 10
	v_cndmask_b32_e32 v88, v88, v58, vcc
	s_cselect_b64 vcc, -1, 0
	s_cmp_eq_u32 s0, 11
	v_cndmask_b32_e32 v88, v88, v23, vcc
	s_cselect_b64 vcc, -1, 0
	s_cmp_eq_u32 s0, 12
	v_cndmask_b32_e32 v88, v88, v59, vcc
	s_cselect_b64 vcc, -1, 0
	s_cmp_eq_u32 s0, 13
	v_cndmask_b32_e32 v88, v88, v24, vcc
	s_cselect_b64 vcc, -1, 0
	s_cmp_eq_u32 s0, 14
	v_cndmask_b32_e32 v88, v88, v60, vcc
	s_cselect_b64 vcc, -1, 0
	s_cmp_eq_u32 s0, 15
	v_cndmask_b32_e32 v88, v88, v7, vcc
	s_cselect_b64 vcc, -1, 0
	s_cmp_eq_u32 s0, 16
	v_cndmask_b32_e32 v88, v88, v61, vcc
	s_cselect_b64 vcc, -1, 0
	s_cmp_eq_u32 s0, 17
	v_cndmask_b32_e32 v88, v88, v8, vcc
	s_cselect_b64 vcc, -1, 0
	s_cmp_eq_u32 s0, 18
	v_cndmask_b32_e32 v88, v88, v62, vcc
	s_cselect_b64 vcc, -1, 0
	s_cmp_eq_u32 s0, 19
	v_cndmask_b32_e32 v88, v88, v11, vcc
	s_cselect_b64 vcc, -1, 0
	s_cmp_eq_u32 s0, 20
	v_cndmask_b32_e32 v88, v88, v63, vcc
	s_cselect_b64 vcc, -1, 0
	s_cmp_eq_u32 s0, 21
	v_cndmask_b32_e32 v88, v88, v12, vcc
	s_cselect_b64 vcc, -1, 0
	s_cmp_eq_u32 s0, 22
	v_cndmask_b32_e32 v88, v88, v64, vcc
	s_cselect_b64 vcc, -1, 0
	s_cmp_eq_u32 s0, 23
	v_cndmask_b32_e32 v88, v88, v17, vcc
	s_cselect_b64 vcc, -1, 0
	s_cmp_eq_u32 s0, 24
	v_cndmask_b32_e32 v88, v88, v65, vcc
	s_cselect_b64 vcc, -1, 0
	s_cmp_eq_u32 s0, 25
	v_cndmask_b32_e32 v88, v88, v18, vcc
	s_cselect_b64 vcc, -1, 0
	s_cmp_eq_u32 s0, 26
	v_cndmask_b32_e32 v88, v88, v66, vcc
	s_cselect_b64 vcc, -1, 0
	s_cmp_eq_u32 s0, 27
	v_cndmask_b32_e32 v88, v88, v25, vcc
	s_cselect_b64 vcc, -1, 0
	s_cmp_eq_u32 s0, 28
	v_cndmask_b32_e32 v88, v88, v67, vcc
	s_cselect_b64 vcc, -1, 0
	s_cmp_eq_u32 s0, 29
	v_cndmask_b32_e32 v88, v88, v26, vcc
	s_cselect_b64 vcc, -1, 0
	s_cmp_eq_u32 s0, 30
	v_cndmask_b32_e32 v88, v88, v68, vcc
	s_cselect_b64 vcc, -1, 0
	s_cmp_eq_u32 s0, 31
	v_cndmask_b32_e32 v88, v88, v15, vcc
	s_cselect_b64 vcc, -1, 0
	s_cmp_eq_u32 s0, 32
	v_cndmask_b32_e32 v88, v88, v69, vcc
	s_cselect_b64 vcc, -1, 0
	s_cmp_eq_u32 s0, 33
	v_cndmask_b32_e32 v88, v88, v2, vcc
	s_cselect_b64 vcc, -1, 0
	s_cmp_eq_u32 s0, 34
	v_cndmask_b32_e32 v88, v88, v70, vcc
	s_cselect_b64 vcc, -1, 0
	s_cmp_eq_u32 s0, 35
	v_cndmask_b32_e32 v88, v88, v3, vcc
	s_cselect_b64 vcc, -1, 0
	s_cmp_eq_u32 s0, 36
	v_cndmask_b32_e32 v88, v88, v71, vcc
	s_cselect_b64 vcc, -1, 0
	s_cmp_eq_u32 s0, 37
	v_cndmask_b32_e32 v88, v88, v6, vcc
	s_cselect_b64 vcc, -1, 0
	s_cmp_eq_u32 s0, 38
	v_cndmask_b32_e32 v88, v88, v72, vcc
	s_cselect_b64 vcc, -1, 0
	s_cmp_eq_u32 s0, 39
	v_cndmask_b32_e32 v88, v88, v19, vcc
	s_cselect_b64 vcc, -1, 0
	s_cmp_eq_u32 s0, 40
	v_cndmask_b32_e32 v88, v88, v73, vcc
	s_cselect_b64 vcc, -1, 0
	s_cmp_eq_u32 s0, 41
	v_cndmask_b32_e32 v88, v88, v20, vcc
	s_cselect_b64 vcc, -1, 0
	s_cmp_eq_u32 s0, 42
	v_cndmask_b32_e32 v88, v88, v74, vcc
	s_cselect_b64 vcc, -1, 0
	s_cmp_eq_u32 s0, 43
	v_cndmask_b32_e32 v88, v88, v27, vcc
	s_cselect_b64 vcc, -1, 0
	s_cmp_eq_u32 s0, 44
	v_cndmask_b32_e32 v88, v88, v75, vcc
	s_cselect_b64 vcc, -1, 0
	s_cmp_eq_u32 s0, 45
	v_cndmask_b32_e32 v88, v88, v28, vcc
	s_cselect_b64 vcc, -1, 0
	s_cmp_eq_u32 s0, 46
	v_cndmask_b32_e32 v88, v88, v76, vcc
	s_cselect_b64 vcc, -1, 0
	s_cmp_eq_u32 s0, 47
	v_cndmask_b32_e32 v88, v88, v9, vcc
	s_cselect_b64 vcc, -1, 0
	s_cmp_eq_u32 s0, 48
	v_cndmask_b32_e32 v88, v88, v77, vcc
	s_cselect_b64 vcc, -1, 0
	s_cmp_eq_u32 s0, 49
	v_cndmask_b32_e32 v88, v88, v10, vcc
	s_cselect_b64 vcc, -1, 0
	s_cmp_eq_u32 s0, 50
	v_cndmask_b32_e32 v88, v88, v78, vcc
	s_cselect_b64 vcc, -1, 0
	s_cmp_eq_u32 s0, 51
	v_cndmask_b32_e32 v88, v88, v13, vcc
	s_cselect_b64 vcc, -1, 0
	s_cmp_eq_u32 s0, 52
	v_cndmask_b32_e32 v88, v88, v79, vcc
	s_cselect_b64 vcc, -1, 0
	s_cmp_eq_u32 s0, 53
	v_cndmask_b32_e32 v88, v88, v14, vcc
	s_cselect_b64 vcc, -1, 0
	s_cmp_eq_u32 s0, 54
	v_cndmask_b32_e32 v88, v88, v80, vcc
	s_cselect_b64 vcc, -1, 0
	s_cmp_eq_u32 s0, 55
	v_cndmask_b32_e32 v88, v88, v21, vcc
	s_cselect_b64 vcc, -1, 0
	s_cmp_eq_u32 s0, 56
	v_cndmask_b32_e32 v88, v88, v81, vcc
	s_cselect_b64 vcc, -1, 0
	s_cmp_eq_u32 s0, 57
	v_cndmask_b32_e32 v88, v88, v22, vcc
	s_cselect_b64 vcc, -1, 0
	s_cmp_eq_u32 s0, 58
	v_cndmask_b32_e32 v88, v88, v82, vcc
	s_cselect_b64 vcc, -1, 0
	s_cmp_eq_u32 s0, 59
	v_cndmask_b32_e32 v88, v88, v29, vcc
	s_cselect_b64 vcc, -1, 0
	s_cmp_eq_u32 s0, 60
	v_cndmask_b32_e32 v88, v88, v83, vcc
	s_cselect_b64 vcc, -1, 0
	s_cmp_eq_u32 s0, 61
	v_cndmask_b32_e32 v88, v88, v30, vcc
	s_cselect_b64 vcc, -1, 0
	s_cmp_eq_u32 s0, 62
	v_cndmask_b32_e32 v88, v88, v84, vcc
	s_cselect_b64 vcc, -1, 0
	s_cmp_eq_u32 s0, 63
	v_cndmask_b32_e32 v88, v88, v31, vcc
	s_cselect_b64 vcc, -1, 0
	s_add_i32 s0, s10, -10
	s_cmp_eq_u32 s0, 1
	v_cndmask_b32_e32 v88, v88, v85, vcc
	s_cselect_b64 vcc, -1, 0
	s_cmp_eq_u32 s0, 2
	v_cndmask_b32_e32 v89, v0, v54, vcc
	s_cselect_b64 vcc, -1, 0
	;; [unrolled: 3-line block ×63, first 2 shown]
	v_cndmask_b32_e32 v89, v89, v85, vcc
	v_add_f16_e32 v88, v88, v89
	v_add_f16_e32 v87, v88, v87
	v_lshl_add_u64 v[88:89], v[36:37], 1, v[50:51]
	s_and_b64 vcc, exec, s[2:3]
	global_store_short v[88:89], v87, off
	s_cbranch_vccnz .LBB288_33
; %bb.32:                               ;   in Loop: Header=BB288_25 Depth=1
	v_lshl_add_u64 v[86:87], v[38:39], 1, v[48:49]
	global_load_ushort v86, v[86:87], off
	s_waitcnt vmcnt(0)
	v_mul_f16_e32 v86, v52, v86
.LBB288_33:                             ;   in Loop: Header=BB288_25 Depth=1
	s_add_i32 s0, s10, -9
	s_cmp_eq_u32 s0, 1
	s_cselect_b64 vcc, -1, 0
	s_cmp_eq_u32 s0, 2
	v_cndmask_b32_e32 v87, v0, v54, vcc
	s_cselect_b64 vcc, -1, 0
	s_cmp_eq_u32 s0, 3
	v_cndmask_b32_e32 v87, v87, v1, vcc
	;; [unrolled: 3-line block ×62, first 2 shown]
	s_cselect_b64 vcc, -1, 0
	s_add_i32 s0, s10, -8
	s_cmp_eq_u32 s0, 1
	v_cndmask_b32_e32 v87, v87, v85, vcc
	s_cselect_b64 vcc, -1, 0
	s_cmp_eq_u32 s0, 2
	v_cndmask_b32_e32 v88, v0, v54, vcc
	s_cselect_b64 vcc, -1, 0
	;; [unrolled: 3-line block ×63, first 2 shown]
	v_cndmask_b32_e32 v88, v88, v85, vcc
	v_add_f16_e32 v87, v87, v88
	v_add_f16_e32 v88, v87, v86
	v_lshl_add_u64 v[86:87], v[38:39], 1, v[50:51]
	global_store_short v[86:87], v88, off
	s_and_b64 vcc, exec, s[2:3]
	v_mov_b32_e32 v86, 0
	v_mov_b32_e32 v87, 0
	s_cbranch_vccnz .LBB288_35
; %bb.34:                               ;   in Loop: Header=BB288_25 Depth=1
	v_lshl_add_u64 v[88:89], v[40:41], 1, v[48:49]
	global_load_ushort v87, v[88:89], off
	s_waitcnt vmcnt(0)
	v_mul_f16_e32 v87, v52, v87
.LBB288_35:                             ;   in Loop: Header=BB288_25 Depth=1
	s_add_i32 s0, s10, -7
	s_cmp_eq_u32 s0, 1
	s_cselect_b64 vcc, -1, 0
	s_cmp_eq_u32 s0, 2
	v_cndmask_b32_e32 v88, v0, v54, vcc
	s_cselect_b64 vcc, -1, 0
	s_cmp_eq_u32 s0, 3
	v_cndmask_b32_e32 v88, v88, v1, vcc
	;; [unrolled: 3-line block ×62, first 2 shown]
	s_cselect_b64 vcc, -1, 0
	s_add_i32 s0, s10, -6
	s_cmp_eq_u32 s0, 1
	v_cndmask_b32_e32 v88, v88, v85, vcc
	s_cselect_b64 vcc, -1, 0
	s_cmp_eq_u32 s0, 2
	v_cndmask_b32_e32 v89, v0, v54, vcc
	s_cselect_b64 vcc, -1, 0
	;; [unrolled: 3-line block ×63, first 2 shown]
	v_cndmask_b32_e32 v89, v89, v85, vcc
	v_add_f16_e32 v88, v88, v89
	v_add_f16_e32 v87, v88, v87
	v_lshl_add_u64 v[88:89], v[40:41], 1, v[50:51]
	s_and_b64 vcc, exec, s[2:3]
	global_store_short v[88:89], v87, off
	s_cbranch_vccnz .LBB288_37
; %bb.36:                               ;   in Loop: Header=BB288_25 Depth=1
	v_lshl_add_u64 v[86:87], v[42:43], 1, v[48:49]
	global_load_ushort v86, v[86:87], off
	s_waitcnt vmcnt(0)
	v_mul_f16_e32 v86, v52, v86
.LBB288_37:                             ;   in Loop: Header=BB288_25 Depth=1
	s_add_i32 s0, s10, -5
	s_cmp_eq_u32 s0, 1
	s_cselect_b64 vcc, -1, 0
	s_cmp_eq_u32 s0, 2
	v_cndmask_b32_e32 v87, v0, v54, vcc
	s_cselect_b64 vcc, -1, 0
	s_cmp_eq_u32 s0, 3
	v_cndmask_b32_e32 v87, v87, v1, vcc
	s_cselect_b64 vcc, -1, 0
	s_cmp_eq_u32 s0, 4
	v_cndmask_b32_e32 v87, v87, v55, vcc
	s_cselect_b64 vcc, -1, 0
	s_cmp_eq_u32 s0, 5
	v_cndmask_b32_e32 v87, v87, v4, vcc
	s_cselect_b64 vcc, -1, 0
	s_cmp_eq_u32 s0, 6
	v_cndmask_b32_e32 v87, v87, v56, vcc
	s_cselect_b64 vcc, -1, 0
	s_cmp_eq_u32 s0, 7
	v_cndmask_b32_e32 v87, v87, v5, vcc
	s_cselect_b64 vcc, -1, 0
	s_cmp_eq_u32 s0, 8
	v_cndmask_b32_e32 v87, v87, v57, vcc
	s_cselect_b64 vcc, -1, 0
	s_cmp_eq_u32 s0, 9
	v_cndmask_b32_e32 v87, v87, v16, vcc
	s_cselect_b64 vcc, -1, 0
	s_cmp_eq_u32 s0, 10
	v_cndmask_b32_e32 v87, v87, v58, vcc
	s_cselect_b64 vcc, -1, 0
	s_cmp_eq_u32 s0, 11
	v_cndmask_b32_e32 v87, v87, v23, vcc
	s_cselect_b64 vcc, -1, 0
	s_cmp_eq_u32 s0, 12
	v_cndmask_b32_e32 v87, v87, v59, vcc
	s_cselect_b64 vcc, -1, 0
	s_cmp_eq_u32 s0, 13
	v_cndmask_b32_e32 v87, v87, v24, vcc
	s_cselect_b64 vcc, -1, 0
	s_cmp_eq_u32 s0, 14
	v_cndmask_b32_e32 v87, v87, v60, vcc
	s_cselect_b64 vcc, -1, 0
	s_cmp_eq_u32 s0, 15
	v_cndmask_b32_e32 v87, v87, v7, vcc
	s_cselect_b64 vcc, -1, 0
	s_cmp_eq_u32 s0, 16
	v_cndmask_b32_e32 v87, v87, v61, vcc
	s_cselect_b64 vcc, -1, 0
	s_cmp_eq_u32 s0, 17
	v_cndmask_b32_e32 v87, v87, v8, vcc
	s_cselect_b64 vcc, -1, 0
	s_cmp_eq_u32 s0, 18
	v_cndmask_b32_e32 v87, v87, v62, vcc
	s_cselect_b64 vcc, -1, 0
	s_cmp_eq_u32 s0, 19
	v_cndmask_b32_e32 v87, v87, v11, vcc
	s_cselect_b64 vcc, -1, 0
	s_cmp_eq_u32 s0, 20
	v_cndmask_b32_e32 v87, v87, v63, vcc
	s_cselect_b64 vcc, -1, 0
	s_cmp_eq_u32 s0, 21
	v_cndmask_b32_e32 v87, v87, v12, vcc
	s_cselect_b64 vcc, -1, 0
	s_cmp_eq_u32 s0, 22
	v_cndmask_b32_e32 v87, v87, v64, vcc
	s_cselect_b64 vcc, -1, 0
	s_cmp_eq_u32 s0, 23
	v_cndmask_b32_e32 v87, v87, v17, vcc
	s_cselect_b64 vcc, -1, 0
	s_cmp_eq_u32 s0, 24
	v_cndmask_b32_e32 v87, v87, v65, vcc
	s_cselect_b64 vcc, -1, 0
	s_cmp_eq_u32 s0, 25
	v_cndmask_b32_e32 v87, v87, v18, vcc
	s_cselect_b64 vcc, -1, 0
	s_cmp_eq_u32 s0, 26
	v_cndmask_b32_e32 v87, v87, v66, vcc
	s_cselect_b64 vcc, -1, 0
	s_cmp_eq_u32 s0, 27
	v_cndmask_b32_e32 v87, v87, v25, vcc
	s_cselect_b64 vcc, -1, 0
	s_cmp_eq_u32 s0, 28
	v_cndmask_b32_e32 v87, v87, v67, vcc
	s_cselect_b64 vcc, -1, 0
	s_cmp_eq_u32 s0, 29
	v_cndmask_b32_e32 v87, v87, v26, vcc
	s_cselect_b64 vcc, -1, 0
	s_cmp_eq_u32 s0, 30
	v_cndmask_b32_e32 v87, v87, v68, vcc
	s_cselect_b64 vcc, -1, 0
	s_cmp_eq_u32 s0, 31
	v_cndmask_b32_e32 v87, v87, v15, vcc
	s_cselect_b64 vcc, -1, 0
	s_cmp_eq_u32 s0, 32
	v_cndmask_b32_e32 v87, v87, v69, vcc
	s_cselect_b64 vcc, -1, 0
	s_cmp_eq_u32 s0, 33
	v_cndmask_b32_e32 v87, v87, v2, vcc
	s_cselect_b64 vcc, -1, 0
	s_cmp_eq_u32 s0, 34
	v_cndmask_b32_e32 v87, v87, v70, vcc
	s_cselect_b64 vcc, -1, 0
	s_cmp_eq_u32 s0, 35
	v_cndmask_b32_e32 v87, v87, v3, vcc
	s_cselect_b64 vcc, -1, 0
	s_cmp_eq_u32 s0, 36
	v_cndmask_b32_e32 v87, v87, v71, vcc
	s_cselect_b64 vcc, -1, 0
	s_cmp_eq_u32 s0, 37
	v_cndmask_b32_e32 v87, v87, v6, vcc
	s_cselect_b64 vcc, -1, 0
	s_cmp_eq_u32 s0, 38
	v_cndmask_b32_e32 v87, v87, v72, vcc
	s_cselect_b64 vcc, -1, 0
	s_cmp_eq_u32 s0, 39
	v_cndmask_b32_e32 v87, v87, v19, vcc
	s_cselect_b64 vcc, -1, 0
	s_cmp_eq_u32 s0, 40
	v_cndmask_b32_e32 v87, v87, v73, vcc
	s_cselect_b64 vcc, -1, 0
	s_cmp_eq_u32 s0, 41
	v_cndmask_b32_e32 v87, v87, v20, vcc
	s_cselect_b64 vcc, -1, 0
	s_cmp_eq_u32 s0, 42
	v_cndmask_b32_e32 v87, v87, v74, vcc
	s_cselect_b64 vcc, -1, 0
	s_cmp_eq_u32 s0, 43
	v_cndmask_b32_e32 v87, v87, v27, vcc
	s_cselect_b64 vcc, -1, 0
	s_cmp_eq_u32 s0, 44
	v_cndmask_b32_e32 v87, v87, v75, vcc
	s_cselect_b64 vcc, -1, 0
	s_cmp_eq_u32 s0, 45
	v_cndmask_b32_e32 v87, v87, v28, vcc
	s_cselect_b64 vcc, -1, 0
	s_cmp_eq_u32 s0, 46
	v_cndmask_b32_e32 v87, v87, v76, vcc
	s_cselect_b64 vcc, -1, 0
	s_cmp_eq_u32 s0, 47
	v_cndmask_b32_e32 v87, v87, v9, vcc
	s_cselect_b64 vcc, -1, 0
	s_cmp_eq_u32 s0, 48
	v_cndmask_b32_e32 v87, v87, v77, vcc
	s_cselect_b64 vcc, -1, 0
	s_cmp_eq_u32 s0, 49
	v_cndmask_b32_e32 v87, v87, v10, vcc
	s_cselect_b64 vcc, -1, 0
	s_cmp_eq_u32 s0, 50
	v_cndmask_b32_e32 v87, v87, v78, vcc
	s_cselect_b64 vcc, -1, 0
	s_cmp_eq_u32 s0, 51
	v_cndmask_b32_e32 v87, v87, v13, vcc
	s_cselect_b64 vcc, -1, 0
	s_cmp_eq_u32 s0, 52
	v_cndmask_b32_e32 v87, v87, v79, vcc
	s_cselect_b64 vcc, -1, 0
	s_cmp_eq_u32 s0, 53
	v_cndmask_b32_e32 v87, v87, v14, vcc
	s_cselect_b64 vcc, -1, 0
	s_cmp_eq_u32 s0, 54
	v_cndmask_b32_e32 v87, v87, v80, vcc
	s_cselect_b64 vcc, -1, 0
	s_cmp_eq_u32 s0, 55
	v_cndmask_b32_e32 v87, v87, v21, vcc
	s_cselect_b64 vcc, -1, 0
	s_cmp_eq_u32 s0, 56
	v_cndmask_b32_e32 v87, v87, v81, vcc
	s_cselect_b64 vcc, -1, 0
	s_cmp_eq_u32 s0, 57
	v_cndmask_b32_e32 v87, v87, v22, vcc
	s_cselect_b64 vcc, -1, 0
	s_cmp_eq_u32 s0, 58
	v_cndmask_b32_e32 v87, v87, v82, vcc
	s_cselect_b64 vcc, -1, 0
	s_cmp_eq_u32 s0, 59
	v_cndmask_b32_e32 v87, v87, v29, vcc
	s_cselect_b64 vcc, -1, 0
	s_cmp_eq_u32 s0, 60
	v_cndmask_b32_e32 v87, v87, v83, vcc
	s_cselect_b64 vcc, -1, 0
	s_cmp_eq_u32 s0, 61
	v_cndmask_b32_e32 v87, v87, v30, vcc
	s_cselect_b64 vcc, -1, 0
	s_cmp_eq_u32 s0, 62
	v_cndmask_b32_e32 v87, v87, v84, vcc
	s_cselect_b64 vcc, -1, 0
	s_cmp_eq_u32 s0, 63
	v_cndmask_b32_e32 v87, v87, v31, vcc
	s_cselect_b64 vcc, -1, 0
	s_add_i32 s0, s10, -4
	s_cmp_eq_u32 s0, 1
	v_cndmask_b32_e32 v87, v87, v85, vcc
	s_cselect_b64 vcc, -1, 0
	s_cmp_eq_u32 s0, 2
	v_cndmask_b32_e32 v88, v0, v54, vcc
	s_cselect_b64 vcc, -1, 0
	;; [unrolled: 3-line block ×63, first 2 shown]
	v_cndmask_b32_e32 v88, v88, v85, vcc
	v_add_f16_e32 v87, v87, v88
	v_add_f16_e32 v88, v87, v86
	v_lshl_add_u64 v[86:87], v[42:43], 1, v[50:51]
	global_store_short v[86:87], v88, off
	s_and_b64 vcc, exec, s[2:3]
	v_mov_b32_e32 v86, 0
	v_mov_b32_e32 v87, 0
	s_cbranch_vccnz .LBB288_39
; %bb.38:                               ;   in Loop: Header=BB288_25 Depth=1
	v_lshl_add_u64 v[88:89], v[44:45], 1, v[48:49]
	global_load_ushort v87, v[88:89], off
	s_waitcnt vmcnt(0)
	v_mul_f16_e32 v87, v52, v87
.LBB288_39:                             ;   in Loop: Header=BB288_25 Depth=1
	s_add_i32 s0, s10, -3
	s_cmp_eq_u32 s0, 1
	s_cselect_b64 vcc, -1, 0
	s_cmp_eq_u32 s0, 2
	v_cndmask_b32_e32 v88, v0, v54, vcc
	s_cselect_b64 vcc, -1, 0
	s_cmp_eq_u32 s0, 3
	v_cndmask_b32_e32 v88, v88, v1, vcc
	;; [unrolled: 3-line block ×62, first 2 shown]
	s_cselect_b64 vcc, -1, 0
	s_add_i32 s0, s10, -2
	s_cmp_eq_u32 s0, 1
	v_cndmask_b32_e32 v88, v88, v85, vcc
	s_cselect_b64 vcc, -1, 0
	s_cmp_eq_u32 s0, 2
	v_cndmask_b32_e32 v89, v0, v54, vcc
	s_cselect_b64 vcc, -1, 0
	;; [unrolled: 3-line block ×63, first 2 shown]
	v_cndmask_b32_e32 v89, v89, v85, vcc
	v_add_f16_e32 v88, v88, v89
	v_add_f16_e32 v87, v88, v87
	v_lshl_add_u64 v[88:89], v[44:45], 1, v[50:51]
	s_and_b64 vcc, exec, s[2:3]
	global_store_short v[88:89], v87, off
	s_cbranch_vccnz .LBB288_24
; %bb.40:                               ;   in Loop: Header=BB288_25 Depth=1
	v_lshl_add_u64 v[48:49], v[46:47], 1, v[48:49]
	global_load_ushort v48, v[48:49], off
	s_waitcnt vmcnt(0)
	v_mul_f16_e32 v86, v52, v48
	s_branch .LBB288_24
.LBB288_41:
	s_endpgm
	.section	.rodata,"a",@progbits
	.p2align	6, 0x0
	.amdhsa_kernel _ZN12_GLOBAL__N_120geam_min_plus_kernelIDF16_Dv2_DF16_S1_Li8ELi32ELi64ELi128ELi4ELi4ELi64ELi4ELi64ELc84ELc78ELb0ELb0ELb0EPKDF16_S2_DF16_EEviiiT16_PT17_ilS6_ilS4_S6_ilPT18_ili26rocblas_geam_ex_operation_
		.amdhsa_group_segment_fixed_size 3072
		.amdhsa_private_segment_fixed_size 0
		.amdhsa_kernarg_size 136
		.amdhsa_user_sgpr_count 2
		.amdhsa_user_sgpr_dispatch_ptr 0
		.amdhsa_user_sgpr_queue_ptr 0
		.amdhsa_user_sgpr_kernarg_segment_ptr 1
		.amdhsa_user_sgpr_dispatch_id 0
		.amdhsa_user_sgpr_kernarg_preload_length 0
		.amdhsa_user_sgpr_kernarg_preload_offset 0
		.amdhsa_user_sgpr_private_segment_size 0
		.amdhsa_uses_dynamic_stack 0
		.amdhsa_enable_private_segment 0
		.amdhsa_system_sgpr_workgroup_id_x 1
		.amdhsa_system_sgpr_workgroup_id_y 0
		.amdhsa_system_sgpr_workgroup_id_z 1
		.amdhsa_system_sgpr_workgroup_info 0
		.amdhsa_system_vgpr_workitem_id 1
		.amdhsa_next_free_vgpr 123
		.amdhsa_next_free_sgpr 26
		.amdhsa_accum_offset 124
		.amdhsa_reserve_vcc 1
		.amdhsa_float_round_mode_32 0
		.amdhsa_float_round_mode_16_64 0
		.amdhsa_float_denorm_mode_32 3
		.amdhsa_float_denorm_mode_16_64 3
		.amdhsa_dx10_clamp 1
		.amdhsa_ieee_mode 1
		.amdhsa_fp16_overflow 0
		.amdhsa_tg_split 0
		.amdhsa_exception_fp_ieee_invalid_op 0
		.amdhsa_exception_fp_denorm_src 0
		.amdhsa_exception_fp_ieee_div_zero 0
		.amdhsa_exception_fp_ieee_overflow 0
		.amdhsa_exception_fp_ieee_underflow 0
		.amdhsa_exception_fp_ieee_inexact 0
		.amdhsa_exception_int_div_zero 0
	.end_amdhsa_kernel
	.section	.text._ZN12_GLOBAL__N_120geam_min_plus_kernelIDF16_Dv2_DF16_S1_Li8ELi32ELi64ELi128ELi4ELi4ELi64ELi4ELi64ELc84ELc78ELb0ELb0ELb0EPKDF16_S2_DF16_EEviiiT16_PT17_ilS6_ilS4_S6_ilPT18_ili26rocblas_geam_ex_operation_,"axG",@progbits,_ZN12_GLOBAL__N_120geam_min_plus_kernelIDF16_Dv2_DF16_S1_Li8ELi32ELi64ELi128ELi4ELi4ELi64ELi4ELi64ELc84ELc78ELb0ELb0ELb0EPKDF16_S2_DF16_EEviiiT16_PT17_ilS6_ilS4_S6_ilPT18_ili26rocblas_geam_ex_operation_,comdat
.Lfunc_end288:
	.size	_ZN12_GLOBAL__N_120geam_min_plus_kernelIDF16_Dv2_DF16_S1_Li8ELi32ELi64ELi128ELi4ELi4ELi64ELi4ELi64ELc84ELc78ELb0ELb0ELb0EPKDF16_S2_DF16_EEviiiT16_PT17_ilS6_ilS4_S6_ilPT18_ili26rocblas_geam_ex_operation_, .Lfunc_end288-_ZN12_GLOBAL__N_120geam_min_plus_kernelIDF16_Dv2_DF16_S1_Li8ELi32ELi64ELi128ELi4ELi4ELi64ELi4ELi64ELc84ELc78ELb0ELb0ELb0EPKDF16_S2_DF16_EEviiiT16_PT17_ilS6_ilS4_S6_ilPT18_ili26rocblas_geam_ex_operation_
                                        ; -- End function
	.set _ZN12_GLOBAL__N_120geam_min_plus_kernelIDF16_Dv2_DF16_S1_Li8ELi32ELi64ELi128ELi4ELi4ELi64ELi4ELi64ELc84ELc78ELb0ELb0ELb0EPKDF16_S2_DF16_EEviiiT16_PT17_ilS6_ilS4_S6_ilPT18_ili26rocblas_geam_ex_operation_.num_vgpr, 123
	.set _ZN12_GLOBAL__N_120geam_min_plus_kernelIDF16_Dv2_DF16_S1_Li8ELi32ELi64ELi128ELi4ELi4ELi64ELi4ELi64ELc84ELc78ELb0ELb0ELb0EPKDF16_S2_DF16_EEviiiT16_PT17_ilS6_ilS4_S6_ilPT18_ili26rocblas_geam_ex_operation_.num_agpr, 0
	.set _ZN12_GLOBAL__N_120geam_min_plus_kernelIDF16_Dv2_DF16_S1_Li8ELi32ELi64ELi128ELi4ELi4ELi64ELi4ELi64ELc84ELc78ELb0ELb0ELb0EPKDF16_S2_DF16_EEviiiT16_PT17_ilS6_ilS4_S6_ilPT18_ili26rocblas_geam_ex_operation_.numbered_sgpr, 26
	.set _ZN12_GLOBAL__N_120geam_min_plus_kernelIDF16_Dv2_DF16_S1_Li8ELi32ELi64ELi128ELi4ELi4ELi64ELi4ELi64ELc84ELc78ELb0ELb0ELb0EPKDF16_S2_DF16_EEviiiT16_PT17_ilS6_ilS4_S6_ilPT18_ili26rocblas_geam_ex_operation_.num_named_barrier, 0
	.set _ZN12_GLOBAL__N_120geam_min_plus_kernelIDF16_Dv2_DF16_S1_Li8ELi32ELi64ELi128ELi4ELi4ELi64ELi4ELi64ELc84ELc78ELb0ELb0ELb0EPKDF16_S2_DF16_EEviiiT16_PT17_ilS6_ilS4_S6_ilPT18_ili26rocblas_geam_ex_operation_.private_seg_size, 0
	.set _ZN12_GLOBAL__N_120geam_min_plus_kernelIDF16_Dv2_DF16_S1_Li8ELi32ELi64ELi128ELi4ELi4ELi64ELi4ELi64ELc84ELc78ELb0ELb0ELb0EPKDF16_S2_DF16_EEviiiT16_PT17_ilS6_ilS4_S6_ilPT18_ili26rocblas_geam_ex_operation_.uses_vcc, 1
	.set _ZN12_GLOBAL__N_120geam_min_plus_kernelIDF16_Dv2_DF16_S1_Li8ELi32ELi64ELi128ELi4ELi4ELi64ELi4ELi64ELc84ELc78ELb0ELb0ELb0EPKDF16_S2_DF16_EEviiiT16_PT17_ilS6_ilS4_S6_ilPT18_ili26rocblas_geam_ex_operation_.uses_flat_scratch, 0
	.set _ZN12_GLOBAL__N_120geam_min_plus_kernelIDF16_Dv2_DF16_S1_Li8ELi32ELi64ELi128ELi4ELi4ELi64ELi4ELi64ELc84ELc78ELb0ELb0ELb0EPKDF16_S2_DF16_EEviiiT16_PT17_ilS6_ilS4_S6_ilPT18_ili26rocblas_geam_ex_operation_.has_dyn_sized_stack, 0
	.set _ZN12_GLOBAL__N_120geam_min_plus_kernelIDF16_Dv2_DF16_S1_Li8ELi32ELi64ELi128ELi4ELi4ELi64ELi4ELi64ELc84ELc78ELb0ELb0ELb0EPKDF16_S2_DF16_EEviiiT16_PT17_ilS6_ilS4_S6_ilPT18_ili26rocblas_geam_ex_operation_.has_recursion, 0
	.set _ZN12_GLOBAL__N_120geam_min_plus_kernelIDF16_Dv2_DF16_S1_Li8ELi32ELi64ELi128ELi4ELi4ELi64ELi4ELi64ELc84ELc78ELb0ELb0ELb0EPKDF16_S2_DF16_EEviiiT16_PT17_ilS6_ilS4_S6_ilPT18_ili26rocblas_geam_ex_operation_.has_indirect_call, 0
	.section	.AMDGPU.csdata,"",@progbits
; Kernel info:
; codeLenInByte = 19768
; TotalNumSgprs: 32
; NumVgprs: 123
; NumAgprs: 0
; TotalNumVgprs: 123
; ScratchSize: 0
; MemoryBound: 0
; FloatMode: 240
; IeeeMode: 1
; LDSByteSize: 3072 bytes/workgroup (compile time only)
; SGPRBlocks: 3
; VGPRBlocks: 15
; NumSGPRsForWavesPerEU: 32
; NumVGPRsForWavesPerEU: 123
; AccumOffset: 124
; Occupancy: 4
; WaveLimiterHint : 0
; COMPUTE_PGM_RSRC2:SCRATCH_EN: 0
; COMPUTE_PGM_RSRC2:USER_SGPR: 2
; COMPUTE_PGM_RSRC2:TRAP_HANDLER: 0
; COMPUTE_PGM_RSRC2:TGID_X_EN: 1
; COMPUTE_PGM_RSRC2:TGID_Y_EN: 0
; COMPUTE_PGM_RSRC2:TGID_Z_EN: 1
; COMPUTE_PGM_RSRC2:TIDIG_COMP_CNT: 1
; COMPUTE_PGM_RSRC3_GFX90A:ACCUM_OFFSET: 30
; COMPUTE_PGM_RSRC3_GFX90A:TG_SPLIT: 0
	.section	.text._ZN12_GLOBAL__N_120geam_min_plus_kernelIDF16_Dv2_DF16_S1_Li8ELi32ELi64ELi128ELi4ELi4ELi64ELi4ELi64ELc84ELc78ELb1ELb0ELb0EDF16_KDF16_DF16_EEviiiT16_PT17_ilS5_ilS3_S5_ilPT18_ili26rocblas_geam_ex_operation_,"axG",@progbits,_ZN12_GLOBAL__N_120geam_min_plus_kernelIDF16_Dv2_DF16_S1_Li8ELi32ELi64ELi128ELi4ELi4ELi64ELi4ELi64ELc84ELc78ELb1ELb0ELb0EDF16_KDF16_DF16_EEviiiT16_PT17_ilS5_ilS3_S5_ilPT18_ili26rocblas_geam_ex_operation_,comdat
	.globl	_ZN12_GLOBAL__N_120geam_min_plus_kernelIDF16_Dv2_DF16_S1_Li8ELi32ELi64ELi128ELi4ELi4ELi64ELi4ELi64ELc84ELc78ELb1ELb0ELb0EDF16_KDF16_DF16_EEviiiT16_PT17_ilS5_ilS3_S5_ilPT18_ili26rocblas_geam_ex_operation_ ; -- Begin function _ZN12_GLOBAL__N_120geam_min_plus_kernelIDF16_Dv2_DF16_S1_Li8ELi32ELi64ELi128ELi4ELi4ELi64ELi4ELi64ELc84ELc78ELb1ELb0ELb0EDF16_KDF16_DF16_EEviiiT16_PT17_ilS5_ilS3_S5_ilPT18_ili26rocblas_geam_ex_operation_
	.p2align	8
	.type	_ZN12_GLOBAL__N_120geam_min_plus_kernelIDF16_Dv2_DF16_S1_Li8ELi32ELi64ELi128ELi4ELi4ELi64ELi4ELi64ELc84ELc78ELb1ELb0ELb0EDF16_KDF16_DF16_EEviiiT16_PT17_ilS5_ilS3_S5_ilPT18_ili26rocblas_geam_ex_operation_,@function
_ZN12_GLOBAL__N_120geam_min_plus_kernelIDF16_Dv2_DF16_S1_Li8ELi32ELi64ELi128ELi4ELi4ELi64ELi4ELi64ELc84ELc78ELb1ELb0ELb0EDF16_KDF16_DF16_EEviiiT16_PT17_ilS5_ilS3_S5_ilPT18_ili26rocblas_geam_ex_operation_: ; @_ZN12_GLOBAL__N_120geam_min_plus_kernelIDF16_Dv2_DF16_S1_Li8ELi32ELi64ELi128ELi4ELi4ELi64ELi4ELi64ELc84ELc78ELb1ELb0ELb0EDF16_KDF16_DF16_EEviiiT16_PT17_ilS5_ilS3_S5_ilPT18_ili26rocblas_geam_ex_operation_
; %bb.0:
	s_load_dwordx2 s[10:11], s[0:1], 0x8
	s_load_dwordx4 s[4:7], s[0:1], 0x20
	s_waitcnt lgkmcnt(0)
	v_cmp_eq_f16_e64 s[8:9], s11, 0
	s_and_b64 vcc, exec, s[8:9]
	s_cbranch_vccnz .LBB289_29
; %bb.1:
	s_load_dwordx2 s[12:13], s[0:1], 0x10
	s_mul_i32 s5, s5, s3
	s_mul_hi_u32 s11, s4, s3
	s_add_i32 s5, s11, s5
	s_mul_i32 s4, s4, s3
	s_lshl_b64 s[4:5], s[4:5], 1
	s_waitcnt lgkmcnt(0)
	s_add_u32 s14, s12, s4
	s_addc_u32 s15, s13, s5
	s_andn2_b64 vcc, exec, s[8:9]
	s_mov_b64 s[4:5], -1
	s_cbranch_vccnz .LBB289_3
.LBB289_2:
	s_mov_b64 s[4:5], 0
.LBB289_3:
	s_mov_b64 s[8:9], 0
	s_andn2_b64 vcc, exec, s[4:5]
	s_mov_b64 s[12:13], 0
	s_cbranch_vccnz .LBB289_5
; %bb.4:
	s_load_dwordx2 s[4:5], s[0:1], 0x38
	s_waitcnt lgkmcnt(0)
	s_mul_i32 s5, s5, s3
	s_mul_hi_u32 s11, s4, s3
	s_add_i32 s5, s11, s5
	s_mul_i32 s4, s4, s3
	s_lshl_b64 s[4:5], s[4:5], 1
	s_add_u32 s12, s6, s4
	s_addc_u32 s13, s7, s5
.LBB289_5:
	s_load_dword s11, s[0:1], 0x40
	s_load_dwordx4 s[4:7], s[0:1], 0x58
	s_waitcnt lgkmcnt(0)
	v_cmp_eq_f16_e64 s[16:17], s11, 0
	s_and_b64 vcc, exec, s[16:17]
	s_cbranch_vccnz .LBB289_7
; %bb.6:
	s_load_dwordx2 s[8:9], s[0:1], 0x48
	s_mul_i32 s5, s5, s3
	s_mul_hi_u32 s16, s4, s3
	s_add_i32 s5, s16, s5
	s_mul_i32 s4, s4, s3
	s_lshl_b64 s[4:5], s[4:5], 1
	s_waitcnt lgkmcnt(0)
	s_add_u32 s8, s8, s4
	s_addc_u32 s9, s9, s5
.LBB289_7:
	s_load_dword s4, s[0:1], 0x0
	s_load_dword s5, s[0:1], 0x18
	;; [unrolled: 1-line block ×3, first 2 shown]
	v_and_b32_e32 v32, 0x3ff, v0
	v_bfe_u32 v48, v0, 10, 10
	s_waitcnt lgkmcnt(0)
	s_add_i32 s4, s4, -1
	s_ashr_i32 s16, s4, 31
	s_lshr_b32 s16, s16, 26
	s_add_i32 s4, s4, s16
	s_ashr_i32 s4, s4, 6
	s_add_i32 s16, s4, 1
	v_cvt_f32_u32_e32 v1, s16
	v_lshlrev_b32_e32 v2, 1, v0
	s_not_b32 s4, s4
	v_lshlrev_b32_e32 v33, 3, v48
	v_rcp_iflag_f32_e32 v1, v1
	v_and_b32_e32 v26, 6, v2
	v_mov_b32_e32 v27, 0
	v_lshl_add_u64 v[2:3], s[12:13], 0, v[26:27]
	v_mul_f32_e32 v0, 0x4f7ffffe, v1
	v_cvt_u32_f32_e32 v0, v0
	v_add_u32_e32 v1, v33, v32
	v_lshrrev_b32_e32 v10, 2, v1
	v_lshl_or_b32 v36, v10, 3, v26
	v_readfirstlane_b32 s17, v0
	s_mul_i32 s4, s4, s17
	s_mul_hi_u32 s4, s17, s4
	s_add_i32 s17, s17, s4
	s_mul_hi_u32 s4, s2, s17
	s_mul_i32 s17, s4, s16
	s_sub_i32 s17, s2, s17
	s_add_i32 s19, s4, 1
	s_sub_i32 s20, s17, s16
	s_cmp_ge_u32 s17, s16
	s_cselect_b32 s4, s19, s4
	s_cselect_b32 s17, s20, s17
	s_add_i32 s19, s4, 1
	s_cmp_ge_u32 s17, s16
	s_cselect_b32 s4, s19, s4
	s_mul_i32 s17, s4, s16
	s_sub_i32 s2, s2, s17
	s_lshl_b32 s16, s4, 7
	s_lshl_b32 s17, s2, 6
	v_add_u32_e32 v0, s17, v10
	v_add_u32_e32 v6, s16, v10
	v_mad_i64_i32 v[0:1], s[4:5], v0, s5, 0
	v_mad_i64_i32 v[4:5], s[4:5], v6, s18, 0
	v_add_u32_e32 v6, 64, v6
	v_lshl_add_u64 v[24:25], v[0:1], 1, s[14:15]
	v_lshl_add_u64 v[8:9], v[4:5], 1, v[2:3]
	v_mad_i64_i32 v[6:7], s[4:5], v6, s18, 0
	v_lshl_add_u64 v[0:1], v[24:25], 0, v[26:27]
	v_lshl_add_u64 v[2:3], v[6:7], 1, v[2:3]
	global_load_ushort v11, v[8:9], off
	global_load_ushort v12, v[2:3], off
	;; [unrolled: 1-line block ×3, first 2 shown]
	global_load_ushort v26, v[2:3], off offset:8
	global_load_ushort v37, v[8:9], off offset:8
	;; [unrolled: 1-line block ×3, first 2 shown]
	v_lshlrev_b32_e32 v34, 3, v32
	v_add_u32_e32 v35, 0x800, v34
	s_cmp_lt_i32 s10, 9
	s_waitcnt vmcnt(5)
	ds_write_b16 v36, v11
	s_waitcnt vmcnt(4)
	ds_write_b16 v36, v12 offset:512
	s_waitcnt vmcnt(3)
	ds_write_b16 v36, v13 offset:2048
	s_waitcnt lgkmcnt(0)
	s_barrier
	ds_read2_b64 v[0:3], v35 offset0:48 offset1:56
	ds_read2_b64 v[8:11], v33 offset1:32
	ds_read2_b64 v[12:15], v33 offset0:64 offset1:96
	ds_read2_b64 v[16:19], v35 offset1:8
	ds_read2_b64 v[20:23], v35 offset0:16 offset1:24
	ds_read2_b64 v[28:31], v35 offset0:32 offset1:40
	s_waitcnt lgkmcnt(4)
	v_pk_max_f16 v8, v8, v8
	v_pk_max_f16 v2, v2, v2
	;; [unrolled: 1-line block ×3, first 2 shown]
	s_waitcnt lgkmcnt(3)
	v_pk_max_f16 v12, v12, v12
	s_waitcnt lgkmcnt(2)
	v_pk_max_f16 v16, v16, v16
	v_pk_max_f16 v14, v14, v14
	;; [unrolled: 1-line block ×3, first 2 shown]
	s_waitcnt lgkmcnt(1)
	v_pk_max_f16 v20, v20, v20
	v_pk_max_f16 v22, v22, v22
	s_waitcnt lgkmcnt(0)
	v_pk_max_f16 v28, v28, v28
	v_pk_max_f16 v30, v30, v30
	;; [unrolled: 1-line block ×11, first 2 shown]
	v_pk_min_f16 v21, v16, v8
	v_pk_min_f16 v23, v16, v10
	;; [unrolled: 1-line block ×5, first 2 shown]
	v_pk_max_f16 v11, v11, v11
	v_pk_min_f16 v43, v18, v8
	v_pk_min_f16 v44, v18, v10
	;; [unrolled: 1-line block ×27, first 2 shown]
	v_pk_add_f16 v12, v16, 0
	v_pk_min_f16 v14, v3, v9
	v_pk_max_f16 v29, v29, v29
	v_pk_add_f16 v45, v12, v14
	v_pk_add_f16 v12, v18, 0
	v_pk_min_f16 v14, v3, v11
	v_pk_max_f16 v31, v31, v31
	v_pk_add_f16 v22, v12, v14
	;; [unrolled: 4-line block ×3, first 2 shown]
	v_pk_add_f16 v12, v21, 0
	v_pk_min_f16 v14, v13, v9
	v_pk_add_f16 v8, v8, 0
	v_pk_add_f16 v54, v12, v14
	;; [unrolled: 1-line block ×3, first 2 shown]
	v_pk_min_f16 v14, v13, v11
	v_pk_add_f16 v10, v10, 0
	v_pk_add_f16 v46, v12, v14
	;; [unrolled: 1-line block ×3, first 2 shown]
	v_pk_min_f16 v14, v13, v39
	v_pk_min_f16 v13, v13, v40
	v_pk_add_f16 v18, v12, v14
	v_pk_add_f16 v12, v42, 0
	;; [unrolled: 1-line block ×5, first 2 shown]
	v_pk_min_f16 v13, v15, v9
	v_pk_add_f16 v0, v0, 0
	v_pk_add_f16 v56, v12, v13
	v_pk_add_f16 v12, v44, 0
	v_pk_min_f16 v13, v15, v11
	v_pk_add_f16 v30, v30, 0
	v_pk_add_f16 v49, v12, v13
	v_pk_add_f16 v12, v47, 0
	;; [unrolled: 4-line block ×3, first 2 shown]
	v_pk_min_f16 v13, v15, v40
	v_pk_min_f16 v15, v17, v9
	v_pk_add_f16 v12, v12, v13
	v_pk_add_f16 v13, v51, 0
	;; [unrolled: 1-line block ×5, first 2 shown]
	v_pk_min_f16 v15, v17, v11
	s_waitcnt vmcnt(0)
	ds_write_b16 v36, v38 offset:2560
	ds_write_b16 v36, v37 offset:1024
	;; [unrolled: 1-line block ×3, first 2 shown]
	v_pk_add_f16 v51, v13, v15
	v_pk_add_f16 v13, v53, 0
	v_pk_min_f16 v15, v17, v39
	s_waitcnt lgkmcnt(0)
	v_pk_add_f16 v21, v13, v15
	v_pk_add_f16 v13, v55, 0
	v_pk_min_f16 v15, v17, v40
	v_pk_min_f16 v17, v19, v9
	v_pk_add_f16 v13, v13, v15
	v_pk_add_f16 v15, v58, 0
	s_barrier
	v_pk_add_f16 v58, v15, v17
	v_pk_add_f16 v15, v59, 0
	v_pk_min_f16 v17, v19, v11
	s_nop 0
	v_pk_add_f16 v52, v15, v17
	v_pk_add_f16 v15, v60, 0
	v_pk_min_f16 v17, v19, v39
	s_nop 0
	v_pk_add_f16 v23, v15, v17
	v_pk_add_f16 v15, v61, 0
	v_pk_min_f16 v17, v19, v40
	v_pk_min_f16 v19, v29, v9
	v_pk_add_f16 v15, v15, v17
	v_pk_add_f16 v17, v62, 0
	s_nop 0
	v_pk_add_f16 v59, v17, v19
	v_pk_add_f16 v17, v63, 0
	v_pk_min_f16 v19, v29, v11
	s_nop 0
	v_pk_add_f16 v53, v17, v19
	v_pk_add_f16 v17, v64, 0
	v_pk_min_f16 v19, v29, v39
	v_pk_min_f16 v29, v29, v40
	v_pk_add_f16 v47, v17, v19
	v_pk_add_f16 v17, v28, 0
	v_pk_add_f16 v19, v65, 0
	v_pk_add_f16 v17, v17, v29
	v_pk_min_f16 v29, v31, v9
	v_pk_min_f16 v9, v1, v9
	v_pk_add_f16 v28, v66, 0
	v_pk_add_f16 v60, v19, v29
	v_pk_min_f16 v19, v31, v11
	v_pk_add_f16 v65, v8, v9
	v_pk_min_f16 v8, v1, v11
	v_pk_add_f16 v55, v28, v19
	v_pk_min_f16 v19, v31, v39
	v_pk_add_f16 v64, v10, v8
	v_pk_min_f16 v8, v1, v39
	v_pk_min_f16 v1, v1, v40
	v_pk_add_f16 v50, v41, v19
	v_pk_min_f16 v19, v31, v40
	v_pk_add_f16 v62, v0, v1
	v_pk_min_f16 v0, v3, v40
	v_pk_add_f16 v19, v30, v19
	v_pk_add_f16 v63, v42, v8
	v_pk_add_f16 v61, v2, v0
	s_cbranch_scc1 .LBB289_10
; %bb.8:
	v_mov_b32_e32 v0, 0xa00
	v_lshl_add_u32 v40, v32, 3, v0
	v_mov_b32_e32 v0, 0x400
	v_lshl_add_u32 v41, v48, 3, v0
	v_and_b32_e32 v0, 3, v32
	v_add_u32_e32 v37, 0x800, v36
	v_add_u32_e32 v38, 0xa00, v36
	;; [unrolled: 1-line block ×3, first 2 shown]
	s_add_i32 s2, s10, -8
	v_lshlrev_b32_e32 v26, 1, v0
	v_lshl_add_u64 v[28:29], v[4:5], 1, s[12:13]
	v_lshl_add_u64 v[30:31], v[6:7], 1, s[12:13]
	s_mov_b32 s4, 0
.LBB289_9:                              ; =>This Inner Loop Header: Depth=1
	v_lshl_add_u64 v[82:83], v[24:25], 0, v[26:27]
	v_lshl_add_u64 v[80:81], v[28:29], 0, v[26:27]
	global_load_ushort v44, v[82:83], off offset:16
	v_lshl_add_u64 v[78:79], v[30:31], 0, v[26:27]
	global_load_ushort v43, v[80:81], off offset:16
	global_load_ushort v42, v[78:79], off offset:16
	ds_read2_b64 v[8:11], v40 offset0:48 offset1:56
	ds_read2_b64 v[0:3], v41 offset0:64 offset1:96
	ds_read2_b64 v[4:7], v41 offset1:32
	ds_read2_b64 v[66:69], v40 offset1:8
	ds_read2_b64 v[70:73], v40 offset0:16 offset1:24
	ds_read2_b64 v[74:77], v40 offset0:32 offset1:40
	s_waitcnt lgkmcnt(4)
	v_pk_max_f16 v0, v0, v0
	s_waitcnt lgkmcnt(3)
	v_pk_max_f16 v4, v4, v4
	v_pk_max_f16 v5, v5, v5
	s_waitcnt lgkmcnt(2)
	v_pk_max_f16 v69, v69, v69
	s_waitcnt lgkmcnt(1)
	v_pk_max_f16 v70, v70, v70
	v_pk_max_f16 v71, v71, v71
	;; [unrolled: 1-line block ×4, first 2 shown]
	s_waitcnt lgkmcnt(0)
	v_pk_max_f16 v74, v74, v74
	v_pk_max_f16 v75, v75, v75
	v_pk_max_f16 v76, v76, v76
	v_pk_max_f16 v1, v1, v1
	s_add_i32 s4, s4, 8
	v_lshl_add_u64 v[28:29], v[28:29], 0, 16
	v_lshl_add_u64 v[30:31], v[30:31], 0, 16
	v_lshl_add_u64 v[24:25], v[24:25], 0, 16
	s_cmp_ge_i32 s4, s2
	s_waitcnt vmcnt(2)
	ds_write_b16 v37, v44
	s_waitcnt vmcnt(1)
	ds_write_b16 v36, v43
	s_waitcnt vmcnt(0)
	ds_write_b16 v36, v42 offset:512
	s_waitcnt lgkmcnt(0)
	s_barrier
	global_load_ushort v42, v[78:79], off offset:24
	global_load_ushort v43, v[80:81], off offset:24
	;; [unrolled: 1-line block ×3, first 2 shown]
	v_pk_max_f16 v78, v66, v66
	v_pk_max_f16 v79, v67, v67
	v_pk_min_f16 v66, v78, v4
	v_pk_max_f16 v80, v68, v68
	v_pk_add_f16 v54, v54, v66
	v_pk_min_f16 v66, v79, v5
	v_pk_max_f16 v81, v10, v10
	v_pk_add_f16 v67, v54, v66
	;; [unrolled: 3-line block ×3, first 2 shown]
	v_pk_min_f16 v56, v69, v5
	s_nop 0
	v_pk_add_f16 v68, v54, v56
	v_pk_min_f16 v54, v70, v4
	v_pk_min_f16 v56, v71, v5
	v_pk_add_f16 v54, v57, v54
	s_nop 0
	v_pk_add_f16 v66, v54, v56
	v_pk_min_f16 v54, v72, v4
	v_pk_min_f16 v56, v73, v5
	v_pk_add_f16 v54, v58, v54
	s_nop 0
	v_pk_add_f16 v58, v54, v56
	v_pk_min_f16 v54, v74, v4
	v_pk_min_f16 v56, v75, v5
	v_pk_add_f16 v54, v59, v54
	s_nop 0
	v_pk_add_f16 v54, v54, v56
	v_pk_min_f16 v56, v76, v4
	s_nop 0
	v_pk_add_f16 v56, v60, v56
	v_pk_max_f16 v60, v77, v77
	v_pk_max_f16 v77, v8, v8
	v_pk_min_f16 v57, v60, v5
	v_pk_min_f16 v8, v77, v4
	;; [unrolled: 1-line block ×3, first 2 shown]
	v_pk_add_f16 v8, v65, v8
	v_pk_max_f16 v65, v9, v9
	v_pk_add_f16 v4, v45, v4
	v_pk_min_f16 v9, v65, v5
	v_pk_min_f16 v5, v82, v5
	v_pk_add_f16 v56, v56, v57
	v_pk_add_f16 v59, v4, v5
	v_pk_max_f16 v4, v6, v6
	v_pk_max_f16 v6, v7, v7
	v_pk_min_f16 v5, v78, v4
	v_pk_min_f16 v7, v79, v6
	v_pk_add_f16 v5, v46, v5
	v_pk_add_f16 v57, v8, v9
	;; [unrolled: 1-line block ×3, first 2 shown]
	v_pk_min_f16 v5, v80, v4
	v_pk_min_f16 v7, v69, v6
	v_pk_add_f16 v5, v49, v5
	s_nop 0
	v_pk_add_f16 v10, v5, v7
	v_pk_min_f16 v5, v70, v4
	v_pk_min_f16 v7, v71, v6
	v_pk_add_f16 v5, v51, v5
	s_nop 0
	v_pk_add_f16 v9, v5, v7
	;; [unrolled: 5-line block ×5, first 2 shown]
	v_pk_min_f16 v5, v77, v4
	v_pk_min_f16 v7, v65, v6
	v_pk_add_f16 v5, v64, v5
	v_pk_min_f16 v4, v81, v4
	v_pk_add_f16 v45, v5, v7
	v_pk_add_f16 v4, v22, v4
	v_pk_min_f16 v5, v82, v6
	s_nop 0
	v_pk_add_f16 v51, v4, v5
	v_pk_min_f16 v4, v78, v0
	v_pk_min_f16 v5, v79, v1
	v_pk_add_f16 v4, v18, v4
	s_nop 0
	v_pk_add_f16 v53, v4, v5
	v_pk_min_f16 v4, v80, v0
	v_pk_min_f16 v5, v69, v1
	v_pk_add_f16 v4, v20, v4
	;; [unrolled: 5-line block ×6, first 2 shown]
	s_nop 0
	v_pk_add_f16 v50, v4, v5
	v_pk_min_f16 v4, v77, v0
	v_pk_min_f16 v0, v81, v0
	;; [unrolled: 1-line block ×3, first 2 shown]
	v_pk_add_f16 v0, v16, v0
	v_pk_min_f16 v1, v82, v1
	v_pk_add_f16 v4, v63, v4
	v_pk_add_f16 v16, v0, v1
	v_pk_max_f16 v0, v2, v2
	v_pk_max_f16 v2, v3, v3
	v_pk_min_f16 v1, v78, v0
	v_pk_min_f16 v3, v79, v2
	v_pk_add_f16 v1, v14, v1
	v_pk_add_f16 v47, v4, v5
	;; [unrolled: 1-line block ×3, first 2 shown]
	v_pk_min_f16 v1, v80, v0
	v_pk_min_f16 v3, v69, v2
	v_pk_add_f16 v1, v12, v1
	s_nop 0
	v_pk_add_f16 v12, v1, v3
	v_pk_min_f16 v1, v70, v0
	v_pk_min_f16 v3, v71, v2
	v_pk_add_f16 v1, v13, v1
	s_nop 0
	v_pk_add_f16 v63, v1, v3
	;; [unrolled: 5-line block ×5, first 2 shown]
	v_pk_min_f16 v1, v77, v0
	v_pk_min_f16 v3, v65, v2
	v_pk_add_f16 v1, v62, v1
	v_pk_min_f16 v0, v81, v0
	v_pk_add_f16 v62, v1, v3
	v_pk_add_f16 v0, v61, v0
	v_pk_min_f16 v1, v82, v2
	s_nop 0
	v_pk_add_f16 v61, v0, v1
	ds_read2_b64 v[0:3], v35 offset0:48 offset1:56
	ds_read2_b64 v[4:7], v33 offset0:64 offset1:96
	ds_read2_b64 v[20:23], v33 offset1:32
	s_waitcnt lgkmcnt(2)
	v_pk_max_f16 v65, v2, v2
	s_waitcnt lgkmcnt(1)
	v_pk_max_f16 v4, v4, v4
	;; [unrolled: 2-line block ×3, first 2 shown]
	v_pk_max_f16 v0, v0, v0
	v_pk_min_f16 v2, v65, v20
	v_pk_max_f16 v3, v3, v3
	v_pk_add_f16 v59, v59, v2
	v_pk_max_f16 v2, v22, v22
	v_pk_max_f16 v5, v5, v5
	v_pk_min_f16 v13, v65, v2
	v_pk_max_f16 v7, v7, v7
	v_pk_add_f16 v22, v51, v13
	v_pk_min_f16 v13, v65, v4
	v_pk_max_f16 v1, v1, v1
	v_pk_add_f16 v51, v16, v13
	ds_read2_b64 v[16:19], v35 offset1:8
	s_waitcnt lgkmcnt(0)
	v_pk_max_f16 v13, v16, v16
	s_nop 0
	v_pk_min_f16 v15, v13, v20
	v_pk_max_f16 v16, v6, v6
	v_pk_add_f16 v67, v67, v15
	v_pk_min_f16 v15, v13, v2
	v_pk_min_f16 v6, v13, v16
	v_pk_add_f16 v71, v11, v15
	v_pk_min_f16 v11, v13, v4
	v_pk_add_f16 v72, v14, v6
	v_pk_max_f16 v6, v18, v18
	v_pk_add_f16 v53, v53, v11
	v_pk_min_f16 v11, v6, v20
	s_nop 0
	v_pk_add_f16 v68, v68, v11
	v_pk_min_f16 v11, v6, v2
	s_nop 0
	v_pk_add_f16 v73, v10, v11
	v_pk_min_f16 v10, v6, v4
	v_pk_min_f16 v6, v6, v16
	v_pk_add_f16 v55, v55, v10
	v_pk_add_f16 v74, v12, v6
	ds_read2_b64 v[12:15], v35 offset0:16 offset1:24
	s_waitcnt lgkmcnt(0)
	v_pk_max_f16 v6, v12, v12
	s_nop 0
	v_pk_min_f16 v10, v6, v20
	v_pk_max_f16 v13, v13, v13
	v_pk_add_f16 v66, v66, v10
	v_pk_min_f16 v10, v6, v2
	v_pk_max_f16 v15, v15, v15
	v_pk_add_f16 v75, v9, v10
	v_pk_min_f16 v9, v6, v4
	v_pk_min_f16 v6, v6, v16
	v_pk_add_f16 v64, v64, v9
	v_pk_add_f16 v63, v63, v6
	v_pk_max_f16 v6, v14, v14
	s_nop 0
	v_pk_min_f16 v9, v6, v20
	s_nop 0
	v_pk_add_f16 v58, v58, v9
	v_pk_min_f16 v9, v6, v2
	s_nop 0
	v_pk_add_f16 v76, v8, v9
	v_pk_min_f16 v8, v6, v4
	v_pk_min_f16 v6, v6, v16
	v_pk_add_f16 v77, v83, v8
	ds_read2_b64 v[8:11], v35 offset0:32 offset1:40
	v_pk_add_f16 v69, v69, v6
	s_waitcnt vmcnt(0)
	ds_write_b16 v38, v44
	ds_write_b16 v39, v43
	ds_write_b16 v39, v42 offset:512
	s_waitcnt lgkmcnt(0)
	s_barrier
	v_pk_max_f16 v6, v8, v8
	v_pk_max_f16 v9, v9, v9
	v_pk_min_f16 v8, v6, v20
	s_nop 0
	v_pk_add_f16 v78, v54, v8
	v_pk_min_f16 v8, v6, v2
	s_nop 0
	v_pk_add_f16 v79, v49, v8
	v_pk_min_f16 v8, v6, v4
	v_pk_min_f16 v6, v6, v16
	v_pk_add_f16 v80, v52, v8
	v_pk_add_f16 v70, v70, v6
	v_pk_max_f16 v6, v10, v10
	v_pk_max_f16 v10, v21, v21
	v_pk_min_f16 v8, v6, v20
	v_pk_min_f16 v12, v3, v10
	v_pk_add_f16 v81, v56, v8
	v_pk_min_f16 v8, v6, v2
	v_pk_min_f16 v2, v0, v2
	v_pk_add_f16 v82, v46, v8
	;; [unrolled: 3-line block ×3, first 2 shown]
	v_pk_add_f16 v83, v60, v6
	v_pk_min_f16 v6, v0, v20
	s_nop 0
	v_pk_add_f16 v8, v57, v6
	v_pk_add_f16 v6, v45, v2
	v_pk_min_f16 v2, v0, v4
	v_pk_min_f16 v0, v0, v16
	v_pk_add_f16 v4, v47, v2
	v_pk_add_f16 v2, v62, v0
	v_pk_min_f16 v0, v65, v16
	v_pk_add_f16 v45, v59, v12
	v_pk_add_f16 v0, v61, v0
	v_pk_max_f16 v61, v23, v23
	s_nop 0
	v_pk_min_f16 v12, v3, v61
	s_nop 0
	v_pk_add_f16 v22, v22, v12
	v_pk_min_f16 v12, v3, v5
	s_nop 0
	v_pk_add_f16 v16, v51, v12
	v_pk_max_f16 v12, v17, v17
	s_nop 0
	v_pk_min_f16 v14, v12, v10
	s_nop 0
	v_pk_add_f16 v54, v67, v14
	v_pk_min_f16 v14, v12, v61
	s_nop 0
	v_pk_add_f16 v46, v71, v14
	v_pk_min_f16 v14, v12, v5
	v_pk_min_f16 v12, v12, v7
	v_pk_add_f16 v18, v53, v14
	v_pk_add_f16 v14, v72, v12
	v_pk_max_f16 v12, v19, v19
	s_nop 0
	v_pk_min_f16 v17, v12, v10
	s_nop 0
	v_pk_add_f16 v56, v68, v17
	v_pk_min_f16 v17, v12, v61
	s_nop 0
	v_pk_add_f16 v49, v73, v17
	v_pk_min_f16 v17, v12, v5
	v_pk_min_f16 v12, v12, v7
	v_pk_add_f16 v20, v55, v17
	v_pk_min_f16 v17, v13, v10
	v_pk_add_f16 v12, v74, v12
	v_pk_add_f16 v57, v66, v17
	v_pk_min_f16 v17, v13, v61
	s_nop 0
	v_pk_add_f16 v51, v75, v17
	v_pk_min_f16 v17, v13, v5
	v_pk_min_f16 v13, v13, v7
	v_pk_add_f16 v21, v64, v17
	v_pk_min_f16 v17, v15, v10
	v_pk_add_f16 v13, v63, v13
	;; [unrolled: 9-line block ×3, first 2 shown]
	v_pk_add_f16 v59, v78, v17
	v_pk_min_f16 v17, v9, v61
	s_nop 0
	v_pk_add_f16 v53, v79, v17
	v_pk_min_f16 v17, v9, v5
	v_pk_min_f16 v9, v9, v7
	v_pk_add_f16 v47, v80, v17
	v_pk_add_f16 v17, v70, v9
	v_pk_max_f16 v9, v11, v11
	s_nop 0
	v_pk_min_f16 v11, v9, v10
	s_nop 0
	v_pk_add_f16 v60, v81, v11
	v_pk_min_f16 v11, v9, v61
	s_nop 0
	v_pk_add_f16 v55, v82, v11
	v_pk_min_f16 v11, v9, v5
	v_pk_min_f16 v9, v9, v7
	;; [unrolled: 1-line block ×3, first 2 shown]
	v_pk_add_f16 v19, v83, v9
	v_pk_min_f16 v9, v1, v10
	v_pk_add_f16 v50, v50, v11
	v_pk_add_f16 v65, v8, v9
	v_pk_min_f16 v8, v1, v61
	v_pk_min_f16 v1, v1, v7
	v_pk_add_f16 v64, v6, v8
	v_pk_add_f16 v62, v2, v1
	v_pk_min_f16 v1, v3, v7
	v_pk_add_f16 v63, v4, v5
	v_pk_add_f16 v61, v0, v1
	s_cbranch_scc0 .LBB289_9
.LBB289_10:
	s_load_dwordx2 s[14:15], s[0:1], 0x70
	s_load_dword s10, s[0:1], 0x50
	s_load_dword s12, s[0:1], 0x68
	v_add_u32_e32 v34, 0x800, v34
	ds_read2_b64 v[0:3], v33 offset0:128 offset1:160
	ds_read2_b64 v[4:7], v34 offset0:112 offset1:120
	;; [unrolled: 1-line block ×3, first 2 shown]
	s_waitcnt lgkmcnt(0)
	s_mul_i32 s1, s15, s3
	s_mul_hi_u32 s2, s14, s3
	v_pk_max_f16 v0, v0, v0
	v_pk_max_f16 v6, v6, v6
	v_pk_max_f16 v2, v2, v2
	v_pk_min_f16 v24, v6, v0
	v_pk_min_f16 v28, v6, v2
	v_pk_add_f16 v66, v45, v24
	ds_read2_b64 v[24:27], v34 offset0:64 offset1:72
	v_pk_max_f16 v8, v8, v8
	v_pk_add_f16 v22, v22, v28
	v_pk_min_f16 v28, v6, v8
	v_pk_max_f16 v10, v10, v10
	s_waitcnt lgkmcnt(0)
	v_pk_max_f16 v24, v24, v24
	v_pk_add_f16 v16, v16, v28
	v_pk_min_f16 v28, v24, v0
	v_pk_max_f16 v4, v4, v4
	v_pk_add_f16 v54, v54, v28
	v_pk_min_f16 v28, v24, v2
	;; [unrolled: 3-line block ×3, first 2 shown]
	v_pk_min_f16 v24, v24, v10
	v_pk_add_f16 v18, v18, v28
	v_pk_add_f16 v14, v14, v24
	v_pk_max_f16 v24, v26, v26
	s_mul_i32 s0, s14, s3
	v_pk_min_f16 v28, v24, v2
	v_pk_min_f16 v26, v24, v0
	v_pk_add_f16 v49, v49, v28
	ds_read2_b64 v[28:31], v34 offset0:80 offset1:88
	v_pk_min_f16 v33, v24, v8
	v_pk_min_f16 v24, v24, v10
	v_pk_add_f16 v20, v20, v33
	v_pk_add_f16 v12, v12, v24
	s_waitcnt lgkmcnt(0)
	v_pk_max_f16 v24, v28, v28
	ds_read2_b64 v[34:37], v34 offset0:96 offset1:104
	v_pk_min_f16 v33, v24, v2
	v_pk_min_f16 v28, v24, v0
	v_pk_add_f16 v51, v51, v33
	v_pk_min_f16 v33, v24, v8
	v_pk_min_f16 v24, v24, v10
	v_pk_add_f16 v21, v21, v33
	v_pk_add_f16 v24, v13, v24
	v_pk_max_f16 v13, v30, v30
	v_pk_add_f16 v26, v56, v26
	v_pk_min_f16 v33, v13, v2
	v_pk_min_f16 v30, v13, v0
	v_pk_add_f16 v56, v52, v33
	v_pk_min_f16 v33, v13, v8
	v_pk_min_f16 v13, v13, v10
	v_pk_add_f16 v28, v57, v28
	v_pk_add_f16 v57, v15, v13
	s_waitcnt lgkmcnt(0)
	v_pk_max_f16 v13, v34, v34
	v_pk_add_f16 v30, v58, v30
	v_pk_min_f16 v15, v13, v0
	s_add_i32 s1, s2, s1
	v_pk_add_f16 v58, v59, v15
	v_pk_min_f16 v15, v13, v2
	s_lshl_b64 s[0:1], s[0:1], 1
	v_pk_add_f16 v53, v53, v15
	v_pk_min_f16 v15, v13, v8
	v_pk_min_f16 v13, v13, v10
	v_pk_add_f16 v59, v47, v15
	v_pk_add_f16 v68, v17, v13
	v_pk_max_f16 v13, v36, v36
	v_pk_max_f16 v5, v5, v5
	v_pk_min_f16 v15, v13, v0
	v_pk_min_f16 v0, v4, v0
	v_pk_add_f16 v60, v60, v15
	v_pk_add_f16 v65, v65, v0
	v_pk_min_f16 v0, v4, v2
	v_pk_min_f16 v15, v13, v2
	v_pk_add_f16 v64, v64, v0
	v_pk_min_f16 v0, v4, v8
	v_pk_add_f16 v55, v55, v15
	v_pk_add_f16 v63, v63, v0
	v_pk_min_f16 v0, v4, v10
	v_pk_min_f16 v15, v13, v8
	v_pk_add_f16 v62, v62, v0
	v_pk_min_f16 v0, v6, v10
	v_pk_min_f16 v13, v13, v10
	v_pk_add_f16 v61, v61, v0
	v_pk_max_f16 v0, v1, v1
	v_pk_max_f16 v1, v7, v7
	;; [unrolled: 1-line block ×5, first 2 shown]
	v_pk_add_f16 v69, v19, v13
	v_pk_min_f16 v10, v7, v0
	v_pk_min_f16 v13, v7, v3
	;; [unrolled: 1-line block ×4, first 2 shown]
	v_pk_max_f16 v7, v27, v27
	v_add_u32_e32 v32, s17, v32
	v_pk_min_f16 v19, v7, v0
	v_pk_min_f16 v25, v7, v3
	;; [unrolled: 1-line block ×4, first 2 shown]
	v_pk_max_f16 v7, v29, v29
	s_add_u32 s2, s6, s0
	v_pk_min_f16 v29, v7, v0
	v_pk_min_f16 v71, v7, v3
	;; [unrolled: 1-line block ×4, first 2 shown]
	v_pk_max_f16 v7, v31, v31
	v_pk_add_f16 v23, v23, v33
	v_pk_min_f16 v31, v7, v0
	v_pk_min_f16 v74, v7, v3
	;; [unrolled: 1-line block ×4, first 2 shown]
	v_pk_max_f16 v7, v35, v35
	v_pk_add_f16 v50, v50, v15
	v_pk_min_f16 v77, v7, v0
	v_pk_min_f16 v78, v7, v3
	;; [unrolled: 1-line block ×4, first 2 shown]
	v_pk_max_f16 v7, v37, v37
	v_pk_min_f16 v2, v1, v0
	v_pk_min_f16 v4, v1, v3
	;; [unrolled: 1-line block ×12, first 2 shown]
	v_add_u32_e32 v34, 8, v32
	v_add_u32_e32 v36, 16, v32
	;; [unrolled: 1-line block ×7, first 2 shown]
	v_cmp_neq_f16_e64 s[4:5], s11, 0
	s_addc_u32 s3, s7, s1
	v_ashrrev_i32_e32 v33, 31, v32
	v_ashrrev_i32_e32 v35, 31, v34
	;; [unrolled: 1-line block ×8, first 2 shown]
	v_add_u32_e32 v52, s16, v48
	s_mov_b64 s[6:7], 15
	v_pk_add_f16 v7, v66, v2
	v_pk_add_f16 v15, v22, v4
	;; [unrolled: 1-line block ×32, first 2 shown]
	s_branch .LBB289_12
.LBB289_11:                             ;   in Loop: Header=BB289_12 Depth=1
	s_add_i32 s0, s6, -1
	s_cmp_eq_u32 s0, 1
	s_cselect_b64 vcc, -1, 0
	s_cmp_eq_u32 s0, 2
	v_cndmask_b32_e32 v48, v0, v53, vcc
	s_cselect_b64 vcc, -1, 0
	s_cmp_eq_u32 s0, 3
	v_cndmask_b32_e32 v48, v48, v1, vcc
	;; [unrolled: 3-line block ×62, first 2 shown]
	s_cselect_b64 vcc, -1, 0
	s_cmp_eq_u32 s6, 1
	s_cselect_b64 s[0:1], -1, 0
	s_cmp_eq_u32 s6, 2
	v_cndmask_b32_e64 v49, v0, v53, s[0:1]
	s_cselect_b64 s[0:1], -1, 0
	s_cmp_eq_u32 s6, 3
	v_cndmask_b32_e64 v49, v49, v1, s[0:1]
	;; [unrolled: 3-line block ×61, first 2 shown]
	v_cndmask_b32_e32 v48, v48, v84, vcc
	s_cselect_b64 vcc, -1, 0
	s_cmp_eq_u32 s6, 63
	v_cndmask_b32_e32 v49, v49, v31, vcc
	s_cselect_b64 vcc, -1, 0
	v_cndmask_b32_e32 v49, v49, v84, vcc
	s_add_u32 s6, s6, 16
	v_add_f16_e32 v48, v48, v49
	s_addc_u32 s7, s7, 0
	v_add_f16_e32 v53, v48, v85
	v_lshl_add_u64 v[48:49], v[46:47], 1, v[50:51]
	s_cmpk_lg_i32 s6, 0x4f
	v_add_u32_e32 v52, 32, v52
	global_store_short v[48:49], v53, off
	s_cbranch_scc0 .LBB289_28
.LBB289_12:                             ; =>This Inner Loop Header: Depth=1
	v_mad_i64_i32 v[48:49], s[0:1], v52, s10, 0
	v_cndmask_b32_e64 v50, 0, 1, s[4:5]
	v_lshl_add_u64 v[48:49], v[48:49], 1, s[8:9]
	v_mov_b32_e32 v85, 0
	v_cmp_ne_u32_e64 s[0:1], 1, v50
	s_andn2_b64 vcc, exec, s[4:5]
	v_mov_b32_e32 v50, 0
	s_cbranch_vccnz .LBB289_14
; %bb.13:                               ;   in Loop: Header=BB289_12 Depth=1
	v_lshl_add_u64 v[50:51], v[32:33], 1, v[48:49]
	global_load_ushort v50, v[50:51], off
	s_waitcnt vmcnt(0)
	v_mul_f16_e32 v50, s11, v50
.LBB289_14:                             ;   in Loop: Header=BB289_12 Depth=1
	s_add_i32 s13, s6, -15
	s_cmp_eq_u32 s13, 1
	v_lshrrev_b32_e32 v53, 16, v0
	s_cselect_b64 vcc, -1, 0
	s_cmp_eq_u32 s13, 2
	v_cndmask_b32_e32 v51, v0, v53, vcc
	s_cselect_b64 vcc, -1, 0
	s_cmp_eq_u32 s13, 3
	v_cndmask_b32_e32 v51, v51, v1, vcc
	v_lshrrev_b32_e32 v54, 16, v1
	s_cselect_b64 vcc, -1, 0
	s_cmp_eq_u32 s13, 4
	v_cndmask_b32_e32 v51, v51, v54, vcc
	s_cselect_b64 vcc, -1, 0
	s_cmp_eq_u32 s13, 5
	v_cndmask_b32_e32 v51, v51, v4, vcc
	;; [unrolled: 7-line block ×31, first 2 shown]
	s_cselect_b64 vcc, -1, 0
	s_add_i32 s13, s6, -14
	v_lshrrev_b32_e32 v84, 16, v31
	s_cmp_eq_u32 s13, 1
	v_cndmask_b32_e32 v51, v51, v84, vcc
	s_cselect_b64 vcc, -1, 0
	s_cmp_eq_u32 s13, 2
	v_cndmask_b32_e32 v86, v0, v53, vcc
	s_cselect_b64 vcc, -1, 0
	;; [unrolled: 3-line block ×63, first 2 shown]
	v_cndmask_b32_e32 v86, v86, v84, vcc
	v_add_f16_e32 v51, v51, v86
	v_add_f16_e32 v88, v51, v50
	v_mad_i64_i32 v[50:51], s[14:15], v52, s12, 0
	v_lshl_add_u64 v[50:51], v[50:51], 1, s[2:3]
	v_lshl_add_u64 v[86:87], v[32:33], 1, v[50:51]
	s_and_b64 vcc, exec, s[0:1]
	global_store_short v[86:87], v88, off
	s_cbranch_vccnz .LBB289_16
; %bb.15:                               ;   in Loop: Header=BB289_12 Depth=1
	v_lshl_add_u64 v[86:87], v[34:35], 1, v[48:49]
	global_load_ushort v85, v[86:87], off
	s_waitcnt vmcnt(0)
	v_mul_f16_e32 v85, s11, v85
.LBB289_16:                             ;   in Loop: Header=BB289_12 Depth=1
	s_add_i32 s13, s6, -13
	s_cmp_eq_u32 s13, 1
	s_cselect_b64 vcc, -1, 0
	s_cmp_eq_u32 s13, 2
	v_cndmask_b32_e32 v86, v0, v53, vcc
	s_cselect_b64 vcc, -1, 0
	s_cmp_eq_u32 s13, 3
	v_cndmask_b32_e32 v86, v86, v1, vcc
	;; [unrolled: 3-line block ×62, first 2 shown]
	s_cselect_b64 vcc, -1, 0
	s_add_i32 s13, s6, -12
	s_cmp_eq_u32 s13, 1
	v_cndmask_b32_e32 v86, v86, v84, vcc
	s_cselect_b64 vcc, -1, 0
	s_cmp_eq_u32 s13, 2
	v_cndmask_b32_e32 v87, v0, v53, vcc
	s_cselect_b64 vcc, -1, 0
	;; [unrolled: 3-line block ×63, first 2 shown]
	v_cndmask_b32_e32 v87, v87, v84, vcc
	v_add_f16_e32 v86, v86, v87
	v_add_f16_e32 v85, v86, v85
	v_lshl_add_u64 v[86:87], v[34:35], 1, v[50:51]
	global_store_short v[86:87], v85, off
	s_and_b64 vcc, exec, s[0:1]
	v_mov_b32_e32 v85, 0
	v_mov_b32_e32 v86, 0
	s_cbranch_vccnz .LBB289_18
; %bb.17:                               ;   in Loop: Header=BB289_12 Depth=1
	v_lshl_add_u64 v[86:87], v[36:37], 1, v[48:49]
	global_load_ushort v86, v[86:87], off
	s_waitcnt vmcnt(0)
	v_mul_f16_e32 v86, s11, v86
.LBB289_18:                             ;   in Loop: Header=BB289_12 Depth=1
	s_add_i32 s13, s6, -11
	s_cmp_eq_u32 s13, 1
	s_cselect_b64 vcc, -1, 0
	s_cmp_eq_u32 s13, 2
	v_cndmask_b32_e32 v87, v0, v53, vcc
	s_cselect_b64 vcc, -1, 0
	s_cmp_eq_u32 s13, 3
	v_cndmask_b32_e32 v87, v87, v1, vcc
	;; [unrolled: 3-line block ×62, first 2 shown]
	s_cselect_b64 vcc, -1, 0
	s_add_i32 s13, s6, -10
	s_cmp_eq_u32 s13, 1
	v_cndmask_b32_e32 v87, v87, v84, vcc
	s_cselect_b64 vcc, -1, 0
	s_cmp_eq_u32 s13, 2
	v_cndmask_b32_e32 v88, v0, v53, vcc
	s_cselect_b64 vcc, -1, 0
	;; [unrolled: 3-line block ×63, first 2 shown]
	v_cndmask_b32_e32 v88, v88, v84, vcc
	v_add_f16_e32 v87, v87, v88
	v_add_f16_e32 v88, v87, v86
	v_lshl_add_u64 v[86:87], v[36:37], 1, v[50:51]
	s_and_b64 vcc, exec, s[0:1]
	global_store_short v[86:87], v88, off
	s_cbranch_vccnz .LBB289_20
; %bb.19:                               ;   in Loop: Header=BB289_12 Depth=1
	v_lshl_add_u64 v[86:87], v[38:39], 1, v[48:49]
	global_load_ushort v85, v[86:87], off
	s_waitcnt vmcnt(0)
	v_mul_f16_e32 v85, s11, v85
.LBB289_20:                             ;   in Loop: Header=BB289_12 Depth=1
	s_add_i32 s13, s6, -9
	s_cmp_eq_u32 s13, 1
	s_cselect_b64 vcc, -1, 0
	s_cmp_eq_u32 s13, 2
	v_cndmask_b32_e32 v86, v0, v53, vcc
	s_cselect_b64 vcc, -1, 0
	s_cmp_eq_u32 s13, 3
	v_cndmask_b32_e32 v86, v86, v1, vcc
	;; [unrolled: 3-line block ×62, first 2 shown]
	s_cselect_b64 vcc, -1, 0
	s_add_i32 s13, s6, -8
	s_cmp_eq_u32 s13, 1
	v_cndmask_b32_e32 v86, v86, v84, vcc
	s_cselect_b64 vcc, -1, 0
	s_cmp_eq_u32 s13, 2
	v_cndmask_b32_e32 v87, v0, v53, vcc
	s_cselect_b64 vcc, -1, 0
	;; [unrolled: 3-line block ×63, first 2 shown]
	v_cndmask_b32_e32 v87, v87, v84, vcc
	v_add_f16_e32 v86, v86, v87
	v_add_f16_e32 v85, v86, v85
	v_lshl_add_u64 v[86:87], v[38:39], 1, v[50:51]
	global_store_short v[86:87], v85, off
	s_and_b64 vcc, exec, s[0:1]
	v_mov_b32_e32 v85, 0
	v_mov_b32_e32 v86, 0
	s_cbranch_vccnz .LBB289_22
; %bb.21:                               ;   in Loop: Header=BB289_12 Depth=1
	v_lshl_add_u64 v[86:87], v[40:41], 1, v[48:49]
	global_load_ushort v86, v[86:87], off
	s_waitcnt vmcnt(0)
	v_mul_f16_e32 v86, s11, v86
.LBB289_22:                             ;   in Loop: Header=BB289_12 Depth=1
	s_add_i32 s13, s6, -7
	s_cmp_eq_u32 s13, 1
	s_cselect_b64 vcc, -1, 0
	s_cmp_eq_u32 s13, 2
	v_cndmask_b32_e32 v87, v0, v53, vcc
	s_cselect_b64 vcc, -1, 0
	s_cmp_eq_u32 s13, 3
	v_cndmask_b32_e32 v87, v87, v1, vcc
	;; [unrolled: 3-line block ×62, first 2 shown]
	s_cselect_b64 vcc, -1, 0
	s_add_i32 s13, s6, -6
	s_cmp_eq_u32 s13, 1
	v_cndmask_b32_e32 v87, v87, v84, vcc
	s_cselect_b64 vcc, -1, 0
	s_cmp_eq_u32 s13, 2
	v_cndmask_b32_e32 v88, v0, v53, vcc
	s_cselect_b64 vcc, -1, 0
	;; [unrolled: 3-line block ×63, first 2 shown]
	v_cndmask_b32_e32 v88, v88, v84, vcc
	v_add_f16_e32 v87, v87, v88
	v_add_f16_e32 v88, v87, v86
	v_lshl_add_u64 v[86:87], v[40:41], 1, v[50:51]
	s_and_b64 vcc, exec, s[0:1]
	global_store_short v[86:87], v88, off
	s_cbranch_vccnz .LBB289_24
; %bb.23:                               ;   in Loop: Header=BB289_12 Depth=1
	v_lshl_add_u64 v[86:87], v[42:43], 1, v[48:49]
	global_load_ushort v85, v[86:87], off
	s_waitcnt vmcnt(0)
	v_mul_f16_e32 v85, s11, v85
.LBB289_24:                             ;   in Loop: Header=BB289_12 Depth=1
	s_add_i32 s13, s6, -5
	s_cmp_eq_u32 s13, 1
	s_cselect_b64 vcc, -1, 0
	s_cmp_eq_u32 s13, 2
	v_cndmask_b32_e32 v86, v0, v53, vcc
	s_cselect_b64 vcc, -1, 0
	s_cmp_eq_u32 s13, 3
	v_cndmask_b32_e32 v86, v86, v1, vcc
	;; [unrolled: 3-line block ×62, first 2 shown]
	s_cselect_b64 vcc, -1, 0
	s_add_i32 s13, s6, -4
	s_cmp_eq_u32 s13, 1
	v_cndmask_b32_e32 v86, v86, v84, vcc
	s_cselect_b64 vcc, -1, 0
	s_cmp_eq_u32 s13, 2
	v_cndmask_b32_e32 v87, v0, v53, vcc
	s_cselect_b64 vcc, -1, 0
	;; [unrolled: 3-line block ×63, first 2 shown]
	v_cndmask_b32_e32 v87, v87, v84, vcc
	v_add_f16_e32 v86, v86, v87
	v_add_f16_e32 v85, v86, v85
	v_lshl_add_u64 v[86:87], v[42:43], 1, v[50:51]
	global_store_short v[86:87], v85, off
	s_and_b64 vcc, exec, s[0:1]
	v_mov_b32_e32 v85, 0
	v_mov_b32_e32 v86, 0
	s_cbranch_vccnz .LBB289_26
; %bb.25:                               ;   in Loop: Header=BB289_12 Depth=1
	v_lshl_add_u64 v[86:87], v[44:45], 1, v[48:49]
	global_load_ushort v86, v[86:87], off
	s_waitcnt vmcnt(0)
	v_mul_f16_e32 v86, s11, v86
.LBB289_26:                             ;   in Loop: Header=BB289_12 Depth=1
	s_add_i32 s13, s6, -3
	s_cmp_eq_u32 s13, 1
	s_cselect_b64 vcc, -1, 0
	s_cmp_eq_u32 s13, 2
	v_cndmask_b32_e32 v87, v0, v53, vcc
	s_cselect_b64 vcc, -1, 0
	s_cmp_eq_u32 s13, 3
	v_cndmask_b32_e32 v87, v87, v1, vcc
	;; [unrolled: 3-line block ×62, first 2 shown]
	s_cselect_b64 vcc, -1, 0
	s_add_i32 s13, s6, -2
	s_cmp_eq_u32 s13, 1
	v_cndmask_b32_e32 v87, v87, v84, vcc
	s_cselect_b64 vcc, -1, 0
	s_cmp_eq_u32 s13, 2
	v_cndmask_b32_e32 v88, v0, v53, vcc
	s_cselect_b64 vcc, -1, 0
	;; [unrolled: 3-line block ×63, first 2 shown]
	v_cndmask_b32_e32 v88, v88, v84, vcc
	v_add_f16_e32 v87, v87, v88
	v_add_f16_e32 v88, v87, v86
	v_lshl_add_u64 v[86:87], v[44:45], 1, v[50:51]
	s_and_b64 vcc, exec, s[0:1]
	global_store_short v[86:87], v88, off
	s_cbranch_vccnz .LBB289_11
; %bb.27:                               ;   in Loop: Header=BB289_12 Depth=1
	v_lshl_add_u64 v[48:49], v[46:47], 1, v[48:49]
	global_load_ushort v48, v[48:49], off
	s_waitcnt vmcnt(0)
	v_mul_f16_e32 v85, s11, v48
	s_branch .LBB289_11
.LBB289_28:
	s_endpgm
.LBB289_29:
	s_mov_b64 s[14:15], 0
	s_andn2_b64 vcc, exec, s[8:9]
	s_mov_b64 s[4:5], -1
	s_cbranch_vccz .LBB289_2
	s_branch .LBB289_3
	.section	.rodata,"a",@progbits
	.p2align	6, 0x0
	.amdhsa_kernel _ZN12_GLOBAL__N_120geam_min_plus_kernelIDF16_Dv2_DF16_S1_Li8ELi32ELi64ELi128ELi4ELi4ELi64ELi4ELi64ELc84ELc78ELb1ELb0ELb0EDF16_KDF16_DF16_EEviiiT16_PT17_ilS5_ilS3_S5_ilPT18_ili26rocblas_geam_ex_operation_
		.amdhsa_group_segment_fixed_size 3072
		.amdhsa_private_segment_fixed_size 0
		.amdhsa_kernarg_size 128
		.amdhsa_user_sgpr_count 2
		.amdhsa_user_sgpr_dispatch_ptr 0
		.amdhsa_user_sgpr_queue_ptr 0
		.amdhsa_user_sgpr_kernarg_segment_ptr 1
		.amdhsa_user_sgpr_dispatch_id 0
		.amdhsa_user_sgpr_kernarg_preload_length 0
		.amdhsa_user_sgpr_kernarg_preload_offset 0
		.amdhsa_user_sgpr_private_segment_size 0
		.amdhsa_uses_dynamic_stack 0
		.amdhsa_enable_private_segment 0
		.amdhsa_system_sgpr_workgroup_id_x 1
		.amdhsa_system_sgpr_workgroup_id_y 0
		.amdhsa_system_sgpr_workgroup_id_z 1
		.amdhsa_system_sgpr_workgroup_info 0
		.amdhsa_system_vgpr_workitem_id 1
		.amdhsa_next_free_vgpr 90
		.amdhsa_next_free_sgpr 21
		.amdhsa_accum_offset 92
		.amdhsa_reserve_vcc 1
		.amdhsa_float_round_mode_32 0
		.amdhsa_float_round_mode_16_64 0
		.amdhsa_float_denorm_mode_32 3
		.amdhsa_float_denorm_mode_16_64 3
		.amdhsa_dx10_clamp 1
		.amdhsa_ieee_mode 1
		.amdhsa_fp16_overflow 0
		.amdhsa_tg_split 0
		.amdhsa_exception_fp_ieee_invalid_op 0
		.amdhsa_exception_fp_denorm_src 0
		.amdhsa_exception_fp_ieee_div_zero 0
		.amdhsa_exception_fp_ieee_overflow 0
		.amdhsa_exception_fp_ieee_underflow 0
		.amdhsa_exception_fp_ieee_inexact 0
		.amdhsa_exception_int_div_zero 0
	.end_amdhsa_kernel
	.section	.text._ZN12_GLOBAL__N_120geam_min_plus_kernelIDF16_Dv2_DF16_S1_Li8ELi32ELi64ELi128ELi4ELi4ELi64ELi4ELi64ELc84ELc78ELb1ELb0ELb0EDF16_KDF16_DF16_EEviiiT16_PT17_ilS5_ilS3_S5_ilPT18_ili26rocblas_geam_ex_operation_,"axG",@progbits,_ZN12_GLOBAL__N_120geam_min_plus_kernelIDF16_Dv2_DF16_S1_Li8ELi32ELi64ELi128ELi4ELi4ELi64ELi4ELi64ELc84ELc78ELb1ELb0ELb0EDF16_KDF16_DF16_EEviiiT16_PT17_ilS5_ilS3_S5_ilPT18_ili26rocblas_geam_ex_operation_,comdat
.Lfunc_end289:
	.size	_ZN12_GLOBAL__N_120geam_min_plus_kernelIDF16_Dv2_DF16_S1_Li8ELi32ELi64ELi128ELi4ELi4ELi64ELi4ELi64ELc84ELc78ELb1ELb0ELb0EDF16_KDF16_DF16_EEviiiT16_PT17_ilS5_ilS3_S5_ilPT18_ili26rocblas_geam_ex_operation_, .Lfunc_end289-_ZN12_GLOBAL__N_120geam_min_plus_kernelIDF16_Dv2_DF16_S1_Li8ELi32ELi64ELi128ELi4ELi4ELi64ELi4ELi64ELc84ELc78ELb1ELb0ELb0EDF16_KDF16_DF16_EEviiiT16_PT17_ilS5_ilS3_S5_ilPT18_ili26rocblas_geam_ex_operation_
                                        ; -- End function
	.set _ZN12_GLOBAL__N_120geam_min_plus_kernelIDF16_Dv2_DF16_S1_Li8ELi32ELi64ELi128ELi4ELi4ELi64ELi4ELi64ELc84ELc78ELb1ELb0ELb0EDF16_KDF16_DF16_EEviiiT16_PT17_ilS5_ilS3_S5_ilPT18_ili26rocblas_geam_ex_operation_.num_vgpr, 90
	.set _ZN12_GLOBAL__N_120geam_min_plus_kernelIDF16_Dv2_DF16_S1_Li8ELi32ELi64ELi128ELi4ELi4ELi64ELi4ELi64ELc84ELc78ELb1ELb0ELb0EDF16_KDF16_DF16_EEviiiT16_PT17_ilS5_ilS3_S5_ilPT18_ili26rocblas_geam_ex_operation_.num_agpr, 0
	.set _ZN12_GLOBAL__N_120geam_min_plus_kernelIDF16_Dv2_DF16_S1_Li8ELi32ELi64ELi128ELi4ELi4ELi64ELi4ELi64ELc84ELc78ELb1ELb0ELb0EDF16_KDF16_DF16_EEviiiT16_PT17_ilS5_ilS3_S5_ilPT18_ili26rocblas_geam_ex_operation_.numbered_sgpr, 21
	.set _ZN12_GLOBAL__N_120geam_min_plus_kernelIDF16_Dv2_DF16_S1_Li8ELi32ELi64ELi128ELi4ELi4ELi64ELi4ELi64ELc84ELc78ELb1ELb0ELb0EDF16_KDF16_DF16_EEviiiT16_PT17_ilS5_ilS3_S5_ilPT18_ili26rocblas_geam_ex_operation_.num_named_barrier, 0
	.set _ZN12_GLOBAL__N_120geam_min_plus_kernelIDF16_Dv2_DF16_S1_Li8ELi32ELi64ELi128ELi4ELi4ELi64ELi4ELi64ELc84ELc78ELb1ELb0ELb0EDF16_KDF16_DF16_EEviiiT16_PT17_ilS5_ilS3_S5_ilPT18_ili26rocblas_geam_ex_operation_.private_seg_size, 0
	.set _ZN12_GLOBAL__N_120geam_min_plus_kernelIDF16_Dv2_DF16_S1_Li8ELi32ELi64ELi128ELi4ELi4ELi64ELi4ELi64ELc84ELc78ELb1ELb0ELb0EDF16_KDF16_DF16_EEviiiT16_PT17_ilS5_ilS3_S5_ilPT18_ili26rocblas_geam_ex_operation_.uses_vcc, 1
	.set _ZN12_GLOBAL__N_120geam_min_plus_kernelIDF16_Dv2_DF16_S1_Li8ELi32ELi64ELi128ELi4ELi4ELi64ELi4ELi64ELc84ELc78ELb1ELb0ELb0EDF16_KDF16_DF16_EEviiiT16_PT17_ilS5_ilS3_S5_ilPT18_ili26rocblas_geam_ex_operation_.uses_flat_scratch, 0
	.set _ZN12_GLOBAL__N_120geam_min_plus_kernelIDF16_Dv2_DF16_S1_Li8ELi32ELi64ELi128ELi4ELi4ELi64ELi4ELi64ELc84ELc78ELb1ELb0ELb0EDF16_KDF16_DF16_EEviiiT16_PT17_ilS5_ilS3_S5_ilPT18_ili26rocblas_geam_ex_operation_.has_dyn_sized_stack, 0
	.set _ZN12_GLOBAL__N_120geam_min_plus_kernelIDF16_Dv2_DF16_S1_Li8ELi32ELi64ELi128ELi4ELi4ELi64ELi4ELi64ELc84ELc78ELb1ELb0ELb0EDF16_KDF16_DF16_EEviiiT16_PT17_ilS5_ilS3_S5_ilPT18_ili26rocblas_geam_ex_operation_.has_recursion, 0
	.set _ZN12_GLOBAL__N_120geam_min_plus_kernelIDF16_Dv2_DF16_S1_Li8ELi32ELi64ELi128ELi4ELi4ELi64ELi4ELi64ELc84ELc78ELb1ELb0ELb0EDF16_KDF16_DF16_EEviiiT16_PT17_ilS5_ilS3_S5_ilPT18_ili26rocblas_geam_ex_operation_.has_indirect_call, 0
	.section	.AMDGPU.csdata,"",@progbits
; Kernel info:
; codeLenInByte = 19512
; TotalNumSgprs: 27
; NumVgprs: 90
; NumAgprs: 0
; TotalNumVgprs: 90
; ScratchSize: 0
; MemoryBound: 0
; FloatMode: 240
; IeeeMode: 1
; LDSByteSize: 3072 bytes/workgroup (compile time only)
; SGPRBlocks: 3
; VGPRBlocks: 11
; NumSGPRsForWavesPerEU: 27
; NumVGPRsForWavesPerEU: 90
; AccumOffset: 92
; Occupancy: 5
; WaveLimiterHint : 0
; COMPUTE_PGM_RSRC2:SCRATCH_EN: 0
; COMPUTE_PGM_RSRC2:USER_SGPR: 2
; COMPUTE_PGM_RSRC2:TRAP_HANDLER: 0
; COMPUTE_PGM_RSRC2:TGID_X_EN: 1
; COMPUTE_PGM_RSRC2:TGID_Y_EN: 0
; COMPUTE_PGM_RSRC2:TGID_Z_EN: 1
; COMPUTE_PGM_RSRC2:TIDIG_COMP_CNT: 1
; COMPUTE_PGM_RSRC3_GFX90A:ACCUM_OFFSET: 22
; COMPUTE_PGM_RSRC3_GFX90A:TG_SPLIT: 0
	.section	.text._ZN12_GLOBAL__N_120geam_min_plus_kernelIDF16_Dv2_DF16_S1_Li8ELi32ELi64ELi128ELi4ELi4ELi64ELi4ELi64ELc84ELc78ELb0ELb0ELb0EDF16_KDF16_DF16_EEviiiT16_PT17_ilS5_ilS3_S5_ilPT18_ili26rocblas_geam_ex_operation_,"axG",@progbits,_ZN12_GLOBAL__N_120geam_min_plus_kernelIDF16_Dv2_DF16_S1_Li8ELi32ELi64ELi128ELi4ELi4ELi64ELi4ELi64ELc84ELc78ELb0ELb0ELb0EDF16_KDF16_DF16_EEviiiT16_PT17_ilS5_ilS3_S5_ilPT18_ili26rocblas_geam_ex_operation_,comdat
	.globl	_ZN12_GLOBAL__N_120geam_min_plus_kernelIDF16_Dv2_DF16_S1_Li8ELi32ELi64ELi128ELi4ELi4ELi64ELi4ELi64ELc84ELc78ELb0ELb0ELb0EDF16_KDF16_DF16_EEviiiT16_PT17_ilS5_ilS3_S5_ilPT18_ili26rocblas_geam_ex_operation_ ; -- Begin function _ZN12_GLOBAL__N_120geam_min_plus_kernelIDF16_Dv2_DF16_S1_Li8ELi32ELi64ELi128ELi4ELi4ELi64ELi4ELi64ELc84ELc78ELb0ELb0ELb0EDF16_KDF16_DF16_EEviiiT16_PT17_ilS5_ilS3_S5_ilPT18_ili26rocblas_geam_ex_operation_
	.p2align	8
	.type	_ZN12_GLOBAL__N_120geam_min_plus_kernelIDF16_Dv2_DF16_S1_Li8ELi32ELi64ELi128ELi4ELi4ELi64ELi4ELi64ELc84ELc78ELb0ELb0ELb0EDF16_KDF16_DF16_EEviiiT16_PT17_ilS5_ilS3_S5_ilPT18_ili26rocblas_geam_ex_operation_,@function
_ZN12_GLOBAL__N_120geam_min_plus_kernelIDF16_Dv2_DF16_S1_Li8ELi32ELi64ELi128ELi4ELi4ELi64ELi4ELi64ELc84ELc78ELb0ELb0ELb0EDF16_KDF16_DF16_EEviiiT16_PT17_ilS5_ilS3_S5_ilPT18_ili26rocblas_geam_ex_operation_: ; @_ZN12_GLOBAL__N_120geam_min_plus_kernelIDF16_Dv2_DF16_S1_Li8ELi32ELi64ELi128ELi4ELi4ELi64ELi4ELi64ELc84ELc78ELb0ELb0ELb0EDF16_KDF16_DF16_EEviiiT16_PT17_ilS5_ilS3_S5_ilPT18_ili26rocblas_geam_ex_operation_
; %bb.0:
	s_load_dwordx2 s[14:15], s[0:1], 0x8
	s_load_dwordx4 s[8:11], s[0:1], 0x20
	s_waitcnt lgkmcnt(0)
	v_cmp_eq_f16_e64 s[4:5], s15, 0
	s_and_b64 s[6:7], exec, s[4:5]
	s_mov_b64 vcc, s[6:7]
	s_cbranch_vccnz .LBB290_10
; %bb.1:
	s_load_dwordx2 s[12:13], s[0:1], 0x10
	s_mul_i32 s9, s9, s3
	s_mul_hi_u32 s16, s8, s3
	s_add_i32 s9, s16, s9
	s_mul_i32 s8, s8, s3
	s_lshl_b64 s[8:9], s[8:9], 1
	s_waitcnt lgkmcnt(0)
	s_add_u32 s16, s12, s8
	s_addc_u32 s17, s13, s9
	s_andn2_b64 vcc, exec, s[4:5]
	s_mov_b64 s[4:5], -1
	s_cbranch_vccnz .LBB290_3
.LBB290_2:
	s_mov_b64 s[4:5], 0
.LBB290_3:
	s_mov_b64 s[12:13], 0
	s_andn2_b64 vcc, exec, s[4:5]
	s_mov_b64 s[18:19], 0
	s_cbranch_vccnz .LBB290_5
; %bb.4:
	s_load_dwordx2 s[4:5], s[0:1], 0x38
	s_waitcnt lgkmcnt(0)
	s_mul_i32 s5, s5, s3
	s_mul_hi_u32 s8, s4, s3
	s_add_i32 s5, s8, s5
	s_mul_i32 s4, s4, s3
	s_lshl_b64 s[4:5], s[4:5], 1
	s_add_u32 s18, s10, s4
	s_addc_u32 s19, s11, s5
.LBB290_5:
	s_load_dword s22, s[0:1], 0x40
	s_load_dwordx4 s[8:11], s[0:1], 0x58
	v_cmp_neq_f16_e64 s[20:21], s15, 0
	s_waitcnt lgkmcnt(0)
	v_cmp_eq_f16_e64 s[4:5], s22, 0
	s_and_b64 vcc, exec, s[4:5]
	s_cbranch_vccnz .LBB290_7
; %bb.6:
	s_load_dwordx2 s[4:5], s[0:1], 0x48
	s_mul_i32 s9, s9, s3
	s_mul_hi_u32 s12, s8, s3
	s_add_i32 s9, s12, s9
	s_mul_i32 s8, s8, s3
	s_lshl_b64 s[8:9], s[8:9], 1
	s_waitcnt lgkmcnt(0)
	s_add_u32 s12, s4, s8
	s_addc_u32 s13, s5, s9
.LBB290_7:
	s_load_dword s4, s[0:1], 0x0
	s_load_dword s25, s[0:1], 0x18
	;; [unrolled: 1-line block ×3, first 2 shown]
	v_and_b32_e32 v38, 0x3ff, v0
	v_bfe_u32 v48, v0, 10, 10
	s_waitcnt lgkmcnt(0)
	s_add_i32 s4, s4, -1
	s_ashr_i32 s5, s4, 31
	s_lshr_b32 s5, s5, 26
	s_add_i32 s4, s4, s5
	s_ashr_i32 s4, s4, 6
	s_add_i32 s5, s4, 1
	v_cvt_f32_u32_e32 v1, s5
	s_not_b32 s4, s4
	v_lshl_add_u32 v2, v48, 3, v38
	v_lshrrev_b32_e32 v10, 2, v2
	v_rcp_iflag_f32_e32 v1, v1
	v_and_b32_e32 v9, 3, v0
	v_cndmask_b32_e64 v0, 0, 1, s[20:21]
	v_mov_b32_e32 v5, 0
	v_mul_f32_e32 v1, 0x4f7ffffe, v1
	v_cvt_u32_f32_e32 v1, v1
	s_nop 0
	v_readfirstlane_b32 s8, v1
	s_mul_i32 s4, s4, s8
	s_mul_hi_u32 s4, s8, s4
	s_add_i32 s8, s8, s4
	s_mul_hi_u32 s4, s2, s8
	s_mul_i32 s8, s4, s5
	s_sub_i32 s8, s2, s8
	s_add_i32 s23, s4, 1
	s_sub_i32 s24, s8, s5
	s_cmp_ge_u32 s8, s5
	s_cselect_b32 s4, s23, s4
	s_cselect_b32 s8, s24, s8
	s_add_i32 s23, s4, 1
	s_cmp_ge_u32 s8, s5
	s_cselect_b32 s4, s23, s4
	s_mul_i32 s5, s4, s5
	s_lshl_b32 s23, s4, 7
	s_sub_i32 s2, s2, s5
	s_lshl_b32 s24, s2, 6
	v_add_u32_e32 v2, s23, v10
	v_cmp_ne_u32_e64 s[4:5], 1, v0
	s_andn2_b64 vcc, exec, s[20:21]
	v_add_u32_e32 v4, s24, v10
	v_lshlrev_b32_e32 v0, 1, v9
	v_add_u32_e32 v3, 64, v2
	s_cbranch_vccnz .LBB290_11
; %bb.8:
	v_mad_i64_i32 v[6:7], s[20:21], v4, s25, 0
	v_lshl_add_u64 v[6:7], v[6:7], 1, s[16:17]
	v_mov_b32_e32 v1, 0
	v_lshl_add_u64 v[6:7], v[6:7], 0, v[0:1]
	global_load_ushort v8, v[6:7], off
	v_lshl_add_u64 v[6:7], s[18:19], 0, v[0:1]
	v_mad_i64_i32 v[12:13], s[20:21], v2, s9, 0
	v_lshl_add_u64 v[12:13], v[12:13], 1, v[6:7]
	global_load_ushort v1, v[12:13], off
	v_mad_i64_i32 v[12:13], s[20:21], v3, s9, 0
	v_lshl_add_u64 v[6:7], v[12:13], 1, v[6:7]
	global_load_ushort v7, v[6:7], off
	s_waitcnt vmcnt(2)
	v_mul_f16_e32 v11, s15, v8
	s_waitcnt vmcnt(1)
	v_mul_f16_e32 v1, s15, v1
	v_pack_b32_f16 v6, v1, 0
	s_waitcnt vmcnt(0)
	v_mul_f16_e32 v7, s15, v7
	s_and_b64 vcc, exec, s[4:5]
	s_cbranch_vccnz .LBB290_12
.LBB290_9:
	v_mad_i64_i32 v[12:13], s[4:5], v4, s25, 0
	v_lshl_add_u64 v[12:13], v[12:13], 1, s[16:17]
	v_mov_b32_e32 v1, 0
	v_lshl_add_u64 v[12:13], v[12:13], 0, v[0:1]
	global_load_ushort v5, v[12:13], off offset:8
	v_lshl_add_u64 v[0:1], s[18:19], 0, v[0:1]
	v_mad_i64_i32 v[12:13], s[4:5], v2, s9, 0
	v_lshl_add_u64 v[12:13], v[12:13], 1, v[0:1]
	global_load_ushort v8, v[12:13], off offset:8
	v_mad_i64_i32 v[12:13], s[4:5], v3, s9, 0
	v_lshl_add_u64 v[0:1], v[12:13], 1, v[0:1]
	global_load_ushort v0, v[0:1], off offset:8
	s_waitcnt vmcnt(2)
	v_mul_f16_e32 v5, s15, v5
	s_waitcnt vmcnt(1)
	v_mul_f16_e32 v1, s15, v8
	v_pack_b32_f16 v1, v1, 0
	s_waitcnt vmcnt(0)
	v_mul_f16_e32 v8, s15, v0
	s_branch .LBB290_13
.LBB290_10:
	s_mov_b64 s[16:17], 0
	s_andn2_b64 vcc, exec, s[4:5]
	s_mov_b64 s[4:5], -1
	s_cbranch_vccz .LBB290_2
	s_branch .LBB290_3
.LBB290_11:
	v_mov_b32_e32 v6, 0
	v_mov_b32_e32 v11, 0
	;; [unrolled: 1-line block ×3, first 2 shown]
	s_and_b64 vcc, exec, s[4:5]
	s_cbranch_vccz .LBB290_9
.LBB290_12:
	v_mov_b32_e32 v1, 0
	v_mov_b32_e32 v8, 0
.LBB290_13:
	v_lshlrev_b32_e32 v0, 3, v10
	v_lshl_or_b32 v41, v9, 1, v0
	v_lshlrev_b32_e32 v40, 3, v38
	v_lshlrev_b32_e32 v39, 3, v48
	ds_write_b16 v41, v11 offset:2048
	ds_write_b16 v41, v6
	ds_write_b16 v41, v7 offset:512
	s_waitcnt lgkmcnt(0)
	s_barrier
	ds_read2_b64 v[10:13], v39 offset1:32
	v_add_u32_e32 v42, 0x800, v40
	ds_read2_b64 v[14:17], v42 offset0:48 offset1:56
	ds_read2_b64 v[18:21], v39 offset0:64 offset1:96
	ds_read2_b64 v[22:25], v42 offset1:8
	ds_read2_b64 v[26:29], v42 offset0:16 offset1:24
	ds_read2_b64 v[30:33], v42 offset0:32 offset1:40
	s_waitcnt lgkmcnt(5)
	v_pk_max_f16 v0, v10, v10
	s_waitcnt lgkmcnt(4)
	v_pk_max_f16 v9, v16, v16
	v_pk_max_f16 v12, v12, v12
	v_pk_min_f16 v10, v9, v0
	s_waitcnt lgkmcnt(3)
	v_pk_max_f16 v16, v18, v18
	s_waitcnt lgkmcnt(2)
	v_pk_max_f16 v18, v22, v22
	v_pk_max_f16 v20, v20, v20
	;; [unrolled: 1-line block ×3, first 2 shown]
	s_waitcnt lgkmcnt(1)
	v_pk_max_f16 v26, v26, v26
	v_pk_max_f16 v28, v28, v28
	s_waitcnt lgkmcnt(0)
	v_pk_max_f16 v30, v30, v30
	v_pk_max_f16 v11, v11, v11
	;; [unrolled: 1-line block ×5, first 2 shown]
	v_pk_min_f16 v22, v18, v0
	v_pk_min_f16 v34, v18, v12
	;; [unrolled: 1-line block ×17, first 2 shown]
	v_pk_max_f16 v13, v13, v13
	v_pk_min_f16 v63, v30, v12
	v_pk_min_f16 v64, v30, v16
	;; [unrolled: 1-line block ×14, first 2 shown]
	v_pk_add_f16 v10, v10, 0
	v_pk_min_f16 v20, v17, v11
	v_pk_max_f16 v19, v19, v19
	v_pk_add_f16 v46, v10, v20
	v_pk_add_f16 v10, v43, 0
	v_pk_min_f16 v20, v17, v13
	v_pk_max_f16 v23, v23, v23
	v_pk_add_f16 v43, v10, v20
	;; [unrolled: 4-line block ×5, first 2 shown]
	v_pk_add_f16 v10, v35, 0
	v_pk_min_f16 v20, v23, v19
	v_pk_min_f16 v34, v29, v11
	v_pk_add_f16 v49, v10, v20
	v_pk_add_f16 v10, v18, 0
	v_pk_min_f16 v18, v23, v21
	v_pk_add_f16 v22, v28, 0
	v_pk_add_f16 v50, v10, v18
	v_pk_add_f16 v10, v36, 0
	v_pk_min_f16 v18, v25, v11
	v_pk_add_f16 v23, v62, 0
	;; [unrolled: 4-line block ×5, first 2 shown]
	v_pk_add_f16 v53, v10, v18
	v_pk_max_f16 v18, v27, v27
	v_pk_add_f16 v10, v54, 0
	v_pk_min_f16 v20, v18, v11
	v_pk_add_f16 v27, v65, 0
	v_pk_add_f16 v54, v10, v20
	;; [unrolled: 1-line block ×3, first 2 shown]
	v_pk_min_f16 v20, v18, v13
	v_pk_add_f16 v25, v64, 0
	v_pk_add_f16 v56, v10, v20
	;; [unrolled: 1-line block ×3, first 2 shown]
	v_pk_min_f16 v20, v18, v19
	v_pk_min_f16 v18, v18, v21
	v_pk_add_f16 v57, v10, v20
	v_pk_add_f16 v10, v26, 0
	;; [unrolled: 1-line block ×7, first 2 shown]
	v_pk_min_f16 v10, v29, v13
	v_pk_add_f16 v26, v30, 0
	v_pk_add_f16 v65, v18, v10
	v_pk_min_f16 v10, v29, v19
	v_pk_add_f16 v30, v67, 0
	v_pk_add_f16 v59, v20, v10
	;; [unrolled: 3-line block ×3, first 2 shown]
	v_pk_max_f16 v10, v31, v31
	v_pk_add_f16 v12, v12, 0
	v_pk_min_f16 v18, v10, v11
	v_pk_add_f16 v16, v16, 0
	v_pk_add_f16 v60, v23, v18
	v_pk_min_f16 v18, v10, v13
	v_pk_add_f16 v14, v14, 0
	v_pk_add_f16 v62, v24, v18
	v_pk_min_f16 v18, v10, v19
	v_pk_min_f16 v10, v10, v21
	v_pk_add_f16 v64, v25, v18
	v_pk_add_f16 v66, v26, v10
	v_pk_max_f16 v10, v33, v33
	v_pk_add_f16 v9, v9, 0
	v_pk_min_f16 v18, v10, v11
	s_cmp_lt_i32 s14, 9
	v_pk_add_f16 v67, v27, v18
	v_pk_min_f16 v18, v10, v13
	ds_write_b16 v41, v5 offset:2560
	ds_write_b16 v41, v1 offset:1024
	ds_write_b16 v41, v8 offset:1536
	v_pk_add_f16 v68, v28, v18
	v_pk_min_f16 v18, v10, v19
	v_pk_min_f16 v10, v10, v21
	v_pk_add_f16 v69, v30, v18
	v_pk_add_f16 v70, v32, v10
	v_pk_max_f16 v10, v15, v15
	s_waitcnt lgkmcnt(0)
	v_pk_min_f16 v11, v10, v11
	s_barrier
	v_pk_add_f16 v71, v0, v11
	v_pk_min_f16 v0, v10, v13
	s_nop 0
	v_pk_add_f16 v72, v12, v0
	v_pk_min_f16 v0, v10, v19
	s_nop 0
	;; [unrolled: 3-line block ×4, first 2 shown]
	v_pk_add_f16 v75, v9, v0
	s_cbranch_scc1 .LBB290_24
; %bb.14:
	s_mov_b32 s8, 0x5040100
	v_perm_b32 v86, v8, v1, s8
	v_mov_b32_e32 v1, 0xa00
	v_mad_i64_i32 v[4:5], s[4:5], v4, s25, 0
	v_lshl_add_u32 v79, v38, 3, v1
	v_mov_b32_e32 v1, 0x400
	v_lshl_add_u64 v[24:25], v[4:5], 1, s[16:17]
	v_lshl_add_u32 v80, v48, 3, v1
	v_and_b32_e32 v1, 3, v38
	v_mad_i64_i32 v[4:5], s[4:5], s9, v3, 0
	v_mad_i64_i32 v[2:3], s[4:5], s9, v2, 0
	v_add_u32_e32 v76, 0x800, v41
	v_add_u32_e32 v77, 0xa00, v41
	;; [unrolled: 1-line block ×3, first 2 shown]
	s_add_i32 s2, s14, -8
	v_perm_b32 v0, v7, v6, s8
	v_lshlrev_b32_e32 v26, 1, v1
	v_mov_b32_e32 v27, 0
	v_lshl_add_u64 v[28:29], v[4:5], 1, s[18:19]
	v_lshl_add_u64 v[30:31], v[2:3], 1, s[18:19]
	s_mov_b32 s9, 0
	s_mov_b32 s14, 0xffff
	s_branch .LBB290_16
.LBB290_15:                             ;   in Loop: Header=BB290_16 Depth=1
	v_pk_max_f16 v2, v2, v2
	v_pk_max_f16 v20, v20, v20
	;; [unrolled: 1-line block ×12, first 2 shown]
	v_pk_min_f16 v86, v8, v20
	v_pk_max_f16 v17, v17, v17
	v_pk_max_f16 v19, v19, v19
	v_pk_min_f16 v87, v8, v22
	v_pk_min_f16 v88, v8, v16
	;; [unrolled: 1-line block ×3, first 2 shown]
	v_pk_max_f16 v13, v13, v13
	v_pk_max_f16 v15, v15, v15
	;; [unrolled: 1-line block ×10, first 2 shown]
	v_pk_min_f16 v92, v4, v20
	v_pk_min_f16 v93, v4, v22
	;; [unrolled: 1-line block ×60, first 2 shown]
	v_pk_add_f16 v3, v46, v98
	v_pk_add_f16 v8, v58, v8
	;; [unrolled: 1-line block ×17, first 2 shown]
	ds_read2_b64 v[2:5], v42 offset0:48 offset1:56
	ds_read2_b64 v[6:9], v39 offset1:32
	v_pk_add_f16 v33, v47, v33
	v_pk_add_f16 v12, v50, v12
	;; [unrolled: 1-line block ×3, first 2 shown]
	s_waitcnt lgkmcnt(1)
	v_pk_max_f16 v4, v4, v4
	s_waitcnt lgkmcnt(0)
	v_pk_max_f16 v6, v6, v6
	v_pk_add_f16 v35, v52, v35
	v_pk_add_f16 v52, v60, v92
	;; [unrolled: 1-line block ×11, first 2 shown]
	ds_read2_b64 v[10:13], v39 offset0:64 offset1:96
	v_pk_min_f16 v14, v4, v6
	v_pk_add_f16 v22, v22, v23
	v_pk_add_f16 v23, v16, v17
	;; [unrolled: 1-line block ×3, first 2 shown]
	ds_read2_b64 v[14:17], v42 offset1:8
	v_pk_add_f16 v43, v43, v99
	v_pk_max_f16 v8, v8, v8
	v_pk_add_f16 v45, v45, v100
	v_pk_add_f16 v43, v43, v119
	;; [unrolled: 1-line block ×3, first 2 shown]
	v_pk_min_f16 v19, v4, v8
	s_waitcnt lgkmcnt(1)
	v_pk_max_f16 v10, v10, v10
	v_pk_add_f16 v45, v45, v120
	v_pk_add_f16 v43, v43, v19
	v_pk_min_f16 v19, v4, v10
	s_waitcnt lgkmcnt(0)
	v_pk_max_f16 v14, v14, v14
	v_pk_add_f16 v45, v45, v19
	v_pk_min_f16 v19, v14, v6
	v_pk_add_f16 v36, v55, v36
	v_pk_add_f16 v66, v18, v19
	v_pk_min_f16 v18, v14, v8
	v_pk_add_f16 v55, v67, v95
	v_pk_add_f16 v67, v32, v18
	v_pk_min_f16 v18, v14, v10
	v_pk_max_f16 v16, v16, v16
	v_pk_add_f16 v46, v56, v87
	v_pk_add_f16 v56, v68, v96
	;; [unrolled: 1-line block ×4, first 2 shown]
	v_pk_min_f16 v18, v16, v6
	v_pk_add_f16 v47, v57, v88
	v_pk_add_f16 v57, v69, v97
	;; [unrolled: 1-line block ×5, first 2 shown]
	v_pk_min_f16 v18, v16, v8
	v_pk_add_f16 v50, v65, v90
	v_pk_add_f16 v65, v20, v21
	v_pk_add_f16 v36, v36, v18
	ds_read2_b64 v[18:21], v42 offset0:16 offset1:24
	v_pk_add_f16 v37, v37, v105
	v_pk_max_f16 v12, v12, v12
	v_pk_min_f16 v32, v16, v10
	v_pk_add_f16 v44, v44, v106
	s_waitcnt lgkmcnt(0)
	v_pk_max_f16 v18, v18, v18
	v_pk_add_f16 v37, v37, v32
	v_pk_min_f16 v16, v16, v12
	v_pk_min_f16 v32, v18, v6
	v_pk_add_f16 v46, v46, v107
	v_pk_add_f16 v16, v60, v16
	;; [unrolled: 1-line block ×3, first 2 shown]
	v_pk_min_f16 v32, v18, v8
	v_pk_add_f16 v47, v47, v108
	v_pk_add_f16 v70, v46, v32
	v_pk_min_f16 v32, v18, v10
	v_pk_max_f16 v20, v20, v20
	v_pk_add_f16 v49, v49, v109
	v_pk_add_f16 v71, v47, v32
	v_pk_min_f16 v18, v18, v12
	v_pk_min_f16 v32, v20, v6
	v_pk_add_f16 v50, v50, v110
	v_pk_min_f16 v14, v14, v12
	v_pk_add_f16 v18, v61, v18
	v_pk_add_f16 v61, v49, v32
	v_pk_min_f16 v32, v20, v8
	v_pk_add_f16 v14, v34, v14
	v_pk_add_f16 v72, v50, v32
	ds_read2_b64 v[32:35], v42 offset0:32 offset1:40
	v_pk_add_f16 v51, v51, v111
	v_pk_min_f16 v44, v20, v10
	v_pk_add_f16 v52, v52, v112
	v_pk_add_f16 v73, v51, v44
	s_waitcnt lgkmcnt(0)
	v_pk_max_f16 v32, v32, v32
	v_pk_min_f16 v20, v20, v12
	v_pk_min_f16 v44, v32, v6
	v_pk_add_f16 v53, v53, v113
	v_pk_add_f16 v20, v62, v20
	v_pk_add_f16 v62, v52, v44
	v_pk_min_f16 v44, v32, v8
	v_pk_add_f16 v0, v74, v0
	v_pk_add_f16 v54, v54, v114
	;; [unrolled: 1-line block ×3, first 2 shown]
	v_pk_min_f16 v44, v32, v10
	v_pk_max_f16 v34, v34, v34
	v_pk_add_f16 v55, v55, v115
	v_pk_add_f16 v75, v54, v44
	v_pk_min_f16 v44, v34, v6
	v_pk_add_f16 v56, v56, v116
	v_pk_add_f16 v1, v0, v1
	v_perm_b32 v0, v85, v84, s8
	v_pk_add_f16 v84, v55, v44
	v_pk_min_f16 v44, v34, v8
	v_pk_max_f16 v2, v2, v2
	v_pk_add_f16 v85, v56, v44
	v_pk_min_f16 v44, v34, v10
	v_pk_min_f16 v6, v2, v6
	;; [unrolled: 1-line block ×5, first 2 shown]
	v_pk_add_f16 v57, v57, v117
	v_pk_add_f16 v1, v1, v2
	v_pk_min_f16 v2, v4, v12
	v_pk_max_f16 v4, v5, v5
	v_pk_max_f16 v5, v7, v7
	v_pk_min_f16 v32, v32, v12
	v_pk_min_f16 v7, v4, v5
	;; [unrolled: 1-line block ×3, first 2 shown]
	v_pk_add_f16 v46, v59, v7
	v_pk_max_f16 v7, v9, v9
	v_pk_add_f16 v86, v57, v44
	v_pk_min_f16 v9, v4, v7
	v_pk_add_f16 v2, v58, v2
	v_pk_add_f16 v43, v43, v9
	v_pk_max_f16 v9, v11, v11
	v_pk_add_f16 v32, v63, v32
	v_pk_min_f16 v11, v4, v9
	v_pk_add_f16 v6, v65, v6
	v_pk_add_f16 v45, v45, v11
	v_pk_max_f16 v11, v15, v15
	v_pk_max_f16 v3, v3, v3
	v_pk_min_f16 v12, v11, v5
	v_pk_add_f16 v34, v64, v34
	v_pk_add_f16 v44, v66, v12
	v_pk_min_f16 v12, v11, v7
	v_pk_add_f16 v8, v22, v8
	v_pk_add_f16 v47, v67, v12
	;; [unrolled: 3-line block ×3, first 2 shown]
	v_pk_max_f16 v12, v13, v13
	s_add_i32 s9, s9, 8
	v_pk_min_f16 v11, v11, v12
	v_lshl_add_u64 v[28:29], v[28:29], 0, 16
	v_pk_add_f16 v50, v14, v11
	v_pk_max_f16 v11, v17, v17
	v_lshl_add_u64 v[30:31], v[30:31], 0, 16
	v_pk_min_f16 v13, v11, v5
	s_cmp_ge_i32 s9, s2
	v_pk_add_f16 v52, v69, v13
	v_pk_min_f16 v13, v11, v7
	v_lshl_add_u64 v[24:25], v[24:25], 0, 16
	v_pk_add_f16 v55, v36, v13
	v_pk_min_f16 v13, v11, v9
	v_pk_min_f16 v11, v11, v12
	v_pk_add_f16 v51, v37, v13
	v_pk_add_f16 v53, v16, v11
	v_pk_max_f16 v11, v19, v19
	ds_write_b16 v77, v82
	ds_write_b16 v78, v81
	ds_write_b16 v78, v83 offset:512
	v_pk_min_f16 v13, v11, v5
	s_waitcnt lgkmcnt(0)
	v_pk_add_f16 v54, v60, v13
	v_pk_min_f16 v13, v11, v7
	s_barrier
	v_pk_add_f16 v56, v70, v13
	v_pk_min_f16 v13, v11, v9
	v_pk_min_f16 v11, v11, v12
	v_pk_add_f16 v57, v71, v13
	v_pk_add_f16 v58, v18, v11
	v_pk_max_f16 v11, v21, v21
	s_nop 0
	v_pk_min_f16 v13, v11, v5
	s_nop 0
	v_pk_add_f16 v63, v61, v13
	v_pk_min_f16 v13, v11, v7
	s_nop 0
	v_pk_add_f16 v65, v72, v13
	v_pk_min_f16 v13, v11, v9
	v_pk_min_f16 v11, v11, v12
	v_pk_add_f16 v59, v73, v13
	v_pk_add_f16 v61, v20, v11
	v_pk_max_f16 v11, v33, v33
	s_nop 0
	v_pk_min_f16 v13, v11, v5
	s_nop 0
	v_pk_add_f16 v60, v62, v13
	v_pk_min_f16 v13, v11, v7
	s_nop 0
	v_pk_add_f16 v62, v74, v13
	v_pk_min_f16 v13, v11, v9
	v_pk_min_f16 v11, v11, v12
	v_pk_add_f16 v64, v75, v13
	v_pk_add_f16 v66, v32, v11
	v_pk_max_f16 v11, v35, v35
	s_nop 0
	v_pk_min_f16 v13, v11, v5
	v_pk_min_f16 v5, v3, v5
	v_pk_add_f16 v67, v84, v13
	v_pk_add_f16 v71, v6, v5
	v_pk_min_f16 v5, v3, v7
	v_pk_min_f16 v13, v11, v7
	v_pk_add_f16 v72, v8, v5
	v_pk_min_f16 v5, v3, v9
	v_pk_min_f16 v3, v3, v12
	;; [unrolled: 3-line block ×3, first 2 shown]
	v_pk_add_f16 v74, v1, v3
	v_pk_min_f16 v1, v4, v12
	v_pk_add_f16 v69, v86, v13
	v_pk_add_f16 v70, v34, v11
	;; [unrolled: 1-line block ×4, first 2 shown]
	v_perm_b32 v86, v83, v81, s8
	s_cbranch_scc1 .LBB290_24
.LBB290_16:                             ; =>This Inner Loop Header: Depth=1
	s_mov_b64 s[4:5], -1
	s_mov_b64 vcc, s[6:7]
                                        ; implicit-def: $vgpr84
	s_cbranch_vccz .LBB290_18
; %bb.17:                               ;   in Loop: Header=BB290_16 Depth=1
	v_and_b32_e32 v84, 0xffff0000, v0
	s_mov_b64 s[4:5], 0
.LBB290_18:                             ;   in Loop: Header=BB290_16 Depth=1
	v_mov_b32_e32 v81, 0
	s_andn2_b64 vcc, exec, s[4:5]
	v_lshl_add_u64 v[32:33], v[24:25], 0, v[26:27]
	v_lshl_add_u64 v[34:35], v[30:31], 0, v[26:27]
	;; [unrolled: 1-line block ×3, first 2 shown]
	v_mov_b32_e32 v85, 0
	s_cbranch_vccnz .LBB290_20
; %bb.19:                               ;   in Loop: Header=BB290_16 Depth=1
	global_load_ushort v1, v[32:33], off offset:16
	global_load_ushort v2, v[34:35], off offset:16
	;; [unrolled: 1-line block ×3, first 2 shown]
	s_waitcnt vmcnt(2)
	v_mul_f16_e32 v81, s15, v1
	s_waitcnt vmcnt(1)
	v_mul_f16_e32 v1, s15, v2
	v_bfi_b32 v84, s14, v1, v0
	s_waitcnt vmcnt(0)
	v_mul_f16_e32 v85, s15, v3
.LBB290_20:                             ;   in Loop: Header=BB290_16 Depth=1
	ds_read2_b64 v[0:3], v79 offset0:48 offset1:56
	ds_read2_b64 v[16:19], v80 offset0:64 offset1:96
	ds_read2_b64 v[20:23], v80 offset1:32
	ds_read2_b64 v[12:15], v79 offset1:8
	ds_read2_b64 v[8:11], v79 offset0:16 offset1:24
	ds_read2_b64 v[4:7], v79 offset0:32 offset1:40
	s_mov_b64 s[4:5], -1
	s_mov_b64 vcc, s[6:7]
	ds_write_b16 v76, v81
	ds_write_b16 v41, v84
	ds_write_b16 v41, v85 offset:512
	s_waitcnt lgkmcnt(0)
	s_barrier
                                        ; implicit-def: $vgpr81
	s_cbranch_vccz .LBB290_22
; %bb.21:                               ;   in Loop: Header=BB290_16 Depth=1
	v_and_b32_e32 v81, 0xffff0000, v86
	s_mov_b64 s[4:5], 0
.LBB290_22:                             ;   in Loop: Header=BB290_16 Depth=1
	v_mov_b32_e32 v82, 0
	s_andn2_b64 vcc, exec, s[4:5]
	v_mov_b32_e32 v83, 0
	s_cbranch_vccnz .LBB290_15
; %bb.23:                               ;   in Loop: Header=BB290_16 Depth=1
	global_load_ushort v81, v[32:33], off offset:24
	global_load_ushort v83, v[34:35], off offset:24
	;; [unrolled: 1-line block ×3, first 2 shown]
	s_waitcnt vmcnt(2)
	v_mul_f16_e32 v82, s15, v81
	s_waitcnt vmcnt(1)
	v_mul_f16_e32 v32, s15, v83
	v_bfi_b32 v81, s14, v32, v86
	s_waitcnt vmcnt(0)
	v_mul_f16_e32 v83, s15, v87
	s_branch .LBB290_15
.LBB290_24:
	s_load_dwordx2 s[6:7], s[0:1], 0x70
	s_load_dword s8, s[0:1], 0x50
	s_load_dword s9, s[0:1], 0x68
	v_add_u32_e32 v12, 0x800, v40
	ds_read2_b64 v[0:3], v39 offset0:128 offset1:160
	ds_read2_b64 v[4:7], v12 offset0:112 offset1:120
	;; [unrolled: 1-line block ×4, first 2 shown]
	s_waitcnt lgkmcnt(0)
	s_mul_i32 s1, s7, s3
	v_pk_max_f16 v2, v2, v2
	v_pk_max_f16 v6, v6, v6
	;; [unrolled: 1-line block ×4, first 2 shown]
	v_pk_min_f16 v15, v6, v8
	v_pk_max_f16 v10, v10, v10
	v_pk_add_f16 v28, v45, v15
	v_pk_max_f16 v15, v16, v16
	v_pk_max_f16 v4, v4, v4
	v_pk_min_f16 v20, v15, v2
	v_pk_min_f16 v16, v15, v0
	v_pk_add_f16 v29, v47, v20
	v_pk_min_f16 v20, v15, v8
	v_pk_min_f16 v15, v15, v10
	v_pk_add_f16 v30, v49, v20
	v_pk_add_f16 v31, v50, v15
	v_pk_max_f16 v15, v18, v18
	v_pk_min_f16 v13, v6, v0
	v_pk_min_f16 v20, v15, v2
	;; [unrolled: 1-line block ×3, first 2 shown]
	v_pk_add_f16 v49, v55, v20
	ds_read2_b64 v[20:23], v12 offset0:80 offset1:88
	v_pk_min_f16 v24, v15, v8
	v_pk_min_f16 v15, v15, v10
	v_pk_add_f16 v50, v51, v24
	v_pk_add_f16 v51, v53, v15
	s_waitcnt lgkmcnt(0)
	v_pk_max_f16 v15, v20, v20
	v_pk_add_f16 v13, v46, v13
	v_pk_min_f16 v24, v15, v2
	v_pk_min_f16 v20, v15, v0
	v_pk_add_f16 v53, v56, v24
	v_pk_min_f16 v24, v15, v8
	v_pk_min_f16 v15, v15, v10
	v_pk_add_f16 v20, v54, v20
	v_pk_add_f16 v55, v58, v15
	v_pk_max_f16 v15, v22, v22
	v_pk_add_f16 v54, v57, v24
	v_pk_min_f16 v24, v15, v2
	v_pk_min_f16 v22, v15, v0
	v_pk_add_f16 v56, v65, v24
	ds_read2_b64 v[24:27], v12 offset0:96 offset1:104
	v_pk_min_f16 v12, v15, v8
	v_pk_add_f16 v22, v63, v22
	v_pk_add_f16 v57, v59, v12
	v_pk_min_f16 v12, v15, v10
	v_pk_min_f16 v14, v6, v2
	v_pk_add_f16 v58, v61, v12
	s_waitcnt lgkmcnt(0)
	v_pk_max_f16 v12, v24, v24
	v_pk_add_f16 v14, v43, v14
	v_pk_min_f16 v15, v12, v0
	s_mul_hi_u32 s2, s6, s3
	v_pk_add_f16 v24, v60, v15
	v_pk_min_f16 v15, v12, v2
	s_mul_i32 s0, s6, s3
	v_pk_add_f16 v59, v62, v15
	v_pk_min_f16 v15, v12, v8
	v_pk_min_f16 v12, v12, v10
	v_pk_add_f16 v60, v64, v15
	v_pk_add_f16 v61, v66, v12
	v_pk_max_f16 v12, v26, v26
	s_add_i32 s1, s2, s1
	v_pk_min_f16 v15, v12, v0
	v_pk_min_f16 v0, v4, v0
	v_pk_add_f16 v26, v67, v15
	v_pk_add_f16 v65, v71, v0
	v_pk_min_f16 v0, v4, v2
	v_pk_min_f16 v15, v12, v2
	v_pk_add_f16 v66, v72, v0
	v_pk_min_f16 v0, v4, v8
	v_pk_add_f16 v62, v68, v15
	v_pk_add_f16 v67, v73, v0
	v_pk_min_f16 v0, v4, v10
	v_pk_min_f16 v15, v12, v8
	v_pk_add_f16 v68, v74, v0
	v_pk_min_f16 v0, v6, v10
	v_pk_add_f16 v63, v69, v15
	v_pk_add_f16 v69, v75, v0
	v_pk_max_f16 v0, v1, v1
	v_pk_max_f16 v1, v7, v7
	v_pk_min_f16 v12, v12, v10
	v_pk_min_f16 v2, v1, v0
	s_lshl_b64 s[0:1], s[0:1], 1
	v_pk_add_f16 v7, v13, v2
	v_pk_max_f16 v2, v3, v3
	v_pk_add_f16 v64, v70, v12
	v_pk_min_f16 v3, v1, v2
	v_pk_max_f16 v11, v11, v11
	v_pk_add_f16 v15, v14, v3
	v_pk_max_f16 v3, v9, v9
	v_pk_max_f16 v12, v19, v19
	v_pk_min_f16 v4, v1, v3
	v_pk_max_f16 v19, v21, v21
	v_pk_add_f16 v9, v28, v4
	v_pk_max_f16 v4, v17, v17
	v_pk_max_f16 v23, v23, v23
	;; [unrolled: 1-line block ×5, first 2 shown]
	v_add_u32_e32 v32, s24, v38
	s_add_u32 s2, s10, s0
	v_pk_add_f16 v16, v44, v16
	v_pk_add_f16 v18, v52, v18
	v_pk_min_f16 v6, v4, v0
	v_pk_min_f16 v8, v4, v2
	;; [unrolled: 1-line block ×29, first 2 shown]
	v_add_u32_e32 v34, 8, v32
	v_add_u32_e32 v36, 16, v32
	;; [unrolled: 1-line block ×7, first 2 shown]
	v_cmp_neq_f16_e64 s[4:5], s22, 0
	s_addc_u32 s3, s11, s1
	v_ashrrev_i32_e32 v33, 31, v32
	v_ashrrev_i32_e32 v35, 31, v34
	;; [unrolled: 1-line block ×8, first 2 shown]
	v_add_u32_e32 v52, s23, v48
	s_mov_b64 s[6:7], 15
	v_pk_add_f16 v0, v16, v6
	v_pk_add_f16 v8, v29, v8
	;; [unrolled: 1-line block ×29, first 2 shown]
	s_branch .LBB290_26
.LBB290_25:                             ;   in Loop: Header=BB290_26 Depth=1
	s_add_i32 s0, s6, -1
	s_cmp_eq_u32 s0, 1
	s_cselect_b64 vcc, -1, 0
	s_cmp_eq_u32 s0, 2
	v_cndmask_b32_e32 v48, v0, v53, vcc
	s_cselect_b64 vcc, -1, 0
	s_cmp_eq_u32 s0, 3
	v_cndmask_b32_e32 v48, v48, v1, vcc
	;; [unrolled: 3-line block ×62, first 2 shown]
	s_cselect_b64 vcc, -1, 0
	s_cmp_eq_u32 s6, 1
	s_cselect_b64 s[0:1], -1, 0
	s_cmp_eq_u32 s6, 2
	v_cndmask_b32_e64 v49, v0, v53, s[0:1]
	s_cselect_b64 s[0:1], -1, 0
	s_cmp_eq_u32 s6, 3
	v_cndmask_b32_e64 v49, v49, v1, s[0:1]
	;; [unrolled: 3-line block ×61, first 2 shown]
	v_cndmask_b32_e32 v48, v48, v84, vcc
	s_cselect_b64 vcc, -1, 0
	s_cmp_eq_u32 s6, 63
	v_cndmask_b32_e32 v49, v49, v31, vcc
	s_cselect_b64 vcc, -1, 0
	v_cndmask_b32_e32 v49, v49, v84, vcc
	s_add_u32 s6, s6, 16
	v_add_f16_e32 v48, v48, v49
	s_addc_u32 s7, s7, 0
	v_add_f16_e32 v53, v48, v85
	v_lshl_add_u64 v[48:49], v[46:47], 1, v[50:51]
	s_cmpk_lg_i32 s6, 0x4f
	v_add_u32_e32 v52, 32, v52
	global_store_short v[48:49], v53, off
	s_cbranch_scc0 .LBB290_42
.LBB290_26:                             ; =>This Inner Loop Header: Depth=1
	v_mad_i64_i32 v[48:49], s[0:1], v52, s8, 0
	v_cndmask_b32_e64 v50, 0, 1, s[4:5]
	v_lshl_add_u64 v[48:49], v[48:49], 1, s[12:13]
	v_mov_b32_e32 v85, 0
	v_cmp_ne_u32_e64 s[0:1], 1, v50
	s_andn2_b64 vcc, exec, s[4:5]
	v_mov_b32_e32 v50, 0
	s_cbranch_vccnz .LBB290_28
; %bb.27:                               ;   in Loop: Header=BB290_26 Depth=1
	v_lshl_add_u64 v[50:51], v[32:33], 1, v[48:49]
	global_load_ushort v50, v[50:51], off
	s_waitcnt vmcnt(0)
	v_mul_f16_e32 v50, s22, v50
.LBB290_28:                             ;   in Loop: Header=BB290_26 Depth=1
	s_add_i32 s10, s6, -15
	s_cmp_eq_u32 s10, 1
	v_lshrrev_b32_e32 v53, 16, v0
	s_cselect_b64 vcc, -1, 0
	s_cmp_eq_u32 s10, 2
	v_cndmask_b32_e32 v51, v0, v53, vcc
	s_cselect_b64 vcc, -1, 0
	s_cmp_eq_u32 s10, 3
	v_cndmask_b32_e32 v51, v51, v1, vcc
	v_lshrrev_b32_e32 v54, 16, v1
	s_cselect_b64 vcc, -1, 0
	s_cmp_eq_u32 s10, 4
	v_cndmask_b32_e32 v51, v51, v54, vcc
	s_cselect_b64 vcc, -1, 0
	s_cmp_eq_u32 s10, 5
	v_cndmask_b32_e32 v51, v51, v4, vcc
	v_lshrrev_b32_e32 v55, 16, v4
	s_cselect_b64 vcc, -1, 0
	s_cmp_eq_u32 s10, 6
	v_cndmask_b32_e32 v51, v51, v55, vcc
	s_cselect_b64 vcc, -1, 0
	s_cmp_eq_u32 s10, 7
	v_cndmask_b32_e32 v51, v51, v5, vcc
	v_lshrrev_b32_e32 v56, 16, v5
	s_cselect_b64 vcc, -1, 0
	s_cmp_eq_u32 s10, 8
	v_cndmask_b32_e32 v51, v51, v56, vcc
	s_cselect_b64 vcc, -1, 0
	s_cmp_eq_u32 s10, 9
	v_cndmask_b32_e32 v51, v51, v16, vcc
	v_lshrrev_b32_e32 v57, 16, v16
	s_cselect_b64 vcc, -1, 0
	s_cmp_eq_u32 s10, 10
	v_cndmask_b32_e32 v51, v51, v57, vcc
	s_cselect_b64 vcc, -1, 0
	s_cmp_eq_u32 s10, 11
	v_cndmask_b32_e32 v51, v51, v23, vcc
	v_lshrrev_b32_e32 v58, 16, v23
	s_cselect_b64 vcc, -1, 0
	s_cmp_eq_u32 s10, 12
	v_cndmask_b32_e32 v51, v51, v58, vcc
	s_cselect_b64 vcc, -1, 0
	s_cmp_eq_u32 s10, 13
	v_cndmask_b32_e32 v51, v51, v24, vcc
	v_lshrrev_b32_e32 v59, 16, v24
	s_cselect_b64 vcc, -1, 0
	s_cmp_eq_u32 s10, 14
	v_cndmask_b32_e32 v51, v51, v59, vcc
	s_cselect_b64 vcc, -1, 0
	s_cmp_eq_u32 s10, 15
	v_cndmask_b32_e32 v51, v51, v7, vcc
	v_lshrrev_b32_e32 v60, 16, v7
	s_cselect_b64 vcc, -1, 0
	s_cmp_eq_u32 s10, 16
	v_cndmask_b32_e32 v51, v51, v60, vcc
	s_cselect_b64 vcc, -1, 0
	s_cmp_eq_u32 s10, 17
	v_cndmask_b32_e32 v51, v51, v8, vcc
	v_lshrrev_b32_e32 v61, 16, v8
	s_cselect_b64 vcc, -1, 0
	s_cmp_eq_u32 s10, 18
	v_cndmask_b32_e32 v51, v51, v61, vcc
	s_cselect_b64 vcc, -1, 0
	s_cmp_eq_u32 s10, 19
	v_cndmask_b32_e32 v51, v51, v11, vcc
	v_lshrrev_b32_e32 v62, 16, v11
	s_cselect_b64 vcc, -1, 0
	s_cmp_eq_u32 s10, 20
	v_cndmask_b32_e32 v51, v51, v62, vcc
	s_cselect_b64 vcc, -1, 0
	s_cmp_eq_u32 s10, 21
	v_cndmask_b32_e32 v51, v51, v12, vcc
	v_lshrrev_b32_e32 v63, 16, v12
	s_cselect_b64 vcc, -1, 0
	s_cmp_eq_u32 s10, 22
	v_cndmask_b32_e32 v51, v51, v63, vcc
	s_cselect_b64 vcc, -1, 0
	s_cmp_eq_u32 s10, 23
	v_cndmask_b32_e32 v51, v51, v17, vcc
	v_lshrrev_b32_e32 v64, 16, v17
	s_cselect_b64 vcc, -1, 0
	s_cmp_eq_u32 s10, 24
	v_cndmask_b32_e32 v51, v51, v64, vcc
	s_cselect_b64 vcc, -1, 0
	s_cmp_eq_u32 s10, 25
	v_cndmask_b32_e32 v51, v51, v18, vcc
	v_lshrrev_b32_e32 v65, 16, v18
	s_cselect_b64 vcc, -1, 0
	s_cmp_eq_u32 s10, 26
	v_cndmask_b32_e32 v51, v51, v65, vcc
	s_cselect_b64 vcc, -1, 0
	s_cmp_eq_u32 s10, 27
	v_cndmask_b32_e32 v51, v51, v25, vcc
	v_lshrrev_b32_e32 v66, 16, v25
	s_cselect_b64 vcc, -1, 0
	s_cmp_eq_u32 s10, 28
	v_cndmask_b32_e32 v51, v51, v66, vcc
	s_cselect_b64 vcc, -1, 0
	s_cmp_eq_u32 s10, 29
	v_cndmask_b32_e32 v51, v51, v26, vcc
	v_lshrrev_b32_e32 v67, 16, v26
	s_cselect_b64 vcc, -1, 0
	s_cmp_eq_u32 s10, 30
	v_cndmask_b32_e32 v51, v51, v67, vcc
	s_cselect_b64 vcc, -1, 0
	s_cmp_eq_u32 s10, 31
	v_cndmask_b32_e32 v51, v51, v15, vcc
	v_lshrrev_b32_e32 v68, 16, v15
	s_cselect_b64 vcc, -1, 0
	s_cmp_eq_u32 s10, 32
	v_cndmask_b32_e32 v51, v51, v68, vcc
	s_cselect_b64 vcc, -1, 0
	s_cmp_eq_u32 s10, 33
	v_cndmask_b32_e32 v51, v51, v2, vcc
	v_lshrrev_b32_e32 v69, 16, v2
	s_cselect_b64 vcc, -1, 0
	s_cmp_eq_u32 s10, 34
	v_cndmask_b32_e32 v51, v51, v69, vcc
	s_cselect_b64 vcc, -1, 0
	s_cmp_eq_u32 s10, 35
	v_cndmask_b32_e32 v51, v51, v3, vcc
	v_lshrrev_b32_e32 v70, 16, v3
	s_cselect_b64 vcc, -1, 0
	s_cmp_eq_u32 s10, 36
	v_cndmask_b32_e32 v51, v51, v70, vcc
	s_cselect_b64 vcc, -1, 0
	s_cmp_eq_u32 s10, 37
	v_cndmask_b32_e32 v51, v51, v6, vcc
	v_lshrrev_b32_e32 v71, 16, v6
	s_cselect_b64 vcc, -1, 0
	s_cmp_eq_u32 s10, 38
	v_cndmask_b32_e32 v51, v51, v71, vcc
	s_cselect_b64 vcc, -1, 0
	s_cmp_eq_u32 s10, 39
	v_cndmask_b32_e32 v51, v51, v19, vcc
	v_lshrrev_b32_e32 v72, 16, v19
	s_cselect_b64 vcc, -1, 0
	s_cmp_eq_u32 s10, 40
	v_cndmask_b32_e32 v51, v51, v72, vcc
	s_cselect_b64 vcc, -1, 0
	s_cmp_eq_u32 s10, 41
	v_cndmask_b32_e32 v51, v51, v20, vcc
	v_lshrrev_b32_e32 v73, 16, v20
	s_cselect_b64 vcc, -1, 0
	s_cmp_eq_u32 s10, 42
	v_cndmask_b32_e32 v51, v51, v73, vcc
	s_cselect_b64 vcc, -1, 0
	s_cmp_eq_u32 s10, 43
	v_cndmask_b32_e32 v51, v51, v27, vcc
	v_lshrrev_b32_e32 v74, 16, v27
	s_cselect_b64 vcc, -1, 0
	s_cmp_eq_u32 s10, 44
	v_cndmask_b32_e32 v51, v51, v74, vcc
	s_cselect_b64 vcc, -1, 0
	s_cmp_eq_u32 s10, 45
	v_cndmask_b32_e32 v51, v51, v28, vcc
	v_lshrrev_b32_e32 v75, 16, v28
	s_cselect_b64 vcc, -1, 0
	s_cmp_eq_u32 s10, 46
	v_cndmask_b32_e32 v51, v51, v75, vcc
	s_cselect_b64 vcc, -1, 0
	s_cmp_eq_u32 s10, 47
	v_cndmask_b32_e32 v51, v51, v9, vcc
	v_lshrrev_b32_e32 v76, 16, v9
	s_cselect_b64 vcc, -1, 0
	s_cmp_eq_u32 s10, 48
	v_cndmask_b32_e32 v51, v51, v76, vcc
	s_cselect_b64 vcc, -1, 0
	s_cmp_eq_u32 s10, 49
	v_cndmask_b32_e32 v51, v51, v10, vcc
	v_lshrrev_b32_e32 v77, 16, v10
	s_cselect_b64 vcc, -1, 0
	s_cmp_eq_u32 s10, 50
	v_cndmask_b32_e32 v51, v51, v77, vcc
	s_cselect_b64 vcc, -1, 0
	s_cmp_eq_u32 s10, 51
	v_cndmask_b32_e32 v51, v51, v13, vcc
	v_lshrrev_b32_e32 v78, 16, v13
	s_cselect_b64 vcc, -1, 0
	s_cmp_eq_u32 s10, 52
	v_cndmask_b32_e32 v51, v51, v78, vcc
	s_cselect_b64 vcc, -1, 0
	s_cmp_eq_u32 s10, 53
	v_cndmask_b32_e32 v51, v51, v14, vcc
	v_lshrrev_b32_e32 v79, 16, v14
	s_cselect_b64 vcc, -1, 0
	s_cmp_eq_u32 s10, 54
	v_cndmask_b32_e32 v51, v51, v79, vcc
	s_cselect_b64 vcc, -1, 0
	s_cmp_eq_u32 s10, 55
	v_cndmask_b32_e32 v51, v51, v21, vcc
	v_lshrrev_b32_e32 v80, 16, v21
	s_cselect_b64 vcc, -1, 0
	s_cmp_eq_u32 s10, 56
	v_cndmask_b32_e32 v51, v51, v80, vcc
	s_cselect_b64 vcc, -1, 0
	s_cmp_eq_u32 s10, 57
	v_cndmask_b32_e32 v51, v51, v22, vcc
	v_lshrrev_b32_e32 v81, 16, v22
	s_cselect_b64 vcc, -1, 0
	s_cmp_eq_u32 s10, 58
	v_cndmask_b32_e32 v51, v51, v81, vcc
	s_cselect_b64 vcc, -1, 0
	s_cmp_eq_u32 s10, 59
	v_cndmask_b32_e32 v51, v51, v29, vcc
	v_lshrrev_b32_e32 v82, 16, v29
	s_cselect_b64 vcc, -1, 0
	s_cmp_eq_u32 s10, 60
	v_cndmask_b32_e32 v51, v51, v82, vcc
	s_cselect_b64 vcc, -1, 0
	s_cmp_eq_u32 s10, 61
	v_cndmask_b32_e32 v51, v51, v30, vcc
	v_lshrrev_b32_e32 v83, 16, v30
	s_cselect_b64 vcc, -1, 0
	s_cmp_eq_u32 s10, 62
	v_cndmask_b32_e32 v51, v51, v83, vcc
	s_cselect_b64 vcc, -1, 0
	s_cmp_eq_u32 s10, 63
	v_cndmask_b32_e32 v51, v51, v31, vcc
	s_cselect_b64 vcc, -1, 0
	s_add_i32 s10, s6, -14
	v_lshrrev_b32_e32 v84, 16, v31
	s_cmp_eq_u32 s10, 1
	v_cndmask_b32_e32 v51, v51, v84, vcc
	s_cselect_b64 vcc, -1, 0
	s_cmp_eq_u32 s10, 2
	v_cndmask_b32_e32 v86, v0, v53, vcc
	s_cselect_b64 vcc, -1, 0
	;; [unrolled: 3-line block ×63, first 2 shown]
	v_cndmask_b32_e32 v86, v86, v84, vcc
	v_add_f16_e32 v51, v51, v86
	v_add_f16_e32 v88, v51, v50
	v_mad_i64_i32 v[50:51], s[10:11], v52, s9, 0
	v_lshl_add_u64 v[50:51], v[50:51], 1, s[2:3]
	v_lshl_add_u64 v[86:87], v[32:33], 1, v[50:51]
	s_and_b64 vcc, exec, s[0:1]
	global_store_short v[86:87], v88, off
	s_cbranch_vccnz .LBB290_30
; %bb.29:                               ;   in Loop: Header=BB290_26 Depth=1
	v_lshl_add_u64 v[86:87], v[34:35], 1, v[48:49]
	global_load_ushort v85, v[86:87], off
	s_waitcnt vmcnt(0)
	v_mul_f16_e32 v85, s22, v85
.LBB290_30:                             ;   in Loop: Header=BB290_26 Depth=1
	s_add_i32 s10, s6, -13
	s_cmp_eq_u32 s10, 1
	s_cselect_b64 vcc, -1, 0
	s_cmp_eq_u32 s10, 2
	v_cndmask_b32_e32 v86, v0, v53, vcc
	s_cselect_b64 vcc, -1, 0
	s_cmp_eq_u32 s10, 3
	v_cndmask_b32_e32 v86, v86, v1, vcc
	;; [unrolled: 3-line block ×62, first 2 shown]
	s_cselect_b64 vcc, -1, 0
	s_add_i32 s10, s6, -12
	s_cmp_eq_u32 s10, 1
	v_cndmask_b32_e32 v86, v86, v84, vcc
	s_cselect_b64 vcc, -1, 0
	s_cmp_eq_u32 s10, 2
	v_cndmask_b32_e32 v87, v0, v53, vcc
	s_cselect_b64 vcc, -1, 0
	;; [unrolled: 3-line block ×63, first 2 shown]
	v_cndmask_b32_e32 v87, v87, v84, vcc
	v_add_f16_e32 v86, v86, v87
	v_add_f16_e32 v85, v86, v85
	v_lshl_add_u64 v[86:87], v[34:35], 1, v[50:51]
	global_store_short v[86:87], v85, off
	s_and_b64 vcc, exec, s[0:1]
	v_mov_b32_e32 v85, 0
	v_mov_b32_e32 v86, 0
	s_cbranch_vccnz .LBB290_32
; %bb.31:                               ;   in Loop: Header=BB290_26 Depth=1
	v_lshl_add_u64 v[86:87], v[36:37], 1, v[48:49]
	global_load_ushort v86, v[86:87], off
	s_waitcnt vmcnt(0)
	v_mul_f16_e32 v86, s22, v86
.LBB290_32:                             ;   in Loop: Header=BB290_26 Depth=1
	s_add_i32 s10, s6, -11
	s_cmp_eq_u32 s10, 1
	s_cselect_b64 vcc, -1, 0
	s_cmp_eq_u32 s10, 2
	v_cndmask_b32_e32 v87, v0, v53, vcc
	s_cselect_b64 vcc, -1, 0
	s_cmp_eq_u32 s10, 3
	v_cndmask_b32_e32 v87, v87, v1, vcc
	;; [unrolled: 3-line block ×62, first 2 shown]
	s_cselect_b64 vcc, -1, 0
	s_add_i32 s10, s6, -10
	s_cmp_eq_u32 s10, 1
	v_cndmask_b32_e32 v87, v87, v84, vcc
	s_cselect_b64 vcc, -1, 0
	s_cmp_eq_u32 s10, 2
	v_cndmask_b32_e32 v88, v0, v53, vcc
	s_cselect_b64 vcc, -1, 0
	;; [unrolled: 3-line block ×63, first 2 shown]
	v_cndmask_b32_e32 v88, v88, v84, vcc
	v_add_f16_e32 v87, v87, v88
	v_add_f16_e32 v88, v87, v86
	v_lshl_add_u64 v[86:87], v[36:37], 1, v[50:51]
	s_and_b64 vcc, exec, s[0:1]
	global_store_short v[86:87], v88, off
	s_cbranch_vccnz .LBB290_34
; %bb.33:                               ;   in Loop: Header=BB290_26 Depth=1
	v_lshl_add_u64 v[86:87], v[38:39], 1, v[48:49]
	global_load_ushort v85, v[86:87], off
	s_waitcnt vmcnt(0)
	v_mul_f16_e32 v85, s22, v85
.LBB290_34:                             ;   in Loop: Header=BB290_26 Depth=1
	s_add_i32 s10, s6, -9
	s_cmp_eq_u32 s10, 1
	s_cselect_b64 vcc, -1, 0
	s_cmp_eq_u32 s10, 2
	v_cndmask_b32_e32 v86, v0, v53, vcc
	s_cselect_b64 vcc, -1, 0
	s_cmp_eq_u32 s10, 3
	v_cndmask_b32_e32 v86, v86, v1, vcc
	s_cselect_b64 vcc, -1, 0
	s_cmp_eq_u32 s10, 4
	v_cndmask_b32_e32 v86, v86, v54, vcc
	s_cselect_b64 vcc, -1, 0
	s_cmp_eq_u32 s10, 5
	v_cndmask_b32_e32 v86, v86, v4, vcc
	s_cselect_b64 vcc, -1, 0
	s_cmp_eq_u32 s10, 6
	v_cndmask_b32_e32 v86, v86, v55, vcc
	s_cselect_b64 vcc, -1, 0
	s_cmp_eq_u32 s10, 7
	v_cndmask_b32_e32 v86, v86, v5, vcc
	s_cselect_b64 vcc, -1, 0
	s_cmp_eq_u32 s10, 8
	v_cndmask_b32_e32 v86, v86, v56, vcc
	s_cselect_b64 vcc, -1, 0
	s_cmp_eq_u32 s10, 9
	v_cndmask_b32_e32 v86, v86, v16, vcc
	s_cselect_b64 vcc, -1, 0
	s_cmp_eq_u32 s10, 10
	v_cndmask_b32_e32 v86, v86, v57, vcc
	s_cselect_b64 vcc, -1, 0
	s_cmp_eq_u32 s10, 11
	v_cndmask_b32_e32 v86, v86, v23, vcc
	s_cselect_b64 vcc, -1, 0
	s_cmp_eq_u32 s10, 12
	v_cndmask_b32_e32 v86, v86, v58, vcc
	s_cselect_b64 vcc, -1, 0
	s_cmp_eq_u32 s10, 13
	v_cndmask_b32_e32 v86, v86, v24, vcc
	s_cselect_b64 vcc, -1, 0
	s_cmp_eq_u32 s10, 14
	v_cndmask_b32_e32 v86, v86, v59, vcc
	s_cselect_b64 vcc, -1, 0
	s_cmp_eq_u32 s10, 15
	v_cndmask_b32_e32 v86, v86, v7, vcc
	s_cselect_b64 vcc, -1, 0
	s_cmp_eq_u32 s10, 16
	v_cndmask_b32_e32 v86, v86, v60, vcc
	s_cselect_b64 vcc, -1, 0
	s_cmp_eq_u32 s10, 17
	v_cndmask_b32_e32 v86, v86, v8, vcc
	s_cselect_b64 vcc, -1, 0
	s_cmp_eq_u32 s10, 18
	v_cndmask_b32_e32 v86, v86, v61, vcc
	s_cselect_b64 vcc, -1, 0
	s_cmp_eq_u32 s10, 19
	v_cndmask_b32_e32 v86, v86, v11, vcc
	s_cselect_b64 vcc, -1, 0
	s_cmp_eq_u32 s10, 20
	v_cndmask_b32_e32 v86, v86, v62, vcc
	s_cselect_b64 vcc, -1, 0
	s_cmp_eq_u32 s10, 21
	v_cndmask_b32_e32 v86, v86, v12, vcc
	s_cselect_b64 vcc, -1, 0
	s_cmp_eq_u32 s10, 22
	v_cndmask_b32_e32 v86, v86, v63, vcc
	s_cselect_b64 vcc, -1, 0
	s_cmp_eq_u32 s10, 23
	v_cndmask_b32_e32 v86, v86, v17, vcc
	s_cselect_b64 vcc, -1, 0
	s_cmp_eq_u32 s10, 24
	v_cndmask_b32_e32 v86, v86, v64, vcc
	s_cselect_b64 vcc, -1, 0
	s_cmp_eq_u32 s10, 25
	v_cndmask_b32_e32 v86, v86, v18, vcc
	s_cselect_b64 vcc, -1, 0
	s_cmp_eq_u32 s10, 26
	v_cndmask_b32_e32 v86, v86, v65, vcc
	s_cselect_b64 vcc, -1, 0
	s_cmp_eq_u32 s10, 27
	v_cndmask_b32_e32 v86, v86, v25, vcc
	s_cselect_b64 vcc, -1, 0
	s_cmp_eq_u32 s10, 28
	v_cndmask_b32_e32 v86, v86, v66, vcc
	s_cselect_b64 vcc, -1, 0
	s_cmp_eq_u32 s10, 29
	v_cndmask_b32_e32 v86, v86, v26, vcc
	s_cselect_b64 vcc, -1, 0
	s_cmp_eq_u32 s10, 30
	v_cndmask_b32_e32 v86, v86, v67, vcc
	s_cselect_b64 vcc, -1, 0
	s_cmp_eq_u32 s10, 31
	v_cndmask_b32_e32 v86, v86, v15, vcc
	s_cselect_b64 vcc, -1, 0
	s_cmp_eq_u32 s10, 32
	v_cndmask_b32_e32 v86, v86, v68, vcc
	s_cselect_b64 vcc, -1, 0
	s_cmp_eq_u32 s10, 33
	v_cndmask_b32_e32 v86, v86, v2, vcc
	s_cselect_b64 vcc, -1, 0
	s_cmp_eq_u32 s10, 34
	v_cndmask_b32_e32 v86, v86, v69, vcc
	s_cselect_b64 vcc, -1, 0
	s_cmp_eq_u32 s10, 35
	v_cndmask_b32_e32 v86, v86, v3, vcc
	s_cselect_b64 vcc, -1, 0
	s_cmp_eq_u32 s10, 36
	v_cndmask_b32_e32 v86, v86, v70, vcc
	s_cselect_b64 vcc, -1, 0
	s_cmp_eq_u32 s10, 37
	v_cndmask_b32_e32 v86, v86, v6, vcc
	s_cselect_b64 vcc, -1, 0
	s_cmp_eq_u32 s10, 38
	v_cndmask_b32_e32 v86, v86, v71, vcc
	s_cselect_b64 vcc, -1, 0
	s_cmp_eq_u32 s10, 39
	v_cndmask_b32_e32 v86, v86, v19, vcc
	s_cselect_b64 vcc, -1, 0
	s_cmp_eq_u32 s10, 40
	v_cndmask_b32_e32 v86, v86, v72, vcc
	s_cselect_b64 vcc, -1, 0
	s_cmp_eq_u32 s10, 41
	v_cndmask_b32_e32 v86, v86, v20, vcc
	s_cselect_b64 vcc, -1, 0
	s_cmp_eq_u32 s10, 42
	v_cndmask_b32_e32 v86, v86, v73, vcc
	s_cselect_b64 vcc, -1, 0
	s_cmp_eq_u32 s10, 43
	v_cndmask_b32_e32 v86, v86, v27, vcc
	s_cselect_b64 vcc, -1, 0
	s_cmp_eq_u32 s10, 44
	v_cndmask_b32_e32 v86, v86, v74, vcc
	s_cselect_b64 vcc, -1, 0
	s_cmp_eq_u32 s10, 45
	v_cndmask_b32_e32 v86, v86, v28, vcc
	s_cselect_b64 vcc, -1, 0
	s_cmp_eq_u32 s10, 46
	v_cndmask_b32_e32 v86, v86, v75, vcc
	s_cselect_b64 vcc, -1, 0
	s_cmp_eq_u32 s10, 47
	v_cndmask_b32_e32 v86, v86, v9, vcc
	s_cselect_b64 vcc, -1, 0
	s_cmp_eq_u32 s10, 48
	v_cndmask_b32_e32 v86, v86, v76, vcc
	s_cselect_b64 vcc, -1, 0
	s_cmp_eq_u32 s10, 49
	v_cndmask_b32_e32 v86, v86, v10, vcc
	s_cselect_b64 vcc, -1, 0
	s_cmp_eq_u32 s10, 50
	v_cndmask_b32_e32 v86, v86, v77, vcc
	s_cselect_b64 vcc, -1, 0
	s_cmp_eq_u32 s10, 51
	v_cndmask_b32_e32 v86, v86, v13, vcc
	s_cselect_b64 vcc, -1, 0
	s_cmp_eq_u32 s10, 52
	v_cndmask_b32_e32 v86, v86, v78, vcc
	s_cselect_b64 vcc, -1, 0
	s_cmp_eq_u32 s10, 53
	v_cndmask_b32_e32 v86, v86, v14, vcc
	s_cselect_b64 vcc, -1, 0
	s_cmp_eq_u32 s10, 54
	v_cndmask_b32_e32 v86, v86, v79, vcc
	s_cselect_b64 vcc, -1, 0
	s_cmp_eq_u32 s10, 55
	v_cndmask_b32_e32 v86, v86, v21, vcc
	s_cselect_b64 vcc, -1, 0
	s_cmp_eq_u32 s10, 56
	v_cndmask_b32_e32 v86, v86, v80, vcc
	s_cselect_b64 vcc, -1, 0
	s_cmp_eq_u32 s10, 57
	v_cndmask_b32_e32 v86, v86, v22, vcc
	s_cselect_b64 vcc, -1, 0
	s_cmp_eq_u32 s10, 58
	v_cndmask_b32_e32 v86, v86, v81, vcc
	s_cselect_b64 vcc, -1, 0
	s_cmp_eq_u32 s10, 59
	v_cndmask_b32_e32 v86, v86, v29, vcc
	s_cselect_b64 vcc, -1, 0
	s_cmp_eq_u32 s10, 60
	v_cndmask_b32_e32 v86, v86, v82, vcc
	s_cselect_b64 vcc, -1, 0
	s_cmp_eq_u32 s10, 61
	v_cndmask_b32_e32 v86, v86, v30, vcc
	s_cselect_b64 vcc, -1, 0
	s_cmp_eq_u32 s10, 62
	v_cndmask_b32_e32 v86, v86, v83, vcc
	s_cselect_b64 vcc, -1, 0
	s_cmp_eq_u32 s10, 63
	v_cndmask_b32_e32 v86, v86, v31, vcc
	s_cselect_b64 vcc, -1, 0
	s_add_i32 s10, s6, -8
	s_cmp_eq_u32 s10, 1
	v_cndmask_b32_e32 v86, v86, v84, vcc
	s_cselect_b64 vcc, -1, 0
	s_cmp_eq_u32 s10, 2
	v_cndmask_b32_e32 v87, v0, v53, vcc
	s_cselect_b64 vcc, -1, 0
	;; [unrolled: 3-line block ×63, first 2 shown]
	v_cndmask_b32_e32 v87, v87, v84, vcc
	v_add_f16_e32 v86, v86, v87
	v_add_f16_e32 v85, v86, v85
	v_lshl_add_u64 v[86:87], v[38:39], 1, v[50:51]
	global_store_short v[86:87], v85, off
	s_and_b64 vcc, exec, s[0:1]
	v_mov_b32_e32 v85, 0
	v_mov_b32_e32 v86, 0
	s_cbranch_vccnz .LBB290_36
; %bb.35:                               ;   in Loop: Header=BB290_26 Depth=1
	v_lshl_add_u64 v[86:87], v[40:41], 1, v[48:49]
	global_load_ushort v86, v[86:87], off
	s_waitcnt vmcnt(0)
	v_mul_f16_e32 v86, s22, v86
.LBB290_36:                             ;   in Loop: Header=BB290_26 Depth=1
	s_add_i32 s10, s6, -7
	s_cmp_eq_u32 s10, 1
	s_cselect_b64 vcc, -1, 0
	s_cmp_eq_u32 s10, 2
	v_cndmask_b32_e32 v87, v0, v53, vcc
	s_cselect_b64 vcc, -1, 0
	s_cmp_eq_u32 s10, 3
	v_cndmask_b32_e32 v87, v87, v1, vcc
	;; [unrolled: 3-line block ×62, first 2 shown]
	s_cselect_b64 vcc, -1, 0
	s_add_i32 s10, s6, -6
	s_cmp_eq_u32 s10, 1
	v_cndmask_b32_e32 v87, v87, v84, vcc
	s_cselect_b64 vcc, -1, 0
	s_cmp_eq_u32 s10, 2
	v_cndmask_b32_e32 v88, v0, v53, vcc
	s_cselect_b64 vcc, -1, 0
	;; [unrolled: 3-line block ×63, first 2 shown]
	v_cndmask_b32_e32 v88, v88, v84, vcc
	v_add_f16_e32 v87, v87, v88
	v_add_f16_e32 v88, v87, v86
	v_lshl_add_u64 v[86:87], v[40:41], 1, v[50:51]
	s_and_b64 vcc, exec, s[0:1]
	global_store_short v[86:87], v88, off
	s_cbranch_vccnz .LBB290_38
; %bb.37:                               ;   in Loop: Header=BB290_26 Depth=1
	v_lshl_add_u64 v[86:87], v[42:43], 1, v[48:49]
	global_load_ushort v85, v[86:87], off
	s_waitcnt vmcnt(0)
	v_mul_f16_e32 v85, s22, v85
.LBB290_38:                             ;   in Loop: Header=BB290_26 Depth=1
	s_add_i32 s10, s6, -5
	s_cmp_eq_u32 s10, 1
	s_cselect_b64 vcc, -1, 0
	s_cmp_eq_u32 s10, 2
	v_cndmask_b32_e32 v86, v0, v53, vcc
	s_cselect_b64 vcc, -1, 0
	s_cmp_eq_u32 s10, 3
	v_cndmask_b32_e32 v86, v86, v1, vcc
	;; [unrolled: 3-line block ×62, first 2 shown]
	s_cselect_b64 vcc, -1, 0
	s_add_i32 s10, s6, -4
	s_cmp_eq_u32 s10, 1
	v_cndmask_b32_e32 v86, v86, v84, vcc
	s_cselect_b64 vcc, -1, 0
	s_cmp_eq_u32 s10, 2
	v_cndmask_b32_e32 v87, v0, v53, vcc
	s_cselect_b64 vcc, -1, 0
	s_cmp_eq_u32 s10, 3
	v_cndmask_b32_e32 v87, v87, v1, vcc
	s_cselect_b64 vcc, -1, 0
	s_cmp_eq_u32 s10, 4
	v_cndmask_b32_e32 v87, v87, v54, vcc
	s_cselect_b64 vcc, -1, 0
	s_cmp_eq_u32 s10, 5
	v_cndmask_b32_e32 v87, v87, v4, vcc
	s_cselect_b64 vcc, -1, 0
	s_cmp_eq_u32 s10, 6
	v_cndmask_b32_e32 v87, v87, v55, vcc
	s_cselect_b64 vcc, -1, 0
	s_cmp_eq_u32 s10, 7
	v_cndmask_b32_e32 v87, v87, v5, vcc
	s_cselect_b64 vcc, -1, 0
	s_cmp_eq_u32 s10, 8
	v_cndmask_b32_e32 v87, v87, v56, vcc
	s_cselect_b64 vcc, -1, 0
	s_cmp_eq_u32 s10, 9
	v_cndmask_b32_e32 v87, v87, v16, vcc
	s_cselect_b64 vcc, -1, 0
	s_cmp_eq_u32 s10, 10
	v_cndmask_b32_e32 v87, v87, v57, vcc
	s_cselect_b64 vcc, -1, 0
	s_cmp_eq_u32 s10, 11
	v_cndmask_b32_e32 v87, v87, v23, vcc
	s_cselect_b64 vcc, -1, 0
	s_cmp_eq_u32 s10, 12
	v_cndmask_b32_e32 v87, v87, v58, vcc
	s_cselect_b64 vcc, -1, 0
	s_cmp_eq_u32 s10, 13
	v_cndmask_b32_e32 v87, v87, v24, vcc
	s_cselect_b64 vcc, -1, 0
	s_cmp_eq_u32 s10, 14
	v_cndmask_b32_e32 v87, v87, v59, vcc
	s_cselect_b64 vcc, -1, 0
	s_cmp_eq_u32 s10, 15
	v_cndmask_b32_e32 v87, v87, v7, vcc
	s_cselect_b64 vcc, -1, 0
	s_cmp_eq_u32 s10, 16
	v_cndmask_b32_e32 v87, v87, v60, vcc
	s_cselect_b64 vcc, -1, 0
	s_cmp_eq_u32 s10, 17
	v_cndmask_b32_e32 v87, v87, v8, vcc
	s_cselect_b64 vcc, -1, 0
	s_cmp_eq_u32 s10, 18
	v_cndmask_b32_e32 v87, v87, v61, vcc
	s_cselect_b64 vcc, -1, 0
	s_cmp_eq_u32 s10, 19
	v_cndmask_b32_e32 v87, v87, v11, vcc
	s_cselect_b64 vcc, -1, 0
	s_cmp_eq_u32 s10, 20
	v_cndmask_b32_e32 v87, v87, v62, vcc
	s_cselect_b64 vcc, -1, 0
	s_cmp_eq_u32 s10, 21
	v_cndmask_b32_e32 v87, v87, v12, vcc
	s_cselect_b64 vcc, -1, 0
	s_cmp_eq_u32 s10, 22
	v_cndmask_b32_e32 v87, v87, v63, vcc
	s_cselect_b64 vcc, -1, 0
	s_cmp_eq_u32 s10, 23
	v_cndmask_b32_e32 v87, v87, v17, vcc
	s_cselect_b64 vcc, -1, 0
	s_cmp_eq_u32 s10, 24
	v_cndmask_b32_e32 v87, v87, v64, vcc
	s_cselect_b64 vcc, -1, 0
	s_cmp_eq_u32 s10, 25
	v_cndmask_b32_e32 v87, v87, v18, vcc
	s_cselect_b64 vcc, -1, 0
	s_cmp_eq_u32 s10, 26
	v_cndmask_b32_e32 v87, v87, v65, vcc
	s_cselect_b64 vcc, -1, 0
	s_cmp_eq_u32 s10, 27
	v_cndmask_b32_e32 v87, v87, v25, vcc
	s_cselect_b64 vcc, -1, 0
	s_cmp_eq_u32 s10, 28
	v_cndmask_b32_e32 v87, v87, v66, vcc
	s_cselect_b64 vcc, -1, 0
	s_cmp_eq_u32 s10, 29
	v_cndmask_b32_e32 v87, v87, v26, vcc
	s_cselect_b64 vcc, -1, 0
	s_cmp_eq_u32 s10, 30
	v_cndmask_b32_e32 v87, v87, v67, vcc
	s_cselect_b64 vcc, -1, 0
	s_cmp_eq_u32 s10, 31
	v_cndmask_b32_e32 v87, v87, v15, vcc
	s_cselect_b64 vcc, -1, 0
	s_cmp_eq_u32 s10, 32
	v_cndmask_b32_e32 v87, v87, v68, vcc
	s_cselect_b64 vcc, -1, 0
	s_cmp_eq_u32 s10, 33
	v_cndmask_b32_e32 v87, v87, v2, vcc
	s_cselect_b64 vcc, -1, 0
	s_cmp_eq_u32 s10, 34
	v_cndmask_b32_e32 v87, v87, v69, vcc
	s_cselect_b64 vcc, -1, 0
	s_cmp_eq_u32 s10, 35
	v_cndmask_b32_e32 v87, v87, v3, vcc
	s_cselect_b64 vcc, -1, 0
	s_cmp_eq_u32 s10, 36
	v_cndmask_b32_e32 v87, v87, v70, vcc
	s_cselect_b64 vcc, -1, 0
	s_cmp_eq_u32 s10, 37
	v_cndmask_b32_e32 v87, v87, v6, vcc
	s_cselect_b64 vcc, -1, 0
	s_cmp_eq_u32 s10, 38
	v_cndmask_b32_e32 v87, v87, v71, vcc
	s_cselect_b64 vcc, -1, 0
	s_cmp_eq_u32 s10, 39
	v_cndmask_b32_e32 v87, v87, v19, vcc
	s_cselect_b64 vcc, -1, 0
	s_cmp_eq_u32 s10, 40
	v_cndmask_b32_e32 v87, v87, v72, vcc
	s_cselect_b64 vcc, -1, 0
	s_cmp_eq_u32 s10, 41
	v_cndmask_b32_e32 v87, v87, v20, vcc
	s_cselect_b64 vcc, -1, 0
	s_cmp_eq_u32 s10, 42
	v_cndmask_b32_e32 v87, v87, v73, vcc
	s_cselect_b64 vcc, -1, 0
	s_cmp_eq_u32 s10, 43
	v_cndmask_b32_e32 v87, v87, v27, vcc
	s_cselect_b64 vcc, -1, 0
	s_cmp_eq_u32 s10, 44
	v_cndmask_b32_e32 v87, v87, v74, vcc
	s_cselect_b64 vcc, -1, 0
	s_cmp_eq_u32 s10, 45
	v_cndmask_b32_e32 v87, v87, v28, vcc
	s_cselect_b64 vcc, -1, 0
	s_cmp_eq_u32 s10, 46
	v_cndmask_b32_e32 v87, v87, v75, vcc
	s_cselect_b64 vcc, -1, 0
	s_cmp_eq_u32 s10, 47
	v_cndmask_b32_e32 v87, v87, v9, vcc
	s_cselect_b64 vcc, -1, 0
	s_cmp_eq_u32 s10, 48
	v_cndmask_b32_e32 v87, v87, v76, vcc
	s_cselect_b64 vcc, -1, 0
	s_cmp_eq_u32 s10, 49
	v_cndmask_b32_e32 v87, v87, v10, vcc
	s_cselect_b64 vcc, -1, 0
	s_cmp_eq_u32 s10, 50
	v_cndmask_b32_e32 v87, v87, v77, vcc
	s_cselect_b64 vcc, -1, 0
	s_cmp_eq_u32 s10, 51
	v_cndmask_b32_e32 v87, v87, v13, vcc
	s_cselect_b64 vcc, -1, 0
	s_cmp_eq_u32 s10, 52
	v_cndmask_b32_e32 v87, v87, v78, vcc
	s_cselect_b64 vcc, -1, 0
	s_cmp_eq_u32 s10, 53
	v_cndmask_b32_e32 v87, v87, v14, vcc
	s_cselect_b64 vcc, -1, 0
	s_cmp_eq_u32 s10, 54
	v_cndmask_b32_e32 v87, v87, v79, vcc
	s_cselect_b64 vcc, -1, 0
	s_cmp_eq_u32 s10, 55
	v_cndmask_b32_e32 v87, v87, v21, vcc
	s_cselect_b64 vcc, -1, 0
	s_cmp_eq_u32 s10, 56
	v_cndmask_b32_e32 v87, v87, v80, vcc
	s_cselect_b64 vcc, -1, 0
	s_cmp_eq_u32 s10, 57
	v_cndmask_b32_e32 v87, v87, v22, vcc
	s_cselect_b64 vcc, -1, 0
	s_cmp_eq_u32 s10, 58
	v_cndmask_b32_e32 v87, v87, v81, vcc
	s_cselect_b64 vcc, -1, 0
	s_cmp_eq_u32 s10, 59
	v_cndmask_b32_e32 v87, v87, v29, vcc
	s_cselect_b64 vcc, -1, 0
	s_cmp_eq_u32 s10, 60
	v_cndmask_b32_e32 v87, v87, v82, vcc
	s_cselect_b64 vcc, -1, 0
	s_cmp_eq_u32 s10, 61
	v_cndmask_b32_e32 v87, v87, v30, vcc
	s_cselect_b64 vcc, -1, 0
	s_cmp_eq_u32 s10, 62
	v_cndmask_b32_e32 v87, v87, v83, vcc
	s_cselect_b64 vcc, -1, 0
	s_cmp_eq_u32 s10, 63
	v_cndmask_b32_e32 v87, v87, v31, vcc
	s_cselect_b64 vcc, -1, 0
	v_cndmask_b32_e32 v87, v87, v84, vcc
	v_add_f16_e32 v86, v86, v87
	v_add_f16_e32 v85, v86, v85
	v_lshl_add_u64 v[86:87], v[42:43], 1, v[50:51]
	global_store_short v[86:87], v85, off
	s_and_b64 vcc, exec, s[0:1]
	v_mov_b32_e32 v85, 0
	v_mov_b32_e32 v86, 0
	s_cbranch_vccnz .LBB290_40
; %bb.39:                               ;   in Loop: Header=BB290_26 Depth=1
	v_lshl_add_u64 v[86:87], v[44:45], 1, v[48:49]
	global_load_ushort v86, v[86:87], off
	s_waitcnt vmcnt(0)
	v_mul_f16_e32 v86, s22, v86
.LBB290_40:                             ;   in Loop: Header=BB290_26 Depth=1
	s_add_i32 s10, s6, -3
	s_cmp_eq_u32 s10, 1
	s_cselect_b64 vcc, -1, 0
	s_cmp_eq_u32 s10, 2
	v_cndmask_b32_e32 v87, v0, v53, vcc
	s_cselect_b64 vcc, -1, 0
	s_cmp_eq_u32 s10, 3
	v_cndmask_b32_e32 v87, v87, v1, vcc
	s_cselect_b64 vcc, -1, 0
	s_cmp_eq_u32 s10, 4
	v_cndmask_b32_e32 v87, v87, v54, vcc
	s_cselect_b64 vcc, -1, 0
	s_cmp_eq_u32 s10, 5
	v_cndmask_b32_e32 v87, v87, v4, vcc
	s_cselect_b64 vcc, -1, 0
	s_cmp_eq_u32 s10, 6
	v_cndmask_b32_e32 v87, v87, v55, vcc
	s_cselect_b64 vcc, -1, 0
	s_cmp_eq_u32 s10, 7
	v_cndmask_b32_e32 v87, v87, v5, vcc
	s_cselect_b64 vcc, -1, 0
	s_cmp_eq_u32 s10, 8
	v_cndmask_b32_e32 v87, v87, v56, vcc
	s_cselect_b64 vcc, -1, 0
	s_cmp_eq_u32 s10, 9
	v_cndmask_b32_e32 v87, v87, v16, vcc
	s_cselect_b64 vcc, -1, 0
	s_cmp_eq_u32 s10, 10
	v_cndmask_b32_e32 v87, v87, v57, vcc
	s_cselect_b64 vcc, -1, 0
	s_cmp_eq_u32 s10, 11
	v_cndmask_b32_e32 v87, v87, v23, vcc
	s_cselect_b64 vcc, -1, 0
	s_cmp_eq_u32 s10, 12
	v_cndmask_b32_e32 v87, v87, v58, vcc
	s_cselect_b64 vcc, -1, 0
	s_cmp_eq_u32 s10, 13
	v_cndmask_b32_e32 v87, v87, v24, vcc
	s_cselect_b64 vcc, -1, 0
	s_cmp_eq_u32 s10, 14
	v_cndmask_b32_e32 v87, v87, v59, vcc
	s_cselect_b64 vcc, -1, 0
	s_cmp_eq_u32 s10, 15
	v_cndmask_b32_e32 v87, v87, v7, vcc
	s_cselect_b64 vcc, -1, 0
	s_cmp_eq_u32 s10, 16
	v_cndmask_b32_e32 v87, v87, v60, vcc
	s_cselect_b64 vcc, -1, 0
	s_cmp_eq_u32 s10, 17
	v_cndmask_b32_e32 v87, v87, v8, vcc
	s_cselect_b64 vcc, -1, 0
	s_cmp_eq_u32 s10, 18
	v_cndmask_b32_e32 v87, v87, v61, vcc
	s_cselect_b64 vcc, -1, 0
	s_cmp_eq_u32 s10, 19
	v_cndmask_b32_e32 v87, v87, v11, vcc
	s_cselect_b64 vcc, -1, 0
	s_cmp_eq_u32 s10, 20
	v_cndmask_b32_e32 v87, v87, v62, vcc
	s_cselect_b64 vcc, -1, 0
	s_cmp_eq_u32 s10, 21
	v_cndmask_b32_e32 v87, v87, v12, vcc
	s_cselect_b64 vcc, -1, 0
	s_cmp_eq_u32 s10, 22
	v_cndmask_b32_e32 v87, v87, v63, vcc
	s_cselect_b64 vcc, -1, 0
	s_cmp_eq_u32 s10, 23
	v_cndmask_b32_e32 v87, v87, v17, vcc
	s_cselect_b64 vcc, -1, 0
	s_cmp_eq_u32 s10, 24
	v_cndmask_b32_e32 v87, v87, v64, vcc
	s_cselect_b64 vcc, -1, 0
	s_cmp_eq_u32 s10, 25
	v_cndmask_b32_e32 v87, v87, v18, vcc
	s_cselect_b64 vcc, -1, 0
	s_cmp_eq_u32 s10, 26
	v_cndmask_b32_e32 v87, v87, v65, vcc
	s_cselect_b64 vcc, -1, 0
	s_cmp_eq_u32 s10, 27
	v_cndmask_b32_e32 v87, v87, v25, vcc
	s_cselect_b64 vcc, -1, 0
	s_cmp_eq_u32 s10, 28
	v_cndmask_b32_e32 v87, v87, v66, vcc
	s_cselect_b64 vcc, -1, 0
	s_cmp_eq_u32 s10, 29
	v_cndmask_b32_e32 v87, v87, v26, vcc
	s_cselect_b64 vcc, -1, 0
	s_cmp_eq_u32 s10, 30
	v_cndmask_b32_e32 v87, v87, v67, vcc
	s_cselect_b64 vcc, -1, 0
	s_cmp_eq_u32 s10, 31
	v_cndmask_b32_e32 v87, v87, v15, vcc
	s_cselect_b64 vcc, -1, 0
	s_cmp_eq_u32 s10, 32
	v_cndmask_b32_e32 v87, v87, v68, vcc
	s_cselect_b64 vcc, -1, 0
	s_cmp_eq_u32 s10, 33
	v_cndmask_b32_e32 v87, v87, v2, vcc
	s_cselect_b64 vcc, -1, 0
	s_cmp_eq_u32 s10, 34
	v_cndmask_b32_e32 v87, v87, v69, vcc
	s_cselect_b64 vcc, -1, 0
	s_cmp_eq_u32 s10, 35
	v_cndmask_b32_e32 v87, v87, v3, vcc
	s_cselect_b64 vcc, -1, 0
	s_cmp_eq_u32 s10, 36
	v_cndmask_b32_e32 v87, v87, v70, vcc
	s_cselect_b64 vcc, -1, 0
	s_cmp_eq_u32 s10, 37
	v_cndmask_b32_e32 v87, v87, v6, vcc
	s_cselect_b64 vcc, -1, 0
	s_cmp_eq_u32 s10, 38
	v_cndmask_b32_e32 v87, v87, v71, vcc
	s_cselect_b64 vcc, -1, 0
	s_cmp_eq_u32 s10, 39
	v_cndmask_b32_e32 v87, v87, v19, vcc
	s_cselect_b64 vcc, -1, 0
	s_cmp_eq_u32 s10, 40
	v_cndmask_b32_e32 v87, v87, v72, vcc
	s_cselect_b64 vcc, -1, 0
	s_cmp_eq_u32 s10, 41
	v_cndmask_b32_e32 v87, v87, v20, vcc
	s_cselect_b64 vcc, -1, 0
	s_cmp_eq_u32 s10, 42
	v_cndmask_b32_e32 v87, v87, v73, vcc
	s_cselect_b64 vcc, -1, 0
	s_cmp_eq_u32 s10, 43
	v_cndmask_b32_e32 v87, v87, v27, vcc
	s_cselect_b64 vcc, -1, 0
	s_cmp_eq_u32 s10, 44
	v_cndmask_b32_e32 v87, v87, v74, vcc
	s_cselect_b64 vcc, -1, 0
	s_cmp_eq_u32 s10, 45
	v_cndmask_b32_e32 v87, v87, v28, vcc
	s_cselect_b64 vcc, -1, 0
	s_cmp_eq_u32 s10, 46
	v_cndmask_b32_e32 v87, v87, v75, vcc
	s_cselect_b64 vcc, -1, 0
	s_cmp_eq_u32 s10, 47
	v_cndmask_b32_e32 v87, v87, v9, vcc
	s_cselect_b64 vcc, -1, 0
	s_cmp_eq_u32 s10, 48
	v_cndmask_b32_e32 v87, v87, v76, vcc
	s_cselect_b64 vcc, -1, 0
	s_cmp_eq_u32 s10, 49
	v_cndmask_b32_e32 v87, v87, v10, vcc
	s_cselect_b64 vcc, -1, 0
	s_cmp_eq_u32 s10, 50
	v_cndmask_b32_e32 v87, v87, v77, vcc
	s_cselect_b64 vcc, -1, 0
	s_cmp_eq_u32 s10, 51
	v_cndmask_b32_e32 v87, v87, v13, vcc
	s_cselect_b64 vcc, -1, 0
	s_cmp_eq_u32 s10, 52
	v_cndmask_b32_e32 v87, v87, v78, vcc
	s_cselect_b64 vcc, -1, 0
	s_cmp_eq_u32 s10, 53
	v_cndmask_b32_e32 v87, v87, v14, vcc
	s_cselect_b64 vcc, -1, 0
	s_cmp_eq_u32 s10, 54
	v_cndmask_b32_e32 v87, v87, v79, vcc
	s_cselect_b64 vcc, -1, 0
	s_cmp_eq_u32 s10, 55
	v_cndmask_b32_e32 v87, v87, v21, vcc
	s_cselect_b64 vcc, -1, 0
	s_cmp_eq_u32 s10, 56
	v_cndmask_b32_e32 v87, v87, v80, vcc
	s_cselect_b64 vcc, -1, 0
	s_cmp_eq_u32 s10, 57
	v_cndmask_b32_e32 v87, v87, v22, vcc
	s_cselect_b64 vcc, -1, 0
	s_cmp_eq_u32 s10, 58
	v_cndmask_b32_e32 v87, v87, v81, vcc
	s_cselect_b64 vcc, -1, 0
	s_cmp_eq_u32 s10, 59
	v_cndmask_b32_e32 v87, v87, v29, vcc
	s_cselect_b64 vcc, -1, 0
	s_cmp_eq_u32 s10, 60
	v_cndmask_b32_e32 v87, v87, v82, vcc
	s_cselect_b64 vcc, -1, 0
	s_cmp_eq_u32 s10, 61
	v_cndmask_b32_e32 v87, v87, v30, vcc
	s_cselect_b64 vcc, -1, 0
	s_cmp_eq_u32 s10, 62
	v_cndmask_b32_e32 v87, v87, v83, vcc
	s_cselect_b64 vcc, -1, 0
	s_cmp_eq_u32 s10, 63
	v_cndmask_b32_e32 v87, v87, v31, vcc
	s_cselect_b64 vcc, -1, 0
	s_add_i32 s10, s6, -2
	s_cmp_eq_u32 s10, 1
	v_cndmask_b32_e32 v87, v87, v84, vcc
	s_cselect_b64 vcc, -1, 0
	s_cmp_eq_u32 s10, 2
	v_cndmask_b32_e32 v88, v0, v53, vcc
	s_cselect_b64 vcc, -1, 0
	;; [unrolled: 3-line block ×63, first 2 shown]
	v_cndmask_b32_e32 v88, v88, v84, vcc
	v_add_f16_e32 v87, v87, v88
	v_add_f16_e32 v88, v87, v86
	v_lshl_add_u64 v[86:87], v[44:45], 1, v[50:51]
	s_and_b64 vcc, exec, s[0:1]
	global_store_short v[86:87], v88, off
	s_cbranch_vccnz .LBB290_25
; %bb.41:                               ;   in Loop: Header=BB290_26 Depth=1
	v_lshl_add_u64 v[48:49], v[46:47], 1, v[48:49]
	global_load_ushort v48, v[48:49], off
	s_waitcnt vmcnt(0)
	v_mul_f16_e32 v85, s22, v48
	s_branch .LBB290_25
.LBB290_42:
	s_endpgm
	.section	.rodata,"a",@progbits
	.p2align	6, 0x0
	.amdhsa_kernel _ZN12_GLOBAL__N_120geam_min_plus_kernelIDF16_Dv2_DF16_S1_Li8ELi32ELi64ELi128ELi4ELi4ELi64ELi4ELi64ELc84ELc78ELb0ELb0ELb0EDF16_KDF16_DF16_EEviiiT16_PT17_ilS5_ilS3_S5_ilPT18_ili26rocblas_geam_ex_operation_
		.amdhsa_group_segment_fixed_size 3072
		.amdhsa_private_segment_fixed_size 0
		.amdhsa_kernarg_size 128
		.amdhsa_user_sgpr_count 2
		.amdhsa_user_sgpr_dispatch_ptr 0
		.amdhsa_user_sgpr_queue_ptr 0
		.amdhsa_user_sgpr_kernarg_segment_ptr 1
		.amdhsa_user_sgpr_dispatch_id 0
		.amdhsa_user_sgpr_kernarg_preload_length 0
		.amdhsa_user_sgpr_kernarg_preload_offset 0
		.amdhsa_user_sgpr_private_segment_size 0
		.amdhsa_uses_dynamic_stack 0
		.amdhsa_enable_private_segment 0
		.amdhsa_system_sgpr_workgroup_id_x 1
		.amdhsa_system_sgpr_workgroup_id_y 0
		.amdhsa_system_sgpr_workgroup_id_z 1
		.amdhsa_system_sgpr_workgroup_info 0
		.amdhsa_system_vgpr_workitem_id 1
		.amdhsa_next_free_vgpr 121
		.amdhsa_next_free_sgpr 26
		.amdhsa_accum_offset 124
		.amdhsa_reserve_vcc 1
		.amdhsa_float_round_mode_32 0
		.amdhsa_float_round_mode_16_64 0
		.amdhsa_float_denorm_mode_32 3
		.amdhsa_float_denorm_mode_16_64 3
		.amdhsa_dx10_clamp 1
		.amdhsa_ieee_mode 1
		.amdhsa_fp16_overflow 0
		.amdhsa_tg_split 0
		.amdhsa_exception_fp_ieee_invalid_op 0
		.amdhsa_exception_fp_denorm_src 0
		.amdhsa_exception_fp_ieee_div_zero 0
		.amdhsa_exception_fp_ieee_overflow 0
		.amdhsa_exception_fp_ieee_underflow 0
		.amdhsa_exception_fp_ieee_inexact 0
		.amdhsa_exception_int_div_zero 0
	.end_amdhsa_kernel
	.section	.text._ZN12_GLOBAL__N_120geam_min_plus_kernelIDF16_Dv2_DF16_S1_Li8ELi32ELi64ELi128ELi4ELi4ELi64ELi4ELi64ELc84ELc78ELb0ELb0ELb0EDF16_KDF16_DF16_EEviiiT16_PT17_ilS5_ilS3_S5_ilPT18_ili26rocblas_geam_ex_operation_,"axG",@progbits,_ZN12_GLOBAL__N_120geam_min_plus_kernelIDF16_Dv2_DF16_S1_Li8ELi32ELi64ELi128ELi4ELi4ELi64ELi4ELi64ELc84ELc78ELb0ELb0ELb0EDF16_KDF16_DF16_EEviiiT16_PT17_ilS5_ilS3_S5_ilPT18_ili26rocblas_geam_ex_operation_,comdat
.Lfunc_end290:
	.size	_ZN12_GLOBAL__N_120geam_min_plus_kernelIDF16_Dv2_DF16_S1_Li8ELi32ELi64ELi128ELi4ELi4ELi64ELi4ELi64ELc84ELc78ELb0ELb0ELb0EDF16_KDF16_DF16_EEviiiT16_PT17_ilS5_ilS3_S5_ilPT18_ili26rocblas_geam_ex_operation_, .Lfunc_end290-_ZN12_GLOBAL__N_120geam_min_plus_kernelIDF16_Dv2_DF16_S1_Li8ELi32ELi64ELi128ELi4ELi4ELi64ELi4ELi64ELc84ELc78ELb0ELb0ELb0EDF16_KDF16_DF16_EEviiiT16_PT17_ilS5_ilS3_S5_ilPT18_ili26rocblas_geam_ex_operation_
                                        ; -- End function
	.set _ZN12_GLOBAL__N_120geam_min_plus_kernelIDF16_Dv2_DF16_S1_Li8ELi32ELi64ELi128ELi4ELi4ELi64ELi4ELi64ELc84ELc78ELb0ELb0ELb0EDF16_KDF16_DF16_EEviiiT16_PT17_ilS5_ilS3_S5_ilPT18_ili26rocblas_geam_ex_operation_.num_vgpr, 121
	.set _ZN12_GLOBAL__N_120geam_min_plus_kernelIDF16_Dv2_DF16_S1_Li8ELi32ELi64ELi128ELi4ELi4ELi64ELi4ELi64ELc84ELc78ELb0ELb0ELb0EDF16_KDF16_DF16_EEviiiT16_PT17_ilS5_ilS3_S5_ilPT18_ili26rocblas_geam_ex_operation_.num_agpr, 0
	.set _ZN12_GLOBAL__N_120geam_min_plus_kernelIDF16_Dv2_DF16_S1_Li8ELi32ELi64ELi128ELi4ELi4ELi64ELi4ELi64ELc84ELc78ELb0ELb0ELb0EDF16_KDF16_DF16_EEviiiT16_PT17_ilS5_ilS3_S5_ilPT18_ili26rocblas_geam_ex_operation_.numbered_sgpr, 26
	.set _ZN12_GLOBAL__N_120geam_min_plus_kernelIDF16_Dv2_DF16_S1_Li8ELi32ELi64ELi128ELi4ELi4ELi64ELi4ELi64ELc84ELc78ELb0ELb0ELb0EDF16_KDF16_DF16_EEviiiT16_PT17_ilS5_ilS3_S5_ilPT18_ili26rocblas_geam_ex_operation_.num_named_barrier, 0
	.set _ZN12_GLOBAL__N_120geam_min_plus_kernelIDF16_Dv2_DF16_S1_Li8ELi32ELi64ELi128ELi4ELi4ELi64ELi4ELi64ELc84ELc78ELb0ELb0ELb0EDF16_KDF16_DF16_EEviiiT16_PT17_ilS5_ilS3_S5_ilPT18_ili26rocblas_geam_ex_operation_.private_seg_size, 0
	.set _ZN12_GLOBAL__N_120geam_min_plus_kernelIDF16_Dv2_DF16_S1_Li8ELi32ELi64ELi128ELi4ELi4ELi64ELi4ELi64ELc84ELc78ELb0ELb0ELb0EDF16_KDF16_DF16_EEviiiT16_PT17_ilS5_ilS3_S5_ilPT18_ili26rocblas_geam_ex_operation_.uses_vcc, 1
	.set _ZN12_GLOBAL__N_120geam_min_plus_kernelIDF16_Dv2_DF16_S1_Li8ELi32ELi64ELi128ELi4ELi4ELi64ELi4ELi64ELc84ELc78ELb0ELb0ELb0EDF16_KDF16_DF16_EEviiiT16_PT17_ilS5_ilS3_S5_ilPT18_ili26rocblas_geam_ex_operation_.uses_flat_scratch, 0
	.set _ZN12_GLOBAL__N_120geam_min_plus_kernelIDF16_Dv2_DF16_S1_Li8ELi32ELi64ELi128ELi4ELi4ELi64ELi4ELi64ELc84ELc78ELb0ELb0ELb0EDF16_KDF16_DF16_EEviiiT16_PT17_ilS5_ilS3_S5_ilPT18_ili26rocblas_geam_ex_operation_.has_dyn_sized_stack, 0
	.set _ZN12_GLOBAL__N_120geam_min_plus_kernelIDF16_Dv2_DF16_S1_Li8ELi32ELi64ELi128ELi4ELi4ELi64ELi4ELi64ELc84ELc78ELb0ELb0ELb0EDF16_KDF16_DF16_EEviiiT16_PT17_ilS5_ilS3_S5_ilPT18_ili26rocblas_geam_ex_operation_.has_recursion, 0
	.set _ZN12_GLOBAL__N_120geam_min_plus_kernelIDF16_Dv2_DF16_S1_Li8ELi32ELi64ELi128ELi4ELi4ELi64ELi4ELi64ELc84ELc78ELb0ELb0ELb0EDF16_KDF16_DF16_EEviiiT16_PT17_ilS5_ilS3_S5_ilPT18_ili26rocblas_geam_ex_operation_.has_indirect_call, 0
	.section	.AMDGPU.csdata,"",@progbits
; Kernel info:
; codeLenInByte = 19760
; TotalNumSgprs: 32
; NumVgprs: 121
; NumAgprs: 0
; TotalNumVgprs: 121
; ScratchSize: 0
; MemoryBound: 0
; FloatMode: 240
; IeeeMode: 1
; LDSByteSize: 3072 bytes/workgroup (compile time only)
; SGPRBlocks: 3
; VGPRBlocks: 15
; NumSGPRsForWavesPerEU: 32
; NumVGPRsForWavesPerEU: 121
; AccumOffset: 124
; Occupancy: 4
; WaveLimiterHint : 0
; COMPUTE_PGM_RSRC2:SCRATCH_EN: 0
; COMPUTE_PGM_RSRC2:USER_SGPR: 2
; COMPUTE_PGM_RSRC2:TRAP_HANDLER: 0
; COMPUTE_PGM_RSRC2:TGID_X_EN: 1
; COMPUTE_PGM_RSRC2:TGID_Y_EN: 0
; COMPUTE_PGM_RSRC2:TGID_Z_EN: 1
; COMPUTE_PGM_RSRC2:TIDIG_COMP_CNT: 1
; COMPUTE_PGM_RSRC3_GFX90A:ACCUM_OFFSET: 30
; COMPUTE_PGM_RSRC3_GFX90A:TG_SPLIT: 0
	.section	.text._ZN12_GLOBAL__N_120geam_min_plus_kernelIDF16_Dv2_DF16_S1_Li8ELi32ELi64ELi128ELi4ELi4ELi64ELi4ELi64ELc84ELc78ELb0ELb1ELb0EPKDF16_S2_DF16_EEviiiT16_PT17_ilS6_ilS4_S6_ilPT18_ili26rocblas_geam_ex_operation_,"axG",@progbits,_ZN12_GLOBAL__N_120geam_min_plus_kernelIDF16_Dv2_DF16_S1_Li8ELi32ELi64ELi128ELi4ELi4ELi64ELi4ELi64ELc84ELc78ELb0ELb1ELb0EPKDF16_S2_DF16_EEviiiT16_PT17_ilS6_ilS4_S6_ilPT18_ili26rocblas_geam_ex_operation_,comdat
	.globl	_ZN12_GLOBAL__N_120geam_min_plus_kernelIDF16_Dv2_DF16_S1_Li8ELi32ELi64ELi128ELi4ELi4ELi64ELi4ELi64ELc84ELc78ELb0ELb1ELb0EPKDF16_S2_DF16_EEviiiT16_PT17_ilS6_ilS4_S6_ilPT18_ili26rocblas_geam_ex_operation_ ; -- Begin function _ZN12_GLOBAL__N_120geam_min_plus_kernelIDF16_Dv2_DF16_S1_Li8ELi32ELi64ELi128ELi4ELi4ELi64ELi4ELi64ELc84ELc78ELb0ELb1ELb0EPKDF16_S2_DF16_EEviiiT16_PT17_ilS6_ilS4_S6_ilPT18_ili26rocblas_geam_ex_operation_
	.p2align	8
	.type	_ZN12_GLOBAL__N_120geam_min_plus_kernelIDF16_Dv2_DF16_S1_Li8ELi32ELi64ELi128ELi4ELi4ELi64ELi4ELi64ELc84ELc78ELb0ELb1ELb0EPKDF16_S2_DF16_EEviiiT16_PT17_ilS6_ilS4_S6_ilPT18_ili26rocblas_geam_ex_operation_,@function
_ZN12_GLOBAL__N_120geam_min_plus_kernelIDF16_Dv2_DF16_S1_Li8ELi32ELi64ELi128ELi4ELi4ELi64ELi4ELi64ELc84ELc78ELb0ELb1ELb0EPKDF16_S2_DF16_EEviiiT16_PT17_ilS6_ilS4_S6_ilPT18_ili26rocblas_geam_ex_operation_: ; @_ZN12_GLOBAL__N_120geam_min_plus_kernelIDF16_Dv2_DF16_S1_Li8ELi32ELi64ELi128ELi4ELi4ELi64ELi4ELi64ELc84ELc78ELb0ELb1ELb0EPKDF16_S2_DF16_EEviiiT16_PT17_ilS6_ilS4_S6_ilPT18_ili26rocblas_geam_ex_operation_
; %bb.0:
	s_load_dwordx4 s[4:7], s[0:1], 0x10
	s_load_dwordx4 s[8:11], s[0:1], 0x28
	s_load_dwordx4 s[12:15], s[0:1], 0x40
	s_mov_b32 s16, s3
	s_mov_b32 s17, 0
	s_lshl_b64 s[18:19], s[16:17], 1
	s_waitcnt lgkmcnt(0)
	s_add_u32 s4, s4, s18
	s_addc_u32 s5, s5, s19
	v_mov_b32_e32 v1, 0
	global_load_ushort v34, v1, s[4:5]
	s_add_u32 s4, s14, s18
	s_addc_u32 s5, s15, s19
	global_load_ushort v44, v1, s[4:5]
	s_load_dwordx2 s[20:21], s[0:1], 0x50
	s_mov_b64 s[18:19], 0
	s_mov_b64 s[26:27], 0
	s_waitcnt vmcnt(1)
	v_cmp_eq_f16_e32 vcc, 0, v34
	v_cmp_neq_f16_e64 s[4:5], 0, v34
	s_cbranch_vccnz .LBB291_2
; %bb.1:
	s_mul_i32 s3, s9, s16
	s_mul_hi_u32 s9, s8, s16
	s_add_i32 s9, s9, s3
	s_mul_i32 s8, s8, s16
	s_lshl_b64 s[8:9], s[8:9], 1
	s_add_u32 s26, s6, s8
	s_addc_u32 s27, s7, s9
.LBB291_2:
	s_andn2_b64 vcc, exec, s[4:5]
	s_cbranch_vccnz .LBB291_4
; %bb.3:
	s_mul_i32 s3, s13, s16
	s_mul_hi_u32 s6, s12, s16
	s_add_i32 s7, s6, s3
	s_mul_i32 s6, s12, s16
	s_lshl_b64 s[6:7], s[6:7], 1
	s_add_u32 s18, s10, s6
	s_addc_u32 s19, s11, s7
.LBB291_4:
	s_load_dwordx4 s[12:15], s[0:1], 0x60
	s_waitcnt vmcnt(0)
	v_cmp_eq_f16_e32 vcc, 0, v44
	v_cmp_neq_f16_e64 s[8:9], 0, v44
	s_cbranch_vccnz .LBB291_6
; %bb.5:
	s_waitcnt lgkmcnt(0)
	s_mul_i32 s3, s13, s16
	s_mul_hi_u32 s6, s12, s16
	s_add_i32 s7, s6, s3
	s_mul_i32 s6, s12, s16
	s_lshl_b64 s[6:7], s[6:7], 1
	s_add_u32 s24, s20, s6
	s_addc_u32 s25, s21, s7
	s_branch .LBB291_7
.LBB291_6:
	s_mov_b64 s[24:25], 0
.LBB291_7:
	s_waitcnt lgkmcnt(0)
	s_load_dwordx4 s[20:23], s[0:1], 0x0
	s_load_dword s3, s[0:1], 0x20
	v_and_b32_e32 v32, 0x3ff, v0
	v_bfe_u32 v33, v0, 10, 10
	v_lshl_add_u32 v2, v33, 3, v32
	s_waitcnt lgkmcnt(0)
	s_add_i32 s6, s20, -1
	s_ashr_i32 s7, s6, 31
	s_lshr_b32 s7, s7, 26
	s_add_i32 s6, s6, s7
	s_ashr_i32 s10, s6, 6
	s_add_i32 s11, s10, 1
	v_cvt_f32_u32_e32 v1, s11
	s_not_b32 s10, s10
	v_lshrrev_b32_e32 v4, 2, v2
	v_and_b32_e32 v35, 3, v0
	v_rcp_iflag_f32_e32 v1, v1
	v_cmp_gt_i32_e64 s[6:7], s22, v35
	v_mov_b32_e32 v8, 0
	v_lshlrev_b32_e32 v0, 1, v35
	v_mul_f32_e32 v1, 0x4f7ffffe, v1
	v_cvt_u32_f32_e32 v1, v1
	v_mov_b32_e32 v9, 0
	v_readfirstlane_b32 s12, v1
	s_mul_i32 s10, s10, s12
	s_mul_hi_u32 s10, s12, s10
	s_add_i32 s12, s12, s10
	s_mul_hi_u32 s10, s2, s12
	s_mul_i32 s12, s10, s11
	s_sub_i32 s12, s2, s12
	s_add_i32 s13, s10, 1
	s_sub_i32 s17, s12, s11
	s_cmp_ge_u32 s12, s11
	s_cselect_b32 s10, s13, s10
	s_cselect_b32 s12, s17, s12
	s_add_i32 s13, s10, 1
	s_cmp_ge_u32 s12, s11
	s_cselect_b32 s10, s13, s10
	s_mul_i32 s31, s10, s11
	s_sub_i32 s11, s2, s31
	s_lshl_b32 s17, s11, 6
	v_add_u32_e32 v10, s17, v4
	v_cmp_gt_i32_e32 vcc, s20, v10
	s_and_b64 s[6:7], s[6:7], vcc
	s_and_b64 s[12:13], s[4:5], s[6:7]
	s_and_saveexec_b64 s[6:7], s[12:13]
	s_cbranch_execz .LBB291_9
; %bb.8:
	v_mad_i64_i32 v[2:3], s[12:13], v10, s3, 0
	v_lshl_add_u64 v[2:3], v[2:3], 1, s[26:27]
	v_mov_b32_e32 v1, 0
	v_lshl_add_u64 v[2:3], v[2:3], 0, v[0:1]
	global_load_ushort v1, v[2:3], off
	s_waitcnt vmcnt(0)
	v_mul_f16_e32 v9, v34, v1
.LBB291_9:
	s_or_b64 exec, exec, s[6:7]
	s_load_dword s33, s[0:1], 0x38
	s_lshl_b32 s30, s10, 7
	v_add_u32_e32 v5, s30, v4
	s_add_i32 s23, s22, -1
	v_min_i32_e32 v2, s23, v35
	v_cmp_le_i32_e64 s[10:11], s21, v5
	s_xor_b64 s[28:29], s[4:5], -1
	v_cmp_le_i32_e64 s[6:7], s22, v35
	v_ashrrev_i32_e32 v3, 31, v2
	s_or_b64 s[12:13], s[10:11], s[28:29]
	v_lshl_add_u64 v[2:3], v[2:3], 1, s[18:19]
	s_nor_b64 s[34:35], s[6:7], s[12:13]
	s_and_saveexec_b64 s[10:11], s[34:35]
	s_cbranch_execz .LBB291_11
; %bb.10:
	s_waitcnt lgkmcnt(0)
	v_mad_i64_i32 v[6:7], s[34:35], v5, s33, 0
	v_lshl_add_u64 v[6:7], v[6:7], 1, v[2:3]
	global_load_ushort v1, v[6:7], off
	s_waitcnt vmcnt(0)
	v_mul_f16_e32 v8, v34, v1
.LBB291_11:
	s_or_b64 exec, exec, s[10:11]
	v_add_u32_e32 v6, 64, v5
	v_cmp_le_i32_e64 s[10:11], s21, v6
	s_or_b64 s[10:11], s[10:11], s[28:29]
	s_nor_b64 s[28:29], s[6:7], s[10:11]
	v_mov_b32_e32 v7, 0
	v_mov_b32_e32 v11, 0
	s_and_saveexec_b64 s[6:7], s[28:29]
	s_cbranch_execz .LBB291_13
; %bb.12:
	s_waitcnt lgkmcnt(0)
	v_mad_i64_i32 v[12:13], s[28:29], v6, s33, 0
	v_lshl_add_u64 v[2:3], v[12:13], 1, v[2:3]
	global_load_ushort v1, v[2:3], off
	s_waitcnt vmcnt(0)
	v_mul_f16_e32 v11, v34, v1
.LBB291_13:
	s_or_b64 exec, exec, s[6:7]
	v_or_b32_e32 v2, 4, v35
	v_cmp_gt_i32_e64 s[6:7], s22, v2
	s_and_b64 s[6:7], s[6:7], vcc
	s_and_b64 s[28:29], s[4:5], s[6:7]
	s_and_saveexec_b64 s[6:7], s[28:29]
	s_cbranch_execz .LBB291_15
; %bb.14:
	v_mad_i64_i32 v[12:13], s[28:29], v10, s3, 0
	v_lshl_add_u64 v[12:13], v[12:13], 1, s[26:27]
	v_mov_b32_e32 v1, 0
	v_lshl_add_u64 v[0:1], v[12:13], 0, v[0:1]
	global_load_ushort v0, v[0:1], off offset:8
	s_waitcnt vmcnt(0)
	v_mul_f16_e32 v7, v34, v0
.LBB291_15:
	s_or_b64 exec, exec, s[6:7]
	v_min_i32_e32 v0, s23, v2
	v_cmp_le_i32_e64 s[6:7], s22, v2
	v_ashrrev_i32_e32 v1, 31, v0
	v_lshl_add_u64 v[0:1], v[0:1], 1, s[18:19]
	s_nor_b64 s[34:35], s[6:7], s[12:13]
	v_mov_b32_e32 v2, 0
	v_mov_b32_e32 v3, 0
	s_and_saveexec_b64 s[28:29], s[34:35]
	s_cbranch_execz .LBB291_17
; %bb.16:
	s_waitcnt lgkmcnt(0)
	v_mad_i64_i32 v[12:13], s[34:35], v5, s33, 0
	v_lshl_add_u64 v[12:13], v[12:13], 1, v[0:1]
	global_load_ushort v3, v[12:13], off
	s_waitcnt vmcnt(0)
	v_mul_f16_e32 v3, v34, v3
.LBB291_17:
	s_or_b64 exec, exec, s[28:29]
	s_nor_b64 s[28:29], s[6:7], s[10:11]
	s_and_saveexec_b64 s[6:7], s[28:29]
	s_cbranch_execz .LBB291_19
; %bb.18:
	s_waitcnt lgkmcnt(0)
	v_mad_i64_i32 v[12:13], s[28:29], v6, s33, 0
	v_lshl_add_u64 v[0:1], v[12:13], 1, v[0:1]
	global_load_ushort v0, v[0:1], off
	s_waitcnt vmcnt(0)
	v_mul_f16_e32 v2, v34, v0
.LBB291_19:
	s_or_b64 exec, exec, s[6:7]
	v_lshlrev_b32_e32 v0, 3, v4
	v_lshl_or_b32 v38, v35, 1, v0
	v_lshlrev_b32_e32 v37, 3, v32
	v_lshlrev_b32_e32 v36, 3, v33
	ds_write_b16 v38, v9 offset:2048
	ds_write_b16 v38, v8
	ds_write_b16 v38, v11 offset:512
	s_waitcnt lgkmcnt(0)
	s_barrier
	ds_read2_b64 v[8:11], v36 offset1:32
	v_add_u32_e32 v39, 0x800, v37
	ds_read2_b64 v[12:15], v39 offset0:48 offset1:56
	ds_read2_b64 v[16:19], v36 offset0:64 offset1:96
	ds_read2_b64 v[20:23], v39 offset1:8
	ds_read2_b64 v[24:27], v39 offset0:16 offset1:24
	ds_read2_b64 v[28:31], v39 offset0:32 offset1:40
	s_waitcnt lgkmcnt(5)
	v_pk_max_f16 v0, v8, v8
	s_waitcnt lgkmcnt(4)
	v_pk_max_f16 v1, v14, v14
	v_pk_max_f16 v10, v10, v10
	v_pk_min_f16 v8, v1, v0
	s_waitcnt lgkmcnt(3)
	v_pk_max_f16 v14, v16, v16
	s_waitcnt lgkmcnt(2)
	v_pk_max_f16 v16, v20, v20
	v_pk_max_f16 v18, v18, v18
	;; [unrolled: 1-line block ×3, first 2 shown]
	s_waitcnt lgkmcnt(1)
	v_pk_max_f16 v24, v24, v24
	v_pk_max_f16 v26, v26, v26
	s_waitcnt lgkmcnt(0)
	v_pk_max_f16 v28, v28, v28
	v_pk_max_f16 v9, v9, v9
	;; [unrolled: 1-line block ×5, first 2 shown]
	v_pk_min_f16 v20, v16, v0
	v_pk_min_f16 v40, v16, v10
	;; [unrolled: 1-line block ×17, first 2 shown]
	v_pk_max_f16 v11, v11, v11
	v_pk_min_f16 v57, v28, v10
	v_pk_min_f16 v62, v28, v14
	;; [unrolled: 1-line block ×14, first 2 shown]
	v_pk_add_f16 v8, v8, 0
	v_pk_min_f16 v18, v15, v9
	v_pk_max_f16 v17, v17, v17
	v_pk_add_f16 v69, v8, v18
	v_pk_add_f16 v8, v50, 0
	v_pk_min_f16 v18, v15, v11
	v_pk_max_f16 v21, v21, v21
	v_pk_add_f16 v61, v8, v18
	;; [unrolled: 4-line block ×5, first 2 shown]
	v_pk_add_f16 v8, v41, 0
	v_pk_min_f16 v18, v21, v17
	v_pk_min_f16 v40, v27, v9
	v_pk_add_f16 v60, v8, v18
	v_pk_add_f16 v8, v16, 0
	v_pk_min_f16 v16, v21, v19
	v_pk_add_f16 v20, v26, 0
	v_pk_add_f16 v52, v8, v16
	v_pk_add_f16 v8, v42, 0
	v_pk_min_f16 v16, v23, v9
	v_pk_add_f16 v21, v56, 0
	;; [unrolled: 4-line block ×5, first 2 shown]
	v_pk_add_f16 v51, v8, v16
	v_pk_max_f16 v16, v25, v25
	v_pk_add_f16 v8, v46, 0
	v_pk_min_f16 v18, v16, v9
	v_pk_add_f16 v23, v62, 0
	v_pk_add_f16 v75, v8, v18
	;; [unrolled: 1-line block ×3, first 2 shown]
	v_pk_min_f16 v18, v16, v11
	v_pk_add_f16 v25, v63, 0
	v_pk_add_f16 v66, v8, v18
	v_pk_add_f16 v8, v48, 0
	v_pk_min_f16 v18, v16, v17
	v_pk_min_f16 v16, v16, v19
	v_pk_add_f16 v58, v8, v18
	v_pk_add_f16 v8, v24, 0
	;; [unrolled: 1-line block ×7, first 2 shown]
	v_pk_min_f16 v8, v27, v11
	v_pk_add_f16 v24, v28, 0
	v_pk_add_f16 v28, v65, 0
	;; [unrolled: 1-line block ×3, first 2 shown]
	v_pk_min_f16 v8, v27, v17
	v_pk_add_f16 v0, v0, 0
	v_pk_add_f16 v57, v18, v8
	v_pk_min_f16 v8, v27, v19
	v_pk_add_f16 v10, v10, 0
	v_pk_add_f16 v49, v20, v8
	v_pk_max_f16 v8, v29, v29
	v_pk_add_f16 v14, v14, 0
	v_pk_min_f16 v16, v8, v9
	v_pk_add_f16 v12, v12, 0
	v_pk_add_f16 v73, v21, v16
	v_pk_min_f16 v16, v8, v11
	v_pk_add_f16 v1, v1, 0
	v_pk_add_f16 v64, v22, v16
	v_pk_min_f16 v16, v8, v17
	v_pk_min_f16 v8, v8, v19
	v_pk_add_f16 v56, v23, v16
	v_pk_add_f16 v48, v24, v8
	v_pk_max_f16 v8, v31, v31
	s_mov_b32 s28, 0
	v_pk_min_f16 v16, v8, v9
	s_cmp_lt_i32 s22, 9
	v_pk_add_f16 v72, v25, v16
	v_pk_min_f16 v16, v8, v11
	ds_write_b16 v38, v7 offset:2560
	ds_write_b16 v38, v3 offset:1024
	;; [unrolled: 1-line block ×3, first 2 shown]
	v_pk_add_f16 v63, v26, v16
	v_pk_min_f16 v16, v8, v17
	v_pk_min_f16 v8, v8, v19
	v_pk_add_f16 v55, v28, v16
	v_pk_add_f16 v47, v30, v8
	v_pk_max_f16 v8, v13, v13
	s_waitcnt lgkmcnt(0)
	v_pk_min_f16 v9, v8, v9
	s_barrier
	v_pk_add_f16 v71, v0, v9
	v_pk_min_f16 v0, v8, v11
	s_nop 0
	v_pk_add_f16 v62, v10, v0
	v_pk_min_f16 v0, v8, v17
	s_nop 0
	;; [unrolled: 3-line block ×4, first 2 shown]
	v_pk_add_f16 v45, v1, v0
	s_cbranch_scc1 .LBB291_34
; %bb.20:
	v_mov_b32_e32 v0, 0xa00
	v_lshl_add_u32 v43, v32, 3, v0
	v_mov_b32_e32 v0, 0x400
	v_lshl_add_u32 v70, v33, 3, v0
	v_lshl_add_u32 v0, s2, 6, v4
	s_lshl_b32 s2, s31, 6
	v_subrev_u32_e32 v0, s2, v0
	v_and_b32_e32 v2, 3, v32
	v_mad_i64_i32 v[0:1], s[2:3], s3, v0, 0
	v_lshlrev_b32_e32 v2, 1, v2
	v_mov_b32_e32 v3, 0
	v_lshl_add_u64 v[0:1], v[0:1], 1, v[2:3]
	v_lshl_add_u64 v[0:1], s[26:27], 0, v[0:1]
	v_add_u32_e32 v40, 0x800, v38
	v_add_u32_e32 v41, 0xa00, v38
	;; [unrolled: 1-line block ×3, first 2 shown]
	s_add_i32 s29, s22, -8
	v_mad_i64_i32 v[24:25], s[6:7], v5, s33, 0
	v_mad_i64_i32 v[26:27], s[6:7], v6, s33, 0
	v_lshl_add_u64 v[28:29], v[0:1], 0, 16
	s_branch .LBB291_22
.LBB291_21:                             ;   in Loop: Header=BB291_22 Depth=1
	s_or_b64 exec, exec, s[2:3]
	v_pk_max_f16 v2, v2, v2
	v_pk_max_f16 v20, v20, v20
	;; [unrolled: 1-line block ×7, first 2 shown]
	v_pk_min_f16 v30, v2, v20
	v_pk_min_f16 v31, v2, v22
	v_pk_max_f16 v12, v12, v12
	v_pk_max_f16 v14, v14, v14
	;; [unrolled: 1-line block ×10, first 2 shown]
	v_pk_min_f16 v93, v4, v20
	v_pk_max_f16 v9, v9, v9
	v_pk_max_f16 v11, v11, v11
	v_pk_min_f16 v94, v4, v22
	v_pk_max_f16 v5, v5, v5
	v_pk_max_f16 v7, v7, v7
	v_pk_min_f16 v95, v4, v16
	v_pk_min_f16 v4, v4, v18
	v_pk_max_f16 v0, v0, v0
	v_pk_max_f16 v3, v3, v3
	;; [unrolled: 1-line block ×3, first 2 shown]
	v_pk_min_f16 v96, v6, v20
	v_pk_min_f16 v97, v6, v22
	;; [unrolled: 1-line block ×58, first 2 shown]
	v_pk_add_f16 v1, v69, v30
	v_pk_add_f16 v3, v61, v31
	;; [unrolled: 1-line block ×12, first 2 shown]
	ds_read2_b64 v[0:3], v39 offset0:48 offset1:56
	ds_read2_b64 v[4:7], v36 offset1:32
	v_pk_add_f16 v30, v53, v99
	v_pk_add_f16 v31, v77, v81
	;; [unrolled: 1-line block ×7, first 2 shown]
	s_waitcnt lgkmcnt(1)
	v_pk_max_f16 v2, v2, v2
	s_waitcnt lgkmcnt(0)
	v_pk_max_f16 v4, v4, v4
	v_pk_add_f16 v61, v67, v85
	v_pk_add_f16 v14, v51, v14
	;; [unrolled: 1-line block ×8, first 2 shown]
	ds_read2_b64 v[8:11], v36 offset0:64 offset1:96
	v_pk_min_f16 v12, v2, v4
	v_pk_add_f16 v22, v62, v22
	v_pk_add_f16 v62, v14, v15
	;; [unrolled: 1-line block ×3, first 2 shown]
	ds_read2_b64 v[12:15], v39 offset1:8
	v_pk_max_f16 v6, v6, v6
	v_pk_add_f16 v50, v74, v90
	v_pk_add_f16 v74, v16, v17
	v_pk_min_f16 v16, v2, v6
	s_waitcnt lgkmcnt(1)
	v_pk_max_f16 v8, v8, v8
	v_pk_add_f16 v30, v30, v119
	v_pk_add_f16 v54, v54, v16
	v_pk_min_f16 v16, v2, v8
	s_waitcnt lgkmcnt(0)
	v_pk_max_f16 v12, v12, v12
	v_pk_add_f16 v30, v30, v16
	v_pk_min_f16 v16, v12, v4
	v_pk_add_f16 v51, v75, v87
	v_pk_add_f16 v75, v18, v16
	v_pk_min_f16 v16, v12, v6
	v_pk_add_f16 v52, v76, v84
	v_pk_add_f16 v31, v31, v16
	v_pk_min_f16 v16, v12, v8
	v_pk_max_f16 v14, v14, v14
	v_pk_add_f16 v52, v52, v102
	v_pk_add_f16 v76, v53, v16
	v_pk_min_f16 v16, v14, v4
	v_pk_add_f16 v61, v61, v103
	v_pk_add_f16 v81, v52, v16
	v_pk_min_f16 v16, v14, v6
	v_pk_add_f16 v45, v45, v19
	v_pk_add_f16 v82, v61, v16
	ds_read2_b64 v[16:19], v39 offset0:16 offset1:24
	v_pk_add_f16 v59, v59, v86
	v_pk_add_f16 v48, v72, v96
	;; [unrolled: 1-line block ×4, first 2 shown]
	v_pk_max_f16 v10, v10, v10
	v_pk_min_f16 v20, v14, v8
	s_waitcnt lgkmcnt(0)
	v_pk_max_f16 v16, v16, v16
	v_pk_add_f16 v66, v66, v88
	v_pk_add_f16 v51, v51, v105
	;; [unrolled: 1-line block ×3, first 2 shown]
	v_pk_min_f16 v14, v14, v10
	v_pk_min_f16 v20, v16, v4
	v_pk_add_f16 v58, v58, v89
	v_pk_add_f16 v66, v66, v106
	;; [unrolled: 1-line block ×4, first 2 shown]
	v_pk_min_f16 v20, v16, v6
	v_pk_add_f16 v58, v58, v107
	v_pk_add_f16 v66, v66, v20
	v_pk_min_f16 v20, v16, v8
	v_pk_max_f16 v18, v18, v18
	v_pk_add_f16 v65, v65, v91
	v_pk_add_f16 v50, v50, v108
	v_pk_add_f16 v58, v58, v20
	v_pk_min_f16 v20, v18, v4
	v_pk_add_f16 v65, v65, v109
	v_pk_add_f16 v83, v50, v20
	v_pk_min_f16 v20, v18, v6
	v_pk_add_f16 v49, v73, v93
	v_pk_add_f16 v73, v22, v23
	;; [unrolled: 1-line block ×3, first 2 shown]
	ds_read2_b64 v[20:23], v39 offset0:32 offset1:40
	v_pk_add_f16 v57, v57, v92
	v_pk_min_f16 v50, v18, v8
	v_pk_add_f16 v57, v57, v110
	v_pk_add_f16 v64, v64, v94
	s_waitcnt lgkmcnt(0)
	v_pk_max_f16 v20, v20, v20
	v_pk_add_f16 v49, v49, v111
	v_pk_add_f16 v57, v57, v50
	v_pk_min_f16 v50, v20, v4
	v_pk_add_f16 v56, v56, v95
	v_pk_add_f16 v64, v64, v112
	;; [unrolled: 1-line block ×3, first 2 shown]
	v_pk_min_f16 v49, v20, v6
	v_pk_add_f16 v56, v56, v113
	v_pk_add_f16 v64, v64, v49
	v_pk_min_f16 v49, v20, v8
	v_pk_max_f16 v22, v22, v22
	v_pk_add_f16 v63, v63, v97
	v_pk_add_f16 v48, v48, v114
	;; [unrolled: 1-line block ×3, first 2 shown]
	v_pk_min_f16 v49, v22, v4
	v_pk_add_f16 v63, v63, v115
	v_pk_add_f16 v85, v48, v49
	v_pk_min_f16 v48, v22, v6
	v_pk_max_f16 v0, v0, v0
	v_pk_max_f16 v3, v3, v3
	;; [unrolled: 1-line block ×3, first 2 shown]
	v_pk_min_f16 v12, v12, v10
	v_pk_min_f16 v16, v16, v10
	;; [unrolled: 1-line block ×4, first 2 shown]
	v_pk_add_f16 v63, v63, v48
	v_pk_min_f16 v48, v22, v8
	v_pk_min_f16 v22, v22, v10
	;; [unrolled: 1-line block ×8, first 2 shown]
	v_pk_max_f16 v7, v7, v7
	v_pk_add_f16 v20, v69, v20
	v_pk_add_f16 v69, v47, v10
	v_pk_min_f16 v10, v3, v7
	v_pk_max_f16 v9, v9, v9
	v_pk_add_f16 v61, v54, v10
	v_pk_min_f16 v10, v3, v9
	v_pk_max_f16 v11, v11, v11
	v_pk_add_f16 v53, v30, v10
	v_pk_max_f16 v10, v13, v13
	v_pk_add_f16 v12, v60, v12
	v_pk_min_f16 v13, v10, v5
	v_pk_add_f16 v18, v68, v18
	v_pk_add_f16 v77, v75, v13
	v_pk_min_f16 v13, v10, v7
	v_pk_add_f16 v16, v67, v16
	v_pk_add_f16 v68, v31, v13
	v_pk_min_f16 v13, v10, v9
	v_pk_min_f16 v10, v10, v11
	v_pk_add_f16 v60, v76, v13
	v_pk_add_f16 v52, v12, v10
	v_pk_max_f16 v10, v15, v15
	v_pk_add_f16 v8, v74, v8
	v_pk_min_f16 v12, v10, v5
	v_pk_add_f16 v55, v55, v98
	v_pk_add_f16 v76, v81, v12
	v_pk_min_f16 v12, v10, v7
	v_pk_add_f16 v6, v73, v6
	v_pk_add_f16 v67, v82, v12
	v_pk_min_f16 v12, v10, v9
	v_pk_min_f16 v10, v10, v11
	v_pk_add_f16 v59, v59, v12
	v_pk_add_f16 v51, v14, v10
	v_pk_max_f16 v10, v17, v17
	v_pk_add_f16 v55, v55, v116
	v_pk_min_f16 v12, v10, v5
	v_pk_add_f16 v55, v55, v48
	v_pk_add_f16 v75, v62, v12
	v_pk_min_f16 v12, v10, v7
	v_pk_max_f16 v1, v1, v1
	v_pk_add_f16 v66, v66, v12
	v_pk_min_f16 v12, v10, v9
	v_pk_min_f16 v10, v10, v11
	v_pk_add_f16 v58, v58, v12
	v_pk_add_f16 v50, v16, v10
	v_pk_max_f16 v10, v19, v19
	v_pk_add_f16 v4, v72, v4
	v_pk_min_f16 v12, v10, v5
	v_pk_add_f16 v46, v46, v120
	v_pk_add_f16 v74, v83, v12
	v_pk_min_f16 v12, v10, v7
	v_pk_add_f16 v22, v71, v22
	v_pk_add_f16 v65, v65, v12
	v_pk_min_f16 v12, v10, v9
	v_pk_min_f16 v10, v10, v11
	v_pk_add_f16 v57, v57, v12
	v_pk_add_f16 v49, v18, v10
	v_pk_max_f16 v10, v21, v21
	v_pk_add_f16 v0, v46, v0
	v_pk_min_f16 v12, v10, v5
	v_pk_add_f16 v2, v45, v2
	v_pk_add_f16 v73, v84, v12
	v_pk_min_f16 v12, v10, v7
	s_add_i32 s28, s28, 8
	v_pk_add_f16 v64, v64, v12
	v_pk_min_f16 v12, v10, v9
	v_pk_min_f16 v10, v10, v11
	v_pk_add_f16 v56, v56, v12
	v_pk_add_f16 v48, v20, v10
	v_pk_max_f16 v10, v23, v23
	s_cmp_ge_i32 s28, s29
	v_pk_min_f16 v12, v10, v5
	v_pk_min_f16 v5, v1, v5
	v_pk_add_f16 v72, v85, v12
	v_pk_add_f16 v71, v4, v5
	v_pk_min_f16 v4, v1, v7
	v_pk_min_f16 v12, v10, v7
	v_pk_add_f16 v62, v6, v4
	v_pk_min_f16 v4, v1, v9
	v_pk_min_f16 v1, v1, v11
	;; [unrolled: 3-line block ×3, first 2 shown]
	v_pk_add_f16 v46, v0, v1
	v_pk_min_f16 v0, v3, v11
	v_pk_add_f16 v55, v55, v12
	v_pk_add_f16 v47, v22, v10
	;; [unrolled: 1-line block ×4, first 2 shown]
	v_lshl_add_u64 v[28:29], v[28:29], 0, 16
	ds_write_b16 v41, v79
	ds_write_b16 v42, v78
	ds_write_b16 v42, v80 offset:512
	s_waitcnt lgkmcnt(0)
	s_barrier
	s_cbranch_scc1 .LBB291_34
.LBB291_22:                             ; =>This Inner Loop Header: Depth=1
	v_add_u32_e32 v30, s28, v35
	v_add_u32_e32 v0, 8, v30
	v_cmp_gt_i32_e64 s[2:3], s22, v0
	s_and_b64 s[2:3], s[2:3], vcc
	s_and_b64 s[6:7], s[4:5], s[2:3]
	v_mov_b32_e32 v31, 0
	s_and_saveexec_b64 s[2:3], s[6:7]
	s_cbranch_execz .LBB291_24
; %bb.23:                               ;   in Loop: Header=BB291_22 Depth=1
	global_load_ushort v1, v[28:29], off
	s_waitcnt vmcnt(0)
	v_mul_f16_e32 v31, v34, v1
.LBB291_24:                             ;   in Loop: Header=BB291_22 Depth=1
	s_or_b64 exec, exec, s[2:3]
	v_cmp_le_i32_e64 s[6:7], s22, v0
	v_min_i32_e32 v0, s23, v0
	v_ashrrev_i32_e32 v1, 31, v0
	v_lshl_add_u64 v[0:1], v[0:1], 1, s[18:19]
	s_nor_b64 s[26:27], s[12:13], s[6:7]
	v_mov_b32_e32 v78, 0
	v_mov_b32_e32 v79, 0
	s_and_saveexec_b64 s[2:3], s[26:27]
	s_cbranch_execz .LBB291_26
; %bb.25:                               ;   in Loop: Header=BB291_22 Depth=1
	v_lshl_add_u64 v[2:3], v[24:25], 1, v[0:1]
	global_load_ushort v2, v[2:3], off
	s_waitcnt vmcnt(0)
	v_mul_f16_e32 v79, v34, v2
.LBB291_26:                             ;   in Loop: Header=BB291_22 Depth=1
	s_or_b64 exec, exec, s[2:3]
	s_nor_b64 s[6:7], s[10:11], s[6:7]
	s_and_saveexec_b64 s[2:3], s[6:7]
	s_cbranch_execz .LBB291_28
; %bb.27:                               ;   in Loop: Header=BB291_22 Depth=1
	v_lshl_add_u64 v[0:1], v[26:27], 1, v[0:1]
	global_load_ushort v0, v[0:1], off
	s_waitcnt vmcnt(0)
	v_mul_f16_e32 v78, v34, v0
.LBB291_28:                             ;   in Loop: Header=BB291_22 Depth=1
	s_or_b64 exec, exec, s[2:3]
	ds_read2_b64 v[0:3], v43 offset0:48 offset1:56
	ds_read2_b64 v[16:19], v70 offset0:64 offset1:96
	ds_read2_b64 v[20:23], v70 offset1:32
	ds_read2_b64 v[12:15], v43 offset1:8
	ds_read2_b64 v[8:11], v43 offset0:16 offset1:24
	ds_read2_b64 v[4:7], v43 offset0:32 offset1:40
	v_add_u32_e32 v30, 12, v30
	v_cmp_gt_i32_e64 s[2:3], s22, v30
	s_and_b64 s[2:3], s[2:3], vcc
	ds_write_b16 v40, v31
	ds_write_b16 v38, v79
	ds_write_b16 v38, v78 offset:512
	s_and_b64 s[2:3], s[4:5], s[2:3]
	v_mov_b32_e32 v78, 0
	v_mov_b32_e32 v79, 0
	s_waitcnt lgkmcnt(0)
	s_barrier
	s_and_saveexec_b64 s[6:7], s[2:3]
	s_xor_b64 s[2:3], exec, s[6:7]
	s_cbranch_execz .LBB291_30
; %bb.29:                               ;   in Loop: Header=BB291_22 Depth=1
	global_load_ushort v31, v[28:29], off offset:8
	s_waitcnt vmcnt(0)
	v_mul_f16_e32 v79, v34, v31
.LBB291_30:                             ;   in Loop: Header=BB291_22 Depth=1
	s_or_b64 exec, exec, s[2:3]
	v_cmp_le_i32_e64 s[6:7], s22, v30
	v_min_i32_e32 v30, s23, v30
	v_ashrrev_i32_e32 v31, 31, v30
	v_lshl_add_u64 v[30:31], v[30:31], 1, s[18:19]
	s_nor_b64 s[26:27], s[12:13], s[6:7]
	s_and_saveexec_b64 s[2:3], s[26:27]
	s_cbranch_execz .LBB291_32
; %bb.31:                               ;   in Loop: Header=BB291_22 Depth=1
	v_lshl_add_u64 v[80:81], v[24:25], 1, v[30:31]
	global_load_ushort v78, v[80:81], off
	s_waitcnt vmcnt(0)
	v_mul_f16_e32 v78, v34, v78
.LBB291_32:                             ;   in Loop: Header=BB291_22 Depth=1
	s_or_b64 exec, exec, s[2:3]
	s_nor_b64 s[6:7], s[10:11], s[6:7]
	v_mov_b32_e32 v80, 0
	s_and_saveexec_b64 s[2:3], s[6:7]
	s_cbranch_execz .LBB291_21
; %bb.33:                               ;   in Loop: Header=BB291_22 Depth=1
	v_lshl_add_u64 v[30:31], v[26:27], 1, v[30:31]
	global_load_ushort v30, v[30:31], off
	s_waitcnt vmcnt(0)
	v_mul_f16_e32 v80, v34, v30
	s_branch .LBB291_21
.LBB291_34:
	s_load_dwordx2 s[2:3], s[0:1], 0x78
	s_load_dword s29, s[0:1], 0x58
	s_load_dword s28, s[0:1], 0x70
	v_add_u32_e32 v8, 0x800, v37
	ds_read2_b64 v[0:3], v8 offset0:112 offset1:120
	ds_read2_b64 v[4:7], v36 offset0:192 offset1:224
	;; [unrolled: 1-line block ×6, first 2 shown]
	s_waitcnt lgkmcnt(0)
	s_mul_i32 s1, s3, s16
	s_mul_hi_u32 s3, s2, s16
	s_mul_i32 s0, s2, s16
	s_add_i32 s1, s3, s1
	s_lshl_b64 s[0:1], s[0:1], 1
	s_add_u32 s22, s14, s0
	v_add_u32_e32 v70, s30, v33
	s_addc_u32 s23, s15, s1
	v_mad_i64_i32 v[26:27], s[0:1], v70, s29, 0
	v_add_u32_e32 v24, s17, v32
	v_lshl_add_u64 v[42:43], v[26:27], 1, s[24:25]
	v_mad_i64_i32 v[26:27], s[0:1], v70, s28, 0
	v_cmp_gt_i32_e64 s[18:19], s21, v70
	v_lshl_add_u64 v[40:41], v[26:27], 1, s[22:23]
	v_cmp_gt_i32_e64 s[4:5], s20, v24
	v_cndmask_b32_e64 v26, 0, 1, s[8:9]
	s_and_b64 s[2:3], s[4:5], s[18:19]
	v_ashrrev_i32_e32 v25, 31, v24
	v_cmp_ne_u32_e64 s[0:1], 1, v26
	s_and_saveexec_b64 s[6:7], s[2:3]
	s_xor_b64 s[2:3], exec, s[6:7]
	s_cbranch_execz .LBB291_39
; %bb.35:
	s_and_b64 vcc, exec, s[0:1]
	s_cbranch_vccnz .LBB291_37
; %bb.36:
	v_lshl_add_u64 v[26:27], v[24:25], 1, v[42:43]
	global_load_ushort v26, v[26:27], off
	s_waitcnt vmcnt(0)
	v_mul_f16_e32 v26, v44, v26
	s_branch .LBB291_38
.LBB291_37:
	v_mov_b32_e32 v26, 0
.LBB291_38:
	v_pk_max_f16 v27, v20, v20
	v_pk_max_f16 v28, v16, v16
	v_pk_max_f16 v29, v17, v17
	v_pk_min_f16 v27, v28, v27
	v_pk_max_f16 v28, v21, v21
	v_pk_add_f16 v27, v77, v27
	v_pk_min_f16 v28, v29, v28
	s_nop 0
	v_pk_add_f16 v27, v27, v28
	s_nop 0
	v_add_f16_sdwa v27, v27, v27 dst_sel:DWORD dst_unused:UNUSED_PAD src0_sel:DWORD src1_sel:WORD_1
	v_add_f16_e32 v28, v27, v26
	v_lshl_add_u64 v[26:27], v[24:25], 1, v[40:41]
	global_store_short v[26:27], v28, off
.LBB291_39:
	s_or_b64 exec, exec, s[2:3]
	v_add_u32_e32 v26, 8, v24
	v_cmp_gt_i32_e64 s[2:3], s20, v26
	s_and_b64 s[8:9], s[2:3], s[18:19]
	v_ashrrev_i32_e32 v27, 31, v26
	s_and_saveexec_b64 s[6:7], s[8:9]
	s_cbranch_execz .LBB291_44
; %bb.40:
	s_and_b64 vcc, exec, s[0:1]
	s_cbranch_vccnz .LBB291_42
; %bb.41:
	v_lshl_add_u64 v[28:29], v[26:27], 1, v[42:43]
	global_load_ushort v28, v[28:29], off
	s_waitcnt vmcnt(0)
	v_mul_f16_e32 v28, v44, v28
	s_branch .LBB291_43
.LBB291_42:
	v_mov_b32_e32 v28, 0
.LBB291_43:
	v_pk_max_f16 v29, v20, v20
	v_pk_max_f16 v30, v18, v18
	v_pk_max_f16 v31, v19, v19
	v_pk_min_f16 v29, v30, v29
	v_pk_max_f16 v30, v21, v21
	v_pk_add_f16 v29, v76, v29
	v_pk_min_f16 v30, v31, v30
	s_nop 0
	v_pk_add_f16 v29, v29, v30
	s_nop 0
	v_add_f16_sdwa v29, v29, v29 dst_sel:DWORD dst_unused:UNUSED_PAD src0_sel:DWORD src1_sel:WORD_1
	v_add_f16_e32 v30, v29, v28
	v_lshl_add_u64 v[28:29], v[26:27], 1, v[40:41]
	global_store_short v[28:29], v30, off
.LBB291_44:
	s_or_b64 exec, exec, s[6:7]
	v_add_u32_e32 v28, 16, v24
	v_cmp_gt_i32_e64 s[6:7], s20, v28
	s_and_b64 s[10:11], s[6:7], s[18:19]
	v_ashrrev_i32_e32 v29, 31, v28
	s_and_saveexec_b64 s[8:9], s[10:11]
	;; [unrolled: 34-line block ×6, first 2 shown]
	s_cbranch_execz .LBB291_69
; %bb.65:
	s_and_b64 vcc, exec, s[0:1]
	s_cbranch_vccnz .LBB291_67
; %bb.66:
	v_lshl_add_u64 v[38:39], v[36:37], 1, v[42:43]
	global_load_ushort v38, v[38:39], off
	s_waitcnt vmcnt(0)
	v_mul_f16_e32 v38, v44, v38
	s_branch .LBB291_68
.LBB291_67:
	v_mov_b32_e32 v38, 0
.LBB291_68:
	v_pk_max_f16 v39, v20, v20
	v_pk_max_f16 v72, v0, v0
	s_nop 0
	v_pk_min_f16 v39, v72, v39
	v_pk_max_f16 v72, v1, v1
	v_pk_add_f16 v39, v71, v39
	v_pk_max_f16 v71, v21, v21
	s_nop 0
	v_pk_min_f16 v71, v72, v71
	s_nop 0
	v_pk_add_f16 v39, v39, v71
	s_nop 0
	v_add_f16_sdwa v39, v39, v39 dst_sel:DWORD dst_unused:UNUSED_PAD src0_sel:DWORD src1_sel:WORD_1
	v_add_f16_e32 v71, v39, v38
	v_lshl_add_u64 v[38:39], v[36:37], 1, v[40:41]
	global_store_short v[38:39], v71, off
.LBB291_69:
	s_or_b64 exec, exec, s[16:17]
	v_add_u32_e32 v38, 56, v24
	v_cmp_gt_i32_e64 s[16:17], s20, v38
	s_and_b64 s[26:27], s[16:17], s[18:19]
	v_ashrrev_i32_e32 v39, 31, v38
	s_and_saveexec_b64 s[18:19], s[26:27]
	s_cbranch_execz .LBB291_74
; %bb.70:
	s_and_b64 vcc, exec, s[0:1]
	s_cbranch_vccnz .LBB291_72
; %bb.71:
	v_lshl_add_u64 v[42:43], v[38:39], 1, v[42:43]
	global_load_ushort v42, v[42:43], off
	s_waitcnt vmcnt(0)
	v_mul_f16_e32 v42, v44, v42
	s_branch .LBB291_73
.LBB291_72:
	v_mov_b32_e32 v42, 0
.LBB291_73:
	v_pk_max_f16 v20, v20, v20
	v_pk_max_f16 v43, v2, v2
	;; [unrolled: 1-line block ×3, first 2 shown]
	v_pk_min_f16 v20, v43, v20
	v_pk_max_f16 v43, v3, v3
	v_pk_add_f16 v20, v69, v20
	v_pk_min_f16 v21, v43, v21
	s_nop 0
	v_pk_add_f16 v20, v20, v21
	s_nop 0
	v_add_f16_sdwa v20, v20, v20 dst_sel:DWORD dst_unused:UNUSED_PAD src0_sel:DWORD src1_sel:WORD_1
	v_add_f16_e32 v42, v20, v42
	v_lshl_add_u64 v[20:21], v[38:39], 1, v[40:41]
	global_store_short v[20:21], v42, off
.LBB291_74:
	s_or_b64 exec, exec, s[18:19]
	v_add_u32_e32 v42, 32, v70
	v_mad_i64_i32 v[20:21], s[26:27], v42, s29, 0
	v_cmp_gt_i32_e64 s[18:19], s21, v42
	v_lshl_add_u64 v[40:41], v[20:21], 1, s[24:25]
	v_mad_i64_i32 v[20:21], s[26:27], v42, s28, 0
	v_lshl_add_u64 v[20:21], v[20:21], 1, s[22:23]
	s_and_b64 s[30:31], s[4:5], s[18:19]
	s_and_saveexec_b64 s[26:27], s[30:31]
	s_cbranch_execnz .LBB291_82
; %bb.75:
	s_or_b64 exec, exec, s[26:27]
	s_and_b64 s[30:31], s[2:3], s[18:19]
	s_and_saveexec_b64 s[26:27], s[30:31]
	s_cbranch_execnz .LBB291_86
.LBB291_76:
	s_or_b64 exec, exec, s[26:27]
	s_and_b64 s[30:31], s[6:7], s[18:19]
	s_and_saveexec_b64 s[26:27], s[30:31]
	s_cbranch_execnz .LBB291_90
.LBB291_77:
	s_or_b64 exec, exec, s[26:27]
	s_and_b64 s[30:31], s[8:9], s[18:19]
	s_and_saveexec_b64 s[26:27], s[30:31]
	s_cbranch_execnz .LBB291_94
.LBB291_78:
	s_or_b64 exec, exec, s[26:27]
	s_and_b64 s[30:31], s[10:11], s[18:19]
	s_and_saveexec_b64 s[26:27], s[30:31]
	s_cbranch_execnz .LBB291_98
.LBB291_79:
	s_or_b64 exec, exec, s[26:27]
	s_and_b64 s[30:31], s[12:13], s[18:19]
	s_and_saveexec_b64 s[26:27], s[30:31]
	s_cbranch_execnz .LBB291_102
.LBB291_80:
	s_or_b64 exec, exec, s[26:27]
	s_and_b64 s[30:31], s[14:15], s[18:19]
	s_and_saveexec_b64 s[26:27], s[30:31]
	s_cbranch_execnz .LBB291_106
.LBB291_81:
	s_or_b64 exec, exec, s[26:27]
	s_and_b64 s[26:27], s[16:17], s[18:19]
	s_and_saveexec_b64 s[18:19], s[26:27]
	s_cbranch_execnz .LBB291_110
	s_branch .LBB291_114
.LBB291_82:
	s_and_b64 vcc, exec, s[0:1]
	s_cbranch_vccnz .LBB291_84
; %bb.83:
	v_lshl_add_u64 v[42:43], v[24:25], 1, v[40:41]
	global_load_ushort v42, v[42:43], off
	s_waitcnt vmcnt(0)
	v_mul_f16_e32 v42, v44, v42
	s_branch .LBB291_85
.LBB291_84:
	v_mov_b32_e32 v42, 0
.LBB291_85:
	v_pk_max_f16 v43, v22, v22
	v_pk_max_f16 v69, v16, v16
	s_nop 0
	v_pk_min_f16 v43, v69, v43
	v_pk_max_f16 v69, v17, v17
	v_pk_add_f16 v43, v68, v43
	v_pk_max_f16 v68, v23, v23
	s_nop 0
	v_pk_min_f16 v68, v69, v68
	s_nop 0
	v_pk_add_f16 v43, v43, v68
	s_nop 0
	v_add_f16_sdwa v43, v43, v43 dst_sel:DWORD dst_unused:UNUSED_PAD src0_sel:DWORD src1_sel:WORD_1
	v_add_f16_e32 v68, v43, v42
	v_lshl_add_u64 v[42:43], v[24:25], 1, v[20:21]
	global_store_short v[42:43], v68, off
	s_or_b64 exec, exec, s[26:27]
	s_and_b64 s[30:31], s[2:3], s[18:19]
	s_and_saveexec_b64 s[26:27], s[30:31]
	s_cbranch_execz .LBB291_76
.LBB291_86:
	s_and_b64 vcc, exec, s[0:1]
	s_cbranch_vccnz .LBB291_88
; %bb.87:
	v_lshl_add_u64 v[42:43], v[26:27], 1, v[40:41]
	global_load_ushort v42, v[42:43], off
	s_waitcnt vmcnt(0)
	v_mul_f16_e32 v42, v44, v42
	s_branch .LBB291_89
.LBB291_88:
	v_mov_b32_e32 v42, 0
.LBB291_89:
	v_pk_max_f16 v43, v22, v22
	v_pk_max_f16 v68, v18, v18
	s_nop 0
	v_pk_min_f16 v43, v68, v43
	v_pk_max_f16 v68, v19, v19
	v_pk_add_f16 v43, v67, v43
	v_pk_max_f16 v67, v23, v23
	s_nop 0
	v_pk_min_f16 v67, v68, v67
	s_nop 0
	v_pk_add_f16 v43, v43, v67
	s_nop 0
	v_add_f16_sdwa v43, v43, v43 dst_sel:DWORD dst_unused:UNUSED_PAD src0_sel:DWORD src1_sel:WORD_1
	v_add_f16_e32 v67, v43, v42
	v_lshl_add_u64 v[42:43], v[26:27], 1, v[20:21]
	global_store_short v[42:43], v67, off
	s_or_b64 exec, exec, s[26:27]
	s_and_b64 s[30:31], s[6:7], s[18:19]
	s_and_saveexec_b64 s[26:27], s[30:31]
	s_cbranch_execz .LBB291_77
.LBB291_90:
	s_and_b64 vcc, exec, s[0:1]
	s_cbranch_vccnz .LBB291_92
; %bb.91:
	v_lshl_add_u64 v[42:43], v[28:29], 1, v[40:41]
	global_load_ushort v42, v[42:43], off
	s_waitcnt vmcnt(0)
	v_mul_f16_e32 v42, v44, v42
	s_branch .LBB291_93
.LBB291_92:
	v_mov_b32_e32 v42, 0
.LBB291_93:
	v_pk_max_f16 v43, v22, v22
	v_pk_max_f16 v67, v12, v12
	s_nop 0
	v_pk_min_f16 v43, v67, v43
	v_pk_max_f16 v67, v13, v13
	v_pk_add_f16 v43, v66, v43
	v_pk_max_f16 v66, v23, v23
	s_nop 0
	v_pk_min_f16 v66, v67, v66
	s_nop 0
	v_pk_add_f16 v43, v43, v66
	s_nop 0
	v_add_f16_sdwa v43, v43, v43 dst_sel:DWORD dst_unused:UNUSED_PAD src0_sel:DWORD src1_sel:WORD_1
	v_add_f16_e32 v66, v43, v42
	v_lshl_add_u64 v[42:43], v[28:29], 1, v[20:21]
	global_store_short v[42:43], v66, off
	s_or_b64 exec, exec, s[26:27]
	s_and_b64 s[30:31], s[8:9], s[18:19]
	s_and_saveexec_b64 s[26:27], s[30:31]
	s_cbranch_execz .LBB291_78
.LBB291_94:
	s_and_b64 vcc, exec, s[0:1]
	s_cbranch_vccnz .LBB291_96
; %bb.95:
	v_lshl_add_u64 v[42:43], v[30:31], 1, v[40:41]
	global_load_ushort v42, v[42:43], off
	s_waitcnt vmcnt(0)
	v_mul_f16_e32 v42, v44, v42
	s_branch .LBB291_97
.LBB291_96:
	v_mov_b32_e32 v42, 0
.LBB291_97:
	v_pk_max_f16 v43, v22, v22
	v_pk_max_f16 v66, v14, v14
	s_nop 0
	v_pk_min_f16 v43, v66, v43
	v_pk_max_f16 v66, v15, v15
	v_pk_add_f16 v43, v65, v43
	v_pk_max_f16 v65, v23, v23
	s_nop 0
	v_pk_min_f16 v65, v66, v65
	s_nop 0
	v_pk_add_f16 v43, v43, v65
	s_nop 0
	v_add_f16_sdwa v43, v43, v43 dst_sel:DWORD dst_unused:UNUSED_PAD src0_sel:DWORD src1_sel:WORD_1
	v_add_f16_e32 v65, v43, v42
	v_lshl_add_u64 v[42:43], v[30:31], 1, v[20:21]
	global_store_short v[42:43], v65, off
	s_or_b64 exec, exec, s[26:27]
	s_and_b64 s[30:31], s[10:11], s[18:19]
	s_and_saveexec_b64 s[26:27], s[30:31]
	s_cbranch_execz .LBB291_79
.LBB291_98:
	s_and_b64 vcc, exec, s[0:1]
	s_cbranch_vccnz .LBB291_100
; %bb.99:
	v_lshl_add_u64 v[42:43], v[32:33], 1, v[40:41]
	global_load_ushort v42, v[42:43], off
	s_waitcnt vmcnt(0)
	v_mul_f16_e32 v42, v44, v42
	s_branch .LBB291_101
.LBB291_100:
	v_mov_b32_e32 v42, 0
.LBB291_101:
	v_pk_max_f16 v43, v22, v22
	v_pk_max_f16 v65, v8, v8
	s_nop 0
	v_pk_min_f16 v43, v65, v43
	v_pk_max_f16 v65, v9, v9
	v_pk_add_f16 v43, v64, v43
	v_pk_max_f16 v64, v23, v23
	s_nop 0
	v_pk_min_f16 v64, v65, v64
	s_nop 0
	v_pk_add_f16 v43, v43, v64
	s_nop 0
	v_add_f16_sdwa v43, v43, v43 dst_sel:DWORD dst_unused:UNUSED_PAD src0_sel:DWORD src1_sel:WORD_1
	v_add_f16_e32 v64, v43, v42
	v_lshl_add_u64 v[42:43], v[32:33], 1, v[20:21]
	global_store_short v[42:43], v64, off
	s_or_b64 exec, exec, s[26:27]
	s_and_b64 s[30:31], s[12:13], s[18:19]
	s_and_saveexec_b64 s[26:27], s[30:31]
	s_cbranch_execz .LBB291_80
.LBB291_102:
	s_and_b64 vcc, exec, s[0:1]
	s_cbranch_vccnz .LBB291_104
; %bb.103:
	v_lshl_add_u64 v[42:43], v[34:35], 1, v[40:41]
	global_load_ushort v42, v[42:43], off
	s_waitcnt vmcnt(0)
	v_mul_f16_e32 v42, v44, v42
	s_branch .LBB291_105
.LBB291_104:
	v_mov_b32_e32 v42, 0
.LBB291_105:
	v_pk_max_f16 v43, v22, v22
	v_pk_max_f16 v64, v10, v10
	s_nop 0
	v_pk_min_f16 v43, v64, v43
	v_pk_max_f16 v64, v11, v11
	v_pk_add_f16 v43, v63, v43
	v_pk_max_f16 v63, v23, v23
	s_nop 0
	v_pk_min_f16 v63, v64, v63
	s_nop 0
	v_pk_add_f16 v43, v43, v63
	s_nop 0
	v_add_f16_sdwa v43, v43, v43 dst_sel:DWORD dst_unused:UNUSED_PAD src0_sel:DWORD src1_sel:WORD_1
	v_add_f16_e32 v63, v43, v42
	v_lshl_add_u64 v[42:43], v[34:35], 1, v[20:21]
	global_store_short v[42:43], v63, off
	s_or_b64 exec, exec, s[26:27]
	s_and_b64 s[30:31], s[14:15], s[18:19]
	s_and_saveexec_b64 s[26:27], s[30:31]
	s_cbranch_execz .LBB291_81
.LBB291_106:
	s_and_b64 vcc, exec, s[0:1]
	s_cbranch_vccnz .LBB291_108
; %bb.107:
	v_lshl_add_u64 v[42:43], v[36:37], 1, v[40:41]
	global_load_ushort v42, v[42:43], off
	s_waitcnt vmcnt(0)
	v_mul_f16_e32 v42, v44, v42
	s_branch .LBB291_109
.LBB291_108:
	v_mov_b32_e32 v42, 0
.LBB291_109:
	v_pk_max_f16 v43, v22, v22
	v_pk_max_f16 v63, v0, v0
	s_nop 0
	v_pk_min_f16 v43, v63, v43
	v_pk_max_f16 v63, v1, v1
	v_pk_add_f16 v43, v62, v43
	v_pk_max_f16 v62, v23, v23
	s_nop 0
	v_pk_min_f16 v62, v63, v62
	s_nop 0
	v_pk_add_f16 v43, v43, v62
	s_nop 0
	v_add_f16_sdwa v43, v43, v43 dst_sel:DWORD dst_unused:UNUSED_PAD src0_sel:DWORD src1_sel:WORD_1
	v_add_f16_e32 v62, v43, v42
	v_lshl_add_u64 v[42:43], v[36:37], 1, v[20:21]
	global_store_short v[42:43], v62, off
	s_or_b64 exec, exec, s[26:27]
	s_and_b64 s[26:27], s[16:17], s[18:19]
	s_and_saveexec_b64 s[18:19], s[26:27]
	s_cbranch_execz .LBB291_114
.LBB291_110:
	s_and_b64 vcc, exec, s[0:1]
	s_cbranch_vccnz .LBB291_112
; %bb.111:
	v_lshl_add_u64 v[40:41], v[38:39], 1, v[40:41]
	global_load_ushort v40, v[40:41], off
	s_waitcnt vmcnt(0)
	v_mul_f16_e32 v40, v44, v40
	s_branch .LBB291_113
.LBB291_112:
	v_mov_b32_e32 v40, 0
.LBB291_113:
	v_pk_max_f16 v22, v22, v22
	v_pk_max_f16 v41, v2, v2
	;; [unrolled: 1-line block ×3, first 2 shown]
	v_pk_min_f16 v22, v41, v22
	v_pk_max_f16 v41, v3, v3
	v_pk_add_f16 v22, v61, v22
	v_pk_min_f16 v23, v41, v23
	v_lshl_add_u64 v[20:21], v[38:39], 1, v[20:21]
	v_pk_add_f16 v22, v22, v23
	s_nop 0
	v_add_f16_sdwa v22, v22, v22 dst_sel:DWORD dst_unused:UNUSED_PAD src0_sel:DWORD src1_sel:WORD_1
	v_add_f16_e32 v22, v22, v40
	global_store_short v[20:21], v22, off
.LBB291_114:
	s_or_b64 exec, exec, s[18:19]
	v_add_u32_e32 v40, 64, v70
	v_mad_i64_i32 v[20:21], s[26:27], v40, s29, 0
	v_cmp_gt_i32_e64 s[18:19], s21, v40
	v_lshl_add_u64 v[22:23], v[20:21], 1, s[24:25]
	v_mad_i64_i32 v[20:21], s[26:27], v40, s28, 0
	v_lshl_add_u64 v[20:21], v[20:21], 1, s[22:23]
	s_and_b64 s[30:31], s[4:5], s[18:19]
	s_and_saveexec_b64 s[26:27], s[30:31]
	s_cbranch_execnz .LBB291_122
; %bb.115:
	s_or_b64 exec, exec, s[26:27]
	s_and_b64 s[30:31], s[2:3], s[18:19]
	s_and_saveexec_b64 s[26:27], s[30:31]
	s_cbranch_execnz .LBB291_126
.LBB291_116:
	s_or_b64 exec, exec, s[26:27]
	s_and_b64 s[30:31], s[6:7], s[18:19]
	s_and_saveexec_b64 s[26:27], s[30:31]
	s_cbranch_execnz .LBB291_130
.LBB291_117:
	s_or_b64 exec, exec, s[26:27]
	s_and_b64 s[30:31], s[8:9], s[18:19]
	s_and_saveexec_b64 s[26:27], s[30:31]
	s_cbranch_execnz .LBB291_134
.LBB291_118:
	s_or_b64 exec, exec, s[26:27]
	s_and_b64 s[30:31], s[10:11], s[18:19]
	s_and_saveexec_b64 s[26:27], s[30:31]
	s_cbranch_execnz .LBB291_138
.LBB291_119:
	s_or_b64 exec, exec, s[26:27]
	s_and_b64 s[30:31], s[12:13], s[18:19]
	s_and_saveexec_b64 s[26:27], s[30:31]
	s_cbranch_execnz .LBB291_142
.LBB291_120:
	s_or_b64 exec, exec, s[26:27]
	s_and_b64 s[30:31], s[14:15], s[18:19]
	s_and_saveexec_b64 s[26:27], s[30:31]
	s_cbranch_execnz .LBB291_146
.LBB291_121:
	s_or_b64 exec, exec, s[26:27]
	s_and_b64 s[26:27], s[16:17], s[18:19]
	s_and_saveexec_b64 s[18:19], s[26:27]
	s_cbranch_execnz .LBB291_150
	s_branch .LBB291_154
.LBB291_122:
	s_and_b64 vcc, exec, s[0:1]
	s_cbranch_vccnz .LBB291_124
; %bb.123:
	v_lshl_add_u64 v[40:41], v[24:25], 1, v[22:23]
	global_load_ushort v40, v[40:41], off
	s_waitcnt vmcnt(0)
	v_mul_f16_e32 v40, v44, v40
	s_branch .LBB291_125
.LBB291_124:
	v_mov_b32_e32 v40, 0
.LBB291_125:
	v_pk_max_f16 v41, v4, v4
	v_pk_max_f16 v42, v16, v16
	;; [unrolled: 1-line block ×3, first 2 shown]
	v_pk_min_f16 v41, v42, v41
	v_pk_max_f16 v42, v5, v5
	v_pk_add_f16 v41, v60, v41
	v_pk_min_f16 v42, v43, v42
	s_nop 0
	v_pk_add_f16 v41, v41, v42
	s_nop 0
	v_add_f16_sdwa v41, v41, v41 dst_sel:DWORD dst_unused:UNUSED_PAD src0_sel:DWORD src1_sel:WORD_1
	v_add_f16_e32 v42, v41, v40
	v_lshl_add_u64 v[40:41], v[24:25], 1, v[20:21]
	global_store_short v[40:41], v42, off
	s_or_b64 exec, exec, s[26:27]
	s_and_b64 s[30:31], s[2:3], s[18:19]
	s_and_saveexec_b64 s[26:27], s[30:31]
	s_cbranch_execz .LBB291_116
.LBB291_126:
	s_and_b64 vcc, exec, s[0:1]
	s_cbranch_vccnz .LBB291_128
; %bb.127:
	v_lshl_add_u64 v[40:41], v[26:27], 1, v[22:23]
	global_load_ushort v40, v[40:41], off
	s_waitcnt vmcnt(0)
	v_mul_f16_e32 v40, v44, v40
	s_branch .LBB291_129
.LBB291_128:
	v_mov_b32_e32 v40, 0
.LBB291_129:
	v_pk_max_f16 v41, v4, v4
	v_pk_max_f16 v42, v18, v18
	;; [unrolled: 1-line block ×3, first 2 shown]
	v_pk_min_f16 v41, v42, v41
	v_pk_max_f16 v42, v5, v5
	v_pk_add_f16 v41, v59, v41
	v_pk_min_f16 v42, v43, v42
	s_nop 0
	v_pk_add_f16 v41, v41, v42
	s_nop 0
	v_add_f16_sdwa v41, v41, v41 dst_sel:DWORD dst_unused:UNUSED_PAD src0_sel:DWORD src1_sel:WORD_1
	v_add_f16_e32 v42, v41, v40
	v_lshl_add_u64 v[40:41], v[26:27], 1, v[20:21]
	global_store_short v[40:41], v42, off
	s_or_b64 exec, exec, s[26:27]
	s_and_b64 s[30:31], s[6:7], s[18:19]
	s_and_saveexec_b64 s[26:27], s[30:31]
	s_cbranch_execz .LBB291_117
.LBB291_130:
	s_and_b64 vcc, exec, s[0:1]
	s_cbranch_vccnz .LBB291_132
; %bb.131:
	v_lshl_add_u64 v[40:41], v[28:29], 1, v[22:23]
	global_load_ushort v40, v[40:41], off
	s_waitcnt vmcnt(0)
	v_mul_f16_e32 v40, v44, v40
	s_branch .LBB291_133
.LBB291_132:
	v_mov_b32_e32 v40, 0
.LBB291_133:
	v_pk_max_f16 v41, v4, v4
	v_pk_max_f16 v42, v12, v12
	;; [unrolled: 1-line block ×3, first 2 shown]
	v_pk_min_f16 v41, v42, v41
	v_pk_max_f16 v42, v5, v5
	v_pk_add_f16 v41, v58, v41
	v_pk_min_f16 v42, v43, v42
	s_nop 0
	v_pk_add_f16 v41, v41, v42
	s_nop 0
	v_add_f16_sdwa v41, v41, v41 dst_sel:DWORD dst_unused:UNUSED_PAD src0_sel:DWORD src1_sel:WORD_1
	v_add_f16_e32 v42, v41, v40
	v_lshl_add_u64 v[40:41], v[28:29], 1, v[20:21]
	global_store_short v[40:41], v42, off
	s_or_b64 exec, exec, s[26:27]
	s_and_b64 s[30:31], s[8:9], s[18:19]
	s_and_saveexec_b64 s[26:27], s[30:31]
	s_cbranch_execz .LBB291_118
.LBB291_134:
	s_and_b64 vcc, exec, s[0:1]
	s_cbranch_vccnz .LBB291_136
; %bb.135:
	v_lshl_add_u64 v[40:41], v[30:31], 1, v[22:23]
	global_load_ushort v40, v[40:41], off
	s_waitcnt vmcnt(0)
	v_mul_f16_e32 v40, v44, v40
	s_branch .LBB291_137
.LBB291_136:
	v_mov_b32_e32 v40, 0
.LBB291_137:
	v_pk_max_f16 v41, v4, v4
	v_pk_max_f16 v42, v14, v14
	;; [unrolled: 1-line block ×3, first 2 shown]
	v_pk_min_f16 v41, v42, v41
	v_pk_max_f16 v42, v5, v5
	v_pk_add_f16 v41, v57, v41
	v_pk_min_f16 v42, v43, v42
	s_nop 0
	v_pk_add_f16 v41, v41, v42
	s_nop 0
	v_add_f16_sdwa v41, v41, v41 dst_sel:DWORD dst_unused:UNUSED_PAD src0_sel:DWORD src1_sel:WORD_1
	v_add_f16_e32 v42, v41, v40
	v_lshl_add_u64 v[40:41], v[30:31], 1, v[20:21]
	global_store_short v[40:41], v42, off
	s_or_b64 exec, exec, s[26:27]
	s_and_b64 s[30:31], s[10:11], s[18:19]
	s_and_saveexec_b64 s[26:27], s[30:31]
	s_cbranch_execz .LBB291_119
.LBB291_138:
	s_and_b64 vcc, exec, s[0:1]
	s_cbranch_vccnz .LBB291_140
; %bb.139:
	v_lshl_add_u64 v[40:41], v[32:33], 1, v[22:23]
	global_load_ushort v40, v[40:41], off
	s_waitcnt vmcnt(0)
	v_mul_f16_e32 v40, v44, v40
	s_branch .LBB291_141
.LBB291_140:
	v_mov_b32_e32 v40, 0
.LBB291_141:
	v_pk_max_f16 v41, v4, v4
	v_pk_max_f16 v42, v8, v8
	;; [unrolled: 1-line block ×3, first 2 shown]
	v_pk_min_f16 v41, v42, v41
	v_pk_max_f16 v42, v5, v5
	v_pk_add_f16 v41, v56, v41
	v_pk_min_f16 v42, v43, v42
	s_nop 0
	v_pk_add_f16 v41, v41, v42
	s_nop 0
	v_add_f16_sdwa v41, v41, v41 dst_sel:DWORD dst_unused:UNUSED_PAD src0_sel:DWORD src1_sel:WORD_1
	v_add_f16_e32 v42, v41, v40
	v_lshl_add_u64 v[40:41], v[32:33], 1, v[20:21]
	global_store_short v[40:41], v42, off
	s_or_b64 exec, exec, s[26:27]
	s_and_b64 s[30:31], s[12:13], s[18:19]
	s_and_saveexec_b64 s[26:27], s[30:31]
	s_cbranch_execz .LBB291_120
.LBB291_142:
	s_and_b64 vcc, exec, s[0:1]
	s_cbranch_vccnz .LBB291_144
; %bb.143:
	v_lshl_add_u64 v[40:41], v[34:35], 1, v[22:23]
	global_load_ushort v40, v[40:41], off
	s_waitcnt vmcnt(0)
	v_mul_f16_e32 v40, v44, v40
	s_branch .LBB291_145
.LBB291_144:
	v_mov_b32_e32 v40, 0
.LBB291_145:
	v_pk_max_f16 v41, v4, v4
	v_pk_max_f16 v42, v10, v10
	;; [unrolled: 1-line block ×3, first 2 shown]
	v_pk_min_f16 v41, v42, v41
	v_pk_max_f16 v42, v5, v5
	v_pk_add_f16 v41, v55, v41
	v_pk_min_f16 v42, v43, v42
	s_nop 0
	v_pk_add_f16 v41, v41, v42
	s_nop 0
	v_add_f16_sdwa v41, v41, v41 dst_sel:DWORD dst_unused:UNUSED_PAD src0_sel:DWORD src1_sel:WORD_1
	v_add_f16_e32 v42, v41, v40
	v_lshl_add_u64 v[40:41], v[34:35], 1, v[20:21]
	global_store_short v[40:41], v42, off
	s_or_b64 exec, exec, s[26:27]
	s_and_b64 s[30:31], s[14:15], s[18:19]
	s_and_saveexec_b64 s[26:27], s[30:31]
	s_cbranch_execz .LBB291_121
.LBB291_146:
	s_and_b64 vcc, exec, s[0:1]
	s_cbranch_vccnz .LBB291_148
; %bb.147:
	v_lshl_add_u64 v[40:41], v[36:37], 1, v[22:23]
	global_load_ushort v40, v[40:41], off
	s_waitcnt vmcnt(0)
	v_mul_f16_e32 v40, v44, v40
	s_branch .LBB291_149
.LBB291_148:
	v_mov_b32_e32 v40, 0
.LBB291_149:
	v_pk_max_f16 v41, v4, v4
	v_pk_max_f16 v42, v0, v0
	;; [unrolled: 1-line block ×3, first 2 shown]
	v_pk_min_f16 v41, v42, v41
	v_pk_max_f16 v42, v5, v5
	v_pk_add_f16 v41, v54, v41
	v_pk_min_f16 v42, v43, v42
	s_nop 0
	v_pk_add_f16 v41, v41, v42
	s_nop 0
	v_add_f16_sdwa v41, v41, v41 dst_sel:DWORD dst_unused:UNUSED_PAD src0_sel:DWORD src1_sel:WORD_1
	v_add_f16_e32 v42, v41, v40
	v_lshl_add_u64 v[40:41], v[36:37], 1, v[20:21]
	global_store_short v[40:41], v42, off
	s_or_b64 exec, exec, s[26:27]
	s_and_b64 s[26:27], s[16:17], s[18:19]
	s_and_saveexec_b64 s[18:19], s[26:27]
	s_cbranch_execz .LBB291_154
.LBB291_150:
	s_and_b64 vcc, exec, s[0:1]
	s_cbranch_vccnz .LBB291_152
; %bb.151:
	v_lshl_add_u64 v[22:23], v[38:39], 1, v[22:23]
	global_load_ushort v22, v[22:23], off
	s_waitcnt vmcnt(0)
	v_mul_f16_e32 v22, v44, v22
	s_branch .LBB291_153
.LBB291_152:
	v_mov_b32_e32 v22, 0
.LBB291_153:
	v_pk_max_f16 v4, v4, v4
	v_pk_max_f16 v23, v2, v2
	;; [unrolled: 1-line block ×3, first 2 shown]
	v_pk_min_f16 v4, v23, v4
	v_pk_max_f16 v23, v3, v3
	v_pk_add_f16 v4, v53, v4
	v_pk_min_f16 v5, v23, v5
	s_nop 0
	v_pk_add_f16 v4, v4, v5
	s_nop 0
	v_add_f16_sdwa v4, v4, v4 dst_sel:DWORD dst_unused:UNUSED_PAD src0_sel:DWORD src1_sel:WORD_1
	v_add_f16_e32 v22, v4, v22
	v_lshl_add_u64 v[4:5], v[38:39], 1, v[20:21]
	global_store_short v[4:5], v22, off
.LBB291_154:
	s_or_b64 exec, exec, s[18:19]
	v_add_u32_e32 v22, 0x60, v70
	v_cmp_gt_i32_e64 s[18:19], s21, v22
	v_mad_i64_i32 v[4:5], s[20:21], v22, s29, 0
	v_lshl_add_u64 v[20:21], v[4:5], 1, s[24:25]
	v_mad_i64_i32 v[4:5], s[20:21], v22, s28, 0
	v_lshl_add_u64 v[4:5], v[4:5], 1, s[22:23]
	s_and_b64 s[20:21], s[4:5], s[18:19]
	s_and_saveexec_b64 s[4:5], s[20:21]
	s_cbranch_execnz .LBB291_163
; %bb.155:
	s_or_b64 exec, exec, s[4:5]
	s_and_b64 s[4:5], s[2:3], s[18:19]
	s_and_saveexec_b64 s[2:3], s[4:5]
	s_cbranch_execnz .LBB291_167
.LBB291_156:
	s_or_b64 exec, exec, s[2:3]
	s_and_b64 s[4:5], s[6:7], s[18:19]
	s_and_saveexec_b64 s[2:3], s[4:5]
	s_cbranch_execnz .LBB291_171
.LBB291_157:
	s_or_b64 exec, exec, s[2:3]
	s_and_b64 s[4:5], s[8:9], s[18:19]
	s_and_saveexec_b64 s[2:3], s[4:5]
	s_cbranch_execnz .LBB291_175
.LBB291_158:
	s_or_b64 exec, exec, s[2:3]
	s_and_b64 s[4:5], s[10:11], s[18:19]
	s_and_saveexec_b64 s[2:3], s[4:5]
	s_cbranch_execnz .LBB291_179
.LBB291_159:
	s_or_b64 exec, exec, s[2:3]
	s_and_b64 s[4:5], s[12:13], s[18:19]
	s_and_saveexec_b64 s[2:3], s[4:5]
	s_cbranch_execnz .LBB291_183
.LBB291_160:
	s_or_b64 exec, exec, s[2:3]
	s_and_b64 s[4:5], s[14:15], s[18:19]
	s_and_saveexec_b64 s[2:3], s[4:5]
	s_cbranch_execnz .LBB291_187
.LBB291_161:
	s_or_b64 exec, exec, s[2:3]
	s_and_b64 s[2:3], s[16:17], s[18:19]
	s_and_saveexec_b64 s[4:5], s[2:3]
	s_cbranch_execnz .LBB291_191
.LBB291_162:
	s_endpgm
.LBB291_163:
	s_and_b64 vcc, exec, s[0:1]
	s_cbranch_vccnz .LBB291_165
; %bb.164:
	v_lshl_add_u64 v[22:23], v[24:25], 1, v[20:21]
	global_load_ushort v22, v[22:23], off
	s_waitcnt vmcnt(0)
	v_mul_f16_e32 v22, v44, v22
	s_branch .LBB291_166
.LBB291_165:
	v_mov_b32_e32 v22, 0
.LBB291_166:
	v_pk_max_f16 v23, v6, v6
	v_pk_max_f16 v16, v16, v16
	;; [unrolled: 1-line block ×3, first 2 shown]
	v_pk_min_f16 v16, v16, v23
	v_pk_max_f16 v23, v7, v7
	v_pk_add_f16 v16, v52, v16
	v_pk_min_f16 v17, v17, v23
	s_nop 0
	v_pk_add_f16 v16, v16, v17
	s_nop 0
	v_add_f16_sdwa v16, v16, v16 dst_sel:DWORD dst_unused:UNUSED_PAD src0_sel:DWORD src1_sel:WORD_1
	v_add_f16_e32 v22, v16, v22
	v_lshl_add_u64 v[16:17], v[24:25], 1, v[4:5]
	global_store_short v[16:17], v22, off
	s_or_b64 exec, exec, s[4:5]
	s_and_b64 s[4:5], s[2:3], s[18:19]
	s_and_saveexec_b64 s[2:3], s[4:5]
	s_cbranch_execz .LBB291_156
.LBB291_167:
	s_and_b64 vcc, exec, s[0:1]
	s_cbranch_vccnz .LBB291_169
; %bb.168:
	v_lshl_add_u64 v[16:17], v[26:27], 1, v[20:21]
	global_load_ushort v16, v[16:17], off
	s_waitcnt vmcnt(0)
	v_mul_f16_e32 v16, v44, v16
	s_branch .LBB291_170
.LBB291_169:
	v_mov_b32_e32 v16, 0
.LBB291_170:
	v_pk_max_f16 v17, v6, v6
	v_pk_max_f16 v18, v18, v18
	;; [unrolled: 1-line block ×3, first 2 shown]
	v_pk_min_f16 v17, v18, v17
	v_pk_max_f16 v18, v7, v7
	v_pk_add_f16 v17, v51, v17
	v_pk_min_f16 v18, v19, v18
	s_nop 0
	v_pk_add_f16 v17, v17, v18
	s_nop 0
	v_add_f16_sdwa v17, v17, v17 dst_sel:DWORD dst_unused:UNUSED_PAD src0_sel:DWORD src1_sel:WORD_1
	v_add_f16_e32 v18, v17, v16
	v_lshl_add_u64 v[16:17], v[26:27], 1, v[4:5]
	global_store_short v[16:17], v18, off
	s_or_b64 exec, exec, s[2:3]
	s_and_b64 s[4:5], s[6:7], s[18:19]
	s_and_saveexec_b64 s[2:3], s[4:5]
	s_cbranch_execz .LBB291_157
.LBB291_171:
	s_and_b64 vcc, exec, s[0:1]
	s_cbranch_vccnz .LBB291_173
; %bb.172:
	v_lshl_add_u64 v[16:17], v[28:29], 1, v[20:21]
	global_load_ushort v16, v[16:17], off
	s_waitcnt vmcnt(0)
	v_mul_f16_e32 v16, v44, v16
	s_branch .LBB291_174
.LBB291_173:
	v_mov_b32_e32 v16, 0
.LBB291_174:
	v_pk_max_f16 v17, v6, v6
	v_pk_max_f16 v12, v12, v12
	v_pk_max_f16 v13, v13, v13
	v_pk_min_f16 v12, v12, v17
	v_pk_max_f16 v17, v7, v7
	v_pk_add_f16 v12, v50, v12
	v_pk_min_f16 v13, v13, v17
	s_nop 0
	v_pk_add_f16 v12, v12, v13
	s_nop 0
	v_add_f16_sdwa v12, v12, v12 dst_sel:DWORD dst_unused:UNUSED_PAD src0_sel:DWORD src1_sel:WORD_1
	v_add_f16_e32 v16, v12, v16
	v_lshl_add_u64 v[12:13], v[28:29], 1, v[4:5]
	global_store_short v[12:13], v16, off
	s_or_b64 exec, exec, s[2:3]
	s_and_b64 s[4:5], s[8:9], s[18:19]
	s_and_saveexec_b64 s[2:3], s[4:5]
	s_cbranch_execz .LBB291_158
.LBB291_175:
	s_and_b64 vcc, exec, s[0:1]
	s_cbranch_vccnz .LBB291_177
; %bb.176:
	v_lshl_add_u64 v[12:13], v[30:31], 1, v[20:21]
	global_load_ushort v12, v[12:13], off
	s_waitcnt vmcnt(0)
	v_mul_f16_e32 v12, v44, v12
	s_branch .LBB291_178
.LBB291_177:
	v_mov_b32_e32 v12, 0
.LBB291_178:
	v_pk_max_f16 v13, v6, v6
	v_pk_max_f16 v14, v14, v14
	;; [unrolled: 1-line block ×3, first 2 shown]
	v_pk_min_f16 v13, v14, v13
	v_pk_max_f16 v14, v7, v7
	v_pk_add_f16 v13, v49, v13
	v_pk_min_f16 v14, v15, v14
	s_nop 0
	v_pk_add_f16 v13, v13, v14
	s_nop 0
	v_add_f16_sdwa v13, v13, v13 dst_sel:DWORD dst_unused:UNUSED_PAD src0_sel:DWORD src1_sel:WORD_1
	v_add_f16_e32 v14, v13, v12
	v_lshl_add_u64 v[12:13], v[30:31], 1, v[4:5]
	global_store_short v[12:13], v14, off
	s_or_b64 exec, exec, s[2:3]
	s_and_b64 s[4:5], s[10:11], s[18:19]
	s_and_saveexec_b64 s[2:3], s[4:5]
	s_cbranch_execz .LBB291_159
.LBB291_179:
	s_and_b64 vcc, exec, s[0:1]
	s_cbranch_vccnz .LBB291_181
; %bb.180:
	v_lshl_add_u64 v[12:13], v[32:33], 1, v[20:21]
	global_load_ushort v12, v[12:13], off
	s_waitcnt vmcnt(0)
	v_mul_f16_e32 v12, v44, v12
	s_branch .LBB291_182
.LBB291_181:
	v_mov_b32_e32 v12, 0
.LBB291_182:
	v_pk_max_f16 v13, v6, v6
	v_pk_max_f16 v8, v8, v8
	;; [unrolled: 1-line block ×3, first 2 shown]
	v_pk_min_f16 v8, v8, v13
	v_pk_max_f16 v13, v7, v7
	v_pk_add_f16 v8, v48, v8
	v_pk_min_f16 v9, v9, v13
	s_nop 0
	v_pk_add_f16 v8, v8, v9
	s_nop 0
	v_add_f16_sdwa v8, v8, v8 dst_sel:DWORD dst_unused:UNUSED_PAD src0_sel:DWORD src1_sel:WORD_1
	v_add_f16_e32 v12, v8, v12
	v_lshl_add_u64 v[8:9], v[32:33], 1, v[4:5]
	global_store_short v[8:9], v12, off
	s_or_b64 exec, exec, s[2:3]
	s_and_b64 s[4:5], s[12:13], s[18:19]
	s_and_saveexec_b64 s[2:3], s[4:5]
	s_cbranch_execz .LBB291_160
.LBB291_183:
	s_and_b64 vcc, exec, s[0:1]
	s_cbranch_vccnz .LBB291_185
; %bb.184:
	v_lshl_add_u64 v[8:9], v[34:35], 1, v[20:21]
	global_load_ushort v8, v[8:9], off
	s_waitcnt vmcnt(0)
	v_mul_f16_e32 v8, v44, v8
	s_branch .LBB291_186
.LBB291_185:
	v_mov_b32_e32 v8, 0
.LBB291_186:
	v_pk_max_f16 v9, v6, v6
	v_pk_max_f16 v10, v10, v10
	;; [unrolled: 1-line block ×3, first 2 shown]
	v_pk_min_f16 v9, v10, v9
	v_pk_max_f16 v10, v7, v7
	v_pk_add_f16 v9, v47, v9
	v_pk_min_f16 v10, v11, v10
	s_nop 0
	v_pk_add_f16 v9, v9, v10
	s_nop 0
	v_add_f16_sdwa v9, v9, v9 dst_sel:DWORD dst_unused:UNUSED_PAD src0_sel:DWORD src1_sel:WORD_1
	v_add_f16_e32 v10, v9, v8
	v_lshl_add_u64 v[8:9], v[34:35], 1, v[4:5]
	global_store_short v[8:9], v10, off
	s_or_b64 exec, exec, s[2:3]
	s_and_b64 s[4:5], s[14:15], s[18:19]
	s_and_saveexec_b64 s[2:3], s[4:5]
	s_cbranch_execz .LBB291_161
.LBB291_187:
	s_and_b64 vcc, exec, s[0:1]
	s_cbranch_vccnz .LBB291_189
; %bb.188:
	v_lshl_add_u64 v[8:9], v[36:37], 1, v[20:21]
	global_load_ushort v8, v[8:9], off
	s_waitcnt vmcnt(0)
	v_mul_f16_e32 v8, v44, v8
	s_branch .LBB291_190
.LBB291_189:
	v_mov_b32_e32 v8, 0
.LBB291_190:
	v_pk_max_f16 v9, v6, v6
	v_pk_max_f16 v0, v0, v0
	;; [unrolled: 1-line block ×3, first 2 shown]
	v_pk_min_f16 v0, v0, v9
	v_pk_max_f16 v9, v7, v7
	v_pk_add_f16 v0, v46, v0
	v_pk_min_f16 v1, v1, v9
	s_nop 0
	v_pk_add_f16 v0, v0, v1
	s_nop 0
	v_add_f16_sdwa v0, v0, v0 dst_sel:DWORD dst_unused:UNUSED_PAD src0_sel:DWORD src1_sel:WORD_1
	v_add_f16_e32 v8, v0, v8
	v_lshl_add_u64 v[0:1], v[36:37], 1, v[4:5]
	global_store_short v[0:1], v8, off
	s_or_b64 exec, exec, s[2:3]
	s_and_b64 s[2:3], s[16:17], s[18:19]
	s_and_saveexec_b64 s[4:5], s[2:3]
	s_cbranch_execz .LBB291_162
.LBB291_191:
	s_and_b64 vcc, exec, s[0:1]
	s_cbranch_vccnz .LBB291_193
; %bb.192:
	v_lshl_add_u64 v[0:1], v[38:39], 1, v[20:21]
	global_load_ushort v0, v[0:1], off
	s_waitcnt vmcnt(0)
	v_mul_f16_e32 v0, v44, v0
	s_branch .LBB291_194
.LBB291_193:
	v_mov_b32_e32 v0, 0
.LBB291_194:
	v_pk_max_f16 v1, v6, v6
	v_pk_max_f16 v2, v2, v2
	;; [unrolled: 1-line block ×3, first 2 shown]
	v_pk_min_f16 v1, v2, v1
	v_pk_max_f16 v2, v7, v7
	v_pk_add_f16 v1, v45, v1
	v_pk_min_f16 v2, v3, v2
	s_nop 0
	v_pk_add_f16 v1, v1, v2
	s_nop 0
	v_add_f16_sdwa v1, v1, v1 dst_sel:DWORD dst_unused:UNUSED_PAD src0_sel:DWORD src1_sel:WORD_1
	v_add_f16_e32 v2, v1, v0
	v_lshl_add_u64 v[0:1], v[38:39], 1, v[4:5]
	global_store_short v[0:1], v2, off
	s_endpgm
	.section	.rodata,"a",@progbits
	.p2align	6, 0x0
	.amdhsa_kernel _ZN12_GLOBAL__N_120geam_min_plus_kernelIDF16_Dv2_DF16_S1_Li8ELi32ELi64ELi128ELi4ELi4ELi64ELi4ELi64ELc84ELc78ELb0ELb1ELb0EPKDF16_S2_DF16_EEviiiT16_PT17_ilS6_ilS4_S6_ilPT18_ili26rocblas_geam_ex_operation_
		.amdhsa_group_segment_fixed_size 3072
		.amdhsa_private_segment_fixed_size 0
		.amdhsa_kernarg_size 136
		.amdhsa_user_sgpr_count 2
		.amdhsa_user_sgpr_dispatch_ptr 0
		.amdhsa_user_sgpr_queue_ptr 0
		.amdhsa_user_sgpr_kernarg_segment_ptr 1
		.amdhsa_user_sgpr_dispatch_id 0
		.amdhsa_user_sgpr_kernarg_preload_length 0
		.amdhsa_user_sgpr_kernarg_preload_offset 0
		.amdhsa_user_sgpr_private_segment_size 0
		.amdhsa_uses_dynamic_stack 0
		.amdhsa_enable_private_segment 0
		.amdhsa_system_sgpr_workgroup_id_x 1
		.amdhsa_system_sgpr_workgroup_id_y 0
		.amdhsa_system_sgpr_workgroup_id_z 1
		.amdhsa_system_sgpr_workgroup_info 0
		.amdhsa_system_vgpr_workitem_id 1
		.amdhsa_next_free_vgpr 121
		.amdhsa_next_free_sgpr 36
		.amdhsa_accum_offset 124
		.amdhsa_reserve_vcc 1
		.amdhsa_float_round_mode_32 0
		.amdhsa_float_round_mode_16_64 0
		.amdhsa_float_denorm_mode_32 3
		.amdhsa_float_denorm_mode_16_64 3
		.amdhsa_dx10_clamp 1
		.amdhsa_ieee_mode 1
		.amdhsa_fp16_overflow 0
		.amdhsa_tg_split 0
		.amdhsa_exception_fp_ieee_invalid_op 0
		.amdhsa_exception_fp_denorm_src 0
		.amdhsa_exception_fp_ieee_div_zero 0
		.amdhsa_exception_fp_ieee_overflow 0
		.amdhsa_exception_fp_ieee_underflow 0
		.amdhsa_exception_fp_ieee_inexact 0
		.amdhsa_exception_int_div_zero 0
	.end_amdhsa_kernel
	.section	.text._ZN12_GLOBAL__N_120geam_min_plus_kernelIDF16_Dv2_DF16_S1_Li8ELi32ELi64ELi128ELi4ELi4ELi64ELi4ELi64ELc84ELc78ELb0ELb1ELb0EPKDF16_S2_DF16_EEviiiT16_PT17_ilS6_ilS4_S6_ilPT18_ili26rocblas_geam_ex_operation_,"axG",@progbits,_ZN12_GLOBAL__N_120geam_min_plus_kernelIDF16_Dv2_DF16_S1_Li8ELi32ELi64ELi128ELi4ELi4ELi64ELi4ELi64ELc84ELc78ELb0ELb1ELb0EPKDF16_S2_DF16_EEviiiT16_PT17_ilS6_ilS4_S6_ilPT18_ili26rocblas_geam_ex_operation_,comdat
.Lfunc_end291:
	.size	_ZN12_GLOBAL__N_120geam_min_plus_kernelIDF16_Dv2_DF16_S1_Li8ELi32ELi64ELi128ELi4ELi4ELi64ELi4ELi64ELc84ELc78ELb0ELb1ELb0EPKDF16_S2_DF16_EEviiiT16_PT17_ilS6_ilS4_S6_ilPT18_ili26rocblas_geam_ex_operation_, .Lfunc_end291-_ZN12_GLOBAL__N_120geam_min_plus_kernelIDF16_Dv2_DF16_S1_Li8ELi32ELi64ELi128ELi4ELi4ELi64ELi4ELi64ELc84ELc78ELb0ELb1ELb0EPKDF16_S2_DF16_EEviiiT16_PT17_ilS6_ilS4_S6_ilPT18_ili26rocblas_geam_ex_operation_
                                        ; -- End function
	.set _ZN12_GLOBAL__N_120geam_min_plus_kernelIDF16_Dv2_DF16_S1_Li8ELi32ELi64ELi128ELi4ELi4ELi64ELi4ELi64ELc84ELc78ELb0ELb1ELb0EPKDF16_S2_DF16_EEviiiT16_PT17_ilS6_ilS4_S6_ilPT18_ili26rocblas_geam_ex_operation_.num_vgpr, 121
	.set _ZN12_GLOBAL__N_120geam_min_plus_kernelIDF16_Dv2_DF16_S1_Li8ELi32ELi64ELi128ELi4ELi4ELi64ELi4ELi64ELc84ELc78ELb0ELb1ELb0EPKDF16_S2_DF16_EEviiiT16_PT17_ilS6_ilS4_S6_ilPT18_ili26rocblas_geam_ex_operation_.num_agpr, 0
	.set _ZN12_GLOBAL__N_120geam_min_plus_kernelIDF16_Dv2_DF16_S1_Li8ELi32ELi64ELi128ELi4ELi4ELi64ELi4ELi64ELc84ELc78ELb0ELb1ELb0EPKDF16_S2_DF16_EEviiiT16_PT17_ilS6_ilS4_S6_ilPT18_ili26rocblas_geam_ex_operation_.numbered_sgpr, 36
	.set _ZN12_GLOBAL__N_120geam_min_plus_kernelIDF16_Dv2_DF16_S1_Li8ELi32ELi64ELi128ELi4ELi4ELi64ELi4ELi64ELc84ELc78ELb0ELb1ELb0EPKDF16_S2_DF16_EEviiiT16_PT17_ilS6_ilS4_S6_ilPT18_ili26rocblas_geam_ex_operation_.num_named_barrier, 0
	.set _ZN12_GLOBAL__N_120geam_min_plus_kernelIDF16_Dv2_DF16_S1_Li8ELi32ELi64ELi128ELi4ELi4ELi64ELi4ELi64ELc84ELc78ELb0ELb1ELb0EPKDF16_S2_DF16_EEviiiT16_PT17_ilS6_ilS4_S6_ilPT18_ili26rocblas_geam_ex_operation_.private_seg_size, 0
	.set _ZN12_GLOBAL__N_120geam_min_plus_kernelIDF16_Dv2_DF16_S1_Li8ELi32ELi64ELi128ELi4ELi4ELi64ELi4ELi64ELc84ELc78ELb0ELb1ELb0EPKDF16_S2_DF16_EEviiiT16_PT17_ilS6_ilS4_S6_ilPT18_ili26rocblas_geam_ex_operation_.uses_vcc, 1
	.set _ZN12_GLOBAL__N_120geam_min_plus_kernelIDF16_Dv2_DF16_S1_Li8ELi32ELi64ELi128ELi4ELi4ELi64ELi4ELi64ELc84ELc78ELb0ELb1ELb0EPKDF16_S2_DF16_EEviiiT16_PT17_ilS6_ilS4_S6_ilPT18_ili26rocblas_geam_ex_operation_.uses_flat_scratch, 0
	.set _ZN12_GLOBAL__N_120geam_min_plus_kernelIDF16_Dv2_DF16_S1_Li8ELi32ELi64ELi128ELi4ELi4ELi64ELi4ELi64ELc84ELc78ELb0ELb1ELb0EPKDF16_S2_DF16_EEviiiT16_PT17_ilS6_ilS4_S6_ilPT18_ili26rocblas_geam_ex_operation_.has_dyn_sized_stack, 0
	.set _ZN12_GLOBAL__N_120geam_min_plus_kernelIDF16_Dv2_DF16_S1_Li8ELi32ELi64ELi128ELi4ELi4ELi64ELi4ELi64ELc84ELc78ELb0ELb1ELb0EPKDF16_S2_DF16_EEviiiT16_PT17_ilS6_ilS4_S6_ilPT18_ili26rocblas_geam_ex_operation_.has_recursion, 0
	.set _ZN12_GLOBAL__N_120geam_min_plus_kernelIDF16_Dv2_DF16_S1_Li8ELi32ELi64ELi128ELi4ELi4ELi64ELi4ELi64ELc84ELc78ELb0ELb1ELb0EPKDF16_S2_DF16_EEviiiT16_PT17_ilS6_ilS4_S6_ilPT18_ili26rocblas_geam_ex_operation_.has_indirect_call, 0
	.section	.AMDGPU.csdata,"",@progbits
; Kernel info:
; codeLenInByte = 11276
; TotalNumSgprs: 42
; NumVgprs: 121
; NumAgprs: 0
; TotalNumVgprs: 121
; ScratchSize: 0
; MemoryBound: 0
; FloatMode: 240
; IeeeMode: 1
; LDSByteSize: 3072 bytes/workgroup (compile time only)
; SGPRBlocks: 5
; VGPRBlocks: 15
; NumSGPRsForWavesPerEU: 42
; NumVGPRsForWavesPerEU: 121
; AccumOffset: 124
; Occupancy: 4
; WaveLimiterHint : 0
; COMPUTE_PGM_RSRC2:SCRATCH_EN: 0
; COMPUTE_PGM_RSRC2:USER_SGPR: 2
; COMPUTE_PGM_RSRC2:TRAP_HANDLER: 0
; COMPUTE_PGM_RSRC2:TGID_X_EN: 1
; COMPUTE_PGM_RSRC2:TGID_Y_EN: 0
; COMPUTE_PGM_RSRC2:TGID_Z_EN: 1
; COMPUTE_PGM_RSRC2:TIDIG_COMP_CNT: 1
; COMPUTE_PGM_RSRC3_GFX90A:ACCUM_OFFSET: 30
; COMPUTE_PGM_RSRC3_GFX90A:TG_SPLIT: 0
	.section	.text._ZN12_GLOBAL__N_120geam_min_plus_kernelIDF16_Dv2_DF16_S1_Li8ELi32ELi64ELi128ELi4ELi4ELi64ELi4ELi64ELc84ELc78ELb1ELb1ELb0EDF16_KDF16_DF16_EEviiiT16_PT17_ilS5_ilS3_S5_ilPT18_ili26rocblas_geam_ex_operation_,"axG",@progbits,_ZN12_GLOBAL__N_120geam_min_plus_kernelIDF16_Dv2_DF16_S1_Li8ELi32ELi64ELi128ELi4ELi4ELi64ELi4ELi64ELc84ELc78ELb1ELb1ELb0EDF16_KDF16_DF16_EEviiiT16_PT17_ilS5_ilS3_S5_ilPT18_ili26rocblas_geam_ex_operation_,comdat
	.globl	_ZN12_GLOBAL__N_120geam_min_plus_kernelIDF16_Dv2_DF16_S1_Li8ELi32ELi64ELi128ELi4ELi4ELi64ELi4ELi64ELc84ELc78ELb1ELb1ELb0EDF16_KDF16_DF16_EEviiiT16_PT17_ilS5_ilS3_S5_ilPT18_ili26rocblas_geam_ex_operation_ ; -- Begin function _ZN12_GLOBAL__N_120geam_min_plus_kernelIDF16_Dv2_DF16_S1_Li8ELi32ELi64ELi128ELi4ELi4ELi64ELi4ELi64ELc84ELc78ELb1ELb1ELb0EDF16_KDF16_DF16_EEviiiT16_PT17_ilS5_ilS3_S5_ilPT18_ili26rocblas_geam_ex_operation_
	.p2align	8
	.type	_ZN12_GLOBAL__N_120geam_min_plus_kernelIDF16_Dv2_DF16_S1_Li8ELi32ELi64ELi128ELi4ELi4ELi64ELi4ELi64ELc84ELc78ELb1ELb1ELb0EDF16_KDF16_DF16_EEviiiT16_PT17_ilS5_ilS3_S5_ilPT18_ili26rocblas_geam_ex_operation_,@function
_ZN12_GLOBAL__N_120geam_min_plus_kernelIDF16_Dv2_DF16_S1_Li8ELi32ELi64ELi128ELi4ELi4ELi64ELi4ELi64ELc84ELc78ELb1ELb1ELb0EDF16_KDF16_DF16_EEviiiT16_PT17_ilS5_ilS3_S5_ilPT18_ili26rocblas_geam_ex_operation_: ; @_ZN12_GLOBAL__N_120geam_min_plus_kernelIDF16_Dv2_DF16_S1_Li8ELi32ELi64ELi128ELi4ELi4ELi64ELi4ELi64ELc84ELc78ELb1ELb1ELb0EDF16_KDF16_DF16_EEviiiT16_PT17_ilS5_ilS3_S5_ilPT18_ili26rocblas_geam_ex_operation_
; %bb.0:
	s_load_dwordx4 s[20:23], s[0:1], 0x0
	s_load_dwordx4 s[4:7], s[0:1], 0x20
	s_waitcnt lgkmcnt(0)
	v_cmp_eq_f16_e64 s[8:9], s23, 0
	s_and_b64 vcc, exec, s[8:9]
	s_cbranch_vccnz .LBB292_41
; %bb.1:
	s_load_dwordx2 s[10:11], s[0:1], 0x10
	s_mul_i32 s5, s5, s3
	s_mul_hi_u32 s12, s4, s3
	s_add_i32 s5, s12, s5
	s_mul_i32 s4, s4, s3
	s_lshl_b64 s[4:5], s[4:5], 1
	s_waitcnt lgkmcnt(0)
	s_add_u32 s14, s10, s4
	s_addc_u32 s15, s11, s5
	s_andn2_b64 vcc, exec, s[8:9]
	s_mov_b64 s[4:5], -1
	s_cbranch_vccnz .LBB292_3
.LBB292_2:
	s_mov_b64 s[4:5], 0
.LBB292_3:
	s_mov_b64 s[24:25], 0
	s_andn2_b64 vcc, exec, s[4:5]
	s_mov_b64 s[16:17], 0
	s_cbranch_vccnz .LBB292_5
; %bb.4:
	s_load_dwordx2 s[4:5], s[0:1], 0x38
	s_waitcnt lgkmcnt(0)
	s_mul_i32 s5, s5, s3
	s_mul_hi_u32 s8, s4, s3
	s_add_i32 s5, s8, s5
	s_mul_i32 s4, s4, s3
	s_lshl_b64 s[4:5], s[4:5], 1
	s_add_u32 s16, s6, s4
	s_addc_u32 s17, s7, s5
.LBB292_5:
	s_load_dword s28, s[0:1], 0x40
	s_load_dwordx4 s[8:11], s[0:1], 0x58
	s_waitcnt lgkmcnt(0)
	v_cmp_eq_f16_e64 s[4:5], s28, 0
	v_cmp_neq_f16_e64 s[12:13], s28, 0
	s_and_b64 vcc, exec, s[4:5]
	s_cbranch_vccnz .LBB292_7
; %bb.6:
	s_load_dwordx2 s[4:5], s[0:1], 0x48
	s_mul_i32 s6, s9, s3
	s_mul_hi_u32 s7, s8, s3
	s_add_i32 s7, s7, s6
	s_mul_i32 s6, s8, s3
	s_lshl_b64 s[6:7], s[6:7], 1
	s_waitcnt lgkmcnt(0)
	s_add_u32 s24, s4, s6
	s_addc_u32 s25, s5, s7
.LBB292_7:
	s_add_i32 s4, s20, -1
	s_ashr_i32 s5, s4, 31
	s_lshr_b32 s5, s5, 26
	s_add_i32 s4, s4, s5
	s_ashr_i32 s4, s4, 6
	s_add_i32 s5, s4, 1
	v_cvt_f32_u32_e32 v1, s5
	v_and_b32_e32 v25, 0x3ff, v0
	v_bfe_u32 v40, v0, 10, 10
	v_and_b32_e32 v24, 3, v0
	v_rcp_iflag_f32_e32 v1, v1
	s_not_b32 s4, s4
	s_load_dword s23, s[0:1], 0x18
                                        ; implicit-def: $vgpr11
	v_mul_f32_e32 v0, 0x4f7ffffe, v1
	v_cvt_u32_f32_e32 v0, v0
	v_lshl_add_u32 v1, v40, 3, v25
	v_lshrrev_b32_e32 v6, 2, v1
	v_mov_b32_e32 v1, 0
	v_readfirstlane_b32 s6, v0
	s_mul_i32 s4, s4, s6
	s_mul_hi_u32 s4, s6, s4
	s_add_i32 s6, s6, s4
	s_mul_hi_u32 s4, s2, s6
	s_mul_i32 s6, s4, s5
	s_sub_i32 s6, s2, s6
	s_add_i32 s7, s4, 1
	s_sub_i32 s8, s6, s5
	s_cmp_ge_u32 s6, s5
	s_cselect_b32 s4, s7, s4
	s_cselect_b32 s6, s8, s6
	s_add_i32 s7, s4, 1
	s_cmp_ge_u32 s6, s5
	s_cselect_b32 s8, s7, s4
	s_mul_i32 s29, s8, s5
	s_sub_i32 s4, s2, s29
	s_lshl_b32 s26, s4, 6
	v_add_u32_e32 v9, s26, v6
	v_cmp_le_i32_e64 s[6:7], s22, v24
	v_cmp_le_i32_e32 vcc, s20, v9
	s_nor_b64 s[4:5], s[6:7], vcc
	v_lshlrev_b32_e32 v0, 1, v24
	s_and_saveexec_b64 s[18:19], s[4:5]
	s_xor_b64 s[4:5], exec, s[18:19]
	s_cbranch_execz .LBB292_9
; %bb.8:
	s_waitcnt lgkmcnt(0)
	v_mad_i64_i32 v[2:3], s[18:19], v9, s23, 0
	v_lshl_add_u64 v[2:3], v[2:3], 1, s[14:15]
	v_lshl_add_u64 v[2:3], v[2:3], 0, v[0:1]
	global_load_ushort v11, v[2:3], off
.LBB292_9:
	s_andn2_saveexec_b64 s[4:5], s[4:5]
	s_cbranch_execz .LBB292_11
; %bb.10:
	s_waitcnt vmcnt(0)
	v_mov_b32_e32 v11, 0
.LBB292_11:
	s_or_b64 exec, exec, s[4:5]
	s_load_dword s30, s[0:1], 0x30
	s_lshl_b32 s27, s8, 7
	v_add_u32_e32 v7, s27, v6
	v_lshlrev_b32_e32 v2, 1, v24
	v_mov_b32_e32 v3, 0
	v_cmp_le_i32_e64 s[8:9], s21, v7
	v_lshl_add_u64 v[4:5], s[16:17], 0, v[2:3]
	s_nor_b64 s[18:19], s[6:7], s[8:9]
	v_mov_b32_e32 v12, 0
	s_and_saveexec_b64 s[4:5], s[18:19]
	s_cbranch_execz .LBB292_13
; %bb.12:
	s_waitcnt lgkmcnt(0)
	v_mad_i64_i32 v[12:13], s[18:19], v7, s30, 0
	v_lshl_add_u64 v[12:13], v[12:13], 1, v[4:5]
	global_load_ushort v12, v[12:13], off
.LBB292_13:
	s_or_b64 exec, exec, s[4:5]
	v_add_u32_e32 v8, 64, v7
	v_cmp_le_i32_e64 s[4:5], s21, v8
	s_nor_b64 s[18:19], s[6:7], s[4:5]
	s_and_saveexec_b64 s[6:7], s[18:19]
	s_cbranch_execz .LBB292_15
; %bb.14:
	s_waitcnt lgkmcnt(0)
	v_mad_i64_i32 v[2:3], s[18:19], v8, s30, 0
	v_lshl_add_u64 v[2:3], v[2:3], 1, v[4:5]
	global_load_ushort v3, v[2:3], off
.LBB292_15:
	s_or_b64 exec, exec, s[6:7]
	v_or_b32_e32 v2, 4, v24
	v_cmp_le_i32_e64 s[6:7], s22, v2
	s_nor_b64 s[18:19], s[6:7], vcc
	v_mov_b32_e32 v1, 0
                                        ; implicit-def: $vgpr10
	s_and_saveexec_b64 s[34:35], s[18:19]
	s_xor_b64 s[18:19], exec, s[34:35]
	s_cbranch_execz .LBB292_17
; %bb.16:
	s_waitcnt lgkmcnt(0)
	v_mad_i64_i32 v[4:5], s[34:35], v9, s23, 0
	v_lshl_add_u64 v[4:5], v[4:5], 1, s[14:15]
	v_lshl_add_u64 v[0:1], v[4:5], 0, v[0:1]
	global_load_ushort v10, v[0:1], off offset:8
.LBB292_17:
	s_andn2_saveexec_b64 s[18:19], s[18:19]
	s_cbranch_execz .LBB292_19
; %bb.18:
	s_waitcnt vmcnt(0)
	v_mov_b32_e32 v10, 0
.LBB292_19:
	s_or_b64 exec, exec, s[18:19]
	v_lshlrev_b32_e32 v0, 1, v2
	v_mov_b32_e32 v1, 0
	v_lshl_add_u64 v[4:5], s[16:17], 0, v[0:1]
	s_nor_b64 s[34:35], s[6:7], s[8:9]
	v_mov_b32_e32 v0, 0
	s_and_saveexec_b64 s[18:19], s[34:35]
	s_cbranch_execz .LBB292_21
; %bb.20:
	s_waitcnt lgkmcnt(0)
	v_mad_i64_i32 v[14:15], s[34:35], v7, s30, 0
	v_lshl_add_u64 v[14:15], v[14:15], 1, v[4:5]
	global_load_ushort v0, v[14:15], off
.LBB292_21:
	s_or_b64 exec, exec, s[18:19]
	s_nor_b64 s[18:19], s[6:7], s[4:5]
	s_and_saveexec_b64 s[6:7], s[18:19]
	s_cbranch_execz .LBB292_23
; %bb.22:
	s_waitcnt lgkmcnt(0)
	v_mad_i64_i32 v[14:15], s[18:19], v8, s30, 0
	v_lshl_add_u64 v[4:5], v[14:15], 1, v[4:5]
	global_load_ushort v1, v[4:5], off
.LBB292_23:
	s_or_b64 exec, exec, s[6:7]
	v_lshlrev_b32_e32 v2, 3, v6
	v_lshl_or_b32 v43, v24, 1, v2
	v_lshlrev_b32_e32 v42, 3, v25
	v_lshlrev_b32_e32 v41, 3, v40
	s_waitcnt vmcnt(0)
	ds_write_b16 v43, v11 offset:2048
	ds_write_b16 v43, v12
	ds_write_b16 v43, v3 offset:512
	s_waitcnt lgkmcnt(0)
	s_barrier
	ds_read2_b64 v[2:5], v41 offset1:32
	v_add_u32_e32 v69, 0x800, v42
	ds_read2_b64 v[12:15], v69 offset0:48 offset1:56
	ds_read2_b64 v[16:19], v41 offset0:64 offset1:96
	ds_read2_b64 v[20:23], v69 offset1:8
	ds_read2_b64 v[26:29], v69 offset0:16 offset1:24
	ds_read2_b64 v[30:33], v69 offset0:32 offset1:40
	s_waitcnt lgkmcnt(5)
	v_pk_max_f16 v2, v2, v2
	s_waitcnt lgkmcnt(4)
	v_pk_max_f16 v9, v14, v14
	v_pk_max_f16 v4, v4, v4
	v_pk_min_f16 v11, v9, v2
	s_waitcnt lgkmcnt(3)
	v_pk_max_f16 v14, v16, v16
	s_waitcnt lgkmcnt(2)
	v_pk_max_f16 v16, v20, v20
	v_pk_max_f16 v18, v18, v18
	;; [unrolled: 1-line block ×3, first 2 shown]
	s_waitcnt lgkmcnt(1)
	v_pk_max_f16 v26, v26, v26
	v_pk_max_f16 v28, v28, v28
	s_waitcnt lgkmcnt(0)
	v_pk_max_f16 v30, v30, v30
	v_pk_max_f16 v3, v3, v3
	;; [unrolled: 1-line block ×5, first 2 shown]
	v_pk_min_f16 v20, v16, v2
	v_pk_min_f16 v34, v16, v4
	;; [unrolled: 1-line block ×17, first 2 shown]
	v_pk_max_f16 v5, v5, v5
	v_pk_min_f16 v54, v30, v4
	v_pk_min_f16 v55, v30, v14
	;; [unrolled: 1-line block ×14, first 2 shown]
	v_pk_add_f16 v11, v11, 0
	v_pk_min_f16 v18, v15, v3
	v_pk_max_f16 v17, v17, v17
	v_pk_add_f16 v68, v11, v18
	v_pk_add_f16 v11, v49, 0
	v_pk_min_f16 v18, v15, v5
	v_pk_max_f16 v21, v21, v21
	v_pk_add_f16 v60, v11, v18
	;; [unrolled: 4-line block ×5, first 2 shown]
	v_pk_add_f16 v11, v35, 0
	v_pk_min_f16 v18, v21, v17
	v_pk_min_f16 v34, v29, v3
	v_pk_add_f16 v59, v11, v18
	v_pk_add_f16 v11, v16, 0
	v_pk_min_f16 v16, v21, v19
	v_pk_add_f16 v20, v28, 0
	v_pk_add_f16 v51, v11, v16
	v_pk_add_f16 v11, v36, 0
	v_pk_min_f16 v16, v23, v3
	v_pk_add_f16 v21, v53, 0
	;; [unrolled: 4-line block ×5, first 2 shown]
	v_pk_add_f16 v50, v11, v16
	v_pk_max_f16 v16, v27, v27
	v_pk_add_f16 v11, v39, 0
	v_pk_min_f16 v18, v16, v3
	v_pk_add_f16 v27, v56, 0
	v_pk_add_f16 v74, v11, v18
	;; [unrolled: 1-line block ×3, first 2 shown]
	v_pk_min_f16 v18, v16, v5
	v_pk_add_f16 v23, v55, 0
	v_pk_add_f16 v65, v11, v18
	;; [unrolled: 1-line block ×3, first 2 shown]
	v_pk_min_f16 v18, v16, v17
	v_pk_min_f16 v16, v16, v19
	v_pk_add_f16 v57, v11, v18
	v_pk_add_f16 v11, v26, 0
	;; [unrolled: 1-line block ×7, first 2 shown]
	v_pk_min_f16 v11, v29, v5
	v_pk_add_f16 v26, v30, 0
	v_pk_add_f16 v64, v16, v11
	v_pk_min_f16 v11, v29, v17
	v_pk_add_f16 v30, v62, 0
	v_pk_add_f16 v56, v18, v11
	;; [unrolled: 3-line block ×3, first 2 shown]
	v_pk_max_f16 v11, v31, v31
	v_pk_add_f16 v4, v4, 0
	v_pk_min_f16 v16, v11, v3
	v_pk_add_f16 v14, v14, 0
	v_pk_add_f16 v72, v21, v16
	v_pk_min_f16 v16, v11, v5
	v_pk_add_f16 v12, v12, 0
	v_pk_add_f16 v63, v22, v16
	v_pk_min_f16 v16, v11, v17
	v_pk_min_f16 v11, v11, v19
	v_pk_add_f16 v55, v23, v16
	v_pk_add_f16 v47, v26, v11
	v_pk_max_f16 v11, v33, v33
	v_pk_add_f16 v9, v9, 0
	v_pk_min_f16 v16, v11, v3
	s_mov_b32 s18, 0
	v_pk_add_f16 v71, v27, v16
	v_pk_min_f16 v16, v11, v5
	s_cmp_lt_i32 s22, 9
	v_pk_add_f16 v62, v28, v16
	v_pk_min_f16 v16, v11, v17
	v_pk_min_f16 v11, v11, v19
	v_pk_add_f16 v54, v30, v16
	v_pk_add_f16 v46, v32, v11
	v_pk_max_f16 v11, v13, v13
	ds_write_b16 v43, v10 offset:2560
	ds_write_b16 v43, v0 offset:1024
	;; [unrolled: 1-line block ×3, first 2 shown]
	v_pk_min_f16 v3, v11, v3
	s_waitcnt lgkmcnt(0)
	v_pk_add_f16 v70, v2, v3
	v_pk_min_f16 v2, v11, v5
	s_barrier
	v_pk_add_f16 v61, v4, v2
	v_pk_min_f16 v2, v11, v17
	s_nop 0
	v_pk_add_f16 v53, v14, v2
	v_pk_min_f16 v2, v11, v19
	s_nop 0
	v_pk_add_f16 v45, v12, v2
	v_pk_min_f16 v2, v15, v19
	s_nop 0
	v_pk_add_f16 v44, v9, v2
	s_cbranch_scc1 .LBB292_38
; %bb.24:
	v_mov_b32_e32 v0, 0xa00
	v_lshl_add_u32 v80, v25, 3, v0
	v_mov_b32_e32 v0, 0x400
	v_lshl_add_u32 v81, v40, 3, v0
	v_and_b32_e32 v0, 3, v25
	v_lshlrev_b32_e32 v26, 1, v0
	v_lshl_add_u32 v0, s2, 6, v6
	s_lshl_b32 s2, s29, 6
	v_subrev_u32_e32 v0, s2, v0
	v_mad_i64_i32 v[0:1], s[6:7], s23, v0, 0
	v_lshl_add_u64 v[28:29], v[0:1], 1, s[14:15]
	v_mad_i64_i32 v[0:1], s[6:7], s30, v7, 0
	v_lshl_add_u64 v[30:31], v[0:1], 1, s[16:17]
	v_mad_i64_i32 v[0:1], s[6:7], s30, v8, 0
	v_add_u32_e32 v77, 0x800, v43
	v_add_u32_e32 v78, 0xa00, v43
	;; [unrolled: 1-line block ×3, first 2 shown]
	s_add_i32 s19, s22, -8
	v_mov_b32_e32 v27, 0
	v_lshl_add_u64 v[32:33], v[0:1], 1, s[16:17]
	s_branch .LBB292_26
.LBB292_25:                             ;   in Loop: Header=BB292_26 Depth=1
	s_or_b64 exec, exec, s[6:7]
	v_pk_max_f16 v2, v2, v2
	v_pk_max_f16 v20, v20, v20
	;; [unrolled: 1-line block ×7, first 2 shown]
	v_pk_min_f16 v35, v2, v20
	v_pk_max_f16 v12, v12, v12
	v_pk_max_f16 v14, v14, v14
	;; [unrolled: 1-line block ×10, first 2 shown]
	v_pk_min_f16 v92, v4, v20
	v_pk_max_f16 v9, v9, v9
	v_pk_max_f16 v11, v11, v11
	v_pk_min_f16 v93, v4, v22
	v_pk_max_f16 v5, v5, v5
	v_pk_max_f16 v7, v7, v7
	v_pk_min_f16 v94, v4, v16
	v_pk_min_f16 v4, v4, v18
	v_pk_max_f16 v0, v0, v0
	v_pk_max_f16 v3, v3, v3
	;; [unrolled: 1-line block ×3, first 2 shown]
	v_pk_min_f16 v95, v6, v20
	v_pk_min_f16 v96, v6, v22
	v_pk_min_f16 v97, v6, v16
	v_pk_min_f16 v6, v6, v18
	v_pk_min_f16 v98, v2, v22
	v_pk_min_f16 v36, v12, v20
	v_pk_min_f16 v37, v12, v22
	v_pk_min_f16 v38, v12, v16
	v_pk_min_f16 v12, v12, v18
	v_pk_min_f16 v39, v14, v20
	v_pk_min_f16 v84, v14, v22
	v_pk_min_f16 v85, v14, v16
	v_pk_min_f16 v14, v14, v18
	v_pk_min_f16 v86, v8, v20
	v_pk_min_f16 v87, v8, v22
	v_pk_min_f16 v88, v8, v16
	v_pk_min_f16 v8, v8, v18
	v_pk_min_f16 v89, v10, v20
	v_pk_min_f16 v90, v10, v22
	v_pk_min_f16 v91, v10, v16
	v_pk_min_f16 v10, v10, v18
	v_pk_min_f16 v20, v0, v20
	v_pk_min_f16 v22, v0, v22
	v_pk_min_f16 v99, v2, v16
	v_pk_min_f16 v16, v0, v16
	v_pk_min_f16 v0, v0, v18
	v_pk_min_f16 v2, v2, v18
	v_pk_min_f16 v18, v13, v21
	v_pk_min_f16 v100, v13, v23
	v_pk_min_f16 v101, v13, v17
	v_pk_min_f16 v13, v13, v19
	v_pk_min_f16 v102, v15, v21
	v_pk_min_f16 v103, v15, v23
	v_pk_min_f16 v104, v15, v17
	v_pk_min_f16 v15, v15, v19
	v_pk_min_f16 v105, v9, v21
	v_pk_min_f16 v106, v9, v23
	v_pk_min_f16 v107, v9, v17
	v_pk_min_f16 v9, v9, v19
	v_pk_min_f16 v108, v11, v21
	v_pk_min_f16 v109, v11, v23
	v_pk_min_f16 v110, v11, v17
	v_pk_min_f16 v11, v11, v19
	v_pk_min_f16 v111, v5, v21
	v_pk_min_f16 v112, v5, v23
	v_pk_min_f16 v113, v5, v17
	v_pk_min_f16 v5, v5, v19
	v_pk_min_f16 v114, v7, v21
	v_pk_min_f16 v115, v7, v23
	v_pk_min_f16 v116, v7, v17
	v_pk_min_f16 v7, v7, v19
	v_pk_min_f16 v117, v3, v21
	v_pk_min_f16 v21, v1, v21
	v_pk_min_f16 v118, v3, v23
	v_pk_min_f16 v23, v1, v23
	v_pk_min_f16 v119, v3, v17
	v_pk_min_f16 v17, v1, v17
	v_pk_min_f16 v120, v1, v19
	v_pk_min_f16 v19, v3, v19
	v_pk_add_f16 v1, v68, v35
	v_pk_add_f16 v3, v60, v98
	;; [unrolled: 1-line block ×16, first 2 shown]
	ds_read2_b64 v[0:3], v69 offset0:48 offset1:56
	ds_read2_b64 v[4:7], v41 offset1:32
	v_pk_add_f16 v36, v76, v36
	v_pk_add_f16 v37, v67, v37
	;; [unrolled: 1-line block ×5, first 2 shown]
	s_waitcnt lgkmcnt(1)
	v_pk_max_f16 v2, v2, v2
	s_waitcnt lgkmcnt(0)
	v_pk_max_f16 v4, v4, v4
	v_pk_add_f16 v14, v50, v14
	v_pk_add_f16 v59, v64, v90
	;; [unrolled: 1-line block ×9, first 2 shown]
	ds_read2_b64 v[8:11], v41 offset0:64 offset1:96
	v_pk_min_f16 v12, v2, v4
	v_pk_add_f16 v22, v61, v22
	v_pk_add_f16 v61, v14, v15
	;; [unrolled: 1-line block ×3, first 2 shown]
	ds_read2_b64 v[12:15], v69 offset1:8
	v_pk_max_f16 v6, v6, v6
	v_pk_add_f16 v20, v70, v20
	v_pk_add_f16 v70, v16, v17
	v_pk_min_f16 v16, v2, v6
	s_waitcnt lgkmcnt(1)
	v_pk_max_f16 v8, v8, v8
	v_pk_add_f16 v35, v35, v119
	v_pk_add_f16 v53, v53, v16
	v_pk_min_f16 v16, v2, v8
	s_waitcnt lgkmcnt(0)
	v_pk_max_f16 v12, v12, v12
	v_pk_add_f16 v35, v35, v16
	v_pk_min_f16 v16, v12, v4
	v_pk_add_f16 v47, v71, v95
	v_pk_add_f16 v71, v18, v16
	v_pk_min_f16 v16, v12, v6
	v_pk_add_f16 v39, v75, v39
	v_pk_add_f16 v36, v36, v16
	v_pk_min_f16 v16, v12, v8
	v_pk_max_f16 v10, v10, v10
	v_pk_max_f16 v14, v14, v14
	v_pk_add_f16 v39, v39, v102
	v_pk_add_f16 v37, v37, v16
	v_pk_min_f16 v12, v12, v10
	v_pk_min_f16 v16, v14, v4
	v_pk_add_f16 v51, v51, v103
	v_pk_add_f16 v12, v38, v12
	;; [unrolled: 1-line block ×3, first 2 shown]
	v_pk_min_f16 v16, v14, v6
	v_pk_add_f16 v44, v44, v19
	v_pk_add_f16 v39, v51, v16
	ds_read2_b64 v[16:19], v69 offset0:16 offset1:24
	v_pk_add_f16 v50, v74, v86
	v_pk_add_f16 v52, v52, v104
	;; [unrolled: 1-line block ×3, first 2 shown]
	v_pk_min_f16 v20, v14, v8
	s_waitcnt lgkmcnt(0)
	v_pk_max_f16 v16, v16, v16
	v_pk_add_f16 v48, v72, v92
	v_pk_add_f16 v50, v50, v105
	;; [unrolled: 1-line block ×3, first 2 shown]
	v_pk_min_f16 v14, v14, v10
	v_pk_min_f16 v20, v16, v4
	v_pk_add_f16 v57, v57, v88
	v_pk_add_f16 v58, v58, v106
	;; [unrolled: 1-line block ×4, first 2 shown]
	v_pk_min_f16 v20, v16, v6
	v_pk_add_f16 v49, v73, v89
	v_pk_add_f16 v57, v57, v107
	;; [unrolled: 1-line block ×3, first 2 shown]
	v_pk_min_f16 v20, v16, v8
	v_pk_max_f16 v18, v18, v18
	v_pk_add_f16 v49, v49, v108
	v_pk_add_f16 v57, v57, v20
	v_pk_min_f16 v16, v16, v10
	v_pk_min_f16 v20, v18, v4
	v_pk_add_f16 v59, v59, v109
	v_pk_add_f16 v16, v63, v16
	;; [unrolled: 1-line block ×3, first 2 shown]
	v_pk_min_f16 v20, v18, v6
	v_pk_add_f16 v68, v22, v23
	v_pk_add_f16 v84, v59, v20
	ds_read2_b64 v[20:23], v69 offset0:32 offset1:40
	v_pk_add_f16 v56, v56, v91
	v_pk_min_f16 v49, v18, v8
	v_pk_add_f16 v56, v56, v110
	v_pk_add_f16 v48, v48, v111
	s_waitcnt lgkmcnt(0)
	v_pk_max_f16 v20, v20, v20
	v_pk_add_f16 v56, v56, v49
	v_pk_min_f16 v49, v20, v4
	v_pk_add_f16 v55, v55, v94
	v_pk_add_f16 v60, v60, v112
	;; [unrolled: 1-line block ×3, first 2 shown]
	v_pk_min_f16 v48, v20, v6
	v_pk_add_f16 v55, v55, v113
	v_pk_add_f16 v86, v60, v48
	v_pk_min_f16 v48, v20, v8
	v_pk_max_f16 v22, v22, v22
	v_pk_add_f16 v62, v62, v96
	v_pk_add_f16 v47, v47, v114
	;; [unrolled: 1-line block ×3, first 2 shown]
	v_pk_min_f16 v48, v22, v4
	v_pk_add_f16 v62, v62, v115
	v_pk_add_f16 v87, v47, v48
	v_pk_min_f16 v47, v22, v6
	v_pk_max_f16 v0, v0, v0
	v_pk_max_f16 v3, v3, v3
	;; [unrolled: 1-line block ×3, first 2 shown]
	v_pk_min_f16 v18, v18, v10
	v_pk_min_f16 v20, v20, v10
	v_pk_add_f16 v62, v62, v47
	v_pk_min_f16 v47, v22, v8
	v_pk_min_f16 v22, v22, v10
	;; [unrolled: 1-line block ×8, first 2 shown]
	v_pk_max_f16 v7, v7, v7
	v_pk_add_f16 v6, v68, v6
	v_pk_add_f16 v68, v46, v10
	v_pk_min_f16 v10, v3, v7
	v_pk_max_f16 v9, v9, v9
	v_pk_add_f16 v60, v53, v10
	v_pk_min_f16 v10, v3, v9
	v_pk_max_f16 v11, v11, v11
	v_pk_add_f16 v52, v35, v10
	v_pk_max_f16 v10, v13, v13
	v_pk_add_f16 v4, v67, v4
	v_pk_min_f16 v13, v10, v5
	v_pk_add_f16 v22, v66, v22
	v_pk_add_f16 v76, v71, v13
	v_pk_min_f16 v13, v10, v7
	v_pk_add_f16 v20, v65, v20
	v_pk_add_f16 v67, v36, v13
	v_pk_min_f16 v13, v10, v9
	v_pk_min_f16 v10, v10, v11
	v_pk_add_f16 v18, v64, v18
	v_pk_add_f16 v51, v12, v10
	v_pk_max_f16 v10, v15, v15
	v_pk_add_f16 v54, v54, v97
	v_pk_min_f16 v12, v10, v5
	v_pk_add_f16 v54, v54, v116
	v_pk_add_f16 v75, v38, v12
	v_pk_min_f16 v12, v10, v7
	v_pk_add_f16 v54, v54, v47
	v_pk_add_f16 v66, v39, v12
	v_pk_min_f16 v12, v10, v9
	v_pk_min_f16 v10, v10, v11
	v_pk_add_f16 v58, v72, v12
	v_pk_add_f16 v50, v14, v10
	v_pk_max_f16 v10, v17, v17
	v_pk_max_f16 v1, v1, v1
	v_pk_min_f16 v12, v10, v5
	v_pk_add_f16 v45, v45, v120
	v_pk_add_f16 v74, v61, v12
	v_pk_min_f16 v12, v10, v7
	v_pk_add_f16 v8, v70, v8
	v_pk_add_f16 v65, v73, v12
	v_pk_min_f16 v12, v10, v9
	v_pk_min_f16 v10, v10, v11
	v_pk_add_f16 v57, v57, v12
	v_pk_add_f16 v49, v16, v10
	v_pk_max_f16 v10, v19, v19
	v_pk_add_f16 v0, v45, v0
	v_pk_min_f16 v12, v10, v5
	v_pk_add_f16 v2, v44, v2
	v_pk_add_f16 v73, v63, v12
	v_pk_min_f16 v12, v10, v7
	s_add_i32 s18, s18, 8
	v_pk_add_f16 v64, v84, v12
	v_pk_min_f16 v12, v10, v9
	v_pk_min_f16 v10, v10, v11
	v_pk_add_f16 v56, v56, v12
	v_pk_add_f16 v48, v18, v10
	v_pk_max_f16 v10, v21, v21
	v_pk_add_f16 v59, v37, v13
	v_pk_min_f16 v12, v10, v5
	v_lshl_add_u64 v[28:29], v[28:29], 0, 16
	v_pk_add_f16 v72, v85, v12
	v_pk_min_f16 v12, v10, v7
	v_lshl_add_u64 v[30:31], v[30:31], 0, 16
	v_pk_add_f16 v63, v86, v12
	v_pk_min_f16 v12, v10, v9
	v_pk_min_f16 v10, v10, v11
	v_pk_add_f16 v55, v55, v12
	v_pk_add_f16 v47, v20, v10
	v_pk_max_f16 v10, v23, v23
	s_cmp_ge_i32 s18, s19
	v_pk_min_f16 v12, v10, v5
	v_pk_min_f16 v5, v1, v5
	v_pk_add_f16 v71, v87, v12
	v_pk_add_f16 v70, v4, v5
	v_pk_min_f16 v4, v1, v7
	v_pk_min_f16 v12, v10, v7
	v_pk_add_f16 v61, v6, v4
	v_pk_min_f16 v4, v1, v9
	v_pk_min_f16 v1, v1, v11
	;; [unrolled: 3-line block ×3, first 2 shown]
	v_pk_add_f16 v45, v0, v1
	v_pk_min_f16 v0, v3, v11
	v_pk_add_f16 v54, v54, v12
	v_pk_add_f16 v46, v22, v10
	;; [unrolled: 1-line block ×4, first 2 shown]
	v_lshl_add_u64 v[32:33], v[32:33], 0, 16
	s_waitcnt vmcnt(0)
	ds_write_b16 v78, v83
	ds_write_b16 v79, v82
	ds_write_b16 v79, v34 offset:512
	s_waitcnt lgkmcnt(0)
	s_barrier
	s_cbranch_scc1 .LBB292_38
.LBB292_26:                             ; =>This Inner Loop Header: Depth=1
	v_add_u32_e32 v82, s18, v24
	v_add_u32_e32 v0, 8, v82
	v_cmp_le_i32_e64 s[6:7], s22, v0
	s_nor_b64 s[16:17], s[6:7], vcc
	v_lshl_add_u64 v[34:35], v[28:29], 0, v[26:27]
	v_mov_b32_e32 v83, 0
	s_and_saveexec_b64 s[14:15], s[16:17]
	s_cbranch_execz .LBB292_28
; %bb.27:                               ;   in Loop: Header=BB292_26 Depth=1
	global_load_ushort v83, v[34:35], off offset:16
.LBB292_28:                             ;   in Loop: Header=BB292_26 Depth=1
	s_or_b64 exec, exec, s[14:15]
	s_nor_b64 s[16:17], s[8:9], s[6:7]
	v_mov_b32_e32 v84, 0
	v_lshl_add_u64 v[38:39], v[30:31], 0, v[26:27]
	v_mov_b32_e32 v85, 0
	s_and_saveexec_b64 s[14:15], s[16:17]
	s_cbranch_execz .LBB292_30
; %bb.29:                               ;   in Loop: Header=BB292_26 Depth=1
	global_load_ushort v85, v[38:39], off offset:16
.LBB292_30:                             ;   in Loop: Header=BB292_26 Depth=1
	s_or_b64 exec, exec, s[14:15]
	s_nor_b64 s[14:15], s[4:5], s[6:7]
	v_lshl_add_u64 v[36:37], v[32:33], 0, v[26:27]
	s_and_saveexec_b64 s[6:7], s[14:15]
	s_cbranch_execz .LBB292_32
; %bb.31:                               ;   in Loop: Header=BB292_26 Depth=1
	global_load_ushort v84, v[36:37], off offset:16
.LBB292_32:                             ;   in Loop: Header=BB292_26 Depth=1
	s_or_b64 exec, exec, s[6:7]
	ds_read2_b64 v[0:3], v80 offset0:48 offset1:56
	ds_read2_b64 v[16:19], v81 offset0:64 offset1:96
	ds_read2_b64 v[20:23], v81 offset1:32
	ds_read2_b64 v[12:15], v80 offset1:8
	ds_read2_b64 v[8:11], v80 offset0:16 offset1:24
	ds_read2_b64 v[4:7], v80 offset0:32 offset1:40
	v_add_u32_e32 v82, 12, v82
	v_cmp_le_i32_e64 s[6:7], s22, v82
	s_waitcnt vmcnt(0)
	ds_write_b16 v77, v83
	ds_write_b16 v43, v85
	ds_write_b16 v43, v84 offset:512
	s_nor_b64 s[14:15], s[6:7], vcc
	v_mov_b32_e32 v82, 0
	v_mov_b32_e32 v83, 0
	s_waitcnt lgkmcnt(0)
	s_barrier
	s_and_saveexec_b64 s[16:17], s[14:15]
	s_xor_b64 s[14:15], exec, s[16:17]
	s_cbranch_execz .LBB292_34
; %bb.33:                               ;   in Loop: Header=BB292_26 Depth=1
	global_load_ushort v83, v[34:35], off offset:24
.LBB292_34:                             ;   in Loop: Header=BB292_26 Depth=1
	s_or_b64 exec, exec, s[14:15]
	s_nor_b64 s[16:17], s[8:9], s[6:7]
	s_and_saveexec_b64 s[14:15], s[16:17]
	s_cbranch_execz .LBB292_36
; %bb.35:                               ;   in Loop: Header=BB292_26 Depth=1
	global_load_ushort v82, v[38:39], off offset:24
.LBB292_36:                             ;   in Loop: Header=BB292_26 Depth=1
	s_or_b64 exec, exec, s[14:15]
	s_nor_b64 s[14:15], s[4:5], s[6:7]
	v_mov_b32_e32 v34, 0
	s_and_saveexec_b64 s[6:7], s[14:15]
	s_cbranch_execz .LBB292_25
; %bb.37:                               ;   in Loop: Header=BB292_26 Depth=1
	global_load_ushort v34, v[36:37], off offset:24
	s_branch .LBB292_25
.LBB292_38:
	s_load_dwordx2 s[4:5], s[0:1], 0x70
	s_load_dword s30, s[0:1], 0x50
	s_load_dword s29, s[0:1], 0x68
	v_add_u32_e32 v8, 0x800, v42
	ds_read2_b64 v[0:3], v8 offset0:112 offset1:120
	ds_read2_b64 v[4:7], v41 offset0:192 offset1:224
	;; [unrolled: 1-line block ×6, first 2 shown]
	s_waitcnt lgkmcnt(0)
	s_mul_i32 s1, s5, s3
	s_mul_hi_u32 s2, s4, s3
	s_mul_i32 s0, s4, s3
	s_add_i32 s1, s2, s1
	s_lshl_b64 s[0:1], s[0:1], 1
	s_add_u32 s22, s10, s0
	v_add_u32_e32 v69, s27, v40
	s_addc_u32 s23, s11, s1
	v_mad_i64_i32 v[26:27], s[0:1], v69, s30, 0
	v_add_u32_e32 v24, s26, v25
	v_lshl_add_u64 v[42:43], v[26:27], 1, s[24:25]
	v_mad_i64_i32 v[26:27], s[0:1], v69, s29, 0
	v_cmp_gt_i32_e64 s[18:19], s21, v69
	v_lshl_add_u64 v[40:41], v[26:27], 1, s[22:23]
	v_cmp_gt_i32_e64 s[2:3], s20, v24
	v_cndmask_b32_e64 v26, 0, 1, s[12:13]
	s_and_b64 s[4:5], s[2:3], s[18:19]
	v_ashrrev_i32_e32 v25, 31, v24
	v_cmp_ne_u32_e64 s[0:1], 1, v26
	s_and_saveexec_b64 s[6:7], s[4:5]
	s_xor_b64 s[4:5], exec, s[6:7]
	s_cbranch_execz .LBB292_44
; %bb.39:
	s_and_b64 vcc, exec, s[0:1]
	s_cbranch_vccnz .LBB292_42
; %bb.40:
	v_lshl_add_u64 v[26:27], v[24:25], 1, v[42:43]
	global_load_ushort v26, v[26:27], off
	s_waitcnt vmcnt(0)
	v_mul_f16_e32 v26, s28, v26
	s_branch .LBB292_43
.LBB292_41:
	s_mov_b64 s[14:15], 0
	s_andn2_b64 vcc, exec, s[8:9]
	s_mov_b64 s[4:5], -1
	s_cbranch_vccz .LBB292_2
	s_branch .LBB292_3
.LBB292_42:
	v_mov_b32_e32 v26, 0
.LBB292_43:
	v_pk_max_f16 v27, v20, v20
	v_pk_max_f16 v28, v16, v16
	;; [unrolled: 1-line block ×3, first 2 shown]
	v_pk_min_f16 v27, v28, v27
	v_pk_max_f16 v28, v21, v21
	v_pk_add_f16 v27, v76, v27
	v_pk_min_f16 v28, v29, v28
	s_nop 0
	v_pk_add_f16 v27, v27, v28
	s_nop 0
	v_add_f16_sdwa v27, v27, v27 dst_sel:DWORD dst_unused:UNUSED_PAD src0_sel:DWORD src1_sel:WORD_1
	v_add_f16_e32 v28, v27, v26
	v_lshl_add_u64 v[26:27], v[24:25], 1, v[40:41]
	global_store_short v[26:27], v28, off
.LBB292_44:
	s_or_b64 exec, exec, s[4:5]
	v_add_u32_e32 v26, 8, v24
	v_cmp_gt_i32_e64 s[4:5], s20, v26
	s_and_b64 s[8:9], s[4:5], s[18:19]
	v_ashrrev_i32_e32 v27, 31, v26
	s_and_saveexec_b64 s[6:7], s[8:9]
	s_cbranch_execz .LBB292_49
; %bb.45:
	s_and_b64 vcc, exec, s[0:1]
	s_cbranch_vccnz .LBB292_47
; %bb.46:
	v_lshl_add_u64 v[28:29], v[26:27], 1, v[42:43]
	global_load_ushort v28, v[28:29], off
	s_waitcnt vmcnt(0)
	v_mul_f16_e32 v28, s28, v28
	s_branch .LBB292_48
.LBB292_47:
	v_mov_b32_e32 v28, 0
.LBB292_48:
	v_pk_max_f16 v29, v20, v20
	v_pk_max_f16 v30, v18, v18
	v_pk_max_f16 v31, v19, v19
	v_pk_min_f16 v29, v30, v29
	v_pk_max_f16 v30, v21, v21
	v_pk_add_f16 v29, v75, v29
	v_pk_min_f16 v30, v31, v30
	s_nop 0
	v_pk_add_f16 v29, v29, v30
	s_nop 0
	v_add_f16_sdwa v29, v29, v29 dst_sel:DWORD dst_unused:UNUSED_PAD src0_sel:DWORD src1_sel:WORD_1
	v_add_f16_e32 v30, v29, v28
	v_lshl_add_u64 v[28:29], v[26:27], 1, v[40:41]
	global_store_short v[28:29], v30, off
.LBB292_49:
	s_or_b64 exec, exec, s[6:7]
	v_add_u32_e32 v28, 16, v24
	v_cmp_gt_i32_e64 s[6:7], s20, v28
	s_and_b64 s[10:11], s[6:7], s[18:19]
	v_ashrrev_i32_e32 v29, 31, v28
	s_and_saveexec_b64 s[8:9], s[10:11]
	s_cbranch_execz .LBB292_54
; %bb.50:
	s_and_b64 vcc, exec, s[0:1]
	s_cbranch_vccnz .LBB292_52
; %bb.51:
	v_lshl_add_u64 v[30:31], v[28:29], 1, v[42:43]
	global_load_ushort v30, v[30:31], off
	s_waitcnt vmcnt(0)
	v_mul_f16_e32 v30, s28, v30
	s_branch .LBB292_53
.LBB292_52:
	v_mov_b32_e32 v30, 0
.LBB292_53:
	v_pk_max_f16 v31, v20, v20
	v_pk_max_f16 v32, v12, v12
	v_pk_max_f16 v33, v13, v13
	v_pk_min_f16 v31, v32, v31
	v_pk_max_f16 v32, v21, v21
	v_pk_add_f16 v31, v74, v31
	v_pk_min_f16 v32, v33, v32
	s_nop 0
	v_pk_add_f16 v31, v31, v32
	s_nop 0
	v_add_f16_sdwa v31, v31, v31 dst_sel:DWORD dst_unused:UNUSED_PAD src0_sel:DWORD src1_sel:WORD_1
	v_add_f16_e32 v32, v31, v30
	v_lshl_add_u64 v[30:31], v[28:29], 1, v[40:41]
	global_store_short v[30:31], v32, off
.LBB292_54:
	;; [unrolled: 34-line block ×5, first 2 shown]
	s_or_b64 exec, exec, s[14:15]
	v_add_u32_e32 v36, 48, v24
	v_cmp_gt_i32_e64 s[14:15], s20, v36
	s_and_b64 s[26:27], s[14:15], s[18:19]
	v_ashrrev_i32_e32 v37, 31, v36
	s_and_saveexec_b64 s[16:17], s[26:27]
	s_cbranch_execz .LBB292_74
; %bb.70:
	s_and_b64 vcc, exec, s[0:1]
	s_cbranch_vccnz .LBB292_72
; %bb.71:
	v_lshl_add_u64 v[38:39], v[36:37], 1, v[42:43]
	global_load_ushort v38, v[38:39], off
	s_waitcnt vmcnt(0)
	v_mul_f16_e32 v38, s28, v38
	s_branch .LBB292_73
.LBB292_72:
	v_mov_b32_e32 v38, 0
.LBB292_73:
	v_pk_max_f16 v39, v20, v20
	v_pk_max_f16 v71, v0, v0
	s_nop 0
	v_pk_min_f16 v39, v71, v39
	v_pk_max_f16 v71, v1, v1
	v_pk_add_f16 v39, v70, v39
	v_pk_max_f16 v70, v21, v21
	s_nop 0
	v_pk_min_f16 v70, v71, v70
	s_nop 0
	v_pk_add_f16 v39, v39, v70
	s_nop 0
	v_add_f16_sdwa v39, v39, v39 dst_sel:DWORD dst_unused:UNUSED_PAD src0_sel:DWORD src1_sel:WORD_1
	v_add_f16_e32 v70, v39, v38
	v_lshl_add_u64 v[38:39], v[36:37], 1, v[40:41]
	global_store_short v[38:39], v70, off
.LBB292_74:
	s_or_b64 exec, exec, s[16:17]
	v_add_u32_e32 v38, 56, v24
	v_cmp_gt_i32_e64 s[16:17], s20, v38
	s_and_b64 s[26:27], s[16:17], s[18:19]
	v_ashrrev_i32_e32 v39, 31, v38
	s_and_saveexec_b64 s[18:19], s[26:27]
	s_cbranch_execz .LBB292_79
; %bb.75:
	s_and_b64 vcc, exec, s[0:1]
	s_cbranch_vccnz .LBB292_77
; %bb.76:
	v_lshl_add_u64 v[42:43], v[38:39], 1, v[42:43]
	global_load_ushort v42, v[42:43], off
	s_waitcnt vmcnt(0)
	v_mul_f16_e32 v42, s28, v42
	s_branch .LBB292_78
.LBB292_77:
	v_mov_b32_e32 v42, 0
.LBB292_78:
	v_pk_max_f16 v20, v20, v20
	v_pk_max_f16 v43, v2, v2
	v_pk_max_f16 v21, v21, v21
	v_pk_min_f16 v20, v43, v20
	v_pk_max_f16 v43, v3, v3
	v_pk_add_f16 v20, v68, v20
	v_pk_min_f16 v21, v43, v21
	s_nop 0
	v_pk_add_f16 v20, v20, v21
	s_nop 0
	v_add_f16_sdwa v20, v20, v20 dst_sel:DWORD dst_unused:UNUSED_PAD src0_sel:DWORD src1_sel:WORD_1
	v_add_f16_e32 v42, v20, v42
	v_lshl_add_u64 v[20:21], v[38:39], 1, v[40:41]
	global_store_short v[20:21], v42, off
.LBB292_79:
	s_or_b64 exec, exec, s[18:19]
	v_add_u32_e32 v42, 32, v69
	v_mad_i64_i32 v[20:21], s[26:27], v42, s30, 0
	v_cmp_gt_i32_e64 s[18:19], s21, v42
	v_lshl_add_u64 v[40:41], v[20:21], 1, s[24:25]
	v_mad_i64_i32 v[20:21], s[26:27], v42, s29, 0
	v_lshl_add_u64 v[20:21], v[20:21], 1, s[22:23]
	s_and_b64 s[34:35], s[2:3], s[18:19]
	s_and_saveexec_b64 s[26:27], s[34:35]
	s_cbranch_execnz .LBB292_87
; %bb.80:
	s_or_b64 exec, exec, s[26:27]
	s_and_b64 s[34:35], s[4:5], s[18:19]
	s_and_saveexec_b64 s[26:27], s[34:35]
	s_cbranch_execnz .LBB292_91
.LBB292_81:
	s_or_b64 exec, exec, s[26:27]
	s_and_b64 s[34:35], s[6:7], s[18:19]
	s_and_saveexec_b64 s[26:27], s[34:35]
	s_cbranch_execnz .LBB292_95
.LBB292_82:
	s_or_b64 exec, exec, s[26:27]
	s_and_b64 s[34:35], s[8:9], s[18:19]
	s_and_saveexec_b64 s[26:27], s[34:35]
	s_cbranch_execnz .LBB292_99
.LBB292_83:
	s_or_b64 exec, exec, s[26:27]
	s_and_b64 s[34:35], s[10:11], s[18:19]
	s_and_saveexec_b64 s[26:27], s[34:35]
	s_cbranch_execnz .LBB292_103
.LBB292_84:
	s_or_b64 exec, exec, s[26:27]
	s_and_b64 s[34:35], s[12:13], s[18:19]
	s_and_saveexec_b64 s[26:27], s[34:35]
	s_cbranch_execnz .LBB292_107
.LBB292_85:
	s_or_b64 exec, exec, s[26:27]
	s_and_b64 s[34:35], s[14:15], s[18:19]
	s_and_saveexec_b64 s[26:27], s[34:35]
	s_cbranch_execnz .LBB292_111
.LBB292_86:
	s_or_b64 exec, exec, s[26:27]
	s_and_b64 s[26:27], s[16:17], s[18:19]
	s_and_saveexec_b64 s[18:19], s[26:27]
	s_cbranch_execnz .LBB292_115
	s_branch .LBB292_119
.LBB292_87:
	s_and_b64 vcc, exec, s[0:1]
	s_cbranch_vccnz .LBB292_89
; %bb.88:
	v_lshl_add_u64 v[42:43], v[24:25], 1, v[40:41]
	global_load_ushort v42, v[42:43], off
	s_waitcnt vmcnt(0)
	v_mul_f16_e32 v42, s28, v42
	s_branch .LBB292_90
.LBB292_89:
	v_mov_b32_e32 v42, 0
.LBB292_90:
	v_pk_max_f16 v43, v22, v22
	v_pk_max_f16 v68, v16, v16
	s_nop 0
	v_pk_min_f16 v43, v68, v43
	v_pk_max_f16 v68, v17, v17
	v_pk_add_f16 v43, v67, v43
	v_pk_max_f16 v67, v23, v23
	s_nop 0
	v_pk_min_f16 v67, v68, v67
	s_nop 0
	v_pk_add_f16 v43, v43, v67
	s_nop 0
	v_add_f16_sdwa v43, v43, v43 dst_sel:DWORD dst_unused:UNUSED_PAD src0_sel:DWORD src1_sel:WORD_1
	v_add_f16_e32 v67, v43, v42
	v_lshl_add_u64 v[42:43], v[24:25], 1, v[20:21]
	global_store_short v[42:43], v67, off
	s_or_b64 exec, exec, s[26:27]
	s_and_b64 s[34:35], s[4:5], s[18:19]
	s_and_saveexec_b64 s[26:27], s[34:35]
	s_cbranch_execz .LBB292_81
.LBB292_91:
	s_and_b64 vcc, exec, s[0:1]
	s_cbranch_vccnz .LBB292_93
; %bb.92:
	v_lshl_add_u64 v[42:43], v[26:27], 1, v[40:41]
	global_load_ushort v42, v[42:43], off
	s_waitcnt vmcnt(0)
	v_mul_f16_e32 v42, s28, v42
	s_branch .LBB292_94
.LBB292_93:
	v_mov_b32_e32 v42, 0
.LBB292_94:
	v_pk_max_f16 v43, v22, v22
	v_pk_max_f16 v67, v18, v18
	s_nop 0
	v_pk_min_f16 v43, v67, v43
	v_pk_max_f16 v67, v19, v19
	v_pk_add_f16 v43, v66, v43
	v_pk_max_f16 v66, v23, v23
	s_nop 0
	v_pk_min_f16 v66, v67, v66
	s_nop 0
	v_pk_add_f16 v43, v43, v66
	s_nop 0
	v_add_f16_sdwa v43, v43, v43 dst_sel:DWORD dst_unused:UNUSED_PAD src0_sel:DWORD src1_sel:WORD_1
	v_add_f16_e32 v66, v43, v42
	v_lshl_add_u64 v[42:43], v[26:27], 1, v[20:21]
	global_store_short v[42:43], v66, off
	s_or_b64 exec, exec, s[26:27]
	s_and_b64 s[34:35], s[6:7], s[18:19]
	s_and_saveexec_b64 s[26:27], s[34:35]
	s_cbranch_execz .LBB292_82
.LBB292_95:
	s_and_b64 vcc, exec, s[0:1]
	s_cbranch_vccnz .LBB292_97
; %bb.96:
	v_lshl_add_u64 v[42:43], v[28:29], 1, v[40:41]
	global_load_ushort v42, v[42:43], off
	s_waitcnt vmcnt(0)
	v_mul_f16_e32 v42, s28, v42
	s_branch .LBB292_98
.LBB292_97:
	v_mov_b32_e32 v42, 0
.LBB292_98:
	v_pk_max_f16 v43, v22, v22
	v_pk_max_f16 v66, v12, v12
	s_nop 0
	v_pk_min_f16 v43, v66, v43
	v_pk_max_f16 v66, v13, v13
	v_pk_add_f16 v43, v65, v43
	v_pk_max_f16 v65, v23, v23
	s_nop 0
	v_pk_min_f16 v65, v66, v65
	s_nop 0
	v_pk_add_f16 v43, v43, v65
	s_nop 0
	v_add_f16_sdwa v43, v43, v43 dst_sel:DWORD dst_unused:UNUSED_PAD src0_sel:DWORD src1_sel:WORD_1
	v_add_f16_e32 v65, v43, v42
	v_lshl_add_u64 v[42:43], v[28:29], 1, v[20:21]
	global_store_short v[42:43], v65, off
	s_or_b64 exec, exec, s[26:27]
	s_and_b64 s[34:35], s[8:9], s[18:19]
	s_and_saveexec_b64 s[26:27], s[34:35]
	s_cbranch_execz .LBB292_83
.LBB292_99:
	s_and_b64 vcc, exec, s[0:1]
	s_cbranch_vccnz .LBB292_101
; %bb.100:
	v_lshl_add_u64 v[42:43], v[30:31], 1, v[40:41]
	global_load_ushort v42, v[42:43], off
	s_waitcnt vmcnt(0)
	v_mul_f16_e32 v42, s28, v42
	s_branch .LBB292_102
.LBB292_101:
	v_mov_b32_e32 v42, 0
.LBB292_102:
	v_pk_max_f16 v43, v22, v22
	v_pk_max_f16 v65, v14, v14
	s_nop 0
	v_pk_min_f16 v43, v65, v43
	v_pk_max_f16 v65, v15, v15
	v_pk_add_f16 v43, v64, v43
	v_pk_max_f16 v64, v23, v23
	s_nop 0
	v_pk_min_f16 v64, v65, v64
	s_nop 0
	v_pk_add_f16 v43, v43, v64
	s_nop 0
	v_add_f16_sdwa v43, v43, v43 dst_sel:DWORD dst_unused:UNUSED_PAD src0_sel:DWORD src1_sel:WORD_1
	v_add_f16_e32 v64, v43, v42
	v_lshl_add_u64 v[42:43], v[30:31], 1, v[20:21]
	global_store_short v[42:43], v64, off
	s_or_b64 exec, exec, s[26:27]
	s_and_b64 s[34:35], s[10:11], s[18:19]
	s_and_saveexec_b64 s[26:27], s[34:35]
	s_cbranch_execz .LBB292_84
.LBB292_103:
	s_and_b64 vcc, exec, s[0:1]
	s_cbranch_vccnz .LBB292_105
; %bb.104:
	v_lshl_add_u64 v[42:43], v[32:33], 1, v[40:41]
	global_load_ushort v42, v[42:43], off
	s_waitcnt vmcnt(0)
	v_mul_f16_e32 v42, s28, v42
	s_branch .LBB292_106
.LBB292_105:
	v_mov_b32_e32 v42, 0
.LBB292_106:
	v_pk_max_f16 v43, v22, v22
	v_pk_max_f16 v64, v8, v8
	s_nop 0
	v_pk_min_f16 v43, v64, v43
	v_pk_max_f16 v64, v9, v9
	v_pk_add_f16 v43, v63, v43
	v_pk_max_f16 v63, v23, v23
	s_nop 0
	v_pk_min_f16 v63, v64, v63
	s_nop 0
	v_pk_add_f16 v43, v43, v63
	s_nop 0
	v_add_f16_sdwa v43, v43, v43 dst_sel:DWORD dst_unused:UNUSED_PAD src0_sel:DWORD src1_sel:WORD_1
	v_add_f16_e32 v63, v43, v42
	v_lshl_add_u64 v[42:43], v[32:33], 1, v[20:21]
	global_store_short v[42:43], v63, off
	s_or_b64 exec, exec, s[26:27]
	s_and_b64 s[34:35], s[12:13], s[18:19]
	s_and_saveexec_b64 s[26:27], s[34:35]
	s_cbranch_execz .LBB292_85
.LBB292_107:
	s_and_b64 vcc, exec, s[0:1]
	s_cbranch_vccnz .LBB292_109
; %bb.108:
	v_lshl_add_u64 v[42:43], v[34:35], 1, v[40:41]
	global_load_ushort v42, v[42:43], off
	s_waitcnt vmcnt(0)
	v_mul_f16_e32 v42, s28, v42
	s_branch .LBB292_110
.LBB292_109:
	v_mov_b32_e32 v42, 0
.LBB292_110:
	v_pk_max_f16 v43, v22, v22
	v_pk_max_f16 v63, v10, v10
	s_nop 0
	v_pk_min_f16 v43, v63, v43
	v_pk_max_f16 v63, v11, v11
	v_pk_add_f16 v43, v62, v43
	v_pk_max_f16 v62, v23, v23
	s_nop 0
	v_pk_min_f16 v62, v63, v62
	s_nop 0
	v_pk_add_f16 v43, v43, v62
	s_nop 0
	v_add_f16_sdwa v43, v43, v43 dst_sel:DWORD dst_unused:UNUSED_PAD src0_sel:DWORD src1_sel:WORD_1
	v_add_f16_e32 v62, v43, v42
	v_lshl_add_u64 v[42:43], v[34:35], 1, v[20:21]
	global_store_short v[42:43], v62, off
	s_or_b64 exec, exec, s[26:27]
	s_and_b64 s[34:35], s[14:15], s[18:19]
	s_and_saveexec_b64 s[26:27], s[34:35]
	s_cbranch_execz .LBB292_86
.LBB292_111:
	s_and_b64 vcc, exec, s[0:1]
	s_cbranch_vccnz .LBB292_113
; %bb.112:
	v_lshl_add_u64 v[42:43], v[36:37], 1, v[40:41]
	global_load_ushort v42, v[42:43], off
	s_waitcnt vmcnt(0)
	v_mul_f16_e32 v42, s28, v42
	s_branch .LBB292_114
.LBB292_113:
	v_mov_b32_e32 v42, 0
.LBB292_114:
	v_pk_max_f16 v43, v22, v22
	v_pk_max_f16 v62, v0, v0
	s_nop 0
	v_pk_min_f16 v43, v62, v43
	v_pk_max_f16 v62, v1, v1
	v_pk_add_f16 v43, v61, v43
	v_pk_max_f16 v61, v23, v23
	s_nop 0
	v_pk_min_f16 v61, v62, v61
	s_nop 0
	v_pk_add_f16 v43, v43, v61
	s_nop 0
	v_add_f16_sdwa v43, v43, v43 dst_sel:DWORD dst_unused:UNUSED_PAD src0_sel:DWORD src1_sel:WORD_1
	v_add_f16_e32 v61, v43, v42
	v_lshl_add_u64 v[42:43], v[36:37], 1, v[20:21]
	global_store_short v[42:43], v61, off
	s_or_b64 exec, exec, s[26:27]
	s_and_b64 s[26:27], s[16:17], s[18:19]
	s_and_saveexec_b64 s[18:19], s[26:27]
	s_cbranch_execz .LBB292_119
.LBB292_115:
	s_and_b64 vcc, exec, s[0:1]
	s_cbranch_vccnz .LBB292_117
; %bb.116:
	v_lshl_add_u64 v[40:41], v[38:39], 1, v[40:41]
	global_load_ushort v40, v[40:41], off
	s_waitcnt vmcnt(0)
	v_mul_f16_e32 v40, s28, v40
	s_branch .LBB292_118
.LBB292_117:
	v_mov_b32_e32 v40, 0
.LBB292_118:
	v_pk_max_f16 v22, v22, v22
	v_pk_max_f16 v41, v2, v2
	v_pk_max_f16 v23, v23, v23
	v_pk_min_f16 v22, v41, v22
	v_pk_max_f16 v41, v3, v3
	v_pk_add_f16 v22, v60, v22
	v_pk_min_f16 v23, v41, v23
	v_lshl_add_u64 v[20:21], v[38:39], 1, v[20:21]
	v_pk_add_f16 v22, v22, v23
	s_nop 0
	v_add_f16_sdwa v22, v22, v22 dst_sel:DWORD dst_unused:UNUSED_PAD src0_sel:DWORD src1_sel:WORD_1
	v_add_f16_e32 v22, v22, v40
	global_store_short v[20:21], v22, off
.LBB292_119:
	s_or_b64 exec, exec, s[18:19]
	v_add_u32_e32 v40, 64, v69
	v_mad_i64_i32 v[20:21], s[26:27], v40, s30, 0
	v_cmp_gt_i32_e64 s[18:19], s21, v40
	v_lshl_add_u64 v[22:23], v[20:21], 1, s[24:25]
	v_mad_i64_i32 v[20:21], s[26:27], v40, s29, 0
	v_lshl_add_u64 v[20:21], v[20:21], 1, s[22:23]
	s_and_b64 s[34:35], s[2:3], s[18:19]
	s_and_saveexec_b64 s[26:27], s[34:35]
	s_cbranch_execnz .LBB292_127
; %bb.120:
	s_or_b64 exec, exec, s[26:27]
	s_and_b64 s[34:35], s[4:5], s[18:19]
	s_and_saveexec_b64 s[26:27], s[34:35]
	s_cbranch_execnz .LBB292_131
.LBB292_121:
	s_or_b64 exec, exec, s[26:27]
	s_and_b64 s[34:35], s[6:7], s[18:19]
	s_and_saveexec_b64 s[26:27], s[34:35]
	s_cbranch_execnz .LBB292_135
.LBB292_122:
	s_or_b64 exec, exec, s[26:27]
	s_and_b64 s[34:35], s[8:9], s[18:19]
	s_and_saveexec_b64 s[26:27], s[34:35]
	s_cbranch_execnz .LBB292_139
.LBB292_123:
	s_or_b64 exec, exec, s[26:27]
	s_and_b64 s[34:35], s[10:11], s[18:19]
	s_and_saveexec_b64 s[26:27], s[34:35]
	s_cbranch_execnz .LBB292_143
.LBB292_124:
	s_or_b64 exec, exec, s[26:27]
	s_and_b64 s[34:35], s[12:13], s[18:19]
	s_and_saveexec_b64 s[26:27], s[34:35]
	s_cbranch_execnz .LBB292_147
.LBB292_125:
	s_or_b64 exec, exec, s[26:27]
	s_and_b64 s[34:35], s[14:15], s[18:19]
	s_and_saveexec_b64 s[26:27], s[34:35]
	s_cbranch_execnz .LBB292_151
.LBB292_126:
	s_or_b64 exec, exec, s[26:27]
	s_and_b64 s[26:27], s[16:17], s[18:19]
	s_and_saveexec_b64 s[18:19], s[26:27]
	s_cbranch_execnz .LBB292_155
	s_branch .LBB292_159
.LBB292_127:
	s_and_b64 vcc, exec, s[0:1]
	s_cbranch_vccnz .LBB292_129
; %bb.128:
	v_lshl_add_u64 v[40:41], v[24:25], 1, v[22:23]
	global_load_ushort v40, v[40:41], off
	s_waitcnt vmcnt(0)
	v_mul_f16_e32 v40, s28, v40
	s_branch .LBB292_130
.LBB292_129:
	v_mov_b32_e32 v40, 0
.LBB292_130:
	v_pk_max_f16 v41, v4, v4
	v_pk_max_f16 v42, v16, v16
	;; [unrolled: 1-line block ×3, first 2 shown]
	v_pk_min_f16 v41, v42, v41
	v_pk_max_f16 v42, v5, v5
	v_pk_add_f16 v41, v59, v41
	v_pk_min_f16 v42, v43, v42
	s_nop 0
	v_pk_add_f16 v41, v41, v42
	s_nop 0
	v_add_f16_sdwa v41, v41, v41 dst_sel:DWORD dst_unused:UNUSED_PAD src0_sel:DWORD src1_sel:WORD_1
	v_add_f16_e32 v42, v41, v40
	v_lshl_add_u64 v[40:41], v[24:25], 1, v[20:21]
	global_store_short v[40:41], v42, off
	s_or_b64 exec, exec, s[26:27]
	s_and_b64 s[34:35], s[4:5], s[18:19]
	s_and_saveexec_b64 s[26:27], s[34:35]
	s_cbranch_execz .LBB292_121
.LBB292_131:
	s_and_b64 vcc, exec, s[0:1]
	s_cbranch_vccnz .LBB292_133
; %bb.132:
	v_lshl_add_u64 v[40:41], v[26:27], 1, v[22:23]
	global_load_ushort v40, v[40:41], off
	s_waitcnt vmcnt(0)
	v_mul_f16_e32 v40, s28, v40
	s_branch .LBB292_134
.LBB292_133:
	v_mov_b32_e32 v40, 0
.LBB292_134:
	v_pk_max_f16 v41, v4, v4
	v_pk_max_f16 v42, v18, v18
	;; [unrolled: 1-line block ×3, first 2 shown]
	v_pk_min_f16 v41, v42, v41
	v_pk_max_f16 v42, v5, v5
	v_pk_add_f16 v41, v58, v41
	v_pk_min_f16 v42, v43, v42
	s_nop 0
	v_pk_add_f16 v41, v41, v42
	s_nop 0
	v_add_f16_sdwa v41, v41, v41 dst_sel:DWORD dst_unused:UNUSED_PAD src0_sel:DWORD src1_sel:WORD_1
	v_add_f16_e32 v42, v41, v40
	v_lshl_add_u64 v[40:41], v[26:27], 1, v[20:21]
	global_store_short v[40:41], v42, off
	s_or_b64 exec, exec, s[26:27]
	s_and_b64 s[34:35], s[6:7], s[18:19]
	s_and_saveexec_b64 s[26:27], s[34:35]
	s_cbranch_execz .LBB292_122
.LBB292_135:
	s_and_b64 vcc, exec, s[0:1]
	s_cbranch_vccnz .LBB292_137
; %bb.136:
	v_lshl_add_u64 v[40:41], v[28:29], 1, v[22:23]
	global_load_ushort v40, v[40:41], off
	s_waitcnt vmcnt(0)
	v_mul_f16_e32 v40, s28, v40
	s_branch .LBB292_138
.LBB292_137:
	v_mov_b32_e32 v40, 0
.LBB292_138:
	v_pk_max_f16 v41, v4, v4
	v_pk_max_f16 v42, v12, v12
	;; [unrolled: 1-line block ×3, first 2 shown]
	v_pk_min_f16 v41, v42, v41
	v_pk_max_f16 v42, v5, v5
	v_pk_add_f16 v41, v57, v41
	v_pk_min_f16 v42, v43, v42
	s_nop 0
	v_pk_add_f16 v41, v41, v42
	s_nop 0
	v_add_f16_sdwa v41, v41, v41 dst_sel:DWORD dst_unused:UNUSED_PAD src0_sel:DWORD src1_sel:WORD_1
	v_add_f16_e32 v42, v41, v40
	v_lshl_add_u64 v[40:41], v[28:29], 1, v[20:21]
	global_store_short v[40:41], v42, off
	s_or_b64 exec, exec, s[26:27]
	s_and_b64 s[34:35], s[8:9], s[18:19]
	s_and_saveexec_b64 s[26:27], s[34:35]
	s_cbranch_execz .LBB292_123
.LBB292_139:
	s_and_b64 vcc, exec, s[0:1]
	s_cbranch_vccnz .LBB292_141
; %bb.140:
	v_lshl_add_u64 v[40:41], v[30:31], 1, v[22:23]
	global_load_ushort v40, v[40:41], off
	s_waitcnt vmcnt(0)
	v_mul_f16_e32 v40, s28, v40
	s_branch .LBB292_142
.LBB292_141:
	v_mov_b32_e32 v40, 0
.LBB292_142:
	v_pk_max_f16 v41, v4, v4
	v_pk_max_f16 v42, v14, v14
	;; [unrolled: 1-line block ×3, first 2 shown]
	v_pk_min_f16 v41, v42, v41
	v_pk_max_f16 v42, v5, v5
	v_pk_add_f16 v41, v56, v41
	v_pk_min_f16 v42, v43, v42
	s_nop 0
	v_pk_add_f16 v41, v41, v42
	s_nop 0
	v_add_f16_sdwa v41, v41, v41 dst_sel:DWORD dst_unused:UNUSED_PAD src0_sel:DWORD src1_sel:WORD_1
	v_add_f16_e32 v42, v41, v40
	v_lshl_add_u64 v[40:41], v[30:31], 1, v[20:21]
	global_store_short v[40:41], v42, off
	s_or_b64 exec, exec, s[26:27]
	s_and_b64 s[34:35], s[10:11], s[18:19]
	s_and_saveexec_b64 s[26:27], s[34:35]
	s_cbranch_execz .LBB292_124
.LBB292_143:
	s_and_b64 vcc, exec, s[0:1]
	s_cbranch_vccnz .LBB292_145
; %bb.144:
	v_lshl_add_u64 v[40:41], v[32:33], 1, v[22:23]
	global_load_ushort v40, v[40:41], off
	s_waitcnt vmcnt(0)
	v_mul_f16_e32 v40, s28, v40
	s_branch .LBB292_146
.LBB292_145:
	v_mov_b32_e32 v40, 0
.LBB292_146:
	v_pk_max_f16 v41, v4, v4
	v_pk_max_f16 v42, v8, v8
	;; [unrolled: 1-line block ×3, first 2 shown]
	v_pk_min_f16 v41, v42, v41
	v_pk_max_f16 v42, v5, v5
	v_pk_add_f16 v41, v55, v41
	v_pk_min_f16 v42, v43, v42
	s_nop 0
	v_pk_add_f16 v41, v41, v42
	s_nop 0
	v_add_f16_sdwa v41, v41, v41 dst_sel:DWORD dst_unused:UNUSED_PAD src0_sel:DWORD src1_sel:WORD_1
	v_add_f16_e32 v42, v41, v40
	v_lshl_add_u64 v[40:41], v[32:33], 1, v[20:21]
	global_store_short v[40:41], v42, off
	s_or_b64 exec, exec, s[26:27]
	s_and_b64 s[34:35], s[12:13], s[18:19]
	s_and_saveexec_b64 s[26:27], s[34:35]
	s_cbranch_execz .LBB292_125
.LBB292_147:
	s_and_b64 vcc, exec, s[0:1]
	s_cbranch_vccnz .LBB292_149
; %bb.148:
	v_lshl_add_u64 v[40:41], v[34:35], 1, v[22:23]
	global_load_ushort v40, v[40:41], off
	s_waitcnt vmcnt(0)
	v_mul_f16_e32 v40, s28, v40
	s_branch .LBB292_150
.LBB292_149:
	v_mov_b32_e32 v40, 0
.LBB292_150:
	v_pk_max_f16 v41, v4, v4
	v_pk_max_f16 v42, v10, v10
	;; [unrolled: 1-line block ×3, first 2 shown]
	v_pk_min_f16 v41, v42, v41
	v_pk_max_f16 v42, v5, v5
	v_pk_add_f16 v41, v54, v41
	v_pk_min_f16 v42, v43, v42
	s_nop 0
	v_pk_add_f16 v41, v41, v42
	s_nop 0
	v_add_f16_sdwa v41, v41, v41 dst_sel:DWORD dst_unused:UNUSED_PAD src0_sel:DWORD src1_sel:WORD_1
	v_add_f16_e32 v42, v41, v40
	v_lshl_add_u64 v[40:41], v[34:35], 1, v[20:21]
	global_store_short v[40:41], v42, off
	s_or_b64 exec, exec, s[26:27]
	s_and_b64 s[34:35], s[14:15], s[18:19]
	s_and_saveexec_b64 s[26:27], s[34:35]
	s_cbranch_execz .LBB292_126
.LBB292_151:
	s_and_b64 vcc, exec, s[0:1]
	s_cbranch_vccnz .LBB292_153
; %bb.152:
	v_lshl_add_u64 v[40:41], v[36:37], 1, v[22:23]
	global_load_ushort v40, v[40:41], off
	s_waitcnt vmcnt(0)
	v_mul_f16_e32 v40, s28, v40
	s_branch .LBB292_154
.LBB292_153:
	v_mov_b32_e32 v40, 0
.LBB292_154:
	v_pk_max_f16 v41, v4, v4
	v_pk_max_f16 v42, v0, v0
	;; [unrolled: 1-line block ×3, first 2 shown]
	v_pk_min_f16 v41, v42, v41
	v_pk_max_f16 v42, v5, v5
	v_pk_add_f16 v41, v53, v41
	v_pk_min_f16 v42, v43, v42
	s_nop 0
	v_pk_add_f16 v41, v41, v42
	s_nop 0
	v_add_f16_sdwa v41, v41, v41 dst_sel:DWORD dst_unused:UNUSED_PAD src0_sel:DWORD src1_sel:WORD_1
	v_add_f16_e32 v42, v41, v40
	v_lshl_add_u64 v[40:41], v[36:37], 1, v[20:21]
	global_store_short v[40:41], v42, off
	s_or_b64 exec, exec, s[26:27]
	s_and_b64 s[26:27], s[16:17], s[18:19]
	s_and_saveexec_b64 s[18:19], s[26:27]
	s_cbranch_execz .LBB292_159
.LBB292_155:
	s_and_b64 vcc, exec, s[0:1]
	s_cbranch_vccnz .LBB292_157
; %bb.156:
	v_lshl_add_u64 v[22:23], v[38:39], 1, v[22:23]
	global_load_ushort v22, v[22:23], off
	s_waitcnt vmcnt(0)
	v_mul_f16_e32 v22, s28, v22
	s_branch .LBB292_158
.LBB292_157:
	v_mov_b32_e32 v22, 0
.LBB292_158:
	v_pk_max_f16 v4, v4, v4
	v_pk_max_f16 v23, v2, v2
	v_pk_max_f16 v5, v5, v5
	v_pk_min_f16 v4, v23, v4
	v_pk_max_f16 v23, v3, v3
	v_pk_add_f16 v4, v52, v4
	v_pk_min_f16 v5, v23, v5
	s_nop 0
	v_pk_add_f16 v4, v4, v5
	s_nop 0
	v_add_f16_sdwa v4, v4, v4 dst_sel:DWORD dst_unused:UNUSED_PAD src0_sel:DWORD src1_sel:WORD_1
	v_add_f16_e32 v22, v4, v22
	v_lshl_add_u64 v[4:5], v[38:39], 1, v[20:21]
	global_store_short v[4:5], v22, off
.LBB292_159:
	s_or_b64 exec, exec, s[18:19]
	v_add_u32_e32 v22, 0x60, v69
	v_cmp_gt_i32_e64 s[18:19], s21, v22
	v_mad_i64_i32 v[4:5], s[20:21], v22, s30, 0
	v_lshl_add_u64 v[20:21], v[4:5], 1, s[24:25]
	v_mad_i64_i32 v[4:5], s[20:21], v22, s29, 0
	v_lshl_add_u64 v[4:5], v[4:5], 1, s[22:23]
	s_and_b64 s[20:21], s[2:3], s[18:19]
	s_and_saveexec_b64 s[2:3], s[20:21]
	s_cbranch_execnz .LBB292_168
; %bb.160:
	s_or_b64 exec, exec, s[2:3]
	s_and_b64 s[4:5], s[4:5], s[18:19]
	s_and_saveexec_b64 s[2:3], s[4:5]
	s_cbranch_execnz .LBB292_172
.LBB292_161:
	s_or_b64 exec, exec, s[2:3]
	s_and_b64 s[4:5], s[6:7], s[18:19]
	s_and_saveexec_b64 s[2:3], s[4:5]
	s_cbranch_execnz .LBB292_176
.LBB292_162:
	s_or_b64 exec, exec, s[2:3]
	s_and_b64 s[4:5], s[8:9], s[18:19]
	s_and_saveexec_b64 s[2:3], s[4:5]
	s_cbranch_execnz .LBB292_180
.LBB292_163:
	s_or_b64 exec, exec, s[2:3]
	s_and_b64 s[4:5], s[10:11], s[18:19]
	s_and_saveexec_b64 s[2:3], s[4:5]
	s_cbranch_execnz .LBB292_184
.LBB292_164:
	s_or_b64 exec, exec, s[2:3]
	s_and_b64 s[4:5], s[12:13], s[18:19]
	s_and_saveexec_b64 s[2:3], s[4:5]
	s_cbranch_execnz .LBB292_188
.LBB292_165:
	s_or_b64 exec, exec, s[2:3]
	s_and_b64 s[4:5], s[14:15], s[18:19]
	s_and_saveexec_b64 s[2:3], s[4:5]
	s_cbranch_execnz .LBB292_192
.LBB292_166:
	s_or_b64 exec, exec, s[2:3]
	s_and_b64 s[2:3], s[16:17], s[18:19]
	s_and_saveexec_b64 s[4:5], s[2:3]
	s_cbranch_execnz .LBB292_196
.LBB292_167:
	s_endpgm
.LBB292_168:
	s_and_b64 vcc, exec, s[0:1]
	s_cbranch_vccnz .LBB292_170
; %bb.169:
	v_lshl_add_u64 v[22:23], v[24:25], 1, v[20:21]
	global_load_ushort v22, v[22:23], off
	s_waitcnt vmcnt(0)
	v_mul_f16_e32 v22, s28, v22
	s_branch .LBB292_171
.LBB292_170:
	v_mov_b32_e32 v22, 0
.LBB292_171:
	v_pk_max_f16 v23, v6, v6
	v_pk_max_f16 v16, v16, v16
	v_pk_max_f16 v17, v17, v17
	v_pk_min_f16 v16, v16, v23
	v_pk_max_f16 v23, v7, v7
	v_pk_add_f16 v16, v51, v16
	v_pk_min_f16 v17, v17, v23
	s_nop 0
	v_pk_add_f16 v16, v16, v17
	s_nop 0
	v_add_f16_sdwa v16, v16, v16 dst_sel:DWORD dst_unused:UNUSED_PAD src0_sel:DWORD src1_sel:WORD_1
	v_add_f16_e32 v22, v16, v22
	v_lshl_add_u64 v[16:17], v[24:25], 1, v[4:5]
	global_store_short v[16:17], v22, off
	s_or_b64 exec, exec, s[2:3]
	s_and_b64 s[4:5], s[4:5], s[18:19]
	s_and_saveexec_b64 s[2:3], s[4:5]
	s_cbranch_execz .LBB292_161
.LBB292_172:
	s_and_b64 vcc, exec, s[0:1]
	s_cbranch_vccnz .LBB292_174
; %bb.173:
	v_lshl_add_u64 v[16:17], v[26:27], 1, v[20:21]
	global_load_ushort v16, v[16:17], off
	s_waitcnt vmcnt(0)
	v_mul_f16_e32 v16, s28, v16
	s_branch .LBB292_175
.LBB292_174:
	v_mov_b32_e32 v16, 0
.LBB292_175:
	v_pk_max_f16 v17, v6, v6
	v_pk_max_f16 v18, v18, v18
	;; [unrolled: 1-line block ×3, first 2 shown]
	v_pk_min_f16 v17, v18, v17
	v_pk_max_f16 v18, v7, v7
	v_pk_add_f16 v17, v50, v17
	v_pk_min_f16 v18, v19, v18
	s_nop 0
	v_pk_add_f16 v17, v17, v18
	s_nop 0
	v_add_f16_sdwa v17, v17, v17 dst_sel:DWORD dst_unused:UNUSED_PAD src0_sel:DWORD src1_sel:WORD_1
	v_add_f16_e32 v18, v17, v16
	v_lshl_add_u64 v[16:17], v[26:27], 1, v[4:5]
	global_store_short v[16:17], v18, off
	s_or_b64 exec, exec, s[2:3]
	s_and_b64 s[4:5], s[6:7], s[18:19]
	s_and_saveexec_b64 s[2:3], s[4:5]
	s_cbranch_execz .LBB292_162
.LBB292_176:
	s_and_b64 vcc, exec, s[0:1]
	s_cbranch_vccnz .LBB292_178
; %bb.177:
	v_lshl_add_u64 v[16:17], v[28:29], 1, v[20:21]
	global_load_ushort v16, v[16:17], off
	s_waitcnt vmcnt(0)
	v_mul_f16_e32 v16, s28, v16
	s_branch .LBB292_179
.LBB292_178:
	v_mov_b32_e32 v16, 0
.LBB292_179:
	v_pk_max_f16 v17, v6, v6
	v_pk_max_f16 v12, v12, v12
	;; [unrolled: 1-line block ×3, first 2 shown]
	v_pk_min_f16 v12, v12, v17
	v_pk_max_f16 v17, v7, v7
	v_pk_add_f16 v12, v49, v12
	v_pk_min_f16 v13, v13, v17
	s_nop 0
	v_pk_add_f16 v12, v12, v13
	s_nop 0
	v_add_f16_sdwa v12, v12, v12 dst_sel:DWORD dst_unused:UNUSED_PAD src0_sel:DWORD src1_sel:WORD_1
	v_add_f16_e32 v16, v12, v16
	v_lshl_add_u64 v[12:13], v[28:29], 1, v[4:5]
	global_store_short v[12:13], v16, off
	s_or_b64 exec, exec, s[2:3]
	s_and_b64 s[4:5], s[8:9], s[18:19]
	s_and_saveexec_b64 s[2:3], s[4:5]
	s_cbranch_execz .LBB292_163
.LBB292_180:
	s_and_b64 vcc, exec, s[0:1]
	s_cbranch_vccnz .LBB292_182
; %bb.181:
	v_lshl_add_u64 v[12:13], v[30:31], 1, v[20:21]
	global_load_ushort v12, v[12:13], off
	s_waitcnt vmcnt(0)
	v_mul_f16_e32 v12, s28, v12
	s_branch .LBB292_183
.LBB292_182:
	v_mov_b32_e32 v12, 0
.LBB292_183:
	v_pk_max_f16 v13, v6, v6
	v_pk_max_f16 v14, v14, v14
	;; [unrolled: 1-line block ×3, first 2 shown]
	v_pk_min_f16 v13, v14, v13
	v_pk_max_f16 v14, v7, v7
	v_pk_add_f16 v13, v48, v13
	v_pk_min_f16 v14, v15, v14
	s_nop 0
	v_pk_add_f16 v13, v13, v14
	s_nop 0
	v_add_f16_sdwa v13, v13, v13 dst_sel:DWORD dst_unused:UNUSED_PAD src0_sel:DWORD src1_sel:WORD_1
	v_add_f16_e32 v14, v13, v12
	v_lshl_add_u64 v[12:13], v[30:31], 1, v[4:5]
	global_store_short v[12:13], v14, off
	s_or_b64 exec, exec, s[2:3]
	s_and_b64 s[4:5], s[10:11], s[18:19]
	s_and_saveexec_b64 s[2:3], s[4:5]
	s_cbranch_execz .LBB292_164
.LBB292_184:
	s_and_b64 vcc, exec, s[0:1]
	s_cbranch_vccnz .LBB292_186
; %bb.185:
	v_lshl_add_u64 v[12:13], v[32:33], 1, v[20:21]
	global_load_ushort v12, v[12:13], off
	s_waitcnt vmcnt(0)
	v_mul_f16_e32 v12, s28, v12
	s_branch .LBB292_187
.LBB292_186:
	v_mov_b32_e32 v12, 0
.LBB292_187:
	v_pk_max_f16 v13, v6, v6
	v_pk_max_f16 v8, v8, v8
	;; [unrolled: 1-line block ×3, first 2 shown]
	v_pk_min_f16 v8, v8, v13
	v_pk_max_f16 v13, v7, v7
	v_pk_add_f16 v8, v47, v8
	v_pk_min_f16 v9, v9, v13
	s_nop 0
	v_pk_add_f16 v8, v8, v9
	s_nop 0
	v_add_f16_sdwa v8, v8, v8 dst_sel:DWORD dst_unused:UNUSED_PAD src0_sel:DWORD src1_sel:WORD_1
	v_add_f16_e32 v12, v8, v12
	v_lshl_add_u64 v[8:9], v[32:33], 1, v[4:5]
	global_store_short v[8:9], v12, off
	s_or_b64 exec, exec, s[2:3]
	s_and_b64 s[4:5], s[12:13], s[18:19]
	s_and_saveexec_b64 s[2:3], s[4:5]
	s_cbranch_execz .LBB292_165
.LBB292_188:
	s_and_b64 vcc, exec, s[0:1]
	s_cbranch_vccnz .LBB292_190
; %bb.189:
	v_lshl_add_u64 v[8:9], v[34:35], 1, v[20:21]
	global_load_ushort v8, v[8:9], off
	s_waitcnt vmcnt(0)
	v_mul_f16_e32 v8, s28, v8
	s_branch .LBB292_191
.LBB292_190:
	v_mov_b32_e32 v8, 0
.LBB292_191:
	v_pk_max_f16 v9, v6, v6
	v_pk_max_f16 v10, v10, v10
	;; [unrolled: 1-line block ×3, first 2 shown]
	v_pk_min_f16 v9, v10, v9
	v_pk_max_f16 v10, v7, v7
	v_pk_add_f16 v9, v46, v9
	v_pk_min_f16 v10, v11, v10
	s_nop 0
	v_pk_add_f16 v9, v9, v10
	s_nop 0
	v_add_f16_sdwa v9, v9, v9 dst_sel:DWORD dst_unused:UNUSED_PAD src0_sel:DWORD src1_sel:WORD_1
	v_add_f16_e32 v10, v9, v8
	v_lshl_add_u64 v[8:9], v[34:35], 1, v[4:5]
	global_store_short v[8:9], v10, off
	s_or_b64 exec, exec, s[2:3]
	s_and_b64 s[4:5], s[14:15], s[18:19]
	s_and_saveexec_b64 s[2:3], s[4:5]
	s_cbranch_execz .LBB292_166
.LBB292_192:
	s_and_b64 vcc, exec, s[0:1]
	s_cbranch_vccnz .LBB292_194
; %bb.193:
	v_lshl_add_u64 v[8:9], v[36:37], 1, v[20:21]
	global_load_ushort v8, v[8:9], off
	s_waitcnt vmcnt(0)
	v_mul_f16_e32 v8, s28, v8
	s_branch .LBB292_195
.LBB292_194:
	v_mov_b32_e32 v8, 0
.LBB292_195:
	v_pk_max_f16 v9, v6, v6
	v_pk_max_f16 v0, v0, v0
	;; [unrolled: 1-line block ×3, first 2 shown]
	v_pk_min_f16 v0, v0, v9
	v_pk_max_f16 v9, v7, v7
	v_pk_add_f16 v0, v45, v0
	v_pk_min_f16 v1, v1, v9
	s_nop 0
	v_pk_add_f16 v0, v0, v1
	s_nop 0
	v_add_f16_sdwa v0, v0, v0 dst_sel:DWORD dst_unused:UNUSED_PAD src0_sel:DWORD src1_sel:WORD_1
	v_add_f16_e32 v8, v0, v8
	v_lshl_add_u64 v[0:1], v[36:37], 1, v[4:5]
	global_store_short v[0:1], v8, off
	s_or_b64 exec, exec, s[2:3]
	s_and_b64 s[2:3], s[16:17], s[18:19]
	s_and_saveexec_b64 s[4:5], s[2:3]
	s_cbranch_execz .LBB292_167
.LBB292_196:
	s_and_b64 vcc, exec, s[0:1]
	s_cbranch_vccnz .LBB292_198
; %bb.197:
	v_lshl_add_u64 v[0:1], v[38:39], 1, v[20:21]
	global_load_ushort v0, v[0:1], off
	s_waitcnt vmcnt(0)
	v_mul_f16_e32 v0, s28, v0
	s_branch .LBB292_199
.LBB292_198:
	v_mov_b32_e32 v0, 0
.LBB292_199:
	v_pk_max_f16 v1, v6, v6
	v_pk_max_f16 v2, v2, v2
	;; [unrolled: 1-line block ×3, first 2 shown]
	v_pk_min_f16 v1, v2, v1
	v_pk_max_f16 v2, v7, v7
	v_pk_add_f16 v1, v44, v1
	v_pk_min_f16 v2, v3, v2
	s_nop 0
	v_pk_add_f16 v1, v1, v2
	s_nop 0
	v_add_f16_sdwa v1, v1, v1 dst_sel:DWORD dst_unused:UNUSED_PAD src0_sel:DWORD src1_sel:WORD_1
	v_add_f16_e32 v2, v1, v0
	v_lshl_add_u64 v[0:1], v[38:39], 1, v[4:5]
	global_store_short v[0:1], v2, off
	s_endpgm
	.section	.rodata,"a",@progbits
	.p2align	6, 0x0
	.amdhsa_kernel _ZN12_GLOBAL__N_120geam_min_plus_kernelIDF16_Dv2_DF16_S1_Li8ELi32ELi64ELi128ELi4ELi4ELi64ELi4ELi64ELc84ELc78ELb1ELb1ELb0EDF16_KDF16_DF16_EEviiiT16_PT17_ilS5_ilS3_S5_ilPT18_ili26rocblas_geam_ex_operation_
		.amdhsa_group_segment_fixed_size 3072
		.amdhsa_private_segment_fixed_size 0
		.amdhsa_kernarg_size 128
		.amdhsa_user_sgpr_count 2
		.amdhsa_user_sgpr_dispatch_ptr 0
		.amdhsa_user_sgpr_queue_ptr 0
		.amdhsa_user_sgpr_kernarg_segment_ptr 1
		.amdhsa_user_sgpr_dispatch_id 0
		.amdhsa_user_sgpr_kernarg_preload_length 0
		.amdhsa_user_sgpr_kernarg_preload_offset 0
		.amdhsa_user_sgpr_private_segment_size 0
		.amdhsa_uses_dynamic_stack 0
		.amdhsa_enable_private_segment 0
		.amdhsa_system_sgpr_workgroup_id_x 1
		.amdhsa_system_sgpr_workgroup_id_y 0
		.amdhsa_system_sgpr_workgroup_id_z 1
		.amdhsa_system_sgpr_workgroup_info 0
		.amdhsa_system_vgpr_workitem_id 1
		.amdhsa_next_free_vgpr 121
		.amdhsa_next_free_sgpr 36
		.amdhsa_accum_offset 124
		.amdhsa_reserve_vcc 1
		.amdhsa_float_round_mode_32 0
		.amdhsa_float_round_mode_16_64 0
		.amdhsa_float_denorm_mode_32 3
		.amdhsa_float_denorm_mode_16_64 3
		.amdhsa_dx10_clamp 1
		.amdhsa_ieee_mode 1
		.amdhsa_fp16_overflow 0
		.amdhsa_tg_split 0
		.amdhsa_exception_fp_ieee_invalid_op 0
		.amdhsa_exception_fp_denorm_src 0
		.amdhsa_exception_fp_ieee_div_zero 0
		.amdhsa_exception_fp_ieee_overflow 0
		.amdhsa_exception_fp_ieee_underflow 0
		.amdhsa_exception_fp_ieee_inexact 0
		.amdhsa_exception_int_div_zero 0
	.end_amdhsa_kernel
	.section	.text._ZN12_GLOBAL__N_120geam_min_plus_kernelIDF16_Dv2_DF16_S1_Li8ELi32ELi64ELi128ELi4ELi4ELi64ELi4ELi64ELc84ELc78ELb1ELb1ELb0EDF16_KDF16_DF16_EEviiiT16_PT17_ilS5_ilS3_S5_ilPT18_ili26rocblas_geam_ex_operation_,"axG",@progbits,_ZN12_GLOBAL__N_120geam_min_plus_kernelIDF16_Dv2_DF16_S1_Li8ELi32ELi64ELi128ELi4ELi4ELi64ELi4ELi64ELc84ELc78ELb1ELb1ELb0EDF16_KDF16_DF16_EEviiiT16_PT17_ilS5_ilS3_S5_ilPT18_ili26rocblas_geam_ex_operation_,comdat
.Lfunc_end292:
	.size	_ZN12_GLOBAL__N_120geam_min_plus_kernelIDF16_Dv2_DF16_S1_Li8ELi32ELi64ELi128ELi4ELi4ELi64ELi4ELi64ELc84ELc78ELb1ELb1ELb0EDF16_KDF16_DF16_EEviiiT16_PT17_ilS5_ilS3_S5_ilPT18_ili26rocblas_geam_ex_operation_, .Lfunc_end292-_ZN12_GLOBAL__N_120geam_min_plus_kernelIDF16_Dv2_DF16_S1_Li8ELi32ELi64ELi128ELi4ELi4ELi64ELi4ELi64ELc84ELc78ELb1ELb1ELb0EDF16_KDF16_DF16_EEviiiT16_PT17_ilS5_ilS3_S5_ilPT18_ili26rocblas_geam_ex_operation_
                                        ; -- End function
	.set _ZN12_GLOBAL__N_120geam_min_plus_kernelIDF16_Dv2_DF16_S1_Li8ELi32ELi64ELi128ELi4ELi4ELi64ELi4ELi64ELc84ELc78ELb1ELb1ELb0EDF16_KDF16_DF16_EEviiiT16_PT17_ilS5_ilS3_S5_ilPT18_ili26rocblas_geam_ex_operation_.num_vgpr, 121
	.set _ZN12_GLOBAL__N_120geam_min_plus_kernelIDF16_Dv2_DF16_S1_Li8ELi32ELi64ELi128ELi4ELi4ELi64ELi4ELi64ELc84ELc78ELb1ELb1ELb0EDF16_KDF16_DF16_EEviiiT16_PT17_ilS5_ilS3_S5_ilPT18_ili26rocblas_geam_ex_operation_.num_agpr, 0
	.set _ZN12_GLOBAL__N_120geam_min_plus_kernelIDF16_Dv2_DF16_S1_Li8ELi32ELi64ELi128ELi4ELi4ELi64ELi4ELi64ELc84ELc78ELb1ELb1ELb0EDF16_KDF16_DF16_EEviiiT16_PT17_ilS5_ilS3_S5_ilPT18_ili26rocblas_geam_ex_operation_.numbered_sgpr, 36
	.set _ZN12_GLOBAL__N_120geam_min_plus_kernelIDF16_Dv2_DF16_S1_Li8ELi32ELi64ELi128ELi4ELi4ELi64ELi4ELi64ELc84ELc78ELb1ELb1ELb0EDF16_KDF16_DF16_EEviiiT16_PT17_ilS5_ilS3_S5_ilPT18_ili26rocblas_geam_ex_operation_.num_named_barrier, 0
	.set _ZN12_GLOBAL__N_120geam_min_plus_kernelIDF16_Dv2_DF16_S1_Li8ELi32ELi64ELi128ELi4ELi4ELi64ELi4ELi64ELc84ELc78ELb1ELb1ELb0EDF16_KDF16_DF16_EEviiiT16_PT17_ilS5_ilS3_S5_ilPT18_ili26rocblas_geam_ex_operation_.private_seg_size, 0
	.set _ZN12_GLOBAL__N_120geam_min_plus_kernelIDF16_Dv2_DF16_S1_Li8ELi32ELi64ELi128ELi4ELi4ELi64ELi4ELi64ELc84ELc78ELb1ELb1ELb0EDF16_KDF16_DF16_EEviiiT16_PT17_ilS5_ilS3_S5_ilPT18_ili26rocblas_geam_ex_operation_.uses_vcc, 1
	.set _ZN12_GLOBAL__N_120geam_min_plus_kernelIDF16_Dv2_DF16_S1_Li8ELi32ELi64ELi128ELi4ELi4ELi64ELi4ELi64ELc84ELc78ELb1ELb1ELb0EDF16_KDF16_DF16_EEviiiT16_PT17_ilS5_ilS3_S5_ilPT18_ili26rocblas_geam_ex_operation_.uses_flat_scratch, 0
	.set _ZN12_GLOBAL__N_120geam_min_plus_kernelIDF16_Dv2_DF16_S1_Li8ELi32ELi64ELi128ELi4ELi4ELi64ELi4ELi64ELc84ELc78ELb1ELb1ELb0EDF16_KDF16_DF16_EEviiiT16_PT17_ilS5_ilS3_S5_ilPT18_ili26rocblas_geam_ex_operation_.has_dyn_sized_stack, 0
	.set _ZN12_GLOBAL__N_120geam_min_plus_kernelIDF16_Dv2_DF16_S1_Li8ELi32ELi64ELi128ELi4ELi4ELi64ELi4ELi64ELc84ELc78ELb1ELb1ELb0EDF16_KDF16_DF16_EEviiiT16_PT17_ilS5_ilS3_S5_ilPT18_ili26rocblas_geam_ex_operation_.has_recursion, 0
	.set _ZN12_GLOBAL__N_120geam_min_plus_kernelIDF16_Dv2_DF16_S1_Li8ELi32ELi64ELi128ELi4ELi4ELi64ELi4ELi64ELc84ELc78ELb1ELb1ELb0EDF16_KDF16_DF16_EEviiiT16_PT17_ilS5_ilS3_S5_ilPT18_ili26rocblas_geam_ex_operation_.has_indirect_call, 0
	.section	.AMDGPU.csdata,"",@progbits
; Kernel info:
; codeLenInByte = 11124
; TotalNumSgprs: 42
; NumVgprs: 121
; NumAgprs: 0
; TotalNumVgprs: 121
; ScratchSize: 0
; MemoryBound: 0
; FloatMode: 240
; IeeeMode: 1
; LDSByteSize: 3072 bytes/workgroup (compile time only)
; SGPRBlocks: 5
; VGPRBlocks: 15
; NumSGPRsForWavesPerEU: 42
; NumVGPRsForWavesPerEU: 121
; AccumOffset: 124
; Occupancy: 4
; WaveLimiterHint : 0
; COMPUTE_PGM_RSRC2:SCRATCH_EN: 0
; COMPUTE_PGM_RSRC2:USER_SGPR: 2
; COMPUTE_PGM_RSRC2:TRAP_HANDLER: 0
; COMPUTE_PGM_RSRC2:TGID_X_EN: 1
; COMPUTE_PGM_RSRC2:TGID_Y_EN: 0
; COMPUTE_PGM_RSRC2:TGID_Z_EN: 1
; COMPUTE_PGM_RSRC2:TIDIG_COMP_CNT: 1
; COMPUTE_PGM_RSRC3_GFX90A:ACCUM_OFFSET: 30
; COMPUTE_PGM_RSRC3_GFX90A:TG_SPLIT: 0
	.section	.text._ZN12_GLOBAL__N_120geam_min_plus_kernelIDF16_Dv2_DF16_S1_Li8ELi32ELi64ELi128ELi4ELi4ELi64ELi4ELi64ELc84ELc78ELb0ELb1ELb0EDF16_KDF16_DF16_EEviiiT16_PT17_ilS5_ilS3_S5_ilPT18_ili26rocblas_geam_ex_operation_,"axG",@progbits,_ZN12_GLOBAL__N_120geam_min_plus_kernelIDF16_Dv2_DF16_S1_Li8ELi32ELi64ELi128ELi4ELi4ELi64ELi4ELi64ELc84ELc78ELb0ELb1ELb0EDF16_KDF16_DF16_EEviiiT16_PT17_ilS5_ilS3_S5_ilPT18_ili26rocblas_geam_ex_operation_,comdat
	.globl	_ZN12_GLOBAL__N_120geam_min_plus_kernelIDF16_Dv2_DF16_S1_Li8ELi32ELi64ELi128ELi4ELi4ELi64ELi4ELi64ELc84ELc78ELb0ELb1ELb0EDF16_KDF16_DF16_EEviiiT16_PT17_ilS5_ilS3_S5_ilPT18_ili26rocblas_geam_ex_operation_ ; -- Begin function _ZN12_GLOBAL__N_120geam_min_plus_kernelIDF16_Dv2_DF16_S1_Li8ELi32ELi64ELi128ELi4ELi4ELi64ELi4ELi64ELc84ELc78ELb0ELb1ELb0EDF16_KDF16_DF16_EEviiiT16_PT17_ilS5_ilS3_S5_ilPT18_ili26rocblas_geam_ex_operation_
	.p2align	8
	.type	_ZN12_GLOBAL__N_120geam_min_plus_kernelIDF16_Dv2_DF16_S1_Li8ELi32ELi64ELi128ELi4ELi4ELi64ELi4ELi64ELc84ELc78ELb0ELb1ELb0EDF16_KDF16_DF16_EEviiiT16_PT17_ilS5_ilS3_S5_ilPT18_ili26rocblas_geam_ex_operation_,@function
_ZN12_GLOBAL__N_120geam_min_plus_kernelIDF16_Dv2_DF16_S1_Li8ELi32ELi64ELi128ELi4ELi4ELi64ELi4ELi64ELc84ELc78ELb0ELb1ELb0EDF16_KDF16_DF16_EEviiiT16_PT17_ilS5_ilS3_S5_ilPT18_ili26rocblas_geam_ex_operation_: ; @_ZN12_GLOBAL__N_120geam_min_plus_kernelIDF16_Dv2_DF16_S1_Li8ELi32ELi64ELi128ELi4ELi4ELi64ELi4ELi64ELc84ELc78ELb0ELb1ELb0EDF16_KDF16_DF16_EEviiiT16_PT17_ilS5_ilS3_S5_ilPT18_ili26rocblas_geam_ex_operation_
; %bb.0:
	s_load_dwordx4 s[20:23], s[0:1], 0x0
	s_load_dwordx4 s[4:7], s[0:1], 0x20
	s_waitcnt lgkmcnt(0)
	v_cmp_eq_f16_e64 s[8:9], s23, 0
	v_cmp_neq_f16_e64 s[14:15], s23, 0
	s_and_b64 vcc, exec, s[8:9]
	s_cbranch_vccnz .LBB293_37
; %bb.1:
	s_load_dwordx2 s[10:11], s[0:1], 0x10
	s_mul_i32 s5, s5, s3
	s_mul_hi_u32 s12, s4, s3
	s_add_i32 s5, s12, s5
	s_mul_i32 s4, s4, s3
	s_lshl_b64 s[4:5], s[4:5], 1
	s_waitcnt lgkmcnt(0)
	s_add_u32 s18, s10, s4
	s_addc_u32 s19, s11, s5
	s_andn2_b64 vcc, exec, s[8:9]
	s_mov_b64 s[4:5], -1
	s_cbranch_vccnz .LBB293_3
.LBB293_2:
	s_mov_b64 s[4:5], 0
.LBB293_3:
	s_mov_b64 s[24:25], 0
	s_andn2_b64 vcc, exec, s[4:5]
	s_mov_b64 s[16:17], 0
	s_cbranch_vccnz .LBB293_5
; %bb.4:
	s_load_dwordx2 s[4:5], s[0:1], 0x38
	s_waitcnt lgkmcnt(0)
	s_mul_i32 s5, s5, s3
	s_mul_hi_u32 s8, s4, s3
	s_add_i32 s5, s8, s5
	s_mul_i32 s4, s4, s3
	s_lshl_b64 s[4:5], s[4:5], 1
	s_add_u32 s16, s6, s4
	s_addc_u32 s17, s7, s5
.LBB293_5:
	s_load_dword s28, s[0:1], 0x40
	s_load_dwordx4 s[8:11], s[0:1], 0x58
	s_waitcnt lgkmcnt(0)
	v_cmp_eq_f16_e64 s[4:5], s28, 0
	v_cmp_neq_f16_e64 s[12:13], s28, 0
	s_and_b64 vcc, exec, s[4:5]
	s_cbranch_vccnz .LBB293_7
; %bb.6:
	s_load_dwordx2 s[4:5], s[0:1], 0x48
	s_mul_i32 s6, s9, s3
	s_mul_hi_u32 s7, s8, s3
	s_add_i32 s7, s7, s6
	s_mul_i32 s6, s8, s3
	s_lshl_b64 s[6:7], s[6:7], 1
	s_waitcnt lgkmcnt(0)
	s_add_u32 s24, s4, s6
	s_addc_u32 s25, s5, s7
.LBB293_7:
	s_add_i32 s4, s20, -1
	s_ashr_i32 s5, s4, 31
	s_lshr_b32 s5, s5, 26
	s_add_i32 s4, s4, s5
	s_ashr_i32 s4, s4, 6
	s_add_i32 s5, s4, 1
	v_cvt_f32_u32_e32 v1, s5
	v_and_b32_e32 v32, 0x3ff, v0
	v_bfe_u32 v33, v0, 10, 10
	v_and_b32_e32 v34, 3, v0
	v_rcp_iflag_f32_e32 v1, v1
	s_not_b32 s4, s4
	s_load_dword s33, s[0:1], 0x18
	v_mov_b32_e32 v8, 0
	v_mul_f32_e32 v0, 0x4f7ffffe, v1
	v_cvt_u32_f32_e32 v0, v0
	v_lshl_add_u32 v1, v33, 3, v32
	v_lshrrev_b32_e32 v4, 2, v1
	v_mov_b32_e32 v9, 0
	v_readfirstlane_b32 s6, v0
	s_mul_i32 s4, s4, s6
	s_mul_hi_u32 s4, s6, s4
	s_add_i32 s6, s6, s4
	s_mul_hi_u32 s4, s2, s6
	s_mul_i32 s6, s4, s5
	s_sub_i32 s6, s2, s6
	s_add_i32 s7, s4, 1
	s_sub_i32 s8, s6, s5
	s_cmp_ge_u32 s6, s5
	s_cselect_b32 s4, s7, s4
	s_cselect_b32 s6, s8, s6
	s_add_i32 s7, s4, 1
	s_cmp_ge_u32 s6, s5
	s_cselect_b32 s6, s7, s4
	s_mul_i32 s34, s6, s5
	s_sub_i32 s4, s2, s34
	s_lshl_b32 s29, s4, 6
	v_add_u32_e32 v10, s29, v4
	v_cmp_gt_i32_e64 s[4:5], s22, v34
	v_cmp_gt_i32_e32 vcc, s20, v10
	s_and_b64 s[4:5], s[4:5], vcc
	s_and_b64 s[8:9], s[14:15], s[4:5]
	v_lshlrev_b32_e32 v0, 1, v34
	s_and_saveexec_b64 s[4:5], s[8:9]
	s_cbranch_execz .LBB293_9
; %bb.8:
	s_waitcnt lgkmcnt(0)
	v_mad_i64_i32 v[2:3], s[8:9], v10, s33, 0
	v_lshl_add_u64 v[2:3], v[2:3], 1, s[18:19]
	v_mov_b32_e32 v1, 0
	v_lshl_add_u64 v[2:3], v[2:3], 0, v[0:1]
	global_load_ushort v1, v[2:3], off
	s_waitcnt vmcnt(0)
	v_mul_f16_e32 v9, s23, v1
.LBB293_9:
	s_or_b64 exec, exec, s[4:5]
	s_load_dword s35, s[0:1], 0x30
	s_lshl_b32 s30, s6, 7
	v_add_u32_e32 v5, s30, v4
	s_add_i32 s31, s22, -1
	v_min_i32_e32 v2, s31, v34
	v_cmp_le_i32_e64 s[6:7], s21, v5
	s_xor_b64 s[26:27], s[14:15], -1
	v_cmp_le_i32_e64 s[4:5], s22, v34
	v_ashrrev_i32_e32 v3, 31, v2
	s_or_b64 s[8:9], s[6:7], s[26:27]
	v_lshl_add_u64 v[2:3], v[2:3], 1, s[16:17]
	s_nor_b64 s[36:37], s[4:5], s[8:9]
	s_and_saveexec_b64 s[6:7], s[36:37]
	s_cbranch_execz .LBB293_11
; %bb.10:
	s_waitcnt lgkmcnt(0)
	v_mad_i64_i32 v[6:7], s[36:37], v5, s35, 0
	v_lshl_add_u64 v[6:7], v[6:7], 1, v[2:3]
	global_load_ushort v1, v[6:7], off
	s_waitcnt vmcnt(0)
	v_mul_f16_e32 v8, s23, v1
.LBB293_11:
	s_or_b64 exec, exec, s[6:7]
	v_add_u32_e32 v6, 64, v5
	v_cmp_le_i32_e64 s[6:7], s21, v6
	s_or_b64 s[6:7], s[6:7], s[26:27]
	s_nor_b64 s[26:27], s[4:5], s[6:7]
	v_mov_b32_e32 v7, 0
	v_mov_b32_e32 v11, 0
	s_and_saveexec_b64 s[4:5], s[26:27]
	s_cbranch_execz .LBB293_13
; %bb.12:
	s_waitcnt lgkmcnt(0)
	v_mad_i64_i32 v[12:13], s[26:27], v6, s35, 0
	v_lshl_add_u64 v[2:3], v[12:13], 1, v[2:3]
	global_load_ushort v1, v[2:3], off
	s_waitcnt vmcnt(0)
	v_mul_f16_e32 v11, s23, v1
.LBB293_13:
	s_or_b64 exec, exec, s[4:5]
	v_or_b32_e32 v2, 4, v34
	v_cmp_gt_i32_e64 s[4:5], s22, v2
	s_and_b64 s[4:5], s[4:5], vcc
	s_and_b64 s[26:27], s[14:15], s[4:5]
	s_and_saveexec_b64 s[4:5], s[26:27]
	s_cbranch_execz .LBB293_15
; %bb.14:
	s_waitcnt lgkmcnt(0)
	v_mad_i64_i32 v[12:13], s[26:27], v10, s33, 0
	v_lshl_add_u64 v[12:13], v[12:13], 1, s[18:19]
	v_mov_b32_e32 v1, 0
	v_lshl_add_u64 v[0:1], v[12:13], 0, v[0:1]
	global_load_ushort v0, v[0:1], off offset:8
	s_waitcnt vmcnt(0)
	v_mul_f16_e32 v7, s23, v0
.LBB293_15:
	s_or_b64 exec, exec, s[4:5]
	v_min_i32_e32 v0, s31, v2
	v_cmp_le_i32_e64 s[4:5], s22, v2
	v_ashrrev_i32_e32 v1, 31, v0
	v_lshl_add_u64 v[0:1], v[0:1], 1, s[16:17]
	s_nor_b64 s[36:37], s[4:5], s[8:9]
	v_mov_b32_e32 v2, 0
	v_mov_b32_e32 v3, 0
	s_and_saveexec_b64 s[26:27], s[36:37]
	s_cbranch_execz .LBB293_17
; %bb.16:
	s_waitcnt lgkmcnt(0)
	v_mad_i64_i32 v[12:13], s[36:37], v5, s35, 0
	v_lshl_add_u64 v[12:13], v[12:13], 1, v[0:1]
	global_load_ushort v3, v[12:13], off
	s_waitcnt vmcnt(0)
	v_mul_f16_e32 v3, s23, v3
.LBB293_17:
	s_or_b64 exec, exec, s[26:27]
	s_nor_b64 s[26:27], s[4:5], s[6:7]
	s_and_saveexec_b64 s[4:5], s[26:27]
	s_cbranch_execz .LBB293_19
; %bb.18:
	s_waitcnt lgkmcnt(0)
	v_mad_i64_i32 v[12:13], s[26:27], v6, s35, 0
	v_lshl_add_u64 v[0:1], v[12:13], 1, v[0:1]
	global_load_ushort v0, v[0:1], off
	s_waitcnt vmcnt(0)
	v_mul_f16_e32 v2, s23, v0
.LBB293_19:
	s_or_b64 exec, exec, s[4:5]
	v_lshlrev_b32_e32 v0, 3, v4
	v_lshl_or_b32 v37, v34, 1, v0
	v_lshlrev_b32_e32 v36, 3, v32
	v_lshlrev_b32_e32 v35, 3, v33
	ds_write_b16 v37, v9 offset:2048
	ds_write_b16 v37, v8
	ds_write_b16 v37, v11 offset:512
	s_waitcnt lgkmcnt(0)
	s_barrier
	ds_read2_b64 v[8:11], v35 offset1:32
	v_add_u32_e32 v38, 0x800, v36
	ds_read2_b64 v[12:15], v38 offset0:48 offset1:56
	ds_read2_b64 v[16:19], v35 offset0:64 offset1:96
	ds_read2_b64 v[20:23], v38 offset1:8
	ds_read2_b64 v[24:27], v38 offset0:16 offset1:24
	ds_read2_b64 v[28:31], v38 offset0:32 offset1:40
	s_waitcnt lgkmcnt(5)
	v_pk_max_f16 v0, v8, v8
	s_waitcnt lgkmcnt(4)
	v_pk_max_f16 v1, v14, v14
	v_pk_max_f16 v10, v10, v10
	v_pk_min_f16 v8, v1, v0
	s_waitcnt lgkmcnt(3)
	v_pk_max_f16 v14, v16, v16
	s_waitcnt lgkmcnt(2)
	v_pk_max_f16 v16, v20, v20
	v_pk_max_f16 v18, v18, v18
	;; [unrolled: 1-line block ×3, first 2 shown]
	s_waitcnt lgkmcnt(1)
	v_pk_max_f16 v24, v24, v24
	v_pk_max_f16 v26, v26, v26
	s_waitcnt lgkmcnt(0)
	v_pk_max_f16 v28, v28, v28
	v_pk_max_f16 v9, v9, v9
	;; [unrolled: 1-line block ×5, first 2 shown]
	v_pk_min_f16 v20, v16, v0
	v_pk_min_f16 v39, v16, v10
	;; [unrolled: 1-line block ×17, first 2 shown]
	v_pk_max_f16 v11, v11, v11
	v_pk_min_f16 v55, v28, v10
	v_pk_min_f16 v56, v28, v14
	;; [unrolled: 1-line block ×14, first 2 shown]
	v_pk_add_f16 v8, v8, 0
	v_pk_min_f16 v18, v15, v9
	v_pk_max_f16 v17, v17, v17
	v_pk_add_f16 v68, v8, v18
	v_pk_add_f16 v8, v49, 0
	v_pk_min_f16 v18, v15, v11
	v_pk_max_f16 v21, v21, v21
	v_pk_add_f16 v60, v8, v18
	;; [unrolled: 4-line block ×5, first 2 shown]
	v_pk_add_f16 v8, v40, 0
	v_pk_min_f16 v18, v21, v17
	v_pk_min_f16 v39, v27, v9
	v_pk_add_f16 v59, v8, v18
	v_pk_add_f16 v8, v16, 0
	v_pk_min_f16 v16, v21, v19
	v_pk_add_f16 v20, v26, 0
	v_pk_add_f16 v51, v8, v16
	v_pk_add_f16 v8, v41, 0
	v_pk_min_f16 v16, v23, v9
	v_pk_add_f16 v21, v54, 0
	;; [unrolled: 4-line block ×5, first 2 shown]
	v_pk_add_f16 v50, v8, v16
	v_pk_max_f16 v16, v25, v25
	v_pk_add_f16 v8, v44, 0
	v_pk_min_f16 v18, v16, v9
	v_pk_add_f16 v22, v55, 0
	v_pk_add_f16 v73, v8, v18
	;; [unrolled: 1-line block ×3, first 2 shown]
	v_pk_min_f16 v18, v16, v11
	v_pk_add_f16 v25, v61, 0
	v_pk_add_f16 v65, v8, v18
	;; [unrolled: 1-line block ×3, first 2 shown]
	v_pk_min_f16 v18, v16, v17
	v_pk_min_f16 v16, v16, v19
	v_pk_add_f16 v57, v8, v18
	v_pk_add_f16 v8, v24, 0
	;; [unrolled: 1-line block ×7, first 2 shown]
	v_pk_min_f16 v8, v27, v11
	v_pk_add_f16 v24, v28, 0
	v_pk_add_f16 v64, v16, v8
	v_pk_min_f16 v8, v27, v17
	v_pk_add_f16 v28, v63, 0
	v_pk_add_f16 v56, v18, v8
	;; [unrolled: 3-line block ×3, first 2 shown]
	v_pk_max_f16 v8, v29, v29
	v_pk_add_f16 v10, v10, 0
	v_pk_min_f16 v16, v8, v9
	v_pk_add_f16 v14, v14, 0
	v_pk_add_f16 v71, v21, v16
	v_pk_min_f16 v16, v8, v11
	v_pk_add_f16 v12, v12, 0
	v_pk_add_f16 v63, v22, v16
	v_pk_min_f16 v16, v8, v17
	v_pk_min_f16 v8, v8, v19
	v_pk_add_f16 v55, v23, v16
	v_pk_add_f16 v47, v24, v8
	v_pk_max_f16 v8, v31, v31
	v_pk_add_f16 v1, v1, 0
	v_pk_min_f16 v16, v8, v9
	s_mov_b32 s26, 0
	v_pk_add_f16 v70, v25, v16
	v_pk_min_f16 v16, v8, v11
	s_cmp_lt_i32 s22, 9
	v_pk_add_f16 v62, v26, v16
	v_pk_min_f16 v16, v8, v17
	v_pk_min_f16 v8, v8, v19
	v_pk_add_f16 v54, v28, v16
	v_pk_add_f16 v46, v30, v8
	v_pk_max_f16 v8, v13, v13
	ds_write_b16 v37, v7 offset:2560
	ds_write_b16 v37, v3 offset:1024
	;; [unrolled: 1-line block ×3, first 2 shown]
	v_pk_min_f16 v9, v8, v9
	s_waitcnt lgkmcnt(0)
	v_pk_add_f16 v39, v0, v9
	v_pk_min_f16 v0, v8, v11
	s_barrier
	v_pk_add_f16 v61, v10, v0
	v_pk_min_f16 v0, v8, v17
	s_nop 0
	v_pk_add_f16 v53, v14, v0
	v_pk_min_f16 v0, v8, v19
	s_nop 0
	;; [unrolled: 3-line block ×3, first 2 shown]
	v_pk_add_f16 v44, v1, v0
	s_cbranch_scc1 .LBB293_34
; %bb.20:
	v_mov_b32_e32 v0, 0xa00
	v_lshl_add_u32 v43, v32, 3, v0
	v_mov_b32_e32 v0, 0x400
	v_lshl_add_u32 v69, v33, 3, v0
	v_lshl_add_u32 v0, s2, 6, v4
	s_lshl_b32 s2, s34, 6
	v_subrev_u32_e32 v0, s2, v0
	v_and_b32_e32 v2, 3, v32
	v_mad_i64_i32 v[0:1], s[4:5], s33, v0, 0
	v_lshlrev_b32_e32 v2, 1, v2
	v_mov_b32_e32 v3, 0
	v_lshl_add_u64 v[0:1], v[0:1], 1, v[2:3]
	v_lshl_add_u64 v[0:1], s[18:19], 0, v[0:1]
	v_add_u32_e32 v40, 0x800, v37
	v_add_u32_e32 v41, 0xa00, v37
	;; [unrolled: 1-line block ×3, first 2 shown]
	s_add_i32 s27, s22, -8
	v_mad_i64_i32 v[24:25], s[4:5], v5, s35, 0
	v_mad_i64_i32 v[26:27], s[4:5], v6, s35, 0
	v_lshl_add_u64 v[28:29], v[0:1], 0, 16
	s_branch .LBB293_22
.LBB293_21:                             ;   in Loop: Header=BB293_22 Depth=1
	s_or_b64 exec, exec, s[4:5]
	v_pk_max_f16 v2, v2, v2
	v_pk_max_f16 v20, v20, v20
	v_pk_max_f16 v22, v22, v22
	v_pk_max_f16 v16, v16, v16
	v_pk_max_f16 v18, v18, v18
	v_pk_max_f16 v4, v4, v4
	v_pk_max_f16 v6, v6, v6
	v_pk_max_f16 v12, v12, v12
	v_pk_max_f16 v14, v14, v14
	v_pk_max_f16 v21, v21, v21
	v_pk_max_f16 v23, v23, v23
	v_pk_max_f16 v17, v17, v17
	v_pk_max_f16 v19, v19, v19
	v_pk_max_f16 v8, v8, v8
	v_pk_max_f16 v13, v13, v13
	v_pk_max_f16 v15, v15, v15
	v_pk_max_f16 v10, v10, v10
	v_pk_max_f16 v9, v9, v9
	v_pk_max_f16 v11, v11, v11
	v_pk_max_f16 v5, v5, v5
	v_pk_max_f16 v7, v7, v7
	v_pk_max_f16 v0, v0, v0
	v_pk_max_f16 v3, v3, v3
	v_pk_max_f16 v1, v1, v1
	v_pk_min_f16 v89, v4, v20
	v_pk_min_f16 v90, v4, v22
	;; [unrolled: 1-line block ×64, first 2 shown]
	v_pk_add_f16 v1, v68, v95
	v_pk_add_f16 v3, v60, v96
	;; [unrolled: 1-line block ×12, first 2 shown]
	ds_read2_b64 v[0:3], v38 offset0:48 offset1:56
	ds_read2_b64 v[4:7], v35 offset1:32
	v_pk_add_f16 v12, v51, v12
	v_pk_add_f16 v65, v65, v84
	;; [unrolled: 1-line block ×4, first 2 shown]
	s_waitcnt lgkmcnt(1)
	v_pk_max_f16 v2, v2, v2
	s_waitcnt lgkmcnt(0)
	v_pk_max_f16 v4, v4, v4
	v_pk_add_f16 v30, v75, v30
	v_pk_add_f16 v59, v59, v79
	;; [unrolled: 1-line block ×10, first 2 shown]
	ds_read2_b64 v[8:11], v35 offset0:64 offset1:96
	v_pk_min_f16 v12, v2, v4
	v_pk_add_f16 v18, v30, v18
	v_pk_add_f16 v30, v31, v98
	;; [unrolled: 1-line block ×6, first 2 shown]
	ds_read2_b64 v[12:15], v38 offset1:8
	v_pk_max_f16 v6, v6, v6
	v_pk_add_f16 v52, v52, v97
	v_pk_add_f16 v49, v72, v86
	;; [unrolled: 1-line block ×3, first 2 shown]
	v_pk_min_f16 v16, v2, v6
	s_waitcnt lgkmcnt(1)
	v_pk_max_f16 v8, v8, v8
	v_pk_add_f16 v52, v52, v117
	v_pk_add_f16 v46, v46, v16
	v_pk_min_f16 v16, v2, v8
	s_waitcnt lgkmcnt(0)
	v_pk_max_f16 v12, v12, v12
	v_pk_add_f16 v52, v52, v16
	v_pk_min_f16 v16, v12, v4
	v_pk_add_f16 v50, v73, v83
	v_pk_add_f16 v73, v18, v16
	v_pk_min_f16 v16, v12, v6
	v_pk_add_f16 v51, v74, v80
	v_pk_add_f16 v30, v30, v16
	v_pk_min_f16 v16, v12, v8
	v_pk_max_f16 v10, v10, v10
	v_pk_max_f16 v14, v14, v14
	v_pk_add_f16 v51, v51, v100
	v_pk_add_f16 v31, v31, v16
	v_pk_min_f16 v12, v12, v10
	v_pk_min_f16 v16, v14, v4
	v_pk_add_f16 v12, v53, v12
	v_pk_add_f16 v53, v51, v16
	v_pk_min_f16 v16, v14, v6
	v_pk_add_f16 v44, v44, v19
	v_pk_add_f16 v79, v59, v16
	ds_read2_b64 v[16:19], v38 offset0:16 offset1:24
	v_pk_add_f16 v58, v58, v82
	v_pk_add_f16 v47, v70, v92
	;; [unrolled: 1-line block ×4, first 2 shown]
	v_pk_min_f16 v20, v14, v8
	s_waitcnt lgkmcnt(0)
	v_pk_max_f16 v16, v16, v16
	v_pk_add_f16 v50, v50, v103
	v_pk_add_f16 v58, v58, v20
	v_pk_min_f16 v20, v16, v4
	v_pk_add_f16 v57, v57, v85
	v_pk_add_f16 v80, v50, v20
	v_pk_min_f16 v20, v16, v6
	;; [unrolled: 3-line block ×3, first 2 shown]
	v_pk_max_f16 v18, v18, v18
	v_pk_add_f16 v64, v64, v87
	v_pk_add_f16 v49, v49, v106
	;; [unrolled: 1-line block ×3, first 2 shown]
	v_pk_min_f16 v20, v18, v4
	v_pk_add_f16 v64, v64, v107
	v_pk_add_f16 v81, v49, v20
	v_pk_min_f16 v20, v18, v6
	v_pk_add_f16 v48, v71, v89
	v_pk_add_f16 v71, v22, v23
	;; [unrolled: 1-line block ×3, first 2 shown]
	ds_read2_b64 v[20:23], v38 offset0:32 offset1:40
	v_pk_add_f16 v56, v56, v88
	v_pk_min_f16 v49, v18, v8
	v_pk_add_f16 v56, v56, v108
	v_pk_add_f16 v63, v63, v90
	s_waitcnt lgkmcnt(0)
	v_pk_max_f16 v20, v20, v20
	v_pk_add_f16 v48, v48, v109
	v_pk_add_f16 v56, v56, v49
	v_pk_min_f16 v49, v20, v4
	v_pk_add_f16 v55, v55, v91
	v_pk_add_f16 v63, v63, v110
	v_pk_add_f16 v82, v48, v49
	v_pk_min_f16 v48, v20, v6
	v_pk_add_f16 v55, v55, v111
	v_pk_add_f16 v63, v63, v48
	v_pk_min_f16 v48, v20, v8
	v_pk_max_f16 v22, v22, v22
	v_pk_add_f16 v62, v62, v93
	v_pk_add_f16 v47, v47, v112
	;; [unrolled: 1-line block ×3, first 2 shown]
	v_pk_min_f16 v48, v22, v4
	v_pk_add_f16 v62, v62, v113
	v_pk_add_f16 v83, v47, v48
	v_pk_min_f16 v47, v22, v6
	v_pk_max_f16 v0, v0, v0
	v_pk_max_f16 v3, v3, v3
	;; [unrolled: 1-line block ×3, first 2 shown]
	v_pk_min_f16 v14, v14, v10
	v_pk_min_f16 v16, v16, v10
	;; [unrolled: 1-line block ×4, first 2 shown]
	v_pk_add_f16 v62, v62, v47
	v_pk_min_f16 v47, v22, v8
	v_pk_min_f16 v22, v22, v10
	;; [unrolled: 1-line block ×8, first 2 shown]
	v_pk_max_f16 v7, v7, v7
	v_pk_add_f16 v22, v68, v22
	v_pk_add_f16 v68, v45, v10
	v_pk_min_f16 v10, v3, v7
	v_pk_max_f16 v9, v9, v9
	v_pk_add_f16 v14, v60, v14
	v_pk_add_f16 v60, v46, v10
	v_pk_min_f16 v10, v3, v9
	v_pk_max_f16 v11, v11, v11
	v_pk_add_f16 v52, v52, v10
	v_pk_max_f16 v10, v13, v13
	v_pk_add_f16 v20, v67, v20
	v_pk_min_f16 v13, v10, v5
	v_pk_add_f16 v18, v66, v18
	v_pk_add_f16 v75, v73, v13
	v_pk_min_f16 v13, v10, v7
	v_pk_add_f16 v16, v65, v16
	v_pk_add_f16 v67, v30, v13
	v_pk_min_f16 v13, v10, v9
	v_pk_min_f16 v10, v10, v11
	v_pk_add_f16 v8, v72, v8
	v_pk_add_f16 v51, v12, v10
	v_pk_max_f16 v10, v15, v15
	v_pk_add_f16 v54, v54, v94
	v_pk_min_f16 v12, v10, v5
	v_pk_add_f16 v6, v71, v6
	v_pk_add_f16 v74, v53, v12
	v_pk_min_f16 v12, v10, v7
	v_pk_add_f16 v54, v54, v114
	v_pk_add_f16 v66, v79, v12
	v_pk_min_f16 v12, v10, v9
	v_pk_min_f16 v10, v10, v11
	v_pk_add_f16 v58, v58, v12
	v_pk_add_f16 v50, v14, v10
	v_pk_max_f16 v10, v17, v17
	v_pk_add_f16 v54, v54, v47
	v_pk_min_f16 v12, v10, v5
	v_pk_max_f16 v1, v1, v1
	v_pk_add_f16 v73, v80, v12
	v_pk_min_f16 v12, v10, v7
	v_pk_add_f16 v39, v39, v118
	v_pk_add_f16 v65, v61, v12
	v_pk_min_f16 v12, v10, v9
	v_pk_min_f16 v10, v10, v11
	v_pk_add_f16 v57, v57, v12
	v_pk_add_f16 v49, v16, v10
	v_pk_max_f16 v10, v19, v19
	v_pk_add_f16 v4, v70, v4
	v_pk_min_f16 v12, v10, v5
	v_pk_add_f16 v0, v39, v0
	v_pk_add_f16 v72, v81, v12
	v_pk_min_f16 v12, v10, v7
	v_pk_add_f16 v2, v44, v2
	v_pk_add_f16 v64, v64, v12
	v_pk_min_f16 v12, v10, v9
	v_pk_min_f16 v10, v10, v11
	v_pk_add_f16 v56, v56, v12
	v_pk_add_f16 v48, v18, v10
	v_pk_max_f16 v10, v21, v21
	s_add_i32 s26, s26, 8
	v_pk_min_f16 v12, v10, v5
	v_pk_add_f16 v59, v31, v13
	v_pk_add_f16 v71, v82, v12
	v_pk_min_f16 v12, v10, v7
	s_cmp_ge_i32 s26, s27
	v_pk_add_f16 v63, v63, v12
	v_pk_min_f16 v12, v10, v9
	v_pk_min_f16 v10, v10, v11
	v_pk_add_f16 v55, v55, v12
	v_pk_add_f16 v47, v20, v10
	v_pk_max_f16 v10, v23, v23
	v_lshl_add_u64 v[28:29], v[28:29], 0, 16
	v_pk_min_f16 v12, v10, v5
	v_pk_min_f16 v5, v1, v5
	v_pk_add_f16 v70, v83, v12
	v_pk_add_f16 v39, v4, v5
	v_pk_min_f16 v4, v1, v7
	v_pk_min_f16 v12, v10, v7
	v_pk_add_f16 v61, v6, v4
	v_pk_min_f16 v4, v1, v9
	v_pk_min_f16 v1, v1, v11
	;; [unrolled: 3-line block ×3, first 2 shown]
	v_pk_add_f16 v45, v0, v1
	v_pk_min_f16 v0, v3, v11
	v_pk_add_f16 v54, v54, v12
	v_pk_add_f16 v46, v22, v10
	;; [unrolled: 1-line block ×4, first 2 shown]
	ds_write_b16 v41, v77
	ds_write_b16 v42, v76
	ds_write_b16 v42, v78 offset:512
	s_waitcnt lgkmcnt(0)
	s_barrier
	s_cbranch_scc1 .LBB293_34
.LBB293_22:                             ; =>This Inner Loop Header: Depth=1
	v_add_u32_e32 v30, s26, v34
	v_add_u32_e32 v0, 8, v30
	v_cmp_gt_i32_e64 s[4:5], s22, v0
	s_and_b64 s[4:5], s[4:5], vcc
	s_and_b64 s[18:19], s[14:15], s[4:5]
	v_mov_b32_e32 v31, 0
	s_and_saveexec_b64 s[4:5], s[18:19]
	s_cbranch_execz .LBB293_24
; %bb.23:                               ;   in Loop: Header=BB293_22 Depth=1
	global_load_ushort v1, v[28:29], off
	s_waitcnt vmcnt(0)
	v_mul_f16_e32 v31, s23, v1
.LBB293_24:                             ;   in Loop: Header=BB293_22 Depth=1
	s_or_b64 exec, exec, s[4:5]
	v_cmp_le_i32_e64 s[4:5], s22, v0
	v_min_i32_e32 v0, s31, v0
	v_ashrrev_i32_e32 v1, 31, v0
	v_lshl_add_u64 v[0:1], v[0:1], 1, s[16:17]
	s_nor_b64 s[34:35], s[8:9], s[4:5]
	v_mov_b32_e32 v76, 0
	v_mov_b32_e32 v77, 0
	s_and_saveexec_b64 s[18:19], s[34:35]
	s_cbranch_execz .LBB293_26
; %bb.25:                               ;   in Loop: Header=BB293_22 Depth=1
	v_lshl_add_u64 v[2:3], v[24:25], 1, v[0:1]
	global_load_ushort v2, v[2:3], off
	s_waitcnt vmcnt(0)
	v_mul_f16_e32 v77, s23, v2
.LBB293_26:                             ;   in Loop: Header=BB293_22 Depth=1
	s_or_b64 exec, exec, s[18:19]
	s_nor_b64 s[18:19], s[6:7], s[4:5]
	s_and_saveexec_b64 s[4:5], s[18:19]
	s_cbranch_execz .LBB293_28
; %bb.27:                               ;   in Loop: Header=BB293_22 Depth=1
	v_lshl_add_u64 v[0:1], v[26:27], 1, v[0:1]
	global_load_ushort v0, v[0:1], off
	s_waitcnt vmcnt(0)
	v_mul_f16_e32 v76, s23, v0
.LBB293_28:                             ;   in Loop: Header=BB293_22 Depth=1
	s_or_b64 exec, exec, s[4:5]
	ds_read2_b64 v[0:3], v43 offset0:48 offset1:56
	ds_read2_b64 v[16:19], v69 offset0:64 offset1:96
	ds_read2_b64 v[20:23], v69 offset1:32
	ds_read2_b64 v[12:15], v43 offset1:8
	ds_read2_b64 v[8:11], v43 offset0:16 offset1:24
	ds_read2_b64 v[4:7], v43 offset0:32 offset1:40
	v_add_u32_e32 v30, 12, v30
	v_cmp_gt_i32_e64 s[4:5], s22, v30
	s_and_b64 s[4:5], s[4:5], vcc
	ds_write_b16 v40, v31
	ds_write_b16 v37, v77
	ds_write_b16 v37, v76 offset:512
	s_and_b64 s[4:5], s[14:15], s[4:5]
	v_mov_b32_e32 v76, 0
	v_mov_b32_e32 v77, 0
	s_waitcnt lgkmcnt(0)
	s_barrier
	s_and_saveexec_b64 s[18:19], s[4:5]
	s_xor_b64 s[4:5], exec, s[18:19]
	s_cbranch_execz .LBB293_30
; %bb.29:                               ;   in Loop: Header=BB293_22 Depth=1
	global_load_ushort v31, v[28:29], off offset:8
	s_waitcnt vmcnt(0)
	v_mul_f16_e32 v77, s23, v31
.LBB293_30:                             ;   in Loop: Header=BB293_22 Depth=1
	s_or_b64 exec, exec, s[4:5]
	v_cmp_le_i32_e64 s[4:5], s22, v30
	v_min_i32_e32 v30, s31, v30
	v_ashrrev_i32_e32 v31, 31, v30
	v_lshl_add_u64 v[30:31], v[30:31], 1, s[16:17]
	s_nor_b64 s[34:35], s[8:9], s[4:5]
	s_and_saveexec_b64 s[18:19], s[34:35]
	s_cbranch_execz .LBB293_32
; %bb.31:                               ;   in Loop: Header=BB293_22 Depth=1
	v_lshl_add_u64 v[78:79], v[24:25], 1, v[30:31]
	global_load_ushort v76, v[78:79], off
	s_waitcnt vmcnt(0)
	v_mul_f16_e32 v76, s23, v76
.LBB293_32:                             ;   in Loop: Header=BB293_22 Depth=1
	s_or_b64 exec, exec, s[18:19]
	s_nor_b64 s[18:19], s[6:7], s[4:5]
	v_mov_b32_e32 v78, 0
	s_and_saveexec_b64 s[4:5], s[18:19]
	s_cbranch_execz .LBB293_21
; %bb.33:                               ;   in Loop: Header=BB293_22 Depth=1
	v_lshl_add_u64 v[30:31], v[26:27], 1, v[30:31]
	global_load_ushort v30, v[30:31], off
	s_waitcnt vmcnt(0)
	v_mul_f16_e32 v78, s23, v30
	s_branch .LBB293_21
.LBB293_34:
	s_load_dwordx2 s[4:5], s[0:1], 0x70
	s_load_dword s33, s[0:1], 0x50
	s_load_dword s31, s[0:1], 0x68
	v_add_u32_e32 v8, 0x800, v36
	ds_read2_b64 v[0:3], v8 offset0:112 offset1:120
	ds_read2_b64 v[4:7], v35 offset0:192 offset1:224
	;; [unrolled: 1-line block ×6, first 2 shown]
	s_waitcnt lgkmcnt(0)
	s_mul_i32 s1, s5, s3
	s_mul_hi_u32 s2, s4, s3
	s_mul_i32 s0, s4, s3
	s_add_i32 s1, s2, s1
	s_lshl_b64 s[0:1], s[0:1], 1
	s_add_u32 s22, s10, s0
	v_add_u32_e32 v69, s30, v33
	s_addc_u32 s23, s11, s1
	v_mad_i64_i32 v[26:27], s[0:1], v69, s33, 0
	v_add_u32_e32 v24, s29, v32
	v_lshl_add_u64 v[42:43], v[26:27], 1, s[24:25]
	v_mad_i64_i32 v[26:27], s[0:1], v69, s31, 0
	v_cmp_gt_i32_e64 s[18:19], s21, v69
	v_lshl_add_u64 v[40:41], v[26:27], 1, s[22:23]
	v_cmp_gt_i32_e64 s[2:3], s20, v24
	v_cndmask_b32_e64 v26, 0, 1, s[12:13]
	s_and_b64 s[4:5], s[2:3], s[18:19]
	v_ashrrev_i32_e32 v25, 31, v24
	v_cmp_ne_u32_e64 s[0:1], 1, v26
	s_and_saveexec_b64 s[6:7], s[4:5]
	s_xor_b64 s[4:5], exec, s[6:7]
	s_cbranch_execz .LBB293_40
; %bb.35:
	s_and_b64 vcc, exec, s[0:1]
	s_cbranch_vccnz .LBB293_38
; %bb.36:
	v_lshl_add_u64 v[26:27], v[24:25], 1, v[42:43]
	global_load_ushort v26, v[26:27], off
	s_waitcnt vmcnt(0)
	v_mul_f16_e32 v26, s28, v26
	s_branch .LBB293_39
.LBB293_37:
	s_mov_b64 s[18:19], 0
	s_andn2_b64 vcc, exec, s[8:9]
	s_mov_b64 s[4:5], -1
	s_cbranch_vccz .LBB293_2
	s_branch .LBB293_3
.LBB293_38:
	v_mov_b32_e32 v26, 0
.LBB293_39:
	v_pk_max_f16 v27, v20, v20
	v_pk_max_f16 v28, v16, v16
	;; [unrolled: 1-line block ×3, first 2 shown]
	v_pk_min_f16 v27, v28, v27
	v_pk_max_f16 v28, v21, v21
	v_pk_add_f16 v27, v75, v27
	v_pk_min_f16 v28, v29, v28
	s_nop 0
	v_pk_add_f16 v27, v27, v28
	s_nop 0
	v_add_f16_sdwa v27, v27, v27 dst_sel:DWORD dst_unused:UNUSED_PAD src0_sel:DWORD src1_sel:WORD_1
	v_add_f16_e32 v28, v27, v26
	v_lshl_add_u64 v[26:27], v[24:25], 1, v[40:41]
	global_store_short v[26:27], v28, off
.LBB293_40:
	s_or_b64 exec, exec, s[4:5]
	v_add_u32_e32 v26, 8, v24
	v_cmp_gt_i32_e64 s[4:5], s20, v26
	s_and_b64 s[8:9], s[4:5], s[18:19]
	v_ashrrev_i32_e32 v27, 31, v26
	s_and_saveexec_b64 s[6:7], s[8:9]
	s_cbranch_execz .LBB293_45
; %bb.41:
	s_and_b64 vcc, exec, s[0:1]
	s_cbranch_vccnz .LBB293_43
; %bb.42:
	v_lshl_add_u64 v[28:29], v[26:27], 1, v[42:43]
	global_load_ushort v28, v[28:29], off
	s_waitcnt vmcnt(0)
	v_mul_f16_e32 v28, s28, v28
	s_branch .LBB293_44
.LBB293_43:
	v_mov_b32_e32 v28, 0
.LBB293_44:
	v_pk_max_f16 v29, v20, v20
	v_pk_max_f16 v30, v18, v18
	v_pk_max_f16 v31, v19, v19
	v_pk_min_f16 v29, v30, v29
	v_pk_max_f16 v30, v21, v21
	v_pk_add_f16 v29, v74, v29
	v_pk_min_f16 v30, v31, v30
	s_nop 0
	v_pk_add_f16 v29, v29, v30
	s_nop 0
	v_add_f16_sdwa v29, v29, v29 dst_sel:DWORD dst_unused:UNUSED_PAD src0_sel:DWORD src1_sel:WORD_1
	v_add_f16_e32 v30, v29, v28
	v_lshl_add_u64 v[28:29], v[26:27], 1, v[40:41]
	global_store_short v[28:29], v30, off
.LBB293_45:
	s_or_b64 exec, exec, s[6:7]
	v_add_u32_e32 v28, 16, v24
	v_cmp_gt_i32_e64 s[6:7], s20, v28
	s_and_b64 s[10:11], s[6:7], s[18:19]
	v_ashrrev_i32_e32 v29, 31, v28
	s_and_saveexec_b64 s[8:9], s[10:11]
	s_cbranch_execz .LBB293_50
; %bb.46:
	s_and_b64 vcc, exec, s[0:1]
	s_cbranch_vccnz .LBB293_48
; %bb.47:
	v_lshl_add_u64 v[30:31], v[28:29], 1, v[42:43]
	global_load_ushort v30, v[30:31], off
	s_waitcnt vmcnt(0)
	v_mul_f16_e32 v30, s28, v30
	s_branch .LBB293_49
.LBB293_48:
	v_mov_b32_e32 v30, 0
.LBB293_49:
	v_pk_max_f16 v31, v20, v20
	v_pk_max_f16 v32, v12, v12
	v_pk_max_f16 v33, v13, v13
	v_pk_min_f16 v31, v32, v31
	v_pk_max_f16 v32, v21, v21
	v_pk_add_f16 v31, v73, v31
	v_pk_min_f16 v32, v33, v32
	s_nop 0
	v_pk_add_f16 v31, v31, v32
	s_nop 0
	v_add_f16_sdwa v31, v31, v31 dst_sel:DWORD dst_unused:UNUSED_PAD src0_sel:DWORD src1_sel:WORD_1
	v_add_f16_e32 v32, v31, v30
	v_lshl_add_u64 v[30:31], v[28:29], 1, v[40:41]
	global_store_short v[30:31], v32, off
.LBB293_50:
	;; [unrolled: 34-line block ×4, first 2 shown]
	s_or_b64 exec, exec, s[12:13]
	v_add_u32_e32 v34, 40, v24
	v_cmp_gt_i32_e64 s[12:13], s20, v34
	s_and_b64 s[16:17], s[12:13], s[18:19]
	v_ashrrev_i32_e32 v35, 31, v34
	s_and_saveexec_b64 s[14:15], s[16:17]
	s_cbranch_execz .LBB293_65
; %bb.61:
	s_and_b64 vcc, exec, s[0:1]
	s_cbranch_vccnz .LBB293_63
; %bb.62:
	v_lshl_add_u64 v[36:37], v[34:35], 1, v[42:43]
	global_load_ushort v36, v[36:37], off
	s_waitcnt vmcnt(0)
	v_mul_f16_e32 v36, s28, v36
	s_branch .LBB293_64
.LBB293_63:
	v_mov_b32_e32 v36, 0
.LBB293_64:
	v_pk_max_f16 v37, v20, v20
	v_pk_max_f16 v38, v10, v10
	s_nop 0
	v_pk_min_f16 v37, v38, v37
	v_pk_max_f16 v38, v21, v21
	v_pk_add_f16 v37, v70, v37
	v_pk_max_f16 v70, v11, v11
	s_nop 0
	v_pk_min_f16 v38, v70, v38
	s_nop 0
	v_pk_add_f16 v37, v37, v38
	s_nop 0
	v_add_f16_sdwa v37, v37, v37 dst_sel:DWORD dst_unused:UNUSED_PAD src0_sel:DWORD src1_sel:WORD_1
	v_add_f16_e32 v38, v37, v36
	v_lshl_add_u64 v[36:37], v[34:35], 1, v[40:41]
	global_store_short v[36:37], v38, off
.LBB293_65:
	s_or_b64 exec, exec, s[14:15]
	v_add_u32_e32 v36, 48, v24
	v_cmp_gt_i32_e64 s[14:15], s20, v36
	s_and_b64 s[26:27], s[14:15], s[18:19]
	v_ashrrev_i32_e32 v37, 31, v36
	s_and_saveexec_b64 s[16:17], s[26:27]
	s_cbranch_execz .LBB293_70
; %bb.66:
	s_and_b64 vcc, exec, s[0:1]
	s_cbranch_vccnz .LBB293_68
; %bb.67:
	v_lshl_add_u64 v[70:71], v[36:37], 1, v[42:43]
	global_load_ushort v38, v[70:71], off
	s_waitcnt vmcnt(0)
	v_mul_f16_e32 v38, s28, v38
	s_branch .LBB293_69
.LBB293_68:
	v_mov_b32_e32 v38, 0
.LBB293_69:
	v_pk_max_f16 v70, v20, v20
	v_pk_max_f16 v71, v0, v0
	s_nop 0
	v_pk_min_f16 v70, v71, v70
	v_pk_max_f16 v71, v1, v1
	v_pk_add_f16 v39, v39, v70
	v_pk_max_f16 v70, v21, v21
	s_nop 0
	v_pk_min_f16 v70, v71, v70
	s_nop 0
	v_pk_add_f16 v39, v39, v70
	s_nop 0
	v_add_f16_sdwa v39, v39, v39 dst_sel:DWORD dst_unused:UNUSED_PAD src0_sel:DWORD src1_sel:WORD_1
	v_add_f16_e32 v70, v39, v38
	v_lshl_add_u64 v[38:39], v[36:37], 1, v[40:41]
	global_store_short v[38:39], v70, off
.LBB293_70:
	s_or_b64 exec, exec, s[16:17]
	v_add_u32_e32 v38, 56, v24
	v_cmp_gt_i32_e64 s[16:17], s20, v38
	s_and_b64 s[26:27], s[16:17], s[18:19]
	v_ashrrev_i32_e32 v39, 31, v38
	s_and_saveexec_b64 s[18:19], s[26:27]
	s_cbranch_execz .LBB293_75
; %bb.71:
	s_and_b64 vcc, exec, s[0:1]
	s_cbranch_vccnz .LBB293_73
; %bb.72:
	v_lshl_add_u64 v[42:43], v[38:39], 1, v[42:43]
	global_load_ushort v42, v[42:43], off
	s_waitcnt vmcnt(0)
	v_mul_f16_e32 v42, s28, v42
	s_branch .LBB293_74
.LBB293_73:
	v_mov_b32_e32 v42, 0
.LBB293_74:
	v_pk_max_f16 v20, v20, v20
	v_pk_max_f16 v43, v2, v2
	v_pk_max_f16 v21, v21, v21
	v_pk_min_f16 v20, v43, v20
	v_pk_max_f16 v43, v3, v3
	v_pk_add_f16 v20, v68, v20
	v_pk_min_f16 v21, v43, v21
	s_nop 0
	v_pk_add_f16 v20, v20, v21
	s_nop 0
	v_add_f16_sdwa v20, v20, v20 dst_sel:DWORD dst_unused:UNUSED_PAD src0_sel:DWORD src1_sel:WORD_1
	v_add_f16_e32 v42, v20, v42
	v_lshl_add_u64 v[20:21], v[38:39], 1, v[40:41]
	global_store_short v[20:21], v42, off
.LBB293_75:
	s_or_b64 exec, exec, s[18:19]
	v_add_u32_e32 v42, 32, v69
	v_mad_i64_i32 v[20:21], s[26:27], v42, s33, 0
	v_cmp_gt_i32_e64 s[18:19], s21, v42
	v_lshl_add_u64 v[40:41], v[20:21], 1, s[24:25]
	v_mad_i64_i32 v[20:21], s[26:27], v42, s31, 0
	v_lshl_add_u64 v[20:21], v[20:21], 1, s[22:23]
	s_and_b64 s[34:35], s[2:3], s[18:19]
	s_and_saveexec_b64 s[26:27], s[34:35]
	s_cbranch_execnz .LBB293_83
; %bb.76:
	s_or_b64 exec, exec, s[26:27]
	s_and_b64 s[34:35], s[4:5], s[18:19]
	s_and_saveexec_b64 s[26:27], s[34:35]
	s_cbranch_execnz .LBB293_87
.LBB293_77:
	s_or_b64 exec, exec, s[26:27]
	s_and_b64 s[34:35], s[6:7], s[18:19]
	s_and_saveexec_b64 s[26:27], s[34:35]
	s_cbranch_execnz .LBB293_91
.LBB293_78:
	s_or_b64 exec, exec, s[26:27]
	s_and_b64 s[34:35], s[8:9], s[18:19]
	s_and_saveexec_b64 s[26:27], s[34:35]
	s_cbranch_execnz .LBB293_95
.LBB293_79:
	s_or_b64 exec, exec, s[26:27]
	s_and_b64 s[34:35], s[10:11], s[18:19]
	s_and_saveexec_b64 s[26:27], s[34:35]
	s_cbranch_execnz .LBB293_99
.LBB293_80:
	s_or_b64 exec, exec, s[26:27]
	s_and_b64 s[34:35], s[12:13], s[18:19]
	s_and_saveexec_b64 s[26:27], s[34:35]
	s_cbranch_execnz .LBB293_103
.LBB293_81:
	s_or_b64 exec, exec, s[26:27]
	s_and_b64 s[34:35], s[14:15], s[18:19]
	s_and_saveexec_b64 s[26:27], s[34:35]
	s_cbranch_execnz .LBB293_107
.LBB293_82:
	s_or_b64 exec, exec, s[26:27]
	s_and_b64 s[26:27], s[16:17], s[18:19]
	s_and_saveexec_b64 s[18:19], s[26:27]
	s_cbranch_execnz .LBB293_111
	s_branch .LBB293_115
.LBB293_83:
	s_and_b64 vcc, exec, s[0:1]
	s_cbranch_vccnz .LBB293_85
; %bb.84:
	v_lshl_add_u64 v[42:43], v[24:25], 1, v[40:41]
	global_load_ushort v42, v[42:43], off
	s_waitcnt vmcnt(0)
	v_mul_f16_e32 v42, s28, v42
	s_branch .LBB293_86
.LBB293_85:
	v_mov_b32_e32 v42, 0
.LBB293_86:
	v_pk_max_f16 v43, v22, v22
	v_pk_max_f16 v68, v16, v16
	s_nop 0
	v_pk_min_f16 v43, v68, v43
	v_pk_max_f16 v68, v17, v17
	v_pk_add_f16 v43, v67, v43
	v_pk_max_f16 v67, v23, v23
	s_nop 0
	v_pk_min_f16 v67, v68, v67
	s_nop 0
	v_pk_add_f16 v43, v43, v67
	s_nop 0
	v_add_f16_sdwa v43, v43, v43 dst_sel:DWORD dst_unused:UNUSED_PAD src0_sel:DWORD src1_sel:WORD_1
	v_add_f16_e32 v67, v43, v42
	v_lshl_add_u64 v[42:43], v[24:25], 1, v[20:21]
	global_store_short v[42:43], v67, off
	s_or_b64 exec, exec, s[26:27]
	s_and_b64 s[34:35], s[4:5], s[18:19]
	s_and_saveexec_b64 s[26:27], s[34:35]
	s_cbranch_execz .LBB293_77
.LBB293_87:
	s_and_b64 vcc, exec, s[0:1]
	s_cbranch_vccnz .LBB293_89
; %bb.88:
	v_lshl_add_u64 v[42:43], v[26:27], 1, v[40:41]
	global_load_ushort v42, v[42:43], off
	s_waitcnt vmcnt(0)
	v_mul_f16_e32 v42, s28, v42
	s_branch .LBB293_90
.LBB293_89:
	v_mov_b32_e32 v42, 0
.LBB293_90:
	v_pk_max_f16 v43, v22, v22
	v_pk_max_f16 v67, v18, v18
	s_nop 0
	v_pk_min_f16 v43, v67, v43
	v_pk_max_f16 v67, v19, v19
	v_pk_add_f16 v43, v66, v43
	v_pk_max_f16 v66, v23, v23
	s_nop 0
	v_pk_min_f16 v66, v67, v66
	s_nop 0
	v_pk_add_f16 v43, v43, v66
	s_nop 0
	v_add_f16_sdwa v43, v43, v43 dst_sel:DWORD dst_unused:UNUSED_PAD src0_sel:DWORD src1_sel:WORD_1
	v_add_f16_e32 v66, v43, v42
	v_lshl_add_u64 v[42:43], v[26:27], 1, v[20:21]
	global_store_short v[42:43], v66, off
	s_or_b64 exec, exec, s[26:27]
	s_and_b64 s[34:35], s[6:7], s[18:19]
	s_and_saveexec_b64 s[26:27], s[34:35]
	s_cbranch_execz .LBB293_78
.LBB293_91:
	s_and_b64 vcc, exec, s[0:1]
	s_cbranch_vccnz .LBB293_93
; %bb.92:
	v_lshl_add_u64 v[42:43], v[28:29], 1, v[40:41]
	global_load_ushort v42, v[42:43], off
	s_waitcnt vmcnt(0)
	v_mul_f16_e32 v42, s28, v42
	s_branch .LBB293_94
.LBB293_93:
	v_mov_b32_e32 v42, 0
.LBB293_94:
	v_pk_max_f16 v43, v22, v22
	v_pk_max_f16 v66, v12, v12
	s_nop 0
	v_pk_min_f16 v43, v66, v43
	v_pk_max_f16 v66, v13, v13
	v_pk_add_f16 v43, v65, v43
	v_pk_max_f16 v65, v23, v23
	s_nop 0
	v_pk_min_f16 v65, v66, v65
	s_nop 0
	v_pk_add_f16 v43, v43, v65
	s_nop 0
	v_add_f16_sdwa v43, v43, v43 dst_sel:DWORD dst_unused:UNUSED_PAD src0_sel:DWORD src1_sel:WORD_1
	v_add_f16_e32 v65, v43, v42
	v_lshl_add_u64 v[42:43], v[28:29], 1, v[20:21]
	global_store_short v[42:43], v65, off
	s_or_b64 exec, exec, s[26:27]
	s_and_b64 s[34:35], s[8:9], s[18:19]
	s_and_saveexec_b64 s[26:27], s[34:35]
	s_cbranch_execz .LBB293_79
.LBB293_95:
	s_and_b64 vcc, exec, s[0:1]
	s_cbranch_vccnz .LBB293_97
; %bb.96:
	v_lshl_add_u64 v[42:43], v[30:31], 1, v[40:41]
	global_load_ushort v42, v[42:43], off
	s_waitcnt vmcnt(0)
	v_mul_f16_e32 v42, s28, v42
	s_branch .LBB293_98
.LBB293_97:
	v_mov_b32_e32 v42, 0
.LBB293_98:
	v_pk_max_f16 v43, v22, v22
	v_pk_max_f16 v65, v14, v14
	s_nop 0
	v_pk_min_f16 v43, v65, v43
	v_pk_max_f16 v65, v15, v15
	v_pk_add_f16 v43, v64, v43
	v_pk_max_f16 v64, v23, v23
	s_nop 0
	v_pk_min_f16 v64, v65, v64
	s_nop 0
	v_pk_add_f16 v43, v43, v64
	s_nop 0
	v_add_f16_sdwa v43, v43, v43 dst_sel:DWORD dst_unused:UNUSED_PAD src0_sel:DWORD src1_sel:WORD_1
	v_add_f16_e32 v64, v43, v42
	v_lshl_add_u64 v[42:43], v[30:31], 1, v[20:21]
	global_store_short v[42:43], v64, off
	s_or_b64 exec, exec, s[26:27]
	s_and_b64 s[34:35], s[10:11], s[18:19]
	s_and_saveexec_b64 s[26:27], s[34:35]
	s_cbranch_execz .LBB293_80
.LBB293_99:
	s_and_b64 vcc, exec, s[0:1]
	s_cbranch_vccnz .LBB293_101
; %bb.100:
	v_lshl_add_u64 v[42:43], v[32:33], 1, v[40:41]
	global_load_ushort v42, v[42:43], off
	s_waitcnt vmcnt(0)
	v_mul_f16_e32 v42, s28, v42
	s_branch .LBB293_102
.LBB293_101:
	v_mov_b32_e32 v42, 0
.LBB293_102:
	v_pk_max_f16 v43, v22, v22
	v_pk_max_f16 v64, v8, v8
	s_nop 0
	v_pk_min_f16 v43, v64, v43
	v_pk_max_f16 v64, v9, v9
	v_pk_add_f16 v43, v63, v43
	v_pk_max_f16 v63, v23, v23
	s_nop 0
	v_pk_min_f16 v63, v64, v63
	s_nop 0
	v_pk_add_f16 v43, v43, v63
	s_nop 0
	v_add_f16_sdwa v43, v43, v43 dst_sel:DWORD dst_unused:UNUSED_PAD src0_sel:DWORD src1_sel:WORD_1
	v_add_f16_e32 v63, v43, v42
	v_lshl_add_u64 v[42:43], v[32:33], 1, v[20:21]
	global_store_short v[42:43], v63, off
	s_or_b64 exec, exec, s[26:27]
	s_and_b64 s[34:35], s[12:13], s[18:19]
	s_and_saveexec_b64 s[26:27], s[34:35]
	s_cbranch_execz .LBB293_81
.LBB293_103:
	s_and_b64 vcc, exec, s[0:1]
	s_cbranch_vccnz .LBB293_105
; %bb.104:
	v_lshl_add_u64 v[42:43], v[34:35], 1, v[40:41]
	global_load_ushort v42, v[42:43], off
	s_waitcnt vmcnt(0)
	v_mul_f16_e32 v42, s28, v42
	s_branch .LBB293_106
.LBB293_105:
	v_mov_b32_e32 v42, 0
.LBB293_106:
	v_pk_max_f16 v43, v22, v22
	v_pk_max_f16 v63, v10, v10
	s_nop 0
	v_pk_min_f16 v43, v63, v43
	v_pk_max_f16 v63, v11, v11
	v_pk_add_f16 v43, v62, v43
	v_pk_max_f16 v62, v23, v23
	s_nop 0
	v_pk_min_f16 v62, v63, v62
	s_nop 0
	v_pk_add_f16 v43, v43, v62
	s_nop 0
	v_add_f16_sdwa v43, v43, v43 dst_sel:DWORD dst_unused:UNUSED_PAD src0_sel:DWORD src1_sel:WORD_1
	v_add_f16_e32 v62, v43, v42
	v_lshl_add_u64 v[42:43], v[34:35], 1, v[20:21]
	global_store_short v[42:43], v62, off
	s_or_b64 exec, exec, s[26:27]
	s_and_b64 s[34:35], s[14:15], s[18:19]
	s_and_saveexec_b64 s[26:27], s[34:35]
	s_cbranch_execz .LBB293_82
.LBB293_107:
	s_and_b64 vcc, exec, s[0:1]
	s_cbranch_vccnz .LBB293_109
; %bb.108:
	v_lshl_add_u64 v[42:43], v[36:37], 1, v[40:41]
	global_load_ushort v42, v[42:43], off
	s_waitcnt vmcnt(0)
	v_mul_f16_e32 v42, s28, v42
	s_branch .LBB293_110
.LBB293_109:
	v_mov_b32_e32 v42, 0
.LBB293_110:
	v_pk_max_f16 v43, v22, v22
	v_pk_max_f16 v62, v0, v0
	s_nop 0
	v_pk_min_f16 v43, v62, v43
	v_pk_max_f16 v62, v1, v1
	v_pk_add_f16 v43, v61, v43
	v_pk_max_f16 v61, v23, v23
	s_nop 0
	v_pk_min_f16 v61, v62, v61
	s_nop 0
	v_pk_add_f16 v43, v43, v61
	s_nop 0
	v_add_f16_sdwa v43, v43, v43 dst_sel:DWORD dst_unused:UNUSED_PAD src0_sel:DWORD src1_sel:WORD_1
	v_add_f16_e32 v61, v43, v42
	v_lshl_add_u64 v[42:43], v[36:37], 1, v[20:21]
	global_store_short v[42:43], v61, off
	s_or_b64 exec, exec, s[26:27]
	s_and_b64 s[26:27], s[16:17], s[18:19]
	s_and_saveexec_b64 s[18:19], s[26:27]
	s_cbranch_execz .LBB293_115
.LBB293_111:
	s_and_b64 vcc, exec, s[0:1]
	s_cbranch_vccnz .LBB293_113
; %bb.112:
	v_lshl_add_u64 v[40:41], v[38:39], 1, v[40:41]
	global_load_ushort v40, v[40:41], off
	s_waitcnt vmcnt(0)
	v_mul_f16_e32 v40, s28, v40
	s_branch .LBB293_114
.LBB293_113:
	v_mov_b32_e32 v40, 0
.LBB293_114:
	v_pk_max_f16 v22, v22, v22
	v_pk_max_f16 v41, v2, v2
	;; [unrolled: 1-line block ×3, first 2 shown]
	v_pk_min_f16 v22, v41, v22
	v_pk_max_f16 v41, v3, v3
	v_pk_add_f16 v22, v60, v22
	v_pk_min_f16 v23, v41, v23
	v_lshl_add_u64 v[20:21], v[38:39], 1, v[20:21]
	v_pk_add_f16 v22, v22, v23
	s_nop 0
	v_add_f16_sdwa v22, v22, v22 dst_sel:DWORD dst_unused:UNUSED_PAD src0_sel:DWORD src1_sel:WORD_1
	v_add_f16_e32 v22, v22, v40
	global_store_short v[20:21], v22, off
.LBB293_115:
	s_or_b64 exec, exec, s[18:19]
	v_add_u32_e32 v40, 64, v69
	v_mad_i64_i32 v[20:21], s[26:27], v40, s33, 0
	v_cmp_gt_i32_e64 s[18:19], s21, v40
	v_lshl_add_u64 v[22:23], v[20:21], 1, s[24:25]
	v_mad_i64_i32 v[20:21], s[26:27], v40, s31, 0
	v_lshl_add_u64 v[20:21], v[20:21], 1, s[22:23]
	s_and_b64 s[34:35], s[2:3], s[18:19]
	s_and_saveexec_b64 s[26:27], s[34:35]
	s_cbranch_execnz .LBB293_123
; %bb.116:
	s_or_b64 exec, exec, s[26:27]
	s_and_b64 s[34:35], s[4:5], s[18:19]
	s_and_saveexec_b64 s[26:27], s[34:35]
	s_cbranch_execnz .LBB293_127
.LBB293_117:
	s_or_b64 exec, exec, s[26:27]
	s_and_b64 s[34:35], s[6:7], s[18:19]
	s_and_saveexec_b64 s[26:27], s[34:35]
	s_cbranch_execnz .LBB293_131
.LBB293_118:
	s_or_b64 exec, exec, s[26:27]
	s_and_b64 s[34:35], s[8:9], s[18:19]
	s_and_saveexec_b64 s[26:27], s[34:35]
	s_cbranch_execnz .LBB293_135
.LBB293_119:
	s_or_b64 exec, exec, s[26:27]
	s_and_b64 s[34:35], s[10:11], s[18:19]
	s_and_saveexec_b64 s[26:27], s[34:35]
	s_cbranch_execnz .LBB293_139
.LBB293_120:
	s_or_b64 exec, exec, s[26:27]
	s_and_b64 s[34:35], s[12:13], s[18:19]
	s_and_saveexec_b64 s[26:27], s[34:35]
	s_cbranch_execnz .LBB293_143
.LBB293_121:
	s_or_b64 exec, exec, s[26:27]
	s_and_b64 s[34:35], s[14:15], s[18:19]
	s_and_saveexec_b64 s[26:27], s[34:35]
	s_cbranch_execnz .LBB293_147
.LBB293_122:
	s_or_b64 exec, exec, s[26:27]
	s_and_b64 s[26:27], s[16:17], s[18:19]
	s_and_saveexec_b64 s[18:19], s[26:27]
	s_cbranch_execnz .LBB293_151
	s_branch .LBB293_155
.LBB293_123:
	s_and_b64 vcc, exec, s[0:1]
	s_cbranch_vccnz .LBB293_125
; %bb.124:
	v_lshl_add_u64 v[40:41], v[24:25], 1, v[22:23]
	global_load_ushort v40, v[40:41], off
	s_waitcnt vmcnt(0)
	v_mul_f16_e32 v40, s28, v40
	s_branch .LBB293_126
.LBB293_125:
	v_mov_b32_e32 v40, 0
.LBB293_126:
	v_pk_max_f16 v41, v4, v4
	v_pk_max_f16 v42, v16, v16
	;; [unrolled: 1-line block ×3, first 2 shown]
	v_pk_min_f16 v41, v42, v41
	v_pk_max_f16 v42, v5, v5
	v_pk_add_f16 v41, v59, v41
	v_pk_min_f16 v42, v43, v42
	s_nop 0
	v_pk_add_f16 v41, v41, v42
	s_nop 0
	v_add_f16_sdwa v41, v41, v41 dst_sel:DWORD dst_unused:UNUSED_PAD src0_sel:DWORD src1_sel:WORD_1
	v_add_f16_e32 v42, v41, v40
	v_lshl_add_u64 v[40:41], v[24:25], 1, v[20:21]
	global_store_short v[40:41], v42, off
	s_or_b64 exec, exec, s[26:27]
	s_and_b64 s[34:35], s[4:5], s[18:19]
	s_and_saveexec_b64 s[26:27], s[34:35]
	s_cbranch_execz .LBB293_117
.LBB293_127:
	s_and_b64 vcc, exec, s[0:1]
	s_cbranch_vccnz .LBB293_129
; %bb.128:
	v_lshl_add_u64 v[40:41], v[26:27], 1, v[22:23]
	global_load_ushort v40, v[40:41], off
	s_waitcnt vmcnt(0)
	v_mul_f16_e32 v40, s28, v40
	s_branch .LBB293_130
.LBB293_129:
	v_mov_b32_e32 v40, 0
.LBB293_130:
	v_pk_max_f16 v41, v4, v4
	v_pk_max_f16 v42, v18, v18
	;; [unrolled: 1-line block ×3, first 2 shown]
	v_pk_min_f16 v41, v42, v41
	v_pk_max_f16 v42, v5, v5
	v_pk_add_f16 v41, v58, v41
	v_pk_min_f16 v42, v43, v42
	s_nop 0
	v_pk_add_f16 v41, v41, v42
	s_nop 0
	v_add_f16_sdwa v41, v41, v41 dst_sel:DWORD dst_unused:UNUSED_PAD src0_sel:DWORD src1_sel:WORD_1
	v_add_f16_e32 v42, v41, v40
	v_lshl_add_u64 v[40:41], v[26:27], 1, v[20:21]
	global_store_short v[40:41], v42, off
	s_or_b64 exec, exec, s[26:27]
	s_and_b64 s[34:35], s[6:7], s[18:19]
	s_and_saveexec_b64 s[26:27], s[34:35]
	s_cbranch_execz .LBB293_118
.LBB293_131:
	s_and_b64 vcc, exec, s[0:1]
	s_cbranch_vccnz .LBB293_133
; %bb.132:
	v_lshl_add_u64 v[40:41], v[28:29], 1, v[22:23]
	global_load_ushort v40, v[40:41], off
	s_waitcnt vmcnt(0)
	v_mul_f16_e32 v40, s28, v40
	s_branch .LBB293_134
.LBB293_133:
	v_mov_b32_e32 v40, 0
.LBB293_134:
	v_pk_max_f16 v41, v4, v4
	v_pk_max_f16 v42, v12, v12
	;; [unrolled: 1-line block ×3, first 2 shown]
	v_pk_min_f16 v41, v42, v41
	v_pk_max_f16 v42, v5, v5
	v_pk_add_f16 v41, v57, v41
	v_pk_min_f16 v42, v43, v42
	s_nop 0
	v_pk_add_f16 v41, v41, v42
	s_nop 0
	v_add_f16_sdwa v41, v41, v41 dst_sel:DWORD dst_unused:UNUSED_PAD src0_sel:DWORD src1_sel:WORD_1
	v_add_f16_e32 v42, v41, v40
	v_lshl_add_u64 v[40:41], v[28:29], 1, v[20:21]
	global_store_short v[40:41], v42, off
	s_or_b64 exec, exec, s[26:27]
	s_and_b64 s[34:35], s[8:9], s[18:19]
	s_and_saveexec_b64 s[26:27], s[34:35]
	s_cbranch_execz .LBB293_119
.LBB293_135:
	s_and_b64 vcc, exec, s[0:1]
	s_cbranch_vccnz .LBB293_137
; %bb.136:
	v_lshl_add_u64 v[40:41], v[30:31], 1, v[22:23]
	global_load_ushort v40, v[40:41], off
	s_waitcnt vmcnt(0)
	v_mul_f16_e32 v40, s28, v40
	s_branch .LBB293_138
.LBB293_137:
	v_mov_b32_e32 v40, 0
.LBB293_138:
	v_pk_max_f16 v41, v4, v4
	v_pk_max_f16 v42, v14, v14
	;; [unrolled: 1-line block ×3, first 2 shown]
	v_pk_min_f16 v41, v42, v41
	v_pk_max_f16 v42, v5, v5
	v_pk_add_f16 v41, v56, v41
	v_pk_min_f16 v42, v43, v42
	s_nop 0
	v_pk_add_f16 v41, v41, v42
	s_nop 0
	v_add_f16_sdwa v41, v41, v41 dst_sel:DWORD dst_unused:UNUSED_PAD src0_sel:DWORD src1_sel:WORD_1
	v_add_f16_e32 v42, v41, v40
	v_lshl_add_u64 v[40:41], v[30:31], 1, v[20:21]
	global_store_short v[40:41], v42, off
	s_or_b64 exec, exec, s[26:27]
	s_and_b64 s[34:35], s[10:11], s[18:19]
	s_and_saveexec_b64 s[26:27], s[34:35]
	s_cbranch_execz .LBB293_120
.LBB293_139:
	s_and_b64 vcc, exec, s[0:1]
	s_cbranch_vccnz .LBB293_141
; %bb.140:
	v_lshl_add_u64 v[40:41], v[32:33], 1, v[22:23]
	global_load_ushort v40, v[40:41], off
	s_waitcnt vmcnt(0)
	v_mul_f16_e32 v40, s28, v40
	s_branch .LBB293_142
.LBB293_141:
	v_mov_b32_e32 v40, 0
.LBB293_142:
	v_pk_max_f16 v41, v4, v4
	v_pk_max_f16 v42, v8, v8
	;; [unrolled: 1-line block ×3, first 2 shown]
	v_pk_min_f16 v41, v42, v41
	v_pk_max_f16 v42, v5, v5
	v_pk_add_f16 v41, v55, v41
	v_pk_min_f16 v42, v43, v42
	s_nop 0
	v_pk_add_f16 v41, v41, v42
	s_nop 0
	v_add_f16_sdwa v41, v41, v41 dst_sel:DWORD dst_unused:UNUSED_PAD src0_sel:DWORD src1_sel:WORD_1
	v_add_f16_e32 v42, v41, v40
	v_lshl_add_u64 v[40:41], v[32:33], 1, v[20:21]
	global_store_short v[40:41], v42, off
	s_or_b64 exec, exec, s[26:27]
	s_and_b64 s[34:35], s[12:13], s[18:19]
	s_and_saveexec_b64 s[26:27], s[34:35]
	s_cbranch_execz .LBB293_121
.LBB293_143:
	s_and_b64 vcc, exec, s[0:1]
	s_cbranch_vccnz .LBB293_145
; %bb.144:
	v_lshl_add_u64 v[40:41], v[34:35], 1, v[22:23]
	global_load_ushort v40, v[40:41], off
	s_waitcnt vmcnt(0)
	v_mul_f16_e32 v40, s28, v40
	s_branch .LBB293_146
.LBB293_145:
	v_mov_b32_e32 v40, 0
.LBB293_146:
	v_pk_max_f16 v41, v4, v4
	v_pk_max_f16 v42, v10, v10
	;; [unrolled: 1-line block ×3, first 2 shown]
	v_pk_min_f16 v41, v42, v41
	v_pk_max_f16 v42, v5, v5
	v_pk_add_f16 v41, v54, v41
	v_pk_min_f16 v42, v43, v42
	s_nop 0
	v_pk_add_f16 v41, v41, v42
	s_nop 0
	v_add_f16_sdwa v41, v41, v41 dst_sel:DWORD dst_unused:UNUSED_PAD src0_sel:DWORD src1_sel:WORD_1
	v_add_f16_e32 v42, v41, v40
	v_lshl_add_u64 v[40:41], v[34:35], 1, v[20:21]
	global_store_short v[40:41], v42, off
	s_or_b64 exec, exec, s[26:27]
	s_and_b64 s[34:35], s[14:15], s[18:19]
	s_and_saveexec_b64 s[26:27], s[34:35]
	s_cbranch_execz .LBB293_122
.LBB293_147:
	s_and_b64 vcc, exec, s[0:1]
	s_cbranch_vccnz .LBB293_149
; %bb.148:
	v_lshl_add_u64 v[40:41], v[36:37], 1, v[22:23]
	global_load_ushort v40, v[40:41], off
	s_waitcnt vmcnt(0)
	v_mul_f16_e32 v40, s28, v40
	s_branch .LBB293_150
.LBB293_149:
	v_mov_b32_e32 v40, 0
.LBB293_150:
	v_pk_max_f16 v41, v4, v4
	v_pk_max_f16 v42, v0, v0
	;; [unrolled: 1-line block ×3, first 2 shown]
	v_pk_min_f16 v41, v42, v41
	v_pk_max_f16 v42, v5, v5
	v_pk_add_f16 v41, v53, v41
	v_pk_min_f16 v42, v43, v42
	s_nop 0
	v_pk_add_f16 v41, v41, v42
	s_nop 0
	v_add_f16_sdwa v41, v41, v41 dst_sel:DWORD dst_unused:UNUSED_PAD src0_sel:DWORD src1_sel:WORD_1
	v_add_f16_e32 v42, v41, v40
	v_lshl_add_u64 v[40:41], v[36:37], 1, v[20:21]
	global_store_short v[40:41], v42, off
	s_or_b64 exec, exec, s[26:27]
	s_and_b64 s[26:27], s[16:17], s[18:19]
	s_and_saveexec_b64 s[18:19], s[26:27]
	s_cbranch_execz .LBB293_155
.LBB293_151:
	s_and_b64 vcc, exec, s[0:1]
	s_cbranch_vccnz .LBB293_153
; %bb.152:
	v_lshl_add_u64 v[22:23], v[38:39], 1, v[22:23]
	global_load_ushort v22, v[22:23], off
	s_waitcnt vmcnt(0)
	v_mul_f16_e32 v22, s28, v22
	s_branch .LBB293_154
.LBB293_153:
	v_mov_b32_e32 v22, 0
.LBB293_154:
	v_pk_max_f16 v4, v4, v4
	v_pk_max_f16 v23, v2, v2
	;; [unrolled: 1-line block ×3, first 2 shown]
	v_pk_min_f16 v4, v23, v4
	v_pk_max_f16 v23, v3, v3
	v_pk_add_f16 v4, v52, v4
	v_pk_min_f16 v5, v23, v5
	s_nop 0
	v_pk_add_f16 v4, v4, v5
	s_nop 0
	v_add_f16_sdwa v4, v4, v4 dst_sel:DWORD dst_unused:UNUSED_PAD src0_sel:DWORD src1_sel:WORD_1
	v_add_f16_e32 v22, v4, v22
	v_lshl_add_u64 v[4:5], v[38:39], 1, v[20:21]
	global_store_short v[4:5], v22, off
.LBB293_155:
	s_or_b64 exec, exec, s[18:19]
	v_add_u32_e32 v22, 0x60, v69
	v_cmp_gt_i32_e64 s[18:19], s21, v22
	v_mad_i64_i32 v[4:5], s[20:21], v22, s33, 0
	v_lshl_add_u64 v[20:21], v[4:5], 1, s[24:25]
	v_mad_i64_i32 v[4:5], s[20:21], v22, s31, 0
	v_lshl_add_u64 v[4:5], v[4:5], 1, s[22:23]
	s_and_b64 s[20:21], s[2:3], s[18:19]
	s_and_saveexec_b64 s[2:3], s[20:21]
	s_cbranch_execnz .LBB293_164
; %bb.156:
	s_or_b64 exec, exec, s[2:3]
	s_and_b64 s[4:5], s[4:5], s[18:19]
	s_and_saveexec_b64 s[2:3], s[4:5]
	s_cbranch_execnz .LBB293_168
.LBB293_157:
	s_or_b64 exec, exec, s[2:3]
	s_and_b64 s[4:5], s[6:7], s[18:19]
	s_and_saveexec_b64 s[2:3], s[4:5]
	s_cbranch_execnz .LBB293_172
.LBB293_158:
	s_or_b64 exec, exec, s[2:3]
	s_and_b64 s[4:5], s[8:9], s[18:19]
	s_and_saveexec_b64 s[2:3], s[4:5]
	s_cbranch_execnz .LBB293_176
.LBB293_159:
	s_or_b64 exec, exec, s[2:3]
	s_and_b64 s[4:5], s[10:11], s[18:19]
	s_and_saveexec_b64 s[2:3], s[4:5]
	s_cbranch_execnz .LBB293_180
.LBB293_160:
	s_or_b64 exec, exec, s[2:3]
	s_and_b64 s[4:5], s[12:13], s[18:19]
	s_and_saveexec_b64 s[2:3], s[4:5]
	s_cbranch_execnz .LBB293_184
.LBB293_161:
	s_or_b64 exec, exec, s[2:3]
	s_and_b64 s[4:5], s[14:15], s[18:19]
	s_and_saveexec_b64 s[2:3], s[4:5]
	s_cbranch_execnz .LBB293_188
.LBB293_162:
	s_or_b64 exec, exec, s[2:3]
	s_and_b64 s[2:3], s[16:17], s[18:19]
	s_and_saveexec_b64 s[4:5], s[2:3]
	s_cbranch_execnz .LBB293_192
.LBB293_163:
	s_endpgm
.LBB293_164:
	s_and_b64 vcc, exec, s[0:1]
	s_cbranch_vccnz .LBB293_166
; %bb.165:
	v_lshl_add_u64 v[22:23], v[24:25], 1, v[20:21]
	global_load_ushort v22, v[22:23], off
	s_waitcnt vmcnt(0)
	v_mul_f16_e32 v22, s28, v22
	s_branch .LBB293_167
.LBB293_166:
	v_mov_b32_e32 v22, 0
.LBB293_167:
	v_pk_max_f16 v23, v6, v6
	v_pk_max_f16 v16, v16, v16
	;; [unrolled: 1-line block ×3, first 2 shown]
	v_pk_min_f16 v16, v16, v23
	v_pk_max_f16 v23, v7, v7
	v_pk_add_f16 v16, v51, v16
	v_pk_min_f16 v17, v17, v23
	s_nop 0
	v_pk_add_f16 v16, v16, v17
	s_nop 0
	v_add_f16_sdwa v16, v16, v16 dst_sel:DWORD dst_unused:UNUSED_PAD src0_sel:DWORD src1_sel:WORD_1
	v_add_f16_e32 v22, v16, v22
	v_lshl_add_u64 v[16:17], v[24:25], 1, v[4:5]
	global_store_short v[16:17], v22, off
	s_or_b64 exec, exec, s[2:3]
	s_and_b64 s[4:5], s[4:5], s[18:19]
	s_and_saveexec_b64 s[2:3], s[4:5]
	s_cbranch_execz .LBB293_157
.LBB293_168:
	s_and_b64 vcc, exec, s[0:1]
	s_cbranch_vccnz .LBB293_170
; %bb.169:
	v_lshl_add_u64 v[16:17], v[26:27], 1, v[20:21]
	global_load_ushort v16, v[16:17], off
	s_waitcnt vmcnt(0)
	v_mul_f16_e32 v16, s28, v16
	s_branch .LBB293_171
.LBB293_170:
	v_mov_b32_e32 v16, 0
.LBB293_171:
	v_pk_max_f16 v17, v6, v6
	v_pk_max_f16 v18, v18, v18
	;; [unrolled: 1-line block ×3, first 2 shown]
	v_pk_min_f16 v17, v18, v17
	v_pk_max_f16 v18, v7, v7
	v_pk_add_f16 v17, v50, v17
	v_pk_min_f16 v18, v19, v18
	s_nop 0
	v_pk_add_f16 v17, v17, v18
	s_nop 0
	v_add_f16_sdwa v17, v17, v17 dst_sel:DWORD dst_unused:UNUSED_PAD src0_sel:DWORD src1_sel:WORD_1
	v_add_f16_e32 v18, v17, v16
	v_lshl_add_u64 v[16:17], v[26:27], 1, v[4:5]
	global_store_short v[16:17], v18, off
	s_or_b64 exec, exec, s[2:3]
	s_and_b64 s[4:5], s[6:7], s[18:19]
	s_and_saveexec_b64 s[2:3], s[4:5]
	s_cbranch_execz .LBB293_158
.LBB293_172:
	s_and_b64 vcc, exec, s[0:1]
	s_cbranch_vccnz .LBB293_174
; %bb.173:
	v_lshl_add_u64 v[16:17], v[28:29], 1, v[20:21]
	global_load_ushort v16, v[16:17], off
	s_waitcnt vmcnt(0)
	v_mul_f16_e32 v16, s28, v16
	s_branch .LBB293_175
.LBB293_174:
	v_mov_b32_e32 v16, 0
.LBB293_175:
	v_pk_max_f16 v17, v6, v6
	v_pk_max_f16 v12, v12, v12
	;; [unrolled: 1-line block ×3, first 2 shown]
	v_pk_min_f16 v12, v12, v17
	v_pk_max_f16 v17, v7, v7
	v_pk_add_f16 v12, v49, v12
	v_pk_min_f16 v13, v13, v17
	s_nop 0
	v_pk_add_f16 v12, v12, v13
	s_nop 0
	v_add_f16_sdwa v12, v12, v12 dst_sel:DWORD dst_unused:UNUSED_PAD src0_sel:DWORD src1_sel:WORD_1
	v_add_f16_e32 v16, v12, v16
	v_lshl_add_u64 v[12:13], v[28:29], 1, v[4:5]
	global_store_short v[12:13], v16, off
	s_or_b64 exec, exec, s[2:3]
	s_and_b64 s[4:5], s[8:9], s[18:19]
	s_and_saveexec_b64 s[2:3], s[4:5]
	s_cbranch_execz .LBB293_159
.LBB293_176:
	s_and_b64 vcc, exec, s[0:1]
	s_cbranch_vccnz .LBB293_178
; %bb.177:
	v_lshl_add_u64 v[12:13], v[30:31], 1, v[20:21]
	global_load_ushort v12, v[12:13], off
	s_waitcnt vmcnt(0)
	v_mul_f16_e32 v12, s28, v12
	s_branch .LBB293_179
.LBB293_178:
	v_mov_b32_e32 v12, 0
.LBB293_179:
	v_pk_max_f16 v13, v6, v6
	v_pk_max_f16 v14, v14, v14
	;; [unrolled: 1-line block ×3, first 2 shown]
	v_pk_min_f16 v13, v14, v13
	v_pk_max_f16 v14, v7, v7
	v_pk_add_f16 v13, v48, v13
	v_pk_min_f16 v14, v15, v14
	s_nop 0
	v_pk_add_f16 v13, v13, v14
	s_nop 0
	v_add_f16_sdwa v13, v13, v13 dst_sel:DWORD dst_unused:UNUSED_PAD src0_sel:DWORD src1_sel:WORD_1
	v_add_f16_e32 v14, v13, v12
	v_lshl_add_u64 v[12:13], v[30:31], 1, v[4:5]
	global_store_short v[12:13], v14, off
	s_or_b64 exec, exec, s[2:3]
	s_and_b64 s[4:5], s[10:11], s[18:19]
	s_and_saveexec_b64 s[2:3], s[4:5]
	s_cbranch_execz .LBB293_160
.LBB293_180:
	s_and_b64 vcc, exec, s[0:1]
	s_cbranch_vccnz .LBB293_182
; %bb.181:
	v_lshl_add_u64 v[12:13], v[32:33], 1, v[20:21]
	global_load_ushort v12, v[12:13], off
	s_waitcnt vmcnt(0)
	v_mul_f16_e32 v12, s28, v12
	s_branch .LBB293_183
.LBB293_182:
	v_mov_b32_e32 v12, 0
.LBB293_183:
	v_pk_max_f16 v13, v6, v6
	v_pk_max_f16 v8, v8, v8
	;; [unrolled: 1-line block ×3, first 2 shown]
	v_pk_min_f16 v8, v8, v13
	v_pk_max_f16 v13, v7, v7
	v_pk_add_f16 v8, v47, v8
	v_pk_min_f16 v9, v9, v13
	s_nop 0
	v_pk_add_f16 v8, v8, v9
	s_nop 0
	v_add_f16_sdwa v8, v8, v8 dst_sel:DWORD dst_unused:UNUSED_PAD src0_sel:DWORD src1_sel:WORD_1
	v_add_f16_e32 v12, v8, v12
	v_lshl_add_u64 v[8:9], v[32:33], 1, v[4:5]
	global_store_short v[8:9], v12, off
	s_or_b64 exec, exec, s[2:3]
	s_and_b64 s[4:5], s[12:13], s[18:19]
	s_and_saveexec_b64 s[2:3], s[4:5]
	s_cbranch_execz .LBB293_161
.LBB293_184:
	s_and_b64 vcc, exec, s[0:1]
	s_cbranch_vccnz .LBB293_186
; %bb.185:
	v_lshl_add_u64 v[8:9], v[34:35], 1, v[20:21]
	global_load_ushort v8, v[8:9], off
	s_waitcnt vmcnt(0)
	v_mul_f16_e32 v8, s28, v8
	s_branch .LBB293_187
.LBB293_186:
	v_mov_b32_e32 v8, 0
.LBB293_187:
	v_pk_max_f16 v9, v6, v6
	v_pk_max_f16 v10, v10, v10
	;; [unrolled: 1-line block ×3, first 2 shown]
	v_pk_min_f16 v9, v10, v9
	v_pk_max_f16 v10, v7, v7
	v_pk_add_f16 v9, v46, v9
	v_pk_min_f16 v10, v11, v10
	s_nop 0
	v_pk_add_f16 v9, v9, v10
	s_nop 0
	v_add_f16_sdwa v9, v9, v9 dst_sel:DWORD dst_unused:UNUSED_PAD src0_sel:DWORD src1_sel:WORD_1
	v_add_f16_e32 v10, v9, v8
	v_lshl_add_u64 v[8:9], v[34:35], 1, v[4:5]
	global_store_short v[8:9], v10, off
	s_or_b64 exec, exec, s[2:3]
	s_and_b64 s[4:5], s[14:15], s[18:19]
	s_and_saveexec_b64 s[2:3], s[4:5]
	s_cbranch_execz .LBB293_162
.LBB293_188:
	s_and_b64 vcc, exec, s[0:1]
	s_cbranch_vccnz .LBB293_190
; %bb.189:
	v_lshl_add_u64 v[8:9], v[36:37], 1, v[20:21]
	global_load_ushort v8, v[8:9], off
	s_waitcnt vmcnt(0)
	v_mul_f16_e32 v8, s28, v8
	s_branch .LBB293_191
.LBB293_190:
	v_mov_b32_e32 v8, 0
.LBB293_191:
	v_pk_max_f16 v9, v6, v6
	v_pk_max_f16 v0, v0, v0
	v_pk_max_f16 v1, v1, v1
	v_pk_min_f16 v0, v0, v9
	v_pk_max_f16 v9, v7, v7
	v_pk_add_f16 v0, v45, v0
	v_pk_min_f16 v1, v1, v9
	s_nop 0
	v_pk_add_f16 v0, v0, v1
	s_nop 0
	v_add_f16_sdwa v0, v0, v0 dst_sel:DWORD dst_unused:UNUSED_PAD src0_sel:DWORD src1_sel:WORD_1
	v_add_f16_e32 v8, v0, v8
	v_lshl_add_u64 v[0:1], v[36:37], 1, v[4:5]
	global_store_short v[0:1], v8, off
	s_or_b64 exec, exec, s[2:3]
	s_and_b64 s[2:3], s[16:17], s[18:19]
	s_and_saveexec_b64 s[4:5], s[2:3]
	s_cbranch_execz .LBB293_163
.LBB293_192:
	s_and_b64 vcc, exec, s[0:1]
	s_cbranch_vccnz .LBB293_194
; %bb.193:
	v_lshl_add_u64 v[0:1], v[38:39], 1, v[20:21]
	global_load_ushort v0, v[0:1], off
	s_waitcnt vmcnt(0)
	v_mul_f16_e32 v0, s28, v0
	s_branch .LBB293_195
.LBB293_194:
	v_mov_b32_e32 v0, 0
.LBB293_195:
	v_pk_max_f16 v1, v6, v6
	v_pk_max_f16 v2, v2, v2
	v_pk_max_f16 v3, v3, v3
	v_pk_min_f16 v1, v2, v1
	v_pk_max_f16 v2, v7, v7
	v_pk_add_f16 v1, v44, v1
	v_pk_min_f16 v2, v3, v2
	s_nop 0
	v_pk_add_f16 v1, v1, v2
	s_nop 0
	v_add_f16_sdwa v1, v1, v1 dst_sel:DWORD dst_unused:UNUSED_PAD src0_sel:DWORD src1_sel:WORD_1
	v_add_f16_e32 v2, v1, v0
	v_lshl_add_u64 v[0:1], v[38:39], 1, v[4:5]
	global_store_short v[0:1], v2, off
	s_endpgm
	.section	.rodata,"a",@progbits
	.p2align	6, 0x0
	.amdhsa_kernel _ZN12_GLOBAL__N_120geam_min_plus_kernelIDF16_Dv2_DF16_S1_Li8ELi32ELi64ELi128ELi4ELi4ELi64ELi4ELi64ELc84ELc78ELb0ELb1ELb0EDF16_KDF16_DF16_EEviiiT16_PT17_ilS5_ilS3_S5_ilPT18_ili26rocblas_geam_ex_operation_
		.amdhsa_group_segment_fixed_size 3072
		.amdhsa_private_segment_fixed_size 0
		.amdhsa_kernarg_size 128
		.amdhsa_user_sgpr_count 2
		.amdhsa_user_sgpr_dispatch_ptr 0
		.amdhsa_user_sgpr_queue_ptr 0
		.amdhsa_user_sgpr_kernarg_segment_ptr 1
		.amdhsa_user_sgpr_dispatch_id 0
		.amdhsa_user_sgpr_kernarg_preload_length 0
		.amdhsa_user_sgpr_kernarg_preload_offset 0
		.amdhsa_user_sgpr_private_segment_size 0
		.amdhsa_uses_dynamic_stack 0
		.amdhsa_enable_private_segment 0
		.amdhsa_system_sgpr_workgroup_id_x 1
		.amdhsa_system_sgpr_workgroup_id_y 0
		.amdhsa_system_sgpr_workgroup_id_z 1
		.amdhsa_system_sgpr_workgroup_info 0
		.amdhsa_system_vgpr_workitem_id 1
		.amdhsa_next_free_vgpr 119
		.amdhsa_next_free_sgpr 38
		.amdhsa_accum_offset 120
		.amdhsa_reserve_vcc 1
		.amdhsa_float_round_mode_32 0
		.amdhsa_float_round_mode_16_64 0
		.amdhsa_float_denorm_mode_32 3
		.amdhsa_float_denorm_mode_16_64 3
		.amdhsa_dx10_clamp 1
		.amdhsa_ieee_mode 1
		.amdhsa_fp16_overflow 0
		.amdhsa_tg_split 0
		.amdhsa_exception_fp_ieee_invalid_op 0
		.amdhsa_exception_fp_denorm_src 0
		.amdhsa_exception_fp_ieee_div_zero 0
		.amdhsa_exception_fp_ieee_overflow 0
		.amdhsa_exception_fp_ieee_underflow 0
		.amdhsa_exception_fp_ieee_inexact 0
		.amdhsa_exception_int_div_zero 0
	.end_amdhsa_kernel
	.section	.text._ZN12_GLOBAL__N_120geam_min_plus_kernelIDF16_Dv2_DF16_S1_Li8ELi32ELi64ELi128ELi4ELi4ELi64ELi4ELi64ELc84ELc78ELb0ELb1ELb0EDF16_KDF16_DF16_EEviiiT16_PT17_ilS5_ilS3_S5_ilPT18_ili26rocblas_geam_ex_operation_,"axG",@progbits,_ZN12_GLOBAL__N_120geam_min_plus_kernelIDF16_Dv2_DF16_S1_Li8ELi32ELi64ELi128ELi4ELi4ELi64ELi4ELi64ELc84ELc78ELb0ELb1ELb0EDF16_KDF16_DF16_EEviiiT16_PT17_ilS5_ilS3_S5_ilPT18_ili26rocblas_geam_ex_operation_,comdat
.Lfunc_end293:
	.size	_ZN12_GLOBAL__N_120geam_min_plus_kernelIDF16_Dv2_DF16_S1_Li8ELi32ELi64ELi128ELi4ELi4ELi64ELi4ELi64ELc84ELc78ELb0ELb1ELb0EDF16_KDF16_DF16_EEviiiT16_PT17_ilS5_ilS3_S5_ilPT18_ili26rocblas_geam_ex_operation_, .Lfunc_end293-_ZN12_GLOBAL__N_120geam_min_plus_kernelIDF16_Dv2_DF16_S1_Li8ELi32ELi64ELi128ELi4ELi4ELi64ELi4ELi64ELc84ELc78ELb0ELb1ELb0EDF16_KDF16_DF16_EEviiiT16_PT17_ilS5_ilS3_S5_ilPT18_ili26rocblas_geam_ex_operation_
                                        ; -- End function
	.set _ZN12_GLOBAL__N_120geam_min_plus_kernelIDF16_Dv2_DF16_S1_Li8ELi32ELi64ELi128ELi4ELi4ELi64ELi4ELi64ELc84ELc78ELb0ELb1ELb0EDF16_KDF16_DF16_EEviiiT16_PT17_ilS5_ilS3_S5_ilPT18_ili26rocblas_geam_ex_operation_.num_vgpr, 119
	.set _ZN12_GLOBAL__N_120geam_min_plus_kernelIDF16_Dv2_DF16_S1_Li8ELi32ELi64ELi128ELi4ELi4ELi64ELi4ELi64ELc84ELc78ELb0ELb1ELb0EDF16_KDF16_DF16_EEviiiT16_PT17_ilS5_ilS3_S5_ilPT18_ili26rocblas_geam_ex_operation_.num_agpr, 0
	.set _ZN12_GLOBAL__N_120geam_min_plus_kernelIDF16_Dv2_DF16_S1_Li8ELi32ELi64ELi128ELi4ELi4ELi64ELi4ELi64ELc84ELc78ELb0ELb1ELb0EDF16_KDF16_DF16_EEviiiT16_PT17_ilS5_ilS3_S5_ilPT18_ili26rocblas_geam_ex_operation_.numbered_sgpr, 38
	.set _ZN12_GLOBAL__N_120geam_min_plus_kernelIDF16_Dv2_DF16_S1_Li8ELi32ELi64ELi128ELi4ELi4ELi64ELi4ELi64ELc84ELc78ELb0ELb1ELb0EDF16_KDF16_DF16_EEviiiT16_PT17_ilS5_ilS3_S5_ilPT18_ili26rocblas_geam_ex_operation_.num_named_barrier, 0
	.set _ZN12_GLOBAL__N_120geam_min_plus_kernelIDF16_Dv2_DF16_S1_Li8ELi32ELi64ELi128ELi4ELi4ELi64ELi4ELi64ELc84ELc78ELb0ELb1ELb0EDF16_KDF16_DF16_EEviiiT16_PT17_ilS5_ilS3_S5_ilPT18_ili26rocblas_geam_ex_operation_.private_seg_size, 0
	.set _ZN12_GLOBAL__N_120geam_min_plus_kernelIDF16_Dv2_DF16_S1_Li8ELi32ELi64ELi128ELi4ELi4ELi64ELi4ELi64ELc84ELc78ELb0ELb1ELb0EDF16_KDF16_DF16_EEviiiT16_PT17_ilS5_ilS3_S5_ilPT18_ili26rocblas_geam_ex_operation_.uses_vcc, 1
	.set _ZN12_GLOBAL__N_120geam_min_plus_kernelIDF16_Dv2_DF16_S1_Li8ELi32ELi64ELi128ELi4ELi4ELi64ELi4ELi64ELc84ELc78ELb0ELb1ELb0EDF16_KDF16_DF16_EEviiiT16_PT17_ilS5_ilS3_S5_ilPT18_ili26rocblas_geam_ex_operation_.uses_flat_scratch, 0
	.set _ZN12_GLOBAL__N_120geam_min_plus_kernelIDF16_Dv2_DF16_S1_Li8ELi32ELi64ELi128ELi4ELi4ELi64ELi4ELi64ELc84ELc78ELb0ELb1ELb0EDF16_KDF16_DF16_EEviiiT16_PT17_ilS5_ilS3_S5_ilPT18_ili26rocblas_geam_ex_operation_.has_dyn_sized_stack, 0
	.set _ZN12_GLOBAL__N_120geam_min_plus_kernelIDF16_Dv2_DF16_S1_Li8ELi32ELi64ELi128ELi4ELi4ELi64ELi4ELi64ELc84ELc78ELb0ELb1ELb0EDF16_KDF16_DF16_EEviiiT16_PT17_ilS5_ilS3_S5_ilPT18_ili26rocblas_geam_ex_operation_.has_recursion, 0
	.set _ZN12_GLOBAL__N_120geam_min_plus_kernelIDF16_Dv2_DF16_S1_Li8ELi32ELi64ELi128ELi4ELi4ELi64ELi4ELi64ELc84ELc78ELb0ELb1ELb0EDF16_KDF16_DF16_EEviiiT16_PT17_ilS5_ilS3_S5_ilPT18_ili26rocblas_geam_ex_operation_.has_indirect_call, 0
	.section	.AMDGPU.csdata,"",@progbits
; Kernel info:
; codeLenInByte = 11288
; TotalNumSgprs: 44
; NumVgprs: 119
; NumAgprs: 0
; TotalNumVgprs: 119
; ScratchSize: 0
; MemoryBound: 0
; FloatMode: 240
; IeeeMode: 1
; LDSByteSize: 3072 bytes/workgroup (compile time only)
; SGPRBlocks: 5
; VGPRBlocks: 14
; NumSGPRsForWavesPerEU: 44
; NumVGPRsForWavesPerEU: 119
; AccumOffset: 120
; Occupancy: 4
; WaveLimiterHint : 0
; COMPUTE_PGM_RSRC2:SCRATCH_EN: 0
; COMPUTE_PGM_RSRC2:USER_SGPR: 2
; COMPUTE_PGM_RSRC2:TRAP_HANDLER: 0
; COMPUTE_PGM_RSRC2:TGID_X_EN: 1
; COMPUTE_PGM_RSRC2:TGID_Y_EN: 0
; COMPUTE_PGM_RSRC2:TGID_Z_EN: 1
; COMPUTE_PGM_RSRC2:TIDIG_COMP_CNT: 1
; COMPUTE_PGM_RSRC3_GFX90A:ACCUM_OFFSET: 29
; COMPUTE_PGM_RSRC3_GFX90A:TG_SPLIT: 0
	.section	.text._ZN12_GLOBAL__N_120geam_min_plus_kernelIDF16_Dv2_DF16_S1_Li8ELi32ELi64ELi128ELi4ELi64ELi4ELi64ELi4ELc78ELc84ELb0ELb0ELb0EPKDF16_S2_DF16_EEviiiT16_PT17_ilS6_ilS4_S6_ilPT18_ili26rocblas_geam_ex_operation_,"axG",@progbits,_ZN12_GLOBAL__N_120geam_min_plus_kernelIDF16_Dv2_DF16_S1_Li8ELi32ELi64ELi128ELi4ELi64ELi4ELi64ELi4ELc78ELc84ELb0ELb0ELb0EPKDF16_S2_DF16_EEviiiT16_PT17_ilS6_ilS4_S6_ilPT18_ili26rocblas_geam_ex_operation_,comdat
	.globl	_ZN12_GLOBAL__N_120geam_min_plus_kernelIDF16_Dv2_DF16_S1_Li8ELi32ELi64ELi128ELi4ELi64ELi4ELi64ELi4ELc78ELc84ELb0ELb0ELb0EPKDF16_S2_DF16_EEviiiT16_PT17_ilS6_ilS4_S6_ilPT18_ili26rocblas_geam_ex_operation_ ; -- Begin function _ZN12_GLOBAL__N_120geam_min_plus_kernelIDF16_Dv2_DF16_S1_Li8ELi32ELi64ELi128ELi4ELi64ELi4ELi64ELi4ELc78ELc84ELb0ELb0ELb0EPKDF16_S2_DF16_EEviiiT16_PT17_ilS6_ilS4_S6_ilPT18_ili26rocblas_geam_ex_operation_
	.p2align	8
	.type	_ZN12_GLOBAL__N_120geam_min_plus_kernelIDF16_Dv2_DF16_S1_Li8ELi32ELi64ELi128ELi4ELi64ELi4ELi64ELi4ELc78ELc84ELb0ELb0ELb0EPKDF16_S2_DF16_EEviiiT16_PT17_ilS6_ilS4_S6_ilPT18_ili26rocblas_geam_ex_operation_,@function
_ZN12_GLOBAL__N_120geam_min_plus_kernelIDF16_Dv2_DF16_S1_Li8ELi32ELi64ELi128ELi4ELi64ELi4ELi64ELi4ELc78ELc84ELb0ELb0ELb0EPKDF16_S2_DF16_EEviiiT16_PT17_ilS6_ilS4_S6_ilPT18_ili26rocblas_geam_ex_operation_: ; @_ZN12_GLOBAL__N_120geam_min_plus_kernelIDF16_Dv2_DF16_S1_Li8ELi32ELi64ELi128ELi4ELi64ELi4ELi64ELi4ELc78ELc84ELb0ELb0ELb0EPKDF16_S2_DF16_EEviiiT16_PT17_ilS6_ilS4_S6_ilPT18_ili26rocblas_geam_ex_operation_
; %bb.0:
	s_load_dwordx4 s[8:11], s[0:1], 0x10
	s_load_dwordx4 s[12:15], s[0:1], 0x28
	s_mov_b32 s20, s3
	s_mov_b32 s21, 0
	s_lshl_b64 s[4:5], s[20:21], 1
	s_waitcnt lgkmcnt(0)
	s_add_u32 s6, s8, s4
	s_addc_u32 s7, s9, s5
	v_mov_b32_e32 v1, 0
	global_load_ushort v37, v1, s[6:7]
	s_load_dwordx4 s[16:19], s[0:1], 0x40
	s_load_dwordx2 s[24:25], s[0:1], 0x50
	s_mov_b64 s[22:23], 0
	s_waitcnt lgkmcnt(0)
	s_add_u32 s4, s18, s4
	s_addc_u32 s5, s19, s5
	s_mov_b64 s[18:19], 0
	s_waitcnt vmcnt(0)
	v_cmp_eq_f16_e32 vcc, 0, v37
	s_and_b64 s[8:9], exec, vcc
	v_cmp_neq_f16_e64 s[6:7], 0, v37
	s_mov_b64 vcc, s[8:9]
	s_cbranch_vccnz .LBB294_2
; %bb.1:
	s_mul_i32 s3, s13, s20
	s_mul_hi_u32 s13, s12, s20
	s_add_i32 s13, s13, s3
	s_mul_i32 s12, s12, s20
	s_lshl_b64 s[12:13], s[12:13], 1
	s_add_u32 s18, s10, s12
	s_addc_u32 s19, s11, s13
.LBB294_2:
	global_load_ushort v52, v1, s[4:5]
	v_cndmask_b32_e64 v1, 0, 1, s[6:7]
	v_cmp_ne_u32_e64 s[4:5], 1, v1
	s_andn2_b64 vcc, exec, s[6:7]
	s_cbranch_vccnz .LBB294_4
; %bb.3:
	s_mul_i32 s3, s17, s20
	s_mul_hi_u32 s6, s16, s20
	s_add_i32 s7, s6, s3
	s_mul_i32 s6, s16, s20
	s_lshl_b64 s[6:7], s[6:7], 1
	s_add_u32 s22, s14, s6
	s_addc_u32 s23, s15, s7
.LBB294_4:
	s_load_dwordx4 s[12:15], s[0:1], 0x60
	s_waitcnt vmcnt(0)
	v_cmp_eq_f16_e32 vcc, 0, v52
	s_cbranch_vccnz .LBB294_6
; %bb.5:
	s_waitcnt lgkmcnt(0)
	s_mul_i32 s3, s13, s20
	s_mul_hi_u32 s6, s12, s20
	s_add_i32 s7, s6, s3
	s_mul_i32 s6, s12, s20
	s_lshl_b64 s[6:7], s[6:7], 1
	s_add_u32 s6, s24, s6
	s_addc_u32 s7, s25, s7
	s_branch .LBB294_7
.LBB294_6:
	s_mov_b64 s[6:7], 0
.LBB294_7:
	s_load_dword s3, s[0:1], 0x0
	s_waitcnt lgkmcnt(0)
	s_load_dword s12, s[0:1], 0x20
	s_load_dword s10, s[0:1], 0x38
	v_and_b32_e32 v36, 0x3ff, v0
	v_bfe_u32 v48, v0, 10, 10
	s_add_i32 s3, s3, -1
	s_ashr_i32 s11, s3, 31
	s_lshr_b32 s11, s11, 26
	s_add_i32 s3, s3, s11
	s_ashr_i32 s3, s3, 6
	s_add_i32 s16, s3, 1
	v_cvt_f32_u32_e32 v1, s16
	s_not_b32 s3, s3
	s_waitcnt lgkmcnt(0)
	s_ashr_i32 s13, s12, 31
	s_ashr_i32 s11, s10, 31
	v_rcp_iflag_f32_e32 v0, v1
	v_lshl_add_u32 v1, v48, 3, v36
	v_and_b32_e32 v4, 63, v1
	v_lshrrev_b32_e32 v5, 6, v1
	v_mul_f32_e32 v0, 0x4f7ffffe, v0
	v_cvt_u32_f32_e32 v0, v0
	v_mov_b32_e32 v8, 0
	v_readfirstlane_b32 s17, v0
	s_mul_i32 s3, s3, s17
	s_mul_hi_u32 s3, s17, s3
	s_add_i32 s17, s17, s3
	s_mul_hi_u32 s3, s2, s17
	s_mul_i32 s17, s3, s16
	s_sub_i32 s17, s2, s17
	s_add_i32 s21, s3, 1
	s_sub_i32 s24, s17, s16
	s_cmp_ge_u32 s17, s16
	s_cselect_b32 s3, s21, s3
	s_cselect_b32 s17, s24, s17
	s_add_i32 s21, s3, 1
	s_cmp_ge_u32 s17, s16
	s_cselect_b32 s17, s21, s3
	s_mul_i32 s3, s17, s16
	s_lshl_b32 s16, s17, 7
	s_sub_i32 s17, s2, s3
	s_lshl_b32 s17, s17, 6
	v_or_b32_e32 v2, s17, v4
	v_or_b32_e32 v0, s16, v4
	s_and_b64 vcc, exec, s[4:5]
	v_ashrrev_i32_e32 v3, 31, v2
	v_ashrrev_i32_e32 v1, 31, v0
	s_cbranch_vccnz .LBB294_10
; %bb.8:
	v_mad_i64_i32 v[6:7], s[24:25], s12, v5, 0
	v_lshl_add_u64 v[6:7], v[6:7], 1, s[18:19]
	v_lshl_add_u64 v[6:7], v[2:3], 1, v[6:7]
	global_load_ushort v9, v[6:7], off
	v_mad_i64_i32 v[6:7], s[24:25], s10, v5, 0
	v_lshl_add_u64 v[6:7], v[6:7], 1, s[22:23]
	v_lshl_add_u64 v[6:7], v[0:1], 1, v[6:7]
	global_load_ushort v10, v[6:7], off
	global_load_ushort v11, v[6:7], off offset:128
	s_waitcnt vmcnt(2)
	v_mul_f16_e32 v9, v37, v9
	s_waitcnt vmcnt(1)
	v_mul_f16_e32 v6, v37, v10
	v_pack_b32_f16 v6, v6, 0
	s_waitcnt vmcnt(0)
	v_mul_f16_e32 v7, v37, v11
	s_and_b64 vcc, exec, s[4:5]
	s_cbranch_vccnz .LBB294_11
.LBB294_9:
	v_add_u32_e32 v8, 4, v5
	v_mad_i64_i32 v[10:11], s[4:5], s12, v8, 0
	v_lshl_add_u64 v[10:11], v[10:11], 1, s[18:19]
	v_lshl_add_u64 v[2:3], v[2:3], 1, v[10:11]
	global_load_ushort v10, v[2:3], off
	v_mad_i64_i32 v[2:3], s[4:5], s10, v8, 0
	v_lshl_add_u64 v[2:3], v[2:3], 1, s[22:23]
	v_lshl_add_u64 v[0:1], v[0:1], 1, v[2:3]
	global_load_ushort v2, v[0:1], off
	global_load_ushort v3, v[0:1], off offset:128
	s_waitcnt vmcnt(2)
	v_mul_f16_e32 v8, v37, v10
	s_waitcnt vmcnt(1)
	v_mul_f16_e32 v0, v37, v2
	v_pack_b32_f16 v1, v0, 0
	s_waitcnt vmcnt(0)
	v_mul_f16_e32 v2, v37, v3
	s_branch .LBB294_12
.LBB294_10:
	v_mov_b32_e32 v6, 0
	v_mov_b32_e32 v9, 0
	v_mov_b32_e32 v7, 0
	s_and_b64 vcc, exec, s[4:5]
	s_cbranch_vccz .LBB294_9
.LBB294_11:
	v_mov_b32_e32 v1, 0
	v_mov_b32_e32 v2, 0
.LBB294_12:
	v_lshlrev_b32_e32 v0, 3, v4
	v_lshl_add_u32 v40, v5, 1, v0
	v_lshlrev_b32_e32 v39, 3, v36
	v_lshlrev_b32_e32 v38, 3, v48
	ds_write_b16 v40, v9 offset:2048
	ds_write_b16 v40, v6
	ds_write_b16 v40, v7 offset:512
	s_waitcnt lgkmcnt(0)
	s_barrier
	ds_read2_b64 v[10:13], v38 offset1:32
	v_add_u32_e32 v41, 0x800, v39
	ds_read2_b64 v[14:17], v41 offset0:48 offset1:56
	ds_read2_b64 v[18:21], v38 offset0:64 offset1:96
	ds_read2_b64 v[22:25], v41 offset1:8
	ds_read2_b64 v[26:29], v41 offset0:16 offset1:24
	ds_read2_b64 v[30:33], v41 offset0:32 offset1:40
	s_waitcnt lgkmcnt(5)
	v_pk_max_f16 v0, v10, v10
	s_waitcnt lgkmcnt(4)
	v_pk_max_f16 v3, v16, v16
	v_pk_max_f16 v10, v12, v12
	v_pk_min_f16 v9, v3, v0
	s_waitcnt lgkmcnt(3)
	v_pk_max_f16 v12, v18, v18
	s_waitcnt lgkmcnt(2)
	v_pk_max_f16 v16, v22, v22
	v_pk_max_f16 v20, v20, v20
	v_pk_max_f16 v24, v24, v24
	s_waitcnt lgkmcnt(1)
	v_pk_max_f16 v26, v26, v26
	v_pk_max_f16 v28, v28, v28
	;; [unrolled: 4-line block ×3, first 2 shown]
	v_pk_max_f16 v14, v14, v14
	v_pk_max_f16 v17, v17, v17
	v_pk_min_f16 v18, v16, v0
	v_pk_min_f16 v22, v16, v10
	;; [unrolled: 1-line block ×16, first 2 shown]
	v_pk_max_f16 v13, v13, v13
	v_pk_min_f16 v62, v30, v0
	v_pk_min_f16 v63, v30, v10
	;; [unrolled: 1-line block ×15, first 2 shown]
	v_pk_add_f16 v9, v9, 0
	v_pk_min_f16 v20, v17, v11
	v_pk_max_f16 v19, v19, v19
	v_pk_add_f16 v45, v9, v20
	v_pk_add_f16 v9, v42, 0
	v_pk_min_f16 v20, v17, v13
	v_pk_max_f16 v23, v23, v23
	v_pk_add_f16 v42, v9, v20
	;; [unrolled: 4-line block ×6, first 2 shown]
	v_pk_add_f16 v9, v16, 0
	v_pk_min_f16 v16, v23, v21
	v_pk_add_f16 v23, v62, 0
	v_pk_add_f16 v49, v9, v16
	v_pk_add_f16 v9, v35, 0
	v_pk_min_f16 v16, v25, v11
	v_pk_add_f16 v18, v60, 0
	v_pk_add_f16 v51, v9, v16
	;; [unrolled: 4-line block ×7, first 2 shown]
	v_pk_add_f16 v9, v58, 0
	v_pk_min_f16 v16, v27, v19
	v_pk_min_f16 v27, v27, v21
	v_pk_add_f16 v57, v9, v16
	v_pk_add_f16 v9, v26, 0
	;; [unrolled: 1-line block ×4, first 2 shown]
	v_pk_min_f16 v9, v29, v11
	v_pk_add_f16 v26, v30, 0
	v_pk_add_f16 v63, v16, v9
	v_pk_min_f16 v9, v29, v13
	v_pk_add_f16 v30, v66, 0
	v_pk_add_f16 v65, v18, v9
	;; [unrolled: 3-line block ×4, first 2 shown]
	v_pk_max_f16 v9, v31, v31
	s_load_dword s21, s[0:1], 0x8
	v_pk_min_f16 v16, v9, v11
	v_pk_add_f16 v0, v0, 0
	v_pk_add_f16 v59, v23, v16
	v_pk_min_f16 v16, v9, v13
	v_pk_add_f16 v10, v10, 0
	v_pk_add_f16 v61, v24, v16
	v_pk_min_f16 v16, v9, v19
	v_pk_min_f16 v9, v9, v21
	v_pk_add_f16 v64, v25, v16
	v_pk_add_f16 v66, v26, v9
	v_pk_max_f16 v9, v33, v33
	v_pk_add_f16 v12, v12, 0
	v_pk_min_f16 v16, v9, v11
	v_pk_add_f16 v14, v14, 0
	v_pk_add_f16 v67, v28, v16
	v_pk_min_f16 v16, v9, v13
	v_pk_add_f16 v3, v3, 0
	v_pk_add_f16 v68, v30, v16
	v_pk_min_f16 v16, v9, v19
	v_pk_min_f16 v9, v9, v21
	v_pk_add_f16 v69, v34, v16
	v_pk_add_f16 v70, v32, v9
	v_pk_max_f16 v9, v15, v15
	s_waitcnt lgkmcnt(0)
	s_cmp_lt_i32 s21, 9
	v_pk_min_f16 v11, v9, v11
	ds_write_b16 v40, v8 offset:2560
	ds_write_b16 v40, v1 offset:1024
	;; [unrolled: 1-line block ×3, first 2 shown]
	v_pk_add_f16 v71, v0, v11
	v_pk_min_f16 v0, v9, v13
	s_waitcnt lgkmcnt(0)
	v_pk_add_f16 v72, v10, v0
	v_pk_min_f16 v0, v9, v19
	s_barrier
	v_pk_add_f16 v73, v12, v0
	v_pk_min_f16 v0, v9, v21
	s_nop 0
	v_pk_add_f16 v74, v14, v0
	v_pk_min_f16 v0, v17, v21
	s_nop 0
	v_pk_add_f16 v75, v3, v0
	s_cbranch_scc1 .LBB294_23
; %bb.13:
	s_mov_b32 s24, 0x5040100
	v_perm_b32 v86, v2, v1, s24
	v_mov_b32_e32 v1, 0xa00
	v_lshl_add_u32 v79, v36, 3, v1
	v_mov_b32_e32 v1, 0x400
	v_lshl_add_u32 v80, v48, 3, v1
	v_add_u32_e32 v1, 12, v5
	v_mad_i64_i32 v[2:3], s[4:5], v1, s12, 0
	v_lshlrev_b64 v[24:25], 1, v[2:3]
	v_lshl_or_b32 v2, s2, 6, v4
	s_lshl_b32 s2, s3, 6
	v_subrev_u32_e32 v2, s2, v2
	v_ashrrev_i32_e32 v3, 31, v2
	v_add_u32_e32 v5, 8, v5
	v_lshl_add_u64 v[26:27], v[2:3], 1, s[18:19]
	v_mad_i64_i32 v[2:3], s[4:5], v5, s10, 0
	v_lshlrev_b64 v[28:29], 1, v[2:3]
	v_add_u32_e32 v2, s16, v4
	v_ashrrev_i32_e32 v3, 31, v2
	v_lshl_add_u64 v[2:3], v[2:3], 1, s[22:23]
	s_mov_b64 s[4:5], 0x80
	s_lshl_b64 s[2:3], s[12:13], 4
	v_lshl_add_u64 v[30:31], v[2:3], 0, s[4:5]
	v_mad_i64_i32 v[2:3], s[12:13], v5, s12, 0
	s_lshl_b64 s[4:5], s[10:11], 4
	v_lshlrev_b64 v[32:33], 1, v[2:3]
	v_mad_i64_i32 v[2:3], s[10:11], v1, s10, 0
	v_or_b32_e32 v76, 0x800, v40
	v_add_u32_e32 v77, 0xa00, v40
	v_or_b32_e32 v78, 0x400, v40
	s_add_i32 s21, s21, -8
	v_perm_b32 v0, v7, v6, s24
	v_lshlrev_b64 v[34:35], 1, v[2:3]
	s_mov_b32 s12, 0
	s_mov_b32 s13, 0xffff
	s_branch .LBB294_15
.LBB294_14:                             ;   in Loop: Header=BB294_15 Depth=1
	v_pk_max_f16 v2, v2, v2
	v_pk_max_f16 v20, v20, v20
	;; [unrolled: 1-line block ×10, first 2 shown]
	v_pk_min_f16 v92, v8, v20
	v_pk_max_f16 v21, v21, v21
	v_pk_max_f16 v23, v23, v23
	v_pk_min_f16 v93, v8, v22
	v_pk_min_f16 v94, v8, v16
	;; [unrolled: 1-line block ×3, first 2 shown]
	v_pk_max_f16 v17, v17, v17
	v_pk_max_f16 v19, v19, v19
	;; [unrolled: 1-line block ×9, first 2 shown]
	v_pk_min_f16 v98, v4, v20
	v_pk_max_f16 v0, v0, v0
	v_pk_max_f16 v3, v3, v3
	;; [unrolled: 1-line block ×3, first 2 shown]
	v_pk_min_f16 v99, v4, v22
	v_pk_min_f16 v100, v4, v16
	;; [unrolled: 1-line block ×59, first 2 shown]
	v_pk_add_f16 v3, v45, v104
	v_pk_add_f16 v8, v62, v8
	;; [unrolled: 1-line block ×25, first 2 shown]
	ds_read2_b64 v[2:5], v41 offset0:48 offset1:56
	ds_read2_b64 v[6:9], v38 offset1:32
	v_pk_add_f16 v43, v43, v86
	v_pk_add_f16 v12, v49, v12
	;; [unrolled: 1-line block ×3, first 2 shown]
	s_waitcnt lgkmcnt(1)
	v_pk_max_f16 v4, v4, v4
	s_waitcnt lgkmcnt(0)
	v_pk_max_f16 v6, v6, v6
	v_pk_add_f16 v18, v43, v18
	v_pk_add_f16 v43, v45, v107
	;; [unrolled: 1-line block ×6, first 2 shown]
	ds_read2_b64 v[10:13], v38 offset0:64 offset1:96
	v_pk_min_f16 v14, v4, v6
	v_pk_add_f16 v22, v22, v23
	v_pk_add_f16 v23, v16, v17
	v_pk_add_f16 v65, v65, v14
	ds_read2_b64 v[14:17], v41 offset1:8
	v_pk_add_f16 v42, v42, v105
	v_pk_max_f16 v8, v8, v8
	v_pk_add_f16 v44, v44, v106
	v_pk_add_f16 v42, v42, v125
	;; [unrolled: 1-line block ×3, first 2 shown]
	v_pk_min_f16 v19, v4, v8
	s_waitcnt lgkmcnt(1)
	v_pk_max_f16 v10, v10, v10
	v_pk_add_f16 v44, v44, v126
	v_pk_add_f16 v42, v42, v19
	v_pk_min_f16 v19, v4, v10
	s_waitcnt lgkmcnt(0)
	v_pk_max_f16 v14, v14, v14
	v_pk_add_f16 v44, v44, v19
	v_pk_min_f16 v19, v14, v6
	v_pk_add_f16 v0, v74, v0
	v_pk_add_f16 v74, v18, v19
	v_pk_min_f16 v18, v14, v8
	v_pk_max_f16 v16, v16, v16
	v_pk_add_f16 v75, v43, v18
	v_pk_min_f16 v18, v14, v10
	v_pk_add_f16 v49, v55, v90
	v_pk_add_f16 v47, v47, v109
	;; [unrolled: 1-line block ×3, first 2 shown]
	v_perm_b32 v0, v85, v84, s24
	v_pk_add_f16 v84, v45, v18
	v_pk_min_f16 v18, v16, v6
	v_pk_add_f16 v49, v49, v110
	v_pk_add_f16 v85, v47, v18
	v_pk_min_f16 v18, v16, v8
	v_pk_add_f16 v73, v20, v21
	v_pk_add_f16 v86, v49, v18
	ds_read2_b64 v[18:21], v41 offset0:16 offset1:24
	v_pk_add_f16 v50, v50, v91
	v_pk_min_f16 v43, v16, v10
	v_pk_add_f16 v50, v50, v111
	v_pk_add_f16 v51, v51, v112
	s_waitcnt lgkmcnt(0)
	v_pk_max_f16 v18, v18, v18
	v_pk_add_f16 v50, v50, v43
	v_pk_min_f16 v43, v18, v6
	v_pk_add_f16 v53, v53, v113
	v_pk_max_f16 v12, v12, v12
	v_pk_add_f16 v87, v51, v43
	v_pk_min_f16 v43, v18, v8
	v_pk_min_f16 v16, v16, v12
	v_pk_add_f16 v88, v53, v43
	v_pk_min_f16 v43, v18, v10
	v_pk_min_f16 v18, v18, v12
	v_pk_add_f16 v55, v63, v95
	v_pk_add_f16 v62, v68, v102
	;; [unrolled: 1-line block ×5, first 2 shown]
	ds_read2_b64 v[66:69], v41 offset0:32 offset1:40
	v_pk_add_f16 v54, v54, v114
	v_pk_max_f16 v20, v20, v20
	v_pk_add_f16 v55, v55, v115
	v_pk_add_f16 v89, v54, v43
	v_pk_min_f16 v43, v20, v6
	v_pk_add_f16 v56, v56, v116
	v_pk_add_f16 v90, v55, v43
	v_pk_min_f16 v43, v20, v8
	;; [unrolled: 3-line block ×3, first 2 shown]
	v_pk_add_f16 v58, v58, v118
	v_pk_add_f16 v92, v57, v43
	s_waitcnt lgkmcnt(0)
	v_pk_max_f16 v43, v66, v66
	v_pk_add_f16 v59, v59, v119
	v_pk_min_f16 v45, v43, v6
	v_pk_min_f16 v20, v20, v12
	v_pk_add_f16 v66, v58, v45
	v_pk_min_f16 v45, v43, v8
	v_pk_add_f16 v20, v70, v20
	v_pk_add_f16 v70, v59, v45
	v_pk_min_f16 v45, v43, v10
	v_pk_min_f16 v43, v43, v12
	v_pk_add_f16 v60, v60, v120
	v_pk_add_f16 v71, v71, v43
	v_pk_max_f16 v43, v68, v68
	v_pk_add_f16 v61, v61, v121
	v_pk_add_f16 v93, v60, v45
	v_pk_min_f16 v45, v43, v6
	v_pk_add_f16 v62, v62, v122
	v_pk_add_f16 v68, v61, v45
	v_pk_min_f16 v45, v43, v8
	v_pk_max_f16 v2, v2, v2
	v_pk_add_f16 v94, v62, v45
	v_pk_min_f16 v45, v43, v10
	v_pk_min_f16 v6, v2, v6
	v_pk_min_f16 v8, v2, v8
	v_pk_min_f16 v10, v2, v10
	v_pk_min_f16 v2, v2, v12
	v_pk_add_f16 v63, v63, v123
	v_pk_add_f16 v1, v1, v2
	v_pk_min_f16 v2, v4, v12
	v_pk_max_f16 v4, v5, v5
	v_pk_max_f16 v5, v7, v7
	v_pk_add_f16 v95, v63, v45
	v_pk_min_f16 v7, v4, v5
	v_pk_min_f16 v14, v14, v12
	v_pk_add_f16 v45, v65, v7
	v_pk_max_f16 v7, v9, v9
	v_pk_min_f16 v43, v43, v12
	v_pk_min_f16 v9, v4, v7
	v_pk_add_f16 v72, v72, v43
	v_pk_add_f16 v42, v42, v9
	v_pk_max_f16 v9, v11, v11
	v_pk_add_f16 v14, v46, v14
	v_pk_min_f16 v11, v4, v9
	v_pk_add_f16 v2, v64, v2
	v_pk_add_f16 v44, v44, v11
	v_pk_max_f16 v11, v15, v15
	v_pk_max_f16 v3, v3, v3
	v_pk_min_f16 v12, v11, v5
	v_pk_add_f16 v6, v73, v6
	v_pk_add_f16 v43, v74, v12
	v_pk_min_f16 v12, v11, v7
	v_pk_add_f16 v8, v22, v8
	v_pk_add_f16 v46, v75, v12
	;; [unrolled: 3-line block ×3, first 2 shown]
	v_pk_max_f16 v12, v13, v13
	s_add_i32 s12, s12, 8
	v_pk_min_f16 v11, v11, v12
	v_lshl_add_u64 v[26:27], v[26:27], 0, s[2:3]
	v_pk_add_f16 v49, v14, v11
	v_pk_max_f16 v11, v17, v17
	s_cmp_ge_i32 s12, s21
	v_pk_min_f16 v13, v11, v5
	v_lshl_add_u64 v[30:31], v[30:31], 0, s[4:5]
	v_pk_add_f16 v51, v85, v13
	v_pk_min_f16 v13, v11, v7
	ds_write_b16 v77, v82
	ds_write_b16 v78, v81
	ds_write_b16 v78, v83 offset:512
	v_pk_add_f16 v55, v86, v13
	v_pk_min_f16 v13, v11, v9
	v_pk_min_f16 v11, v11, v12
	v_pk_add_f16 v50, v50, v13
	v_pk_add_f16 v54, v16, v11
	v_pk_max_f16 v11, v19, v19
	v_perm_b32 v86, v83, v81, s24
	v_pk_min_f16 v13, v11, v5
	s_waitcnt lgkmcnt(0)
	v_pk_add_f16 v53, v87, v13
	v_pk_min_f16 v13, v11, v7
	s_barrier
	v_pk_add_f16 v56, v88, v13
	v_pk_min_f16 v13, v11, v9
	v_pk_min_f16 v11, v11, v12
	v_pk_add_f16 v57, v89, v13
	v_pk_add_f16 v62, v18, v11
	v_pk_max_f16 v11, v21, v21
	s_nop 0
	v_pk_min_f16 v13, v11, v5
	s_nop 0
	v_pk_add_f16 v63, v90, v13
	v_pk_min_f16 v13, v11, v7
	s_nop 0
	v_pk_add_f16 v65, v91, v13
	v_pk_min_f16 v13, v11, v9
	v_pk_min_f16 v11, v11, v12
	v_pk_add_f16 v58, v92, v13
	v_pk_add_f16 v60, v20, v11
	v_pk_max_f16 v11, v67, v67
	s_nop 0
	v_pk_min_f16 v13, v11, v5
	s_nop 0
	v_pk_add_f16 v59, v66, v13
	v_pk_min_f16 v13, v11, v7
	s_nop 0
	v_pk_add_f16 v61, v70, v13
	v_pk_min_f16 v13, v11, v9
	v_pk_min_f16 v11, v11, v12
	v_pk_add_f16 v64, v93, v13
	v_pk_add_f16 v66, v71, v11
	v_pk_max_f16 v11, v69, v69
	s_nop 0
	v_pk_min_f16 v13, v11, v5
	v_pk_min_f16 v5, v3, v5
	v_pk_add_f16 v67, v68, v13
	v_pk_min_f16 v13, v11, v7
	v_pk_add_f16 v71, v6, v5
	v_pk_add_f16 v68, v94, v13
	v_pk_min_f16 v13, v11, v9
	v_pk_min_f16 v11, v11, v12
	;; [unrolled: 1-line block ×3, first 2 shown]
	v_pk_add_f16 v70, v72, v11
	v_pk_add_f16 v72, v8, v5
	v_pk_min_f16 v5, v3, v9
	v_pk_min_f16 v3, v3, v12
	v_pk_add_f16 v69, v95, v13
	v_pk_add_f16 v74, v1, v3
	v_pk_min_f16 v1, v4, v12
	v_pk_add_f16 v73, v10, v5
	v_pk_add_f16 v75, v2, v1
	s_cbranch_scc1 .LBB294_23
.LBB294_15:                             ; =>This Inner Loop Header: Depth=1
	s_mov_b64 s[10:11], -1
	s_mov_b64 vcc, s[8:9]
                                        ; implicit-def: $vgpr84
	s_cbranch_vccz .LBB294_17
; %bb.16:                               ;   in Loop: Header=BB294_15 Depth=1
	v_and_b32_e32 v84, 0xffff0000, v0
	s_mov_b64 s[10:11], 0
.LBB294_17:                             ;   in Loop: Header=BB294_15 Depth=1
	v_mov_b32_e32 v81, 0
	s_andn2_b64 vcc, exec, s[10:11]
	v_mov_b32_e32 v85, 0
	s_cbranch_vccnz .LBB294_19
; %bb.18:                               ;   in Loop: Header=BB294_15 Depth=1
	v_lshl_add_u64 v[2:3], v[26:27], 0, v[32:33]
	global_load_ushort v1, v[2:3], off
	v_lshl_add_u64 v[2:3], v[30:31], 0, v[28:29]
	global_load_ushort v4, v[2:3], off offset:-128
	global_load_ushort v5, v[2:3], off
	s_waitcnt vmcnt(2)
	v_mul_f16_e32 v81, v37, v1
	s_waitcnt vmcnt(1)
	v_mul_f16_e32 v1, v37, v4
	v_bfi_b32 v84, s13, v1, v0
	s_waitcnt vmcnt(0)
	v_mul_f16_e32 v85, v37, v5
.LBB294_19:                             ;   in Loop: Header=BB294_15 Depth=1
	ds_read2_b64 v[0:3], v79 offset0:48 offset1:56
	ds_read2_b64 v[16:19], v80 offset0:64 offset1:96
	ds_read2_b64 v[20:23], v80 offset1:32
	ds_read2_b64 v[12:15], v79 offset1:8
	ds_read2_b64 v[8:11], v79 offset0:16 offset1:24
	ds_read2_b64 v[4:7], v79 offset0:32 offset1:40
	s_mov_b64 s[10:11], -1
	s_mov_b64 vcc, s[8:9]
	ds_write_b16 v76, v81
	ds_write_b16 v40, v84
	ds_write_b16 v40, v85 offset:512
	s_waitcnt lgkmcnt(0)
	s_barrier
                                        ; implicit-def: $vgpr81
	s_cbranch_vccz .LBB294_21
; %bb.20:                               ;   in Loop: Header=BB294_15 Depth=1
	v_and_b32_e32 v81, 0xffff0000, v86
	s_mov_b64 s[10:11], 0
.LBB294_21:                             ;   in Loop: Header=BB294_15 Depth=1
	v_mov_b32_e32 v82, 0
	s_andn2_b64 vcc, exec, s[10:11]
	v_mov_b32_e32 v83, 0
	s_cbranch_vccnz .LBB294_14
; %bb.22:                               ;   in Loop: Header=BB294_15 Depth=1
	v_lshl_add_u64 v[82:83], v[26:27], 0, v[24:25]
	global_load_ushort v81, v[82:83], off
	v_lshl_add_u64 v[82:83], v[30:31], 0, v[34:35]
	global_load_ushort v87, v[82:83], off offset:-128
	global_load_ushort v88, v[82:83], off
	s_waitcnt vmcnt(2)
	v_mul_f16_e32 v82, v37, v81
	s_waitcnt vmcnt(1)
	v_mul_f16_e32 v81, v37, v87
	v_bfi_b32 v81, s13, v81, v86
	s_waitcnt vmcnt(0)
	v_mul_f16_e32 v83, v37, v88
	s_branch .LBB294_14
.LBB294_23:
	s_load_dwordx2 s[2:3], s[0:1], 0x78
	s_load_dword s12, s[0:1], 0x58
	s_load_dword s13, s[0:1], 0x70
	v_add_u32_e32 v12, 0x800, v39
	ds_read2_b64 v[0:3], v38 offset0:128 offset1:160
	ds_read2_b64 v[4:7], v12 offset0:112 offset1:120
	ds_read2_b64 v[8:11], v38 offset0:192 offset1:224
	ds_read2_b64 v[16:19], v12 offset0:64 offset1:72
	s_waitcnt lgkmcnt(0)
	s_mul_i32 s1, s3, s20
	v_pk_max_f16 v2, v2, v2
	v_pk_max_f16 v6, v6, v6
	;; [unrolled: 1-line block ×4, first 2 shown]
	v_pk_min_f16 v15, v6, v8
	v_pk_max_f16 v10, v10, v10
	v_pk_add_f16 v28, v44, v15
	v_pk_max_f16 v15, v16, v16
	v_pk_max_f16 v4, v4, v4
	v_pk_min_f16 v20, v15, v2
	v_pk_min_f16 v16, v15, v0
	v_pk_add_f16 v29, v46, v20
	v_pk_min_f16 v20, v15, v8
	v_pk_min_f16 v15, v15, v10
	v_pk_add_f16 v30, v47, v20
	v_pk_add_f16 v31, v49, v15
	v_pk_max_f16 v15, v18, v18
	v_pk_min_f16 v13, v6, v0
	v_pk_min_f16 v20, v15, v2
	;; [unrolled: 1-line block ×3, first 2 shown]
	v_pk_add_f16 v49, v55, v20
	ds_read2_b64 v[20:23], v12 offset0:80 offset1:88
	v_pk_min_f16 v24, v15, v8
	v_pk_min_f16 v15, v15, v10
	v_pk_add_f16 v18, v51, v18
	v_pk_add_f16 v51, v54, v15
	s_waitcnt lgkmcnt(0)
	v_pk_max_f16 v15, v20, v20
	v_pk_add_f16 v50, v50, v24
	v_pk_min_f16 v24, v15, v2
	v_pk_min_f16 v20, v15, v0
	v_pk_add_f16 v54, v56, v24
	v_pk_min_f16 v24, v15, v8
	v_pk_min_f16 v15, v15, v10
	v_pk_add_f16 v55, v57, v24
	v_pk_add_f16 v56, v62, v15
	v_pk_max_f16 v15, v22, v22
	v_pk_add_f16 v13, v45, v13
	v_pk_min_f16 v24, v15, v2
	v_pk_min_f16 v22, v15, v0
	v_pk_add_f16 v57, v65, v24
	ds_read2_b64 v[24:27], v12 offset0:96 offset1:104
	v_pk_min_f16 v12, v15, v8
	v_pk_add_f16 v22, v63, v22
	v_pk_add_f16 v58, v58, v12
	v_pk_min_f16 v12, v15, v10
	v_pk_min_f16 v14, v6, v2
	v_pk_add_f16 v60, v60, v12
	s_waitcnt lgkmcnt(0)
	v_pk_max_f16 v12, v24, v24
	v_pk_add_f16 v14, v42, v14
	v_pk_min_f16 v15, v12, v0
	s_mul_hi_u32 s3, s2, s20
	v_pk_add_f16 v24, v59, v15
	v_pk_min_f16 v15, v12, v2
	s_mul_i32 s0, s2, s20
	v_pk_add_f16 v59, v61, v15
	v_pk_min_f16 v15, v12, v8
	v_pk_min_f16 v12, v12, v10
	v_pk_add_f16 v61, v64, v15
	v_pk_add_f16 v62, v66, v12
	v_pk_max_f16 v12, v26, v26
	s_add_i32 s1, s3, s1
	v_pk_min_f16 v15, v12, v0
	v_pk_min_f16 v0, v4, v0
	v_pk_add_f16 v26, v67, v15
	v_pk_add_f16 v66, v71, v0
	v_pk_min_f16 v0, v4, v2
	v_pk_min_f16 v15, v12, v2
	v_pk_add_f16 v67, v72, v0
	v_pk_min_f16 v0, v4, v8
	v_pk_add_f16 v63, v68, v15
	;; [unrolled: 2-line block ×6, first 2 shown]
	v_pk_add_f16 v70, v75, v0
	v_pk_max_f16 v0, v1, v1
	v_pk_max_f16 v1, v7, v7
	s_lshl_b64 s[0:1], s[0:1], 1
	v_pk_min_f16 v2, v1, v0
	v_pk_max_f16 v11, v11, v11
	v_pk_add_f16 v7, v13, v2
	v_pk_max_f16 v2, v3, v3
	v_pk_max_f16 v12, v19, v19
	v_pk_min_f16 v3, v1, v2
	v_pk_max_f16 v19, v21, v21
	v_pk_add_f16 v15, v14, v3
	v_pk_max_f16 v3, v9, v9
	v_pk_max_f16 v23, v23, v23
	;; [unrolled: 5-line block ×3, first 2 shown]
	v_pk_max_f16 v5, v5, v5
	v_add_u32_e32 v32, s17, v36
	s_add_u32 s8, s14, s0
	v_pk_add_f16 v16, v43, v16
	v_pk_add_f16 v20, v53, v20
	v_pk_min_f16 v6, v4, v0
	v_pk_min_f16 v8, v4, v2
	;; [unrolled: 1-line block ×29, first 2 shown]
	v_add_u32_e32 v34, 8, v32
	v_add_u32_e32 v36, 16, v32
	;; [unrolled: 1-line block ×7, first 2 shown]
	v_cmp_neq_f16_e64 s[4:5], 0, v52
	s_addc_u32 s9, s15, s1
	v_ashrrev_i32_e32 v33, 31, v32
	v_ashrrev_i32_e32 v35, 31, v34
	;; [unrolled: 1-line block ×8, first 2 shown]
	v_add_u32_e32 v53, s16, v48
	s_mov_b64 s[10:11], 15
	v_pk_add_f16 v0, v16, v6
	v_pk_add_f16 v8, v29, v8
	;; [unrolled: 1-line block ×29, first 2 shown]
	s_branch .LBB294_25
.LBB294_24:                             ;   in Loop: Header=BB294_25 Depth=1
	s_add_i32 s0, s10, -1
	s_cmp_eq_u32 s0, 1
	s_cselect_b64 vcc, -1, 0
	s_cmp_eq_u32 s0, 2
	v_cndmask_b32_e32 v48, v0, v54, vcc
	s_cselect_b64 vcc, -1, 0
	s_cmp_eq_u32 s0, 3
	v_cndmask_b32_e32 v48, v48, v1, vcc
	s_cselect_b64 vcc, -1, 0
	s_cmp_eq_u32 s0, 4
	v_cndmask_b32_e32 v48, v48, v55, vcc
	s_cselect_b64 vcc, -1, 0
	s_cmp_eq_u32 s0, 5
	v_cndmask_b32_e32 v48, v48, v4, vcc
	s_cselect_b64 vcc, -1, 0
	s_cmp_eq_u32 s0, 6
	v_cndmask_b32_e32 v48, v48, v56, vcc
	s_cselect_b64 vcc, -1, 0
	s_cmp_eq_u32 s0, 7
	v_cndmask_b32_e32 v48, v48, v5, vcc
	s_cselect_b64 vcc, -1, 0
	s_cmp_eq_u32 s0, 8
	v_cndmask_b32_e32 v48, v48, v57, vcc
	s_cselect_b64 vcc, -1, 0
	s_cmp_eq_u32 s0, 9
	v_cndmask_b32_e32 v48, v48, v16, vcc
	s_cselect_b64 vcc, -1, 0
	s_cmp_eq_u32 s0, 10
	v_cndmask_b32_e32 v48, v48, v58, vcc
	s_cselect_b64 vcc, -1, 0
	s_cmp_eq_u32 s0, 11
	v_cndmask_b32_e32 v48, v48, v23, vcc
	s_cselect_b64 vcc, -1, 0
	s_cmp_eq_u32 s0, 12
	v_cndmask_b32_e32 v48, v48, v59, vcc
	s_cselect_b64 vcc, -1, 0
	s_cmp_eq_u32 s0, 13
	v_cndmask_b32_e32 v48, v48, v24, vcc
	s_cselect_b64 vcc, -1, 0
	s_cmp_eq_u32 s0, 14
	v_cndmask_b32_e32 v48, v48, v60, vcc
	s_cselect_b64 vcc, -1, 0
	s_cmp_eq_u32 s0, 15
	v_cndmask_b32_e32 v48, v48, v7, vcc
	s_cselect_b64 vcc, -1, 0
	s_cmp_eq_u32 s0, 16
	v_cndmask_b32_e32 v48, v48, v61, vcc
	s_cselect_b64 vcc, -1, 0
	s_cmp_eq_u32 s0, 17
	v_cndmask_b32_e32 v48, v48, v8, vcc
	s_cselect_b64 vcc, -1, 0
	s_cmp_eq_u32 s0, 18
	v_cndmask_b32_e32 v48, v48, v62, vcc
	s_cselect_b64 vcc, -1, 0
	s_cmp_eq_u32 s0, 19
	v_cndmask_b32_e32 v48, v48, v11, vcc
	s_cselect_b64 vcc, -1, 0
	s_cmp_eq_u32 s0, 20
	v_cndmask_b32_e32 v48, v48, v63, vcc
	s_cselect_b64 vcc, -1, 0
	s_cmp_eq_u32 s0, 21
	v_cndmask_b32_e32 v48, v48, v12, vcc
	s_cselect_b64 vcc, -1, 0
	s_cmp_eq_u32 s0, 22
	v_cndmask_b32_e32 v48, v48, v64, vcc
	s_cselect_b64 vcc, -1, 0
	s_cmp_eq_u32 s0, 23
	v_cndmask_b32_e32 v48, v48, v17, vcc
	s_cselect_b64 vcc, -1, 0
	s_cmp_eq_u32 s0, 24
	v_cndmask_b32_e32 v48, v48, v65, vcc
	s_cselect_b64 vcc, -1, 0
	s_cmp_eq_u32 s0, 25
	v_cndmask_b32_e32 v48, v48, v18, vcc
	s_cselect_b64 vcc, -1, 0
	s_cmp_eq_u32 s0, 26
	v_cndmask_b32_e32 v48, v48, v66, vcc
	s_cselect_b64 vcc, -1, 0
	s_cmp_eq_u32 s0, 27
	v_cndmask_b32_e32 v48, v48, v25, vcc
	s_cselect_b64 vcc, -1, 0
	s_cmp_eq_u32 s0, 28
	v_cndmask_b32_e32 v48, v48, v67, vcc
	s_cselect_b64 vcc, -1, 0
	s_cmp_eq_u32 s0, 29
	v_cndmask_b32_e32 v48, v48, v26, vcc
	s_cselect_b64 vcc, -1, 0
	s_cmp_eq_u32 s0, 30
	v_cndmask_b32_e32 v48, v48, v68, vcc
	s_cselect_b64 vcc, -1, 0
	s_cmp_eq_u32 s0, 31
	v_cndmask_b32_e32 v48, v48, v15, vcc
	s_cselect_b64 vcc, -1, 0
	s_cmp_eq_u32 s0, 32
	v_cndmask_b32_e32 v48, v48, v69, vcc
	s_cselect_b64 vcc, -1, 0
	s_cmp_eq_u32 s0, 33
	v_cndmask_b32_e32 v48, v48, v2, vcc
	s_cselect_b64 vcc, -1, 0
	s_cmp_eq_u32 s0, 34
	v_cndmask_b32_e32 v48, v48, v70, vcc
	s_cselect_b64 vcc, -1, 0
	s_cmp_eq_u32 s0, 35
	v_cndmask_b32_e32 v48, v48, v3, vcc
	s_cselect_b64 vcc, -1, 0
	s_cmp_eq_u32 s0, 36
	v_cndmask_b32_e32 v48, v48, v71, vcc
	s_cselect_b64 vcc, -1, 0
	s_cmp_eq_u32 s0, 37
	v_cndmask_b32_e32 v48, v48, v6, vcc
	s_cselect_b64 vcc, -1, 0
	s_cmp_eq_u32 s0, 38
	v_cndmask_b32_e32 v48, v48, v72, vcc
	s_cselect_b64 vcc, -1, 0
	s_cmp_eq_u32 s0, 39
	v_cndmask_b32_e32 v48, v48, v19, vcc
	s_cselect_b64 vcc, -1, 0
	s_cmp_eq_u32 s0, 40
	v_cndmask_b32_e32 v48, v48, v73, vcc
	s_cselect_b64 vcc, -1, 0
	s_cmp_eq_u32 s0, 41
	v_cndmask_b32_e32 v48, v48, v20, vcc
	s_cselect_b64 vcc, -1, 0
	s_cmp_eq_u32 s0, 42
	v_cndmask_b32_e32 v48, v48, v74, vcc
	s_cselect_b64 vcc, -1, 0
	s_cmp_eq_u32 s0, 43
	v_cndmask_b32_e32 v48, v48, v27, vcc
	s_cselect_b64 vcc, -1, 0
	s_cmp_eq_u32 s0, 44
	v_cndmask_b32_e32 v48, v48, v75, vcc
	s_cselect_b64 vcc, -1, 0
	s_cmp_eq_u32 s0, 45
	v_cndmask_b32_e32 v48, v48, v28, vcc
	s_cselect_b64 vcc, -1, 0
	s_cmp_eq_u32 s0, 46
	v_cndmask_b32_e32 v48, v48, v76, vcc
	s_cselect_b64 vcc, -1, 0
	s_cmp_eq_u32 s0, 47
	v_cndmask_b32_e32 v48, v48, v9, vcc
	s_cselect_b64 vcc, -1, 0
	s_cmp_eq_u32 s0, 48
	v_cndmask_b32_e32 v48, v48, v77, vcc
	s_cselect_b64 vcc, -1, 0
	s_cmp_eq_u32 s0, 49
	v_cndmask_b32_e32 v48, v48, v10, vcc
	s_cselect_b64 vcc, -1, 0
	s_cmp_eq_u32 s0, 50
	v_cndmask_b32_e32 v48, v48, v78, vcc
	s_cselect_b64 vcc, -1, 0
	s_cmp_eq_u32 s0, 51
	v_cndmask_b32_e32 v48, v48, v13, vcc
	s_cselect_b64 vcc, -1, 0
	s_cmp_eq_u32 s0, 52
	v_cndmask_b32_e32 v48, v48, v79, vcc
	s_cselect_b64 vcc, -1, 0
	s_cmp_eq_u32 s0, 53
	v_cndmask_b32_e32 v48, v48, v14, vcc
	s_cselect_b64 vcc, -1, 0
	s_cmp_eq_u32 s0, 54
	v_cndmask_b32_e32 v48, v48, v80, vcc
	s_cselect_b64 vcc, -1, 0
	s_cmp_eq_u32 s0, 55
	v_cndmask_b32_e32 v48, v48, v21, vcc
	s_cselect_b64 vcc, -1, 0
	s_cmp_eq_u32 s0, 56
	v_cndmask_b32_e32 v48, v48, v81, vcc
	s_cselect_b64 vcc, -1, 0
	s_cmp_eq_u32 s0, 57
	v_cndmask_b32_e32 v48, v48, v22, vcc
	s_cselect_b64 vcc, -1, 0
	s_cmp_eq_u32 s0, 58
	v_cndmask_b32_e32 v48, v48, v82, vcc
	s_cselect_b64 vcc, -1, 0
	s_cmp_eq_u32 s0, 59
	v_cndmask_b32_e32 v48, v48, v29, vcc
	s_cselect_b64 vcc, -1, 0
	s_cmp_eq_u32 s0, 60
	v_cndmask_b32_e32 v48, v48, v83, vcc
	s_cselect_b64 vcc, -1, 0
	s_cmp_eq_u32 s0, 61
	v_cndmask_b32_e32 v48, v48, v30, vcc
	s_cselect_b64 vcc, -1, 0
	s_cmp_eq_u32 s0, 62
	v_cndmask_b32_e32 v48, v48, v84, vcc
	s_cselect_b64 vcc, -1, 0
	s_cmp_eq_u32 s0, 63
	v_cndmask_b32_e32 v48, v48, v31, vcc
	s_cselect_b64 vcc, -1, 0
	s_cmp_eq_u32 s10, 1
	s_cselect_b64 s[0:1], -1, 0
	s_cmp_eq_u32 s10, 2
	v_cndmask_b32_e64 v49, v0, v54, s[0:1]
	s_cselect_b64 s[0:1], -1, 0
	s_cmp_eq_u32 s10, 3
	v_cndmask_b32_e64 v49, v49, v1, s[0:1]
	;; [unrolled: 3-line block ×61, first 2 shown]
	v_cndmask_b32_e32 v48, v48, v85, vcc
	s_cselect_b64 vcc, -1, 0
	s_cmp_eq_u32 s10, 63
	v_cndmask_b32_e32 v49, v49, v31, vcc
	s_cselect_b64 vcc, -1, 0
	v_cndmask_b32_e32 v49, v49, v85, vcc
	s_add_u32 s10, s10, 16
	v_add_f16_e32 v48, v48, v49
	s_addc_u32 s11, s11, 0
	v_add_f16_e32 v54, v48, v86
	v_lshl_add_u64 v[48:49], v[46:47], 1, v[50:51]
	s_cmpk_lg_i32 s10, 0x4f
	v_add_u32_e32 v53, 32, v53
	global_store_short v[48:49], v54, off
	s_cbranch_scc0 .LBB294_41
.LBB294_25:                             ; =>This Inner Loop Header: Depth=1
	v_mad_i64_i32 v[48:49], s[0:1], v53, s12, 0
	v_cndmask_b32_e64 v50, 0, 1, s[4:5]
	v_lshl_add_u64 v[48:49], v[48:49], 1, s[6:7]
	v_mov_b32_e32 v86, 0
	v_cmp_ne_u32_e64 s[2:3], 1, v50
	s_andn2_b64 vcc, exec, s[4:5]
	v_mov_b32_e32 v50, 0
	s_cbranch_vccnz .LBB294_27
; %bb.26:                               ;   in Loop: Header=BB294_25 Depth=1
	v_lshl_add_u64 v[50:51], v[32:33], 1, v[48:49]
	global_load_ushort v50, v[50:51], off
	s_waitcnt vmcnt(0)
	v_mul_f16_e32 v50, v52, v50
.LBB294_27:                             ;   in Loop: Header=BB294_25 Depth=1
	s_add_i32 s0, s10, -15
	s_cmp_eq_u32 s0, 1
	v_lshrrev_b32_e32 v54, 16, v0
	s_cselect_b64 vcc, -1, 0
	s_cmp_eq_u32 s0, 2
	v_cndmask_b32_e32 v51, v0, v54, vcc
	s_cselect_b64 vcc, -1, 0
	s_cmp_eq_u32 s0, 3
	v_cndmask_b32_e32 v51, v51, v1, vcc
	v_lshrrev_b32_e32 v55, 16, v1
	s_cselect_b64 vcc, -1, 0
	s_cmp_eq_u32 s0, 4
	v_cndmask_b32_e32 v51, v51, v55, vcc
	s_cselect_b64 vcc, -1, 0
	s_cmp_eq_u32 s0, 5
	v_cndmask_b32_e32 v51, v51, v4, vcc
	;; [unrolled: 7-line block ×31, first 2 shown]
	s_cselect_b64 vcc, -1, 0
	s_add_i32 s0, s10, -14
	v_lshrrev_b32_e32 v85, 16, v31
	s_cmp_eq_u32 s0, 1
	v_cndmask_b32_e32 v51, v51, v85, vcc
	s_cselect_b64 vcc, -1, 0
	s_cmp_eq_u32 s0, 2
	v_cndmask_b32_e32 v87, v0, v54, vcc
	s_cselect_b64 vcc, -1, 0
	s_cmp_eq_u32 s0, 3
	v_cndmask_b32_e32 v87, v87, v1, vcc
	s_cselect_b64 vcc, -1, 0
	s_cmp_eq_u32 s0, 4
	v_cndmask_b32_e32 v87, v87, v55, vcc
	s_cselect_b64 vcc, -1, 0
	s_cmp_eq_u32 s0, 5
	v_cndmask_b32_e32 v87, v87, v4, vcc
	s_cselect_b64 vcc, -1, 0
	s_cmp_eq_u32 s0, 6
	v_cndmask_b32_e32 v87, v87, v56, vcc
	s_cselect_b64 vcc, -1, 0
	s_cmp_eq_u32 s0, 7
	v_cndmask_b32_e32 v87, v87, v5, vcc
	s_cselect_b64 vcc, -1, 0
	s_cmp_eq_u32 s0, 8
	v_cndmask_b32_e32 v87, v87, v57, vcc
	s_cselect_b64 vcc, -1, 0
	s_cmp_eq_u32 s0, 9
	v_cndmask_b32_e32 v87, v87, v16, vcc
	s_cselect_b64 vcc, -1, 0
	s_cmp_eq_u32 s0, 10
	v_cndmask_b32_e32 v87, v87, v58, vcc
	s_cselect_b64 vcc, -1, 0
	s_cmp_eq_u32 s0, 11
	v_cndmask_b32_e32 v87, v87, v23, vcc
	s_cselect_b64 vcc, -1, 0
	s_cmp_eq_u32 s0, 12
	v_cndmask_b32_e32 v87, v87, v59, vcc
	s_cselect_b64 vcc, -1, 0
	s_cmp_eq_u32 s0, 13
	v_cndmask_b32_e32 v87, v87, v24, vcc
	s_cselect_b64 vcc, -1, 0
	s_cmp_eq_u32 s0, 14
	v_cndmask_b32_e32 v87, v87, v60, vcc
	s_cselect_b64 vcc, -1, 0
	s_cmp_eq_u32 s0, 15
	v_cndmask_b32_e32 v87, v87, v7, vcc
	s_cselect_b64 vcc, -1, 0
	s_cmp_eq_u32 s0, 16
	v_cndmask_b32_e32 v87, v87, v61, vcc
	s_cselect_b64 vcc, -1, 0
	s_cmp_eq_u32 s0, 17
	v_cndmask_b32_e32 v87, v87, v8, vcc
	s_cselect_b64 vcc, -1, 0
	s_cmp_eq_u32 s0, 18
	v_cndmask_b32_e32 v87, v87, v62, vcc
	s_cselect_b64 vcc, -1, 0
	s_cmp_eq_u32 s0, 19
	v_cndmask_b32_e32 v87, v87, v11, vcc
	s_cselect_b64 vcc, -1, 0
	s_cmp_eq_u32 s0, 20
	v_cndmask_b32_e32 v87, v87, v63, vcc
	s_cselect_b64 vcc, -1, 0
	s_cmp_eq_u32 s0, 21
	v_cndmask_b32_e32 v87, v87, v12, vcc
	s_cselect_b64 vcc, -1, 0
	s_cmp_eq_u32 s0, 22
	v_cndmask_b32_e32 v87, v87, v64, vcc
	s_cselect_b64 vcc, -1, 0
	s_cmp_eq_u32 s0, 23
	v_cndmask_b32_e32 v87, v87, v17, vcc
	s_cselect_b64 vcc, -1, 0
	s_cmp_eq_u32 s0, 24
	v_cndmask_b32_e32 v87, v87, v65, vcc
	s_cselect_b64 vcc, -1, 0
	s_cmp_eq_u32 s0, 25
	v_cndmask_b32_e32 v87, v87, v18, vcc
	s_cselect_b64 vcc, -1, 0
	s_cmp_eq_u32 s0, 26
	v_cndmask_b32_e32 v87, v87, v66, vcc
	s_cselect_b64 vcc, -1, 0
	s_cmp_eq_u32 s0, 27
	v_cndmask_b32_e32 v87, v87, v25, vcc
	s_cselect_b64 vcc, -1, 0
	s_cmp_eq_u32 s0, 28
	v_cndmask_b32_e32 v87, v87, v67, vcc
	s_cselect_b64 vcc, -1, 0
	s_cmp_eq_u32 s0, 29
	v_cndmask_b32_e32 v87, v87, v26, vcc
	s_cselect_b64 vcc, -1, 0
	s_cmp_eq_u32 s0, 30
	v_cndmask_b32_e32 v87, v87, v68, vcc
	s_cselect_b64 vcc, -1, 0
	s_cmp_eq_u32 s0, 31
	v_cndmask_b32_e32 v87, v87, v15, vcc
	s_cselect_b64 vcc, -1, 0
	s_cmp_eq_u32 s0, 32
	v_cndmask_b32_e32 v87, v87, v69, vcc
	s_cselect_b64 vcc, -1, 0
	s_cmp_eq_u32 s0, 33
	v_cndmask_b32_e32 v87, v87, v2, vcc
	s_cselect_b64 vcc, -1, 0
	s_cmp_eq_u32 s0, 34
	v_cndmask_b32_e32 v87, v87, v70, vcc
	s_cselect_b64 vcc, -1, 0
	s_cmp_eq_u32 s0, 35
	v_cndmask_b32_e32 v87, v87, v3, vcc
	s_cselect_b64 vcc, -1, 0
	s_cmp_eq_u32 s0, 36
	v_cndmask_b32_e32 v87, v87, v71, vcc
	s_cselect_b64 vcc, -1, 0
	s_cmp_eq_u32 s0, 37
	v_cndmask_b32_e32 v87, v87, v6, vcc
	s_cselect_b64 vcc, -1, 0
	s_cmp_eq_u32 s0, 38
	v_cndmask_b32_e32 v87, v87, v72, vcc
	s_cselect_b64 vcc, -1, 0
	s_cmp_eq_u32 s0, 39
	v_cndmask_b32_e32 v87, v87, v19, vcc
	s_cselect_b64 vcc, -1, 0
	s_cmp_eq_u32 s0, 40
	v_cndmask_b32_e32 v87, v87, v73, vcc
	s_cselect_b64 vcc, -1, 0
	s_cmp_eq_u32 s0, 41
	v_cndmask_b32_e32 v87, v87, v20, vcc
	s_cselect_b64 vcc, -1, 0
	s_cmp_eq_u32 s0, 42
	v_cndmask_b32_e32 v87, v87, v74, vcc
	s_cselect_b64 vcc, -1, 0
	s_cmp_eq_u32 s0, 43
	v_cndmask_b32_e32 v87, v87, v27, vcc
	s_cselect_b64 vcc, -1, 0
	s_cmp_eq_u32 s0, 44
	v_cndmask_b32_e32 v87, v87, v75, vcc
	s_cselect_b64 vcc, -1, 0
	s_cmp_eq_u32 s0, 45
	v_cndmask_b32_e32 v87, v87, v28, vcc
	s_cselect_b64 vcc, -1, 0
	s_cmp_eq_u32 s0, 46
	v_cndmask_b32_e32 v87, v87, v76, vcc
	s_cselect_b64 vcc, -1, 0
	s_cmp_eq_u32 s0, 47
	v_cndmask_b32_e32 v87, v87, v9, vcc
	s_cselect_b64 vcc, -1, 0
	s_cmp_eq_u32 s0, 48
	v_cndmask_b32_e32 v87, v87, v77, vcc
	s_cselect_b64 vcc, -1, 0
	s_cmp_eq_u32 s0, 49
	v_cndmask_b32_e32 v87, v87, v10, vcc
	s_cselect_b64 vcc, -1, 0
	s_cmp_eq_u32 s0, 50
	v_cndmask_b32_e32 v87, v87, v78, vcc
	s_cselect_b64 vcc, -1, 0
	s_cmp_eq_u32 s0, 51
	v_cndmask_b32_e32 v87, v87, v13, vcc
	s_cselect_b64 vcc, -1, 0
	s_cmp_eq_u32 s0, 52
	v_cndmask_b32_e32 v87, v87, v79, vcc
	s_cselect_b64 vcc, -1, 0
	s_cmp_eq_u32 s0, 53
	v_cndmask_b32_e32 v87, v87, v14, vcc
	s_cselect_b64 vcc, -1, 0
	s_cmp_eq_u32 s0, 54
	v_cndmask_b32_e32 v87, v87, v80, vcc
	s_cselect_b64 vcc, -1, 0
	s_cmp_eq_u32 s0, 55
	v_cndmask_b32_e32 v87, v87, v21, vcc
	s_cselect_b64 vcc, -1, 0
	s_cmp_eq_u32 s0, 56
	v_cndmask_b32_e32 v87, v87, v81, vcc
	s_cselect_b64 vcc, -1, 0
	s_cmp_eq_u32 s0, 57
	v_cndmask_b32_e32 v87, v87, v22, vcc
	s_cselect_b64 vcc, -1, 0
	s_cmp_eq_u32 s0, 58
	v_cndmask_b32_e32 v87, v87, v82, vcc
	s_cselect_b64 vcc, -1, 0
	s_cmp_eq_u32 s0, 59
	v_cndmask_b32_e32 v87, v87, v29, vcc
	s_cselect_b64 vcc, -1, 0
	s_cmp_eq_u32 s0, 60
	v_cndmask_b32_e32 v87, v87, v83, vcc
	s_cselect_b64 vcc, -1, 0
	s_cmp_eq_u32 s0, 61
	v_cndmask_b32_e32 v87, v87, v30, vcc
	s_cselect_b64 vcc, -1, 0
	s_cmp_eq_u32 s0, 62
	v_cndmask_b32_e32 v87, v87, v84, vcc
	s_cselect_b64 vcc, -1, 0
	s_cmp_eq_u32 s0, 63
	v_cndmask_b32_e32 v87, v87, v31, vcc
	s_cselect_b64 vcc, -1, 0
	v_cndmask_b32_e32 v87, v87, v85, vcc
	v_add_f16_e32 v51, v51, v87
	v_add_f16_e32 v87, v51, v50
	v_mad_i64_i32 v[50:51], s[0:1], v53, s13, 0
	v_lshl_add_u64 v[50:51], v[50:51], 1, s[8:9]
	v_lshl_add_u64 v[88:89], v[32:33], 1, v[50:51]
	s_and_b64 vcc, exec, s[2:3]
	global_store_short v[88:89], v87, off
	s_cbranch_vccnz .LBB294_29
; %bb.28:                               ;   in Loop: Header=BB294_25 Depth=1
	v_lshl_add_u64 v[86:87], v[34:35], 1, v[48:49]
	global_load_ushort v86, v[86:87], off
	s_waitcnt vmcnt(0)
	v_mul_f16_e32 v86, v52, v86
.LBB294_29:                             ;   in Loop: Header=BB294_25 Depth=1
	s_add_i32 s0, s10, -13
	s_cmp_eq_u32 s0, 1
	s_cselect_b64 vcc, -1, 0
	s_cmp_eq_u32 s0, 2
	v_cndmask_b32_e32 v87, v0, v54, vcc
	s_cselect_b64 vcc, -1, 0
	s_cmp_eq_u32 s0, 3
	v_cndmask_b32_e32 v87, v87, v1, vcc
	;; [unrolled: 3-line block ×62, first 2 shown]
	s_cselect_b64 vcc, -1, 0
	s_add_i32 s0, s10, -12
	s_cmp_eq_u32 s0, 1
	v_cndmask_b32_e32 v87, v87, v85, vcc
	s_cselect_b64 vcc, -1, 0
	s_cmp_eq_u32 s0, 2
	v_cndmask_b32_e32 v88, v0, v54, vcc
	s_cselect_b64 vcc, -1, 0
	s_cmp_eq_u32 s0, 3
	v_cndmask_b32_e32 v88, v88, v1, vcc
	s_cselect_b64 vcc, -1, 0
	s_cmp_eq_u32 s0, 4
	v_cndmask_b32_e32 v88, v88, v55, vcc
	s_cselect_b64 vcc, -1, 0
	s_cmp_eq_u32 s0, 5
	v_cndmask_b32_e32 v88, v88, v4, vcc
	s_cselect_b64 vcc, -1, 0
	s_cmp_eq_u32 s0, 6
	v_cndmask_b32_e32 v88, v88, v56, vcc
	s_cselect_b64 vcc, -1, 0
	s_cmp_eq_u32 s0, 7
	v_cndmask_b32_e32 v88, v88, v5, vcc
	s_cselect_b64 vcc, -1, 0
	s_cmp_eq_u32 s0, 8
	v_cndmask_b32_e32 v88, v88, v57, vcc
	s_cselect_b64 vcc, -1, 0
	s_cmp_eq_u32 s0, 9
	v_cndmask_b32_e32 v88, v88, v16, vcc
	s_cselect_b64 vcc, -1, 0
	s_cmp_eq_u32 s0, 10
	v_cndmask_b32_e32 v88, v88, v58, vcc
	s_cselect_b64 vcc, -1, 0
	s_cmp_eq_u32 s0, 11
	v_cndmask_b32_e32 v88, v88, v23, vcc
	s_cselect_b64 vcc, -1, 0
	s_cmp_eq_u32 s0, 12
	v_cndmask_b32_e32 v88, v88, v59, vcc
	s_cselect_b64 vcc, -1, 0
	s_cmp_eq_u32 s0, 13
	v_cndmask_b32_e32 v88, v88, v24, vcc
	s_cselect_b64 vcc, -1, 0
	s_cmp_eq_u32 s0, 14
	v_cndmask_b32_e32 v88, v88, v60, vcc
	s_cselect_b64 vcc, -1, 0
	s_cmp_eq_u32 s0, 15
	v_cndmask_b32_e32 v88, v88, v7, vcc
	s_cselect_b64 vcc, -1, 0
	s_cmp_eq_u32 s0, 16
	v_cndmask_b32_e32 v88, v88, v61, vcc
	s_cselect_b64 vcc, -1, 0
	s_cmp_eq_u32 s0, 17
	v_cndmask_b32_e32 v88, v88, v8, vcc
	s_cselect_b64 vcc, -1, 0
	s_cmp_eq_u32 s0, 18
	v_cndmask_b32_e32 v88, v88, v62, vcc
	s_cselect_b64 vcc, -1, 0
	s_cmp_eq_u32 s0, 19
	v_cndmask_b32_e32 v88, v88, v11, vcc
	s_cselect_b64 vcc, -1, 0
	s_cmp_eq_u32 s0, 20
	v_cndmask_b32_e32 v88, v88, v63, vcc
	s_cselect_b64 vcc, -1, 0
	s_cmp_eq_u32 s0, 21
	v_cndmask_b32_e32 v88, v88, v12, vcc
	s_cselect_b64 vcc, -1, 0
	s_cmp_eq_u32 s0, 22
	v_cndmask_b32_e32 v88, v88, v64, vcc
	s_cselect_b64 vcc, -1, 0
	s_cmp_eq_u32 s0, 23
	v_cndmask_b32_e32 v88, v88, v17, vcc
	s_cselect_b64 vcc, -1, 0
	s_cmp_eq_u32 s0, 24
	v_cndmask_b32_e32 v88, v88, v65, vcc
	s_cselect_b64 vcc, -1, 0
	s_cmp_eq_u32 s0, 25
	v_cndmask_b32_e32 v88, v88, v18, vcc
	s_cselect_b64 vcc, -1, 0
	s_cmp_eq_u32 s0, 26
	v_cndmask_b32_e32 v88, v88, v66, vcc
	s_cselect_b64 vcc, -1, 0
	s_cmp_eq_u32 s0, 27
	v_cndmask_b32_e32 v88, v88, v25, vcc
	s_cselect_b64 vcc, -1, 0
	s_cmp_eq_u32 s0, 28
	v_cndmask_b32_e32 v88, v88, v67, vcc
	s_cselect_b64 vcc, -1, 0
	s_cmp_eq_u32 s0, 29
	v_cndmask_b32_e32 v88, v88, v26, vcc
	s_cselect_b64 vcc, -1, 0
	s_cmp_eq_u32 s0, 30
	v_cndmask_b32_e32 v88, v88, v68, vcc
	s_cselect_b64 vcc, -1, 0
	s_cmp_eq_u32 s0, 31
	v_cndmask_b32_e32 v88, v88, v15, vcc
	s_cselect_b64 vcc, -1, 0
	s_cmp_eq_u32 s0, 32
	v_cndmask_b32_e32 v88, v88, v69, vcc
	s_cselect_b64 vcc, -1, 0
	s_cmp_eq_u32 s0, 33
	v_cndmask_b32_e32 v88, v88, v2, vcc
	s_cselect_b64 vcc, -1, 0
	s_cmp_eq_u32 s0, 34
	v_cndmask_b32_e32 v88, v88, v70, vcc
	s_cselect_b64 vcc, -1, 0
	s_cmp_eq_u32 s0, 35
	v_cndmask_b32_e32 v88, v88, v3, vcc
	s_cselect_b64 vcc, -1, 0
	s_cmp_eq_u32 s0, 36
	v_cndmask_b32_e32 v88, v88, v71, vcc
	s_cselect_b64 vcc, -1, 0
	s_cmp_eq_u32 s0, 37
	v_cndmask_b32_e32 v88, v88, v6, vcc
	s_cselect_b64 vcc, -1, 0
	s_cmp_eq_u32 s0, 38
	v_cndmask_b32_e32 v88, v88, v72, vcc
	s_cselect_b64 vcc, -1, 0
	s_cmp_eq_u32 s0, 39
	v_cndmask_b32_e32 v88, v88, v19, vcc
	s_cselect_b64 vcc, -1, 0
	s_cmp_eq_u32 s0, 40
	v_cndmask_b32_e32 v88, v88, v73, vcc
	s_cselect_b64 vcc, -1, 0
	s_cmp_eq_u32 s0, 41
	v_cndmask_b32_e32 v88, v88, v20, vcc
	s_cselect_b64 vcc, -1, 0
	s_cmp_eq_u32 s0, 42
	v_cndmask_b32_e32 v88, v88, v74, vcc
	s_cselect_b64 vcc, -1, 0
	s_cmp_eq_u32 s0, 43
	v_cndmask_b32_e32 v88, v88, v27, vcc
	s_cselect_b64 vcc, -1, 0
	s_cmp_eq_u32 s0, 44
	v_cndmask_b32_e32 v88, v88, v75, vcc
	s_cselect_b64 vcc, -1, 0
	s_cmp_eq_u32 s0, 45
	v_cndmask_b32_e32 v88, v88, v28, vcc
	s_cselect_b64 vcc, -1, 0
	s_cmp_eq_u32 s0, 46
	v_cndmask_b32_e32 v88, v88, v76, vcc
	s_cselect_b64 vcc, -1, 0
	s_cmp_eq_u32 s0, 47
	v_cndmask_b32_e32 v88, v88, v9, vcc
	s_cselect_b64 vcc, -1, 0
	s_cmp_eq_u32 s0, 48
	v_cndmask_b32_e32 v88, v88, v77, vcc
	s_cselect_b64 vcc, -1, 0
	s_cmp_eq_u32 s0, 49
	v_cndmask_b32_e32 v88, v88, v10, vcc
	s_cselect_b64 vcc, -1, 0
	s_cmp_eq_u32 s0, 50
	v_cndmask_b32_e32 v88, v88, v78, vcc
	s_cselect_b64 vcc, -1, 0
	s_cmp_eq_u32 s0, 51
	v_cndmask_b32_e32 v88, v88, v13, vcc
	s_cselect_b64 vcc, -1, 0
	s_cmp_eq_u32 s0, 52
	v_cndmask_b32_e32 v88, v88, v79, vcc
	s_cselect_b64 vcc, -1, 0
	s_cmp_eq_u32 s0, 53
	v_cndmask_b32_e32 v88, v88, v14, vcc
	s_cselect_b64 vcc, -1, 0
	s_cmp_eq_u32 s0, 54
	v_cndmask_b32_e32 v88, v88, v80, vcc
	s_cselect_b64 vcc, -1, 0
	s_cmp_eq_u32 s0, 55
	v_cndmask_b32_e32 v88, v88, v21, vcc
	s_cselect_b64 vcc, -1, 0
	s_cmp_eq_u32 s0, 56
	v_cndmask_b32_e32 v88, v88, v81, vcc
	s_cselect_b64 vcc, -1, 0
	s_cmp_eq_u32 s0, 57
	v_cndmask_b32_e32 v88, v88, v22, vcc
	s_cselect_b64 vcc, -1, 0
	s_cmp_eq_u32 s0, 58
	v_cndmask_b32_e32 v88, v88, v82, vcc
	s_cselect_b64 vcc, -1, 0
	s_cmp_eq_u32 s0, 59
	v_cndmask_b32_e32 v88, v88, v29, vcc
	s_cselect_b64 vcc, -1, 0
	s_cmp_eq_u32 s0, 60
	v_cndmask_b32_e32 v88, v88, v83, vcc
	s_cselect_b64 vcc, -1, 0
	s_cmp_eq_u32 s0, 61
	v_cndmask_b32_e32 v88, v88, v30, vcc
	s_cselect_b64 vcc, -1, 0
	s_cmp_eq_u32 s0, 62
	v_cndmask_b32_e32 v88, v88, v84, vcc
	s_cselect_b64 vcc, -1, 0
	s_cmp_eq_u32 s0, 63
	v_cndmask_b32_e32 v88, v88, v31, vcc
	s_cselect_b64 vcc, -1, 0
	v_cndmask_b32_e32 v88, v88, v85, vcc
	v_add_f16_e32 v87, v87, v88
	v_add_f16_e32 v88, v87, v86
	v_lshl_add_u64 v[86:87], v[34:35], 1, v[50:51]
	global_store_short v[86:87], v88, off
	s_and_b64 vcc, exec, s[2:3]
	v_mov_b32_e32 v86, 0
	v_mov_b32_e32 v87, 0
	s_cbranch_vccnz .LBB294_31
; %bb.30:                               ;   in Loop: Header=BB294_25 Depth=1
	v_lshl_add_u64 v[88:89], v[36:37], 1, v[48:49]
	global_load_ushort v87, v[88:89], off
	s_waitcnt vmcnt(0)
	v_mul_f16_e32 v87, v52, v87
.LBB294_31:                             ;   in Loop: Header=BB294_25 Depth=1
	s_add_i32 s0, s10, -11
	s_cmp_eq_u32 s0, 1
	s_cselect_b64 vcc, -1, 0
	s_cmp_eq_u32 s0, 2
	v_cndmask_b32_e32 v88, v0, v54, vcc
	s_cselect_b64 vcc, -1, 0
	s_cmp_eq_u32 s0, 3
	v_cndmask_b32_e32 v88, v88, v1, vcc
	;; [unrolled: 3-line block ×62, first 2 shown]
	s_cselect_b64 vcc, -1, 0
	s_add_i32 s0, s10, -10
	s_cmp_eq_u32 s0, 1
	v_cndmask_b32_e32 v88, v88, v85, vcc
	s_cselect_b64 vcc, -1, 0
	s_cmp_eq_u32 s0, 2
	v_cndmask_b32_e32 v89, v0, v54, vcc
	s_cselect_b64 vcc, -1, 0
	;; [unrolled: 3-line block ×63, first 2 shown]
	v_cndmask_b32_e32 v89, v89, v85, vcc
	v_add_f16_e32 v88, v88, v89
	v_add_f16_e32 v87, v88, v87
	v_lshl_add_u64 v[88:89], v[36:37], 1, v[50:51]
	s_and_b64 vcc, exec, s[2:3]
	global_store_short v[88:89], v87, off
	s_cbranch_vccnz .LBB294_33
; %bb.32:                               ;   in Loop: Header=BB294_25 Depth=1
	v_lshl_add_u64 v[86:87], v[38:39], 1, v[48:49]
	global_load_ushort v86, v[86:87], off
	s_waitcnt vmcnt(0)
	v_mul_f16_e32 v86, v52, v86
.LBB294_33:                             ;   in Loop: Header=BB294_25 Depth=1
	s_add_i32 s0, s10, -9
	s_cmp_eq_u32 s0, 1
	s_cselect_b64 vcc, -1, 0
	s_cmp_eq_u32 s0, 2
	v_cndmask_b32_e32 v87, v0, v54, vcc
	s_cselect_b64 vcc, -1, 0
	s_cmp_eq_u32 s0, 3
	v_cndmask_b32_e32 v87, v87, v1, vcc
	;; [unrolled: 3-line block ×62, first 2 shown]
	s_cselect_b64 vcc, -1, 0
	s_add_i32 s0, s10, -8
	s_cmp_eq_u32 s0, 1
	v_cndmask_b32_e32 v87, v87, v85, vcc
	s_cselect_b64 vcc, -1, 0
	s_cmp_eq_u32 s0, 2
	v_cndmask_b32_e32 v88, v0, v54, vcc
	s_cselect_b64 vcc, -1, 0
	;; [unrolled: 3-line block ×63, first 2 shown]
	v_cndmask_b32_e32 v88, v88, v85, vcc
	v_add_f16_e32 v87, v87, v88
	v_add_f16_e32 v88, v87, v86
	v_lshl_add_u64 v[86:87], v[38:39], 1, v[50:51]
	global_store_short v[86:87], v88, off
	s_and_b64 vcc, exec, s[2:3]
	v_mov_b32_e32 v86, 0
	v_mov_b32_e32 v87, 0
	s_cbranch_vccnz .LBB294_35
; %bb.34:                               ;   in Loop: Header=BB294_25 Depth=1
	v_lshl_add_u64 v[88:89], v[40:41], 1, v[48:49]
	global_load_ushort v87, v[88:89], off
	s_waitcnt vmcnt(0)
	v_mul_f16_e32 v87, v52, v87
.LBB294_35:                             ;   in Loop: Header=BB294_25 Depth=1
	s_add_i32 s0, s10, -7
	s_cmp_eq_u32 s0, 1
	s_cselect_b64 vcc, -1, 0
	s_cmp_eq_u32 s0, 2
	v_cndmask_b32_e32 v88, v0, v54, vcc
	s_cselect_b64 vcc, -1, 0
	s_cmp_eq_u32 s0, 3
	v_cndmask_b32_e32 v88, v88, v1, vcc
	;; [unrolled: 3-line block ×62, first 2 shown]
	s_cselect_b64 vcc, -1, 0
	s_add_i32 s0, s10, -6
	s_cmp_eq_u32 s0, 1
	v_cndmask_b32_e32 v88, v88, v85, vcc
	s_cselect_b64 vcc, -1, 0
	s_cmp_eq_u32 s0, 2
	v_cndmask_b32_e32 v89, v0, v54, vcc
	s_cselect_b64 vcc, -1, 0
	;; [unrolled: 3-line block ×63, first 2 shown]
	v_cndmask_b32_e32 v89, v89, v85, vcc
	v_add_f16_e32 v88, v88, v89
	v_add_f16_e32 v87, v88, v87
	v_lshl_add_u64 v[88:89], v[40:41], 1, v[50:51]
	s_and_b64 vcc, exec, s[2:3]
	global_store_short v[88:89], v87, off
	s_cbranch_vccnz .LBB294_37
; %bb.36:                               ;   in Loop: Header=BB294_25 Depth=1
	v_lshl_add_u64 v[86:87], v[42:43], 1, v[48:49]
	global_load_ushort v86, v[86:87], off
	s_waitcnt vmcnt(0)
	v_mul_f16_e32 v86, v52, v86
.LBB294_37:                             ;   in Loop: Header=BB294_25 Depth=1
	s_add_i32 s0, s10, -5
	s_cmp_eq_u32 s0, 1
	s_cselect_b64 vcc, -1, 0
	s_cmp_eq_u32 s0, 2
	v_cndmask_b32_e32 v87, v0, v54, vcc
	s_cselect_b64 vcc, -1, 0
	s_cmp_eq_u32 s0, 3
	v_cndmask_b32_e32 v87, v87, v1, vcc
	;; [unrolled: 3-line block ×62, first 2 shown]
	s_cselect_b64 vcc, -1, 0
	s_add_i32 s0, s10, -4
	s_cmp_eq_u32 s0, 1
	v_cndmask_b32_e32 v87, v87, v85, vcc
	s_cselect_b64 vcc, -1, 0
	s_cmp_eq_u32 s0, 2
	v_cndmask_b32_e32 v88, v0, v54, vcc
	s_cselect_b64 vcc, -1, 0
	;; [unrolled: 3-line block ×63, first 2 shown]
	v_cndmask_b32_e32 v88, v88, v85, vcc
	v_add_f16_e32 v87, v87, v88
	v_add_f16_e32 v88, v87, v86
	v_lshl_add_u64 v[86:87], v[42:43], 1, v[50:51]
	global_store_short v[86:87], v88, off
	s_and_b64 vcc, exec, s[2:3]
	v_mov_b32_e32 v86, 0
	v_mov_b32_e32 v87, 0
	s_cbranch_vccnz .LBB294_39
; %bb.38:                               ;   in Loop: Header=BB294_25 Depth=1
	v_lshl_add_u64 v[88:89], v[44:45], 1, v[48:49]
	global_load_ushort v87, v[88:89], off
	s_waitcnt vmcnt(0)
	v_mul_f16_e32 v87, v52, v87
.LBB294_39:                             ;   in Loop: Header=BB294_25 Depth=1
	s_add_i32 s0, s10, -3
	s_cmp_eq_u32 s0, 1
	s_cselect_b64 vcc, -1, 0
	s_cmp_eq_u32 s0, 2
	v_cndmask_b32_e32 v88, v0, v54, vcc
	s_cselect_b64 vcc, -1, 0
	s_cmp_eq_u32 s0, 3
	v_cndmask_b32_e32 v88, v88, v1, vcc
	;; [unrolled: 3-line block ×62, first 2 shown]
	s_cselect_b64 vcc, -1, 0
	s_add_i32 s0, s10, -2
	s_cmp_eq_u32 s0, 1
	v_cndmask_b32_e32 v88, v88, v85, vcc
	s_cselect_b64 vcc, -1, 0
	s_cmp_eq_u32 s0, 2
	v_cndmask_b32_e32 v89, v0, v54, vcc
	s_cselect_b64 vcc, -1, 0
	;; [unrolled: 3-line block ×63, first 2 shown]
	v_cndmask_b32_e32 v89, v89, v85, vcc
	v_add_f16_e32 v88, v88, v89
	v_add_f16_e32 v87, v88, v87
	v_lshl_add_u64 v[88:89], v[44:45], 1, v[50:51]
	s_and_b64 vcc, exec, s[2:3]
	global_store_short v[88:89], v87, off
	s_cbranch_vccnz .LBB294_24
; %bb.40:                               ;   in Loop: Header=BB294_25 Depth=1
	v_lshl_add_u64 v[48:49], v[46:47], 1, v[48:49]
	global_load_ushort v48, v[48:49], off
	s_waitcnt vmcnt(0)
	v_mul_f16_e32 v86, v52, v48
	s_branch .LBB294_24
.LBB294_41:
	s_endpgm
	.section	.rodata,"a",@progbits
	.p2align	6, 0x0
	.amdhsa_kernel _ZN12_GLOBAL__N_120geam_min_plus_kernelIDF16_Dv2_DF16_S1_Li8ELi32ELi64ELi128ELi4ELi64ELi4ELi64ELi4ELc78ELc84ELb0ELb0ELb0EPKDF16_S2_DF16_EEviiiT16_PT17_ilS6_ilS4_S6_ilPT18_ili26rocblas_geam_ex_operation_
		.amdhsa_group_segment_fixed_size 3072
		.amdhsa_private_segment_fixed_size 0
		.amdhsa_kernarg_size 136
		.amdhsa_user_sgpr_count 2
		.amdhsa_user_sgpr_dispatch_ptr 0
		.amdhsa_user_sgpr_queue_ptr 0
		.amdhsa_user_sgpr_kernarg_segment_ptr 1
		.amdhsa_user_sgpr_dispatch_id 0
		.amdhsa_user_sgpr_kernarg_preload_length 0
		.amdhsa_user_sgpr_kernarg_preload_offset 0
		.amdhsa_user_sgpr_private_segment_size 0
		.amdhsa_uses_dynamic_stack 0
		.amdhsa_enable_private_segment 0
		.amdhsa_system_sgpr_workgroup_id_x 1
		.amdhsa_system_sgpr_workgroup_id_y 0
		.amdhsa_system_sgpr_workgroup_id_z 1
		.amdhsa_system_sgpr_workgroup_info 0
		.amdhsa_system_vgpr_workitem_id 1
		.amdhsa_next_free_vgpr 127
		.amdhsa_next_free_sgpr 26
		.amdhsa_accum_offset 128
		.amdhsa_reserve_vcc 1
		.amdhsa_float_round_mode_32 0
		.amdhsa_float_round_mode_16_64 0
		.amdhsa_float_denorm_mode_32 3
		.amdhsa_float_denorm_mode_16_64 3
		.amdhsa_dx10_clamp 1
		.amdhsa_ieee_mode 1
		.amdhsa_fp16_overflow 0
		.amdhsa_tg_split 0
		.amdhsa_exception_fp_ieee_invalid_op 0
		.amdhsa_exception_fp_denorm_src 0
		.amdhsa_exception_fp_ieee_div_zero 0
		.amdhsa_exception_fp_ieee_overflow 0
		.amdhsa_exception_fp_ieee_underflow 0
		.amdhsa_exception_fp_ieee_inexact 0
		.amdhsa_exception_int_div_zero 0
	.end_amdhsa_kernel
	.section	.text._ZN12_GLOBAL__N_120geam_min_plus_kernelIDF16_Dv2_DF16_S1_Li8ELi32ELi64ELi128ELi4ELi64ELi4ELi64ELi4ELc78ELc84ELb0ELb0ELb0EPKDF16_S2_DF16_EEviiiT16_PT17_ilS6_ilS4_S6_ilPT18_ili26rocblas_geam_ex_operation_,"axG",@progbits,_ZN12_GLOBAL__N_120geam_min_plus_kernelIDF16_Dv2_DF16_S1_Li8ELi32ELi64ELi128ELi4ELi64ELi4ELi64ELi4ELc78ELc84ELb0ELb0ELb0EPKDF16_S2_DF16_EEviiiT16_PT17_ilS6_ilS4_S6_ilPT18_ili26rocblas_geam_ex_operation_,comdat
.Lfunc_end294:
	.size	_ZN12_GLOBAL__N_120geam_min_plus_kernelIDF16_Dv2_DF16_S1_Li8ELi32ELi64ELi128ELi4ELi64ELi4ELi64ELi4ELc78ELc84ELb0ELb0ELb0EPKDF16_S2_DF16_EEviiiT16_PT17_ilS6_ilS4_S6_ilPT18_ili26rocblas_geam_ex_operation_, .Lfunc_end294-_ZN12_GLOBAL__N_120geam_min_plus_kernelIDF16_Dv2_DF16_S1_Li8ELi32ELi64ELi128ELi4ELi64ELi4ELi64ELi4ELc78ELc84ELb0ELb0ELb0EPKDF16_S2_DF16_EEviiiT16_PT17_ilS6_ilS4_S6_ilPT18_ili26rocblas_geam_ex_operation_
                                        ; -- End function
	.set _ZN12_GLOBAL__N_120geam_min_plus_kernelIDF16_Dv2_DF16_S1_Li8ELi32ELi64ELi128ELi4ELi64ELi4ELi64ELi4ELc78ELc84ELb0ELb0ELb0EPKDF16_S2_DF16_EEviiiT16_PT17_ilS6_ilS4_S6_ilPT18_ili26rocblas_geam_ex_operation_.num_vgpr, 127
	.set _ZN12_GLOBAL__N_120geam_min_plus_kernelIDF16_Dv2_DF16_S1_Li8ELi32ELi64ELi128ELi4ELi64ELi4ELi64ELi4ELc78ELc84ELb0ELb0ELb0EPKDF16_S2_DF16_EEviiiT16_PT17_ilS6_ilS4_S6_ilPT18_ili26rocblas_geam_ex_operation_.num_agpr, 0
	.set _ZN12_GLOBAL__N_120geam_min_plus_kernelIDF16_Dv2_DF16_S1_Li8ELi32ELi64ELi128ELi4ELi64ELi4ELi64ELi4ELc78ELc84ELb0ELb0ELb0EPKDF16_S2_DF16_EEviiiT16_PT17_ilS6_ilS4_S6_ilPT18_ili26rocblas_geam_ex_operation_.numbered_sgpr, 26
	.set _ZN12_GLOBAL__N_120geam_min_plus_kernelIDF16_Dv2_DF16_S1_Li8ELi32ELi64ELi128ELi4ELi64ELi4ELi64ELi4ELc78ELc84ELb0ELb0ELb0EPKDF16_S2_DF16_EEviiiT16_PT17_ilS6_ilS4_S6_ilPT18_ili26rocblas_geam_ex_operation_.num_named_barrier, 0
	.set _ZN12_GLOBAL__N_120geam_min_plus_kernelIDF16_Dv2_DF16_S1_Li8ELi32ELi64ELi128ELi4ELi64ELi4ELi64ELi4ELc78ELc84ELb0ELb0ELb0EPKDF16_S2_DF16_EEviiiT16_PT17_ilS6_ilS4_S6_ilPT18_ili26rocblas_geam_ex_operation_.private_seg_size, 0
	.set _ZN12_GLOBAL__N_120geam_min_plus_kernelIDF16_Dv2_DF16_S1_Li8ELi32ELi64ELi128ELi4ELi64ELi4ELi64ELi4ELc78ELc84ELb0ELb0ELb0EPKDF16_S2_DF16_EEviiiT16_PT17_ilS6_ilS4_S6_ilPT18_ili26rocblas_geam_ex_operation_.uses_vcc, 1
	.set _ZN12_GLOBAL__N_120geam_min_plus_kernelIDF16_Dv2_DF16_S1_Li8ELi32ELi64ELi128ELi4ELi64ELi4ELi64ELi4ELc78ELc84ELb0ELb0ELb0EPKDF16_S2_DF16_EEviiiT16_PT17_ilS6_ilS4_S6_ilPT18_ili26rocblas_geam_ex_operation_.uses_flat_scratch, 0
	.set _ZN12_GLOBAL__N_120geam_min_plus_kernelIDF16_Dv2_DF16_S1_Li8ELi32ELi64ELi128ELi4ELi64ELi4ELi64ELi4ELc78ELc84ELb0ELb0ELb0EPKDF16_S2_DF16_EEviiiT16_PT17_ilS6_ilS4_S6_ilPT18_ili26rocblas_geam_ex_operation_.has_dyn_sized_stack, 0
	.set _ZN12_GLOBAL__N_120geam_min_plus_kernelIDF16_Dv2_DF16_S1_Li8ELi32ELi64ELi128ELi4ELi64ELi4ELi64ELi4ELc78ELc84ELb0ELb0ELb0EPKDF16_S2_DF16_EEviiiT16_PT17_ilS6_ilS4_S6_ilPT18_ili26rocblas_geam_ex_operation_.has_recursion, 0
	.set _ZN12_GLOBAL__N_120geam_min_plus_kernelIDF16_Dv2_DF16_S1_Li8ELi32ELi64ELi128ELi4ELi64ELi4ELi64ELi4ELc78ELc84ELb0ELb0ELb0EPKDF16_S2_DF16_EEviiiT16_PT17_ilS6_ilS4_S6_ilPT18_ili26rocblas_geam_ex_operation_.has_indirect_call, 0
	.section	.AMDGPU.csdata,"",@progbits
; Kernel info:
; codeLenInByte = 19808
; TotalNumSgprs: 32
; NumVgprs: 127
; NumAgprs: 0
; TotalNumVgprs: 127
; ScratchSize: 0
; MemoryBound: 0
; FloatMode: 240
; IeeeMode: 1
; LDSByteSize: 3072 bytes/workgroup (compile time only)
; SGPRBlocks: 3
; VGPRBlocks: 15
; NumSGPRsForWavesPerEU: 32
; NumVGPRsForWavesPerEU: 127
; AccumOffset: 128
; Occupancy: 4
; WaveLimiterHint : 1
; COMPUTE_PGM_RSRC2:SCRATCH_EN: 0
; COMPUTE_PGM_RSRC2:USER_SGPR: 2
; COMPUTE_PGM_RSRC2:TRAP_HANDLER: 0
; COMPUTE_PGM_RSRC2:TGID_X_EN: 1
; COMPUTE_PGM_RSRC2:TGID_Y_EN: 0
; COMPUTE_PGM_RSRC2:TGID_Z_EN: 1
; COMPUTE_PGM_RSRC2:TIDIG_COMP_CNT: 1
; COMPUTE_PGM_RSRC3_GFX90A:ACCUM_OFFSET: 31
; COMPUTE_PGM_RSRC3_GFX90A:TG_SPLIT: 0
	.section	.text._ZN12_GLOBAL__N_120geam_min_plus_kernelIDF16_Dv2_DF16_S1_Li8ELi32ELi64ELi128ELi4ELi64ELi4ELi64ELi4ELc78ELc84ELb1ELb0ELb0EDF16_KDF16_DF16_EEviiiT16_PT17_ilS5_ilS3_S5_ilPT18_ili26rocblas_geam_ex_operation_,"axG",@progbits,_ZN12_GLOBAL__N_120geam_min_plus_kernelIDF16_Dv2_DF16_S1_Li8ELi32ELi64ELi128ELi4ELi64ELi4ELi64ELi4ELc78ELc84ELb1ELb0ELb0EDF16_KDF16_DF16_EEviiiT16_PT17_ilS5_ilS3_S5_ilPT18_ili26rocblas_geam_ex_operation_,comdat
	.globl	_ZN12_GLOBAL__N_120geam_min_plus_kernelIDF16_Dv2_DF16_S1_Li8ELi32ELi64ELi128ELi4ELi64ELi4ELi64ELi4ELc78ELc84ELb1ELb0ELb0EDF16_KDF16_DF16_EEviiiT16_PT17_ilS5_ilS3_S5_ilPT18_ili26rocblas_geam_ex_operation_ ; -- Begin function _ZN12_GLOBAL__N_120geam_min_plus_kernelIDF16_Dv2_DF16_S1_Li8ELi32ELi64ELi128ELi4ELi64ELi4ELi64ELi4ELc78ELc84ELb1ELb0ELb0EDF16_KDF16_DF16_EEviiiT16_PT17_ilS5_ilS3_S5_ilPT18_ili26rocblas_geam_ex_operation_
	.p2align	8
	.type	_ZN12_GLOBAL__N_120geam_min_plus_kernelIDF16_Dv2_DF16_S1_Li8ELi32ELi64ELi128ELi4ELi64ELi4ELi64ELi4ELc78ELc84ELb1ELb0ELb0EDF16_KDF16_DF16_EEviiiT16_PT17_ilS5_ilS3_S5_ilPT18_ili26rocblas_geam_ex_operation_,@function
_ZN12_GLOBAL__N_120geam_min_plus_kernelIDF16_Dv2_DF16_S1_Li8ELi32ELi64ELi128ELi4ELi64ELi4ELi64ELi4ELc78ELc84ELb1ELb0ELb0EDF16_KDF16_DF16_EEviiiT16_PT17_ilS5_ilS3_S5_ilPT18_ili26rocblas_geam_ex_operation_: ; @_ZN12_GLOBAL__N_120geam_min_plus_kernelIDF16_Dv2_DF16_S1_Li8ELi32ELi64ELi128ELi4ELi64ELi4ELi64ELi4ELc78ELc84ELb1ELb0ELb0EDF16_KDF16_DF16_EEviiiT16_PT17_ilS5_ilS3_S5_ilPT18_ili26rocblas_geam_ex_operation_
; %bb.0:
	s_load_dwordx2 s[10:11], s[0:1], 0x8
	s_load_dwordx4 s[4:7], s[0:1], 0x20
	s_waitcnt lgkmcnt(0)
	v_cmp_eq_f16_e64 s[8:9], s11, 0
	s_and_b64 vcc, exec, s[8:9]
	s_cbranch_vccnz .LBB295_29
; %bb.1:
	s_load_dwordx2 s[12:13], s[0:1], 0x10
	s_mul_i32 s5, s5, s3
	s_mul_hi_u32 s11, s4, s3
	s_add_i32 s5, s11, s5
	s_mul_i32 s4, s4, s3
	s_lshl_b64 s[4:5], s[4:5], 1
	s_waitcnt lgkmcnt(0)
	s_add_u32 s12, s12, s4
	s_addc_u32 s13, s13, s5
	s_andn2_b64 vcc, exec, s[8:9]
	s_mov_b64 s[4:5], -1
	s_cbranch_vccnz .LBB295_3
.LBB295_2:
	s_mov_b64 s[4:5], 0
.LBB295_3:
	s_mov_b64 s[8:9], 0
	s_andn2_b64 vcc, exec, s[4:5]
	s_mov_b64 s[14:15], 0
	s_cbranch_vccnz .LBB295_5
; %bb.4:
	s_load_dwordx2 s[4:5], s[0:1], 0x38
	s_waitcnt lgkmcnt(0)
	s_mul_i32 s5, s5, s3
	s_mul_hi_u32 s11, s4, s3
	s_add_i32 s5, s11, s5
	s_mul_i32 s4, s4, s3
	s_lshl_b64 s[4:5], s[4:5], 1
	s_add_u32 s14, s6, s4
	s_addc_u32 s15, s7, s5
.LBB295_5:
	s_load_dword s20, s[0:1], 0x40
	s_load_dwordx4 s[4:7], s[0:1], 0x58
	s_waitcnt lgkmcnt(0)
	v_cmp_eq_f16_e64 s[16:17], s20, 0
	s_and_b64 vcc, exec, s[16:17]
	s_cbranch_vccnz .LBB295_7
; %bb.6:
	s_load_dwordx2 s[8:9], s[0:1], 0x48
	s_mul_i32 s5, s5, s3
	s_mul_hi_u32 s11, s4, s3
	s_add_i32 s5, s11, s5
	s_mul_i32 s4, s4, s3
	s_lshl_b64 s[4:5], s[4:5], 1
	s_waitcnt lgkmcnt(0)
	s_add_u32 s8, s8, s4
	s_addc_u32 s9, s9, s5
.LBB295_7:
	s_load_dword s4, s[0:1], 0x0
	s_load_dword s18, s[0:1], 0x18
	;; [unrolled: 1-line block ×3, first 2 shown]
	v_bfe_u32 v48, v0, 10, 10
	v_and_b32_e32 v36, 0x3ff, v0
	s_waitcnt lgkmcnt(0)
	s_add_i32 s4, s4, -1
	s_ashr_i32 s5, s4, 31
	s_lshr_b32 s5, s5, 26
	s_add_i32 s4, s4, s5
	s_ashr_i32 s4, s4, 6
	s_add_i32 s5, s4, 1
	v_cvt_f32_u32_e32 v1, s5
	s_not_b32 s4, s4
	v_lshlrev_b32_e32 v37, 3, v48
	v_add_u32_e32 v0, v37, v36
	v_rcp_iflag_f32_e32 v1, v1
	v_and_b32_e32 v12, 63, v0
	v_lshrrev_b32_e32 v30, 6, v0
	v_lshlrev_b32_e32 v38, 3, v36
	v_mul_f32_e32 v1, 0x4f7ffffe, v1
	v_cvt_u32_f32_e32 v1, v1
	v_add_u32_e32 v39, 0x800, v38
	v_readfirstlane_b32 s11, v1
	s_mul_i32 s4, s4, s11
	s_mul_hi_u32 s4, s11, s4
	s_add_i32 s11, s11, s4
	s_mul_hi_u32 s4, s2, s11
	s_mul_i32 s11, s4, s5
	s_sub_i32 s11, s2, s11
	s_add_i32 s17, s4, 1
	s_sub_i32 s19, s11, s5
	s_cmp_ge_u32 s11, s5
	s_cselect_b32 s4, s17, s4
	s_cselect_b32 s11, s19, s11
	s_add_i32 s17, s4, 1
	s_cmp_ge_u32 s11, s5
	s_cselect_b32 s4, s17, s4
	s_mul_i32 s5, s4, s5
	s_lshl_b32 s21, s4, 7
	s_sub_i32 s2, s2, s5
	s_lshl_b32 s22, s2, 6
	v_or_b32_e32 v6, s21, v12
	v_or_b32_e32 v4, s22, v12
	v_mad_i64_i32 v[8:9], s[4:5], s16, v30, 0
	v_ashrrev_i32_e32 v7, 31, v6
	v_mad_i64_i32 v[0:1], s[4:5], s18, v30, 0
	v_ashrrev_i32_e32 v5, 31, v4
	v_lshl_add_u64 v[8:9], v[8:9], 1, s[14:15]
	v_lshlrev_b64 v[10:11], 1, v[6:7]
	v_lshl_add_u64 v[0:1], v[0:1], 1, s[12:13]
	v_lshlrev_b64 v[2:3], 1, v[4:5]
	v_lshl_add_u64 v[8:9], v[8:9], 0, v[10:11]
	v_lshl_add_u64 v[0:1], v[0:1], 0, v[2:3]
	global_load_ushort v13, v[8:9], off
	global_load_ushort v14, v[8:9], off offset:128
	global_load_ushort v15, v[0:1], off
	v_add_u32_e32 v8, 4, v30
	v_mad_i64_i32 v[0:1], s[4:5], s18, v8, 0
	v_mad_i64_i32 v[8:9], s[4:5], s16, v8, 0
	v_lshl_add_u64 v[0:1], v[0:1], 1, s[12:13]
	v_lshl_add_u64 v[8:9], v[8:9], 1, s[14:15]
	;; [unrolled: 1-line block ×4, first 2 shown]
	global_load_ushort v28, v[8:9], off
	global_load_ushort v29, v[8:9], off offset:128
	global_load_ushort v31, v[0:1], off
	v_lshlrev_b32_e32 v12, 3, v12
	v_lshl_add_u32 v40, v30, 1, v12
	s_cmp_lt_i32 s10, 9
	s_waitcnt vmcnt(5)
	ds_write_b16 v40, v13
	s_waitcnt vmcnt(4)
	ds_write_b16 v40, v14 offset:512
	s_waitcnt vmcnt(3)
	ds_write_b16 v40, v15 offset:2048
	s_waitcnt lgkmcnt(0)
	s_barrier
	ds_read2_b64 v[0:3], v39 offset0:48 offset1:56
	ds_read2_b64 v[8:11], v37 offset1:32
	ds_read2_b64 v[12:15], v37 offset0:64 offset1:96
	ds_read2_b64 v[16:19], v39 offset1:8
	ds_read2_b64 v[20:23], v39 offset0:16 offset1:24
	ds_read2_b64 v[24:27], v39 offset0:32 offset1:40
	s_waitcnt lgkmcnt(4)
	v_pk_max_f16 v8, v8, v8
	v_pk_max_f16 v2, v2, v2
	;; [unrolled: 1-line block ×3, first 2 shown]
	s_waitcnt lgkmcnt(3)
	v_pk_max_f16 v12, v12, v12
	s_waitcnt lgkmcnt(2)
	v_pk_max_f16 v16, v16, v16
	v_pk_max_f16 v18, v18, v18
	s_waitcnt lgkmcnt(1)
	v_pk_max_f16 v20, v20, v20
	;; [unrolled: 3-line block ×3, first 2 shown]
	v_pk_max_f16 v26, v26, v26
	v_pk_max_f16 v0, v0, v0
	;; [unrolled: 1-line block ×4, first 2 shown]
	v_pk_min_f16 v11, v2, v8
	v_pk_max_f16 v3, v3, v3
	v_pk_max_f16 v34, v13, v13
	v_pk_min_f16 v13, v16, v8
	v_pk_min_f16 v41, v16, v10
	;; [unrolled: 1-line block ×23, first 2 shown]
	v_pk_add_f16 v11, v11, 0
	v_pk_min_f16 v12, v3, v32
	v_pk_max_f16 v35, v15, v15
	v_pk_max_f16 v15, v19, v19
	v_pk_add_f16 v19, v11, v12
	v_pk_add_f16 v8, v8, 0
	v_pk_min_f16 v11, v3, v33
	v_pk_max_f16 v9, v17, v17
	v_pk_add_f16 v11, v8, v11
	v_pk_add_f16 v8, v10, 0
	v_pk_min_f16 v10, v3, v34
	v_pk_min_f16 v12, v9, v32
	v_pk_add_f16 v8, v8, v10
	v_pk_add_f16 v10, v13, 0
	v_pk_max_f16 v14, v14, v14
	v_pk_max_f16 v17, v21, v21
	;; [unrolled: 1-line block ×3, first 2 shown]
	v_pk_add_f16 v23, v10, v12
	v_pk_add_f16 v10, v41, 0
	v_pk_min_f16 v12, v9, v33
	v_pk_min_f16 v16, v16, v14
	;; [unrolled: 1-line block ×3, first 2 shown]
	v_pk_add_f16 v18, v10, v12
	v_pk_add_f16 v10, v42, 0
	v_pk_min_f16 v12, v9, v34
	v_pk_min_f16 v9, v9, v35
	v_pk_add_f16 v13, v10, v12
	v_pk_add_f16 v10, v16, 0
	v_pk_min_f16 v12, v15, v32
	v_pk_add_f16 v9, v10, v9
	v_pk_add_f16 v10, v43, 0
	;; [unrolled: 3-line block ×3, first 2 shown]
	v_pk_min_f16 v12, v15, v33
	v_pk_min_f16 v51, v20, v14
	v_pk_add_f16 v22, v10, v12
	v_pk_add_f16 v10, v45, 0
	v_pk_min_f16 v12, v15, v34
	v_pk_min_f16 v24, v24, v14
	;; [unrolled: 1-line block ×5, first 2 shown]
	v_pk_add_f16 v14, v10, v12
	v_pk_add_f16 v10, v46, 0
	v_pk_min_f16 v12, v15, v35
	v_pk_min_f16 v15, v17, v32
	v_pk_add_f16 v10, v10, v12
	v_pk_add_f16 v12, v47, 0
	v_pk_max_f16 v25, v25, v25
	v_pk_add_f16 v52, v12, v15
	v_pk_add_f16 v12, v49, 0
	v_pk_min_f16 v15, v17, v33
	v_pk_add_f16 v41, v59, 0
	v_pk_add_f16 v20, v12, v15
	;; [unrolled: 1-line block ×3, first 2 shown]
	v_pk_min_f16 v15, v17, v34
	v_pk_add_f16 v24, v24, 0
	v_pk_add_f16 v16, v12, v15
	;; [unrolled: 1-line block ×3, first 2 shown]
	v_pk_min_f16 v15, v17, v35
	v_pk_min_f16 v17, v21, v32
	v_pk_add_f16 v12, v12, v15
	v_pk_add_f16 v15, v53, 0
	;; [unrolled: 1-line block ×5, first 2 shown]
	v_pk_min_f16 v17, v21, v33
	v_pk_add_f16 v43, v64, 0
	v_pk_add_f16 v53, v15, v17
	;; [unrolled: 1-line block ×3, first 2 shown]
	v_pk_min_f16 v17, v21, v34
	v_pk_min_f16 v21, v21, v35
	v_pk_add_f16 v17, v15, v17
	v_pk_add_f16 v15, v57, 0
	v_pk_add_f16 v26, v26, 0
	v_pk_add_f16 v15, v15, v21
	v_pk_min_f16 v21, v25, v32
	v_pk_max_f16 v1, v1, v1
	v_pk_add_f16 v59, v41, v21
	v_pk_add_f16 v21, v60, 0
	v_pk_min_f16 v41, v25, v33
	v_pk_add_f16 v44, v65, 0
	v_pk_add_f16 v54, v21, v41
	v_pk_min_f16 v41, v25, v34
	v_pk_min_f16 v25, v25, v35
	v_pk_add_f16 v21, v61, 0
	v_pk_add_f16 v50, v24, v25
	v_pk_max_f16 v24, v27, v27
	v_pk_add_f16 v21, v21, v41
	v_pk_add_f16 v41, v62, 0
	v_pk_min_f16 v25, v24, v32
	v_pk_add_f16 v45, v66, 0
	v_pk_add_f16 v64, v41, v25
	v_pk_min_f16 v25, v24, v33
	;; [unrolled: 3-line block ×3, first 2 shown]
	v_pk_min_f16 v24, v24, v35
	v_pk_add_f16 v46, v67, 0
	v_pk_add_f16 v51, v26, v24
	v_pk_min_f16 v24, v1, v32
	v_pk_add_f16 v2, v2, 0
	v_pk_add_f16 v65, v44, v24
	;; [unrolled: 3-line block ×3, first 2 shown]
	v_pk_min_f16 v24, v1, v34
	v_pk_min_f16 v1, v1, v35
	v_pk_add_f16 v61, v46, v24
	v_pk_add_f16 v57, v0, v1
	v_pk_min_f16 v0, v3, v35
	s_waitcnt vmcnt(0)
	ds_write_b16 v40, v31 offset:2560
	ds_write_b16 v40, v28 offset:1024
	;; [unrolled: 1-line block ×3, first 2 shown]
	v_pk_add_f16 v55, v2, v0
	s_waitcnt lgkmcnt(0)
	s_barrier
	s_cbranch_scc1 .LBB295_10
; %bb.8:
	v_mov_b32_e32 v0, 0xa00
	v_add_u32_e32 v2, 12, v30
	v_lshl_add_u32 v44, v36, 3, v0
	v_mad_i64_i32 v[0:1], s[4:5], v2, s18, 0
	v_add_u32_e32 v3, 8, v30
	s_add_i32 s2, s10, -8
	v_lshlrev_b64 v[28:29], 1, v[0:1]
	v_mad_i64_i32 v[0:1], s[10:11], v3, s16, 0
	v_lshl_add_u64 v[24:25], v[4:5], 1, s[12:13]
	v_lshlrev_b64 v[30:31], 1, v[0:1]
	v_mad_i64_i32 v[0:1], s[12:13], v3, s18, 0
	s_ashr_i32 s19, s18, 31
	s_ashr_i32 s17, s16, 31
	v_lshlrev_b64 v[32:33], 1, v[0:1]
	v_mad_i64_i32 v[0:1], s[12:13], v2, s16, 0
	v_or_b32_e32 v41, 0x800, v40
	v_add_u32_e32 v42, 0xa00, v40
	v_or_b32_e32 v43, 0x400, v40
	v_add_u32_e32 v45, 0x400, v37
	v_lshl_add_u64 v[26:27], v[6:7], 1, s[14:15]
	s_lshl_b64 s[4:5], s[18:19], 4
	s_lshl_b64 s[10:11], s[16:17], 4
	v_lshlrev_b64 v[34:35], 1, v[0:1]
	s_mov_b32 s12, 0
.LBB295_9:                              ; =>This Inner Loop Header: Depth=1
	v_lshl_add_u64 v[46:47], v[26:27], 0, v[30:31]
	v_lshl_add_u64 v[86:87], v[24:25], 0, v[32:33]
	ds_read2_b64 v[66:69], v44 offset0:48 offset1:56
	ds_read2_b64 v[0:3], v45 offset0:64 offset1:96
	ds_read2_b64 v[70:73], v45 offset1:32
	ds_read2_b64 v[74:77], v44 offset1:8
	ds_read2_b64 v[78:81], v44 offset0:16 offset1:24
	ds_read2_b64 v[82:85], v44 offset0:32 offset1:40
	global_load_ushort v4, v[46:47], off offset:128
	global_load_ushort v5, v[46:47], off
	global_load_ushort v6, v[86:87], off
	s_waitcnt lgkmcnt(3)
	v_pk_max_f16 v7, v70, v70
	s_waitcnt lgkmcnt(2)
	v_pk_max_f16 v46, v74, v74
	v_pk_max_f16 v70, v76, v76
	s_waitcnt lgkmcnt(1)
	v_pk_max_f16 v74, v78, v78
	;; [unrolled: 3-line block ×3, first 2 shown]
	v_pk_max_f16 v80, v84, v84
	v_pk_max_f16 v66, v66, v66
	;; [unrolled: 1-line block ×18, first 2 shown]
	v_pk_min_f16 v82, v46, v7
	v_pk_min_f16 v83, v70, v7
	;; [unrolled: 1-line block ×47, first 2 shown]
	v_pk_add_f16 v7, v19, v7
	v_pk_add_f16 v63, v63, v95
	v_pk_add_f16 v11, v11, v72
	v_pk_add_f16 v72, v60, v101
	v_pk_add_f16 v8, v8, v0
	v_pk_add_f16 v9, v9, v46
	v_pk_add_f16 v46, v50, v78
	v_lshl_add_u64 v[0:1], v[26:27], 0, v[34:35]
	v_pk_min_f16 v70, v70, v2
	v_pk_min_f16 v74, v74, v2
	;; [unrolled: 1-line block ×17, first 2 shown]
	v_pk_add_f16 v23, v23, v82
	v_pk_add_f16 v82, v51, v80
	v_lshl_add_u64 v[2:3], v[24:25], 0, v[28:29]
	v_pk_add_f16 v73, v7, v47
	v_pk_add_f16 v51, v63, v116
	v_pk_add_f16 v63, v72, v123
	v_pk_add_f16 v80, v9, v49
	v_pk_add_f16 v72, v46, v128
	s_waitcnt vmcnt(0)
	ds_write_b16 v41, v6
	ds_write_b16 v40, v5
	ds_write_b16 v40, v4 offset:512
	s_waitcnt lgkmcnt(0)
	s_barrier
	global_load_ushort v46, v[0:1], off offset:128
	global_load_ushort v47, v[0:1], off
	global_load_ushort v49, v[2:3], off
	v_pk_add_f16 v56, v56, v83
	v_pk_add_f16 v52, v52, v84
	;; [unrolled: 1-line block ×42, first 2 shown]
	ds_read2_b64 v[0:3], v39 offset0:48 offset1:56
	ds_read2_b64 v[20:23], v37 offset1:32
	ds_read2_b64 v[12:15], v37 offset0:64 offset1:96
	ds_read2_b64 v[16:19], v39 offset1:8
	ds_read2_b64 v[8:11], v39 offset0:16 offset1:24
	ds_read2_b64 v[4:7], v39 offset0:32 offset1:40
	v_pk_add_f16 v58, v58, v85
	v_pk_add_f16 v55, v69, v108
	;; [unrolled: 1-line block ×8, first 2 shown]
	s_waitcnt lgkmcnt(4)
	v_pk_max_f16 v20, v20, v20
	v_pk_max_f16 v82, v2, v2
	;; [unrolled: 1-line block ×3, first 2 shown]
	s_waitcnt lgkmcnt(3)
	v_pk_max_f16 v12, v12, v12
	s_waitcnt lgkmcnt(2)
	v_pk_max_f16 v16, v16, v16
	v_pk_max_f16 v14, v14, v14
	;; [unrolled: 1-line block ×3, first 2 shown]
	s_waitcnt lgkmcnt(1)
	v_pk_max_f16 v8, v8, v8
	v_pk_max_f16 v10, v10, v10
	s_waitcnt lgkmcnt(0)
	v_pk_max_f16 v83, v4, v4
	v_pk_max_f16 v84, v6, v6
	;; [unrolled: 1-line block ×15, first 2 shown]
	v_pk_min_f16 v96, v16, v20
	v_pk_min_f16 v97, v16, v22
	v_pk_min_f16 v98, v16, v12
	v_pk_min_f16 v99, v16, v14
	v_pk_min_f16 v100, v18, v20
	v_pk_min_f16 v101, v18, v22
	v_pk_min_f16 v102, v18, v12
	v_pk_min_f16 v103, v18, v14
	v_pk_min_f16 v104, v8, v20
	v_pk_min_f16 v105, v8, v22
	v_pk_min_f16 v106, v8, v12
	v_pk_min_f16 v107, v8, v14
	v_pk_min_f16 v108, v10, v20
	v_pk_min_f16 v109, v10, v22
	v_pk_min_f16 v110, v10, v12
	v_pk_min_f16 v111, v10, v14
	v_pk_min_f16 v112, v83, v20
	v_pk_min_f16 v113, v83, v22
	v_pk_min_f16 v114, v83, v12
	v_pk_min_f16 v115, v83, v14
	v_pk_min_f16 v116, v84, v20
	v_pk_min_f16 v117, v84, v22
	v_pk_min_f16 v118, v84, v12
	v_pk_min_f16 v119, v84, v14
	v_pk_min_f16 v120, v82, v20
	v_pk_min_f16 v8, v85, v20
	v_pk_min_f16 v121, v82, v22
	v_pk_min_f16 v11, v85, v22
	v_pk_min_f16 v22, v82, v12
	v_pk_min_f16 v13, v85, v12
	v_pk_min_f16 v18, v85, v14
	v_pk_min_f16 v19, v82, v14
	v_pk_min_f16 v1, v17, v2
	v_pk_min_f16 v5, v17, v4
	v_pk_min_f16 v7, v17, v3
	v_pk_min_f16 v9, v17, v6
	v_pk_min_f16 v10, v15, v2
	v_pk_min_f16 v12, v15, v4
	v_pk_min_f16 v14, v15, v3
	v_pk_min_f16 v15, v15, v6
	v_pk_min_f16 v16, v23, v2
	v_pk_min_f16 v17, v23, v4
	v_pk_min_f16 v21, v23, v3
	v_pk_min_f16 v82, v23, v6
	v_pk_min_f16 v83, v86, v2
	v_pk_min_f16 v84, v86, v4
	v_pk_min_f16 v85, v86, v3
	v_pk_min_f16 v86, v86, v6
	v_pk_min_f16 v87, v90, v2
	v_pk_min_f16 v88, v90, v4
	v_pk_min_f16 v89, v90, v3
	v_pk_min_f16 v90, v90, v6
	v_pk_min_f16 v91, v94, v2
	v_pk_min_f16 v92, v94, v4
	v_pk_min_f16 v93, v94, v3
	v_pk_min_f16 v94, v94, v6
	v_pk_min_f16 v20, v0, v2
	v_pk_min_f16 v2, v95, v2
	v_pk_min_f16 v23, v0, v4
	v_pk_min_f16 v4, v95, v4
	v_pk_min_f16 v122, v0, v3
	v_pk_min_f16 v3, v95, v3
	v_pk_min_f16 v95, v95, v6
	v_pk_min_f16 v0, v0, v6
	v_pk_add_f16 v6, v73, v120
	v_pk_add_f16 v73, v78, v121
	;; [unrolled: 1-line block ×27, first 2 shown]
	s_add_i32 s12, s12, 8
	v_pk_add_f16 v96, v50, v8
	v_pk_add_f16 v97, v51, v11
	;; [unrolled: 1-line block ×5, first 2 shown]
	v_lshl_add_u64 v[24:25], v[24:25], 0, s[4:5]
	v_lshl_add_u64 v[26:27], v[26:27], 0, s[10:11]
	s_cmp_ge_i32 s12, s2
	v_pk_add_f16 v19, v6, v20
	v_pk_add_f16 v11, v73, v23
	;; [unrolled: 1-line block ×32, first 2 shown]
	s_waitcnt vmcnt(0)
	ds_write_b16 v42, v49
	ds_write_b16 v43, v47
	ds_write_b16 v43, v46 offset:512
	s_waitcnt lgkmcnt(0)
	s_barrier
	s_cbranch_scc0 .LBB295_9
.LBB295_10:
	s_load_dwordx2 s[12:13], s[0:1], 0x70
	s_load_dword s10, s[0:1], 0x50
	s_load_dword s11, s[0:1], 0x68
	v_add_u32_e32 v38, 0x800, v38
	ds_read2_b64 v[0:3], v37 offset0:128 offset1:160
	ds_read2_b64 v[4:7], v38 offset0:112 offset1:120
	ds_read2_b64 v[24:27], v37 offset0:192 offset1:224
	s_waitcnt lgkmcnt(0)
	s_mul_i32 s1, s13, s3
	s_mul_hi_u32 s2, s12, s3
	v_pk_max_f16 v0, v0, v0
	v_pk_max_f16 v6, v6, v6
	v_pk_max_f16 v2, v2, v2
	v_pk_min_f16 v28, v6, v0
	v_pk_min_f16 v32, v6, v2
	v_pk_add_f16 v19, v19, v28
	ds_read2_b64 v[28:31], v38 offset0:64 offset1:72
	v_pk_max_f16 v24, v24, v24
	v_pk_add_f16 v49, v11, v32
	v_pk_min_f16 v11, v6, v24
	v_pk_max_f16 v26, v26, v26
	v_pk_add_f16 v66, v8, v11
	s_waitcnt lgkmcnt(0)
	v_pk_max_f16 v8, v28, v28
	ds_read2_b64 v[32:35], v38 offset0:80 offset1:88
	v_pk_min_f16 v11, v8, v0
	v_pk_max_f16 v4, v4, v4
	v_pk_add_f16 v23, v23, v11
	v_pk_min_f16 v11, v8, v2
	v_pk_max_f16 v3, v3, v3
	v_pk_add_f16 v18, v18, v11
	v_pk_min_f16 v11, v8, v24
	v_pk_min_f16 v8, v8, v26
	v_pk_add_f16 v13, v13, v11
	v_pk_add_f16 v28, v9, v8
	v_pk_max_f16 v8, v30, v30
	s_mul_i32 s0, s12, s3
	v_pk_min_f16 v9, v8, v0
	s_add_i32 s1, s2, s1
	v_pk_add_f16 v30, v56, v9
	v_pk_min_f16 v9, v8, v2
	s_lshl_b64 s[0:1], s[0:1], 1
	v_pk_add_f16 v22, v22, v9
	v_pk_min_f16 v9, v8, v24
	v_pk_min_f16 v8, v8, v26
	v_pk_add_f16 v14, v14, v9
	v_pk_add_f16 v56, v10, v8
	s_waitcnt lgkmcnt(0)
	v_pk_max_f16 v8, v32, v32
	v_pk_max_f16 v5, v5, v5
	v_pk_min_f16 v9, v8, v0
	s_add_u32 s2, s6, s0
	v_pk_add_f16 v67, v52, v9
	v_pk_min_f16 v9, v8, v2
	v_pk_min_f16 v87, v5, v3
	v_pk_add_f16 v20, v20, v9
	v_pk_min_f16 v9, v8, v24
	v_pk_min_f16 v8, v8, v26
	v_pk_add_f16 v16, v16, v9
	v_pk_add_f16 v68, v12, v8
	v_pk_max_f16 v12, v34, v34
	v_cmp_neq_f16_e64 s[4:5], s20, 0
	v_pk_min_f16 v8, v12, v0
	v_pk_min_f16 v32, v12, v24
	v_pk_add_f16 v58, v58, v8
	v_pk_min_f16 v8, v12, v2
	v_pk_min_f16 v12, v12, v26
	v_pk_add_f16 v53, v53, v8
	ds_read2_b64 v[8:11], v38 offset0:96 offset1:104
	v_pk_add_f16 v70, v15, v12
	v_pk_max_f16 v15, v27, v27
	v_pk_add_f16 v69, v17, v32
	v_add_u32_e32 v32, s22, v36
	s_waitcnt lgkmcnt(0)
	v_pk_max_f16 v8, v8, v8
	v_pk_min_f16 v89, v5, v15
	v_pk_min_f16 v12, v8, v0
	v_add_u32_e32 v34, 8, v32
	v_pk_add_f16 v59, v59, v12
	v_pk_min_f16 v12, v8, v2
	v_add_u32_e32 v36, 16, v32
	v_pk_add_f16 v54, v54, v12
	v_pk_min_f16 v12, v8, v24
	v_pk_min_f16 v8, v8, v26
	v_pk_add_f16 v71, v21, v12
	v_pk_add_f16 v50, v50, v8
	v_pk_max_f16 v8, v10, v10
	v_add_u32_e32 v38, 24, v32
	v_pk_min_f16 v10, v8, v0
	v_pk_min_f16 v0, v4, v0
	v_pk_add_f16 v64, v64, v10
	v_pk_add_f16 v65, v65, v0
	v_pk_min_f16 v0, v4, v2
	v_pk_min_f16 v10, v8, v2
	v_pk_add_f16 v63, v63, v0
	v_pk_min_f16 v0, v4, v24
	v_pk_add_f16 v62, v62, v10
	v_pk_add_f16 v61, v61, v0
	v_pk_min_f16 v0, v4, v26
	v_pk_min_f16 v10, v8, v24
	v_pk_add_f16 v57, v57, v0
	v_pk_min_f16 v0, v6, v26
	v_pk_max_f16 v6, v25, v25
	v_pk_add_f16 v55, v55, v0
	v_pk_max_f16 v0, v1, v1
	v_pk_max_f16 v1, v7, v7
	;; [unrolled: 1-line block ×3, first 2 shown]
	v_pk_add_f16 v60, v60, v10
	v_pk_min_f16 v10, v7, v0
	v_pk_min_f16 v12, v7, v3
	;; [unrolled: 1-line block ×4, first 2 shown]
	v_pk_max_f16 v7, v31, v31
	v_pk_min_f16 v8, v8, v26
	v_pk_min_f16 v24, v7, v0
	;; [unrolled: 1-line block ×5, first 2 shown]
	v_pk_max_f16 v7, v33, v33
	v_pk_add_f16 v51, v51, v8
	v_pk_min_f16 v29, v7, v0
	v_pk_min_f16 v31, v7, v3
	v_pk_min_f16 v72, v7, v6
	v_pk_min_f16 v73, v7, v15
	v_pk_max_f16 v7, v35, v35
	v_pk_min_f16 v2, v1, v0
	v_pk_min_f16 v74, v7, v0
	v_pk_min_f16 v75, v7, v3
	v_pk_min_f16 v76, v7, v6
	v_pk_min_f16 v77, v7, v15
	v_pk_max_f16 v7, v9, v9
	v_pk_min_f16 v4, v1, v3
	;; [unrolled: 6-line block ×3, first 2 shown]
	v_pk_min_f16 v82, v7, v0
	v_pk_min_f16 v83, v7, v3
	;; [unrolled: 1-line block ×7, first 2 shown]
	v_add_u32_e32 v40, 32, v32
	v_add_u32_e32 v42, 40, v32
	;; [unrolled: 1-line block ×4, first 2 shown]
	s_addc_u32 s3, s7, s1
	v_ashrrev_i32_e32 v33, 31, v32
	v_ashrrev_i32_e32 v35, 31, v34
	v_ashrrev_i32_e32 v37, 31, v36
	v_ashrrev_i32_e32 v39, 31, v38
	v_ashrrev_i32_e32 v41, 31, v40
	v_ashrrev_i32_e32 v43, 31, v42
	v_ashrrev_i32_e32 v45, 31, v44
	v_ashrrev_i32_e32 v47, 31, v46
	v_add_u32_e32 v52, s21, v48
	s_mov_b64 s[6:7], 15
	v_pk_add_f16 v7, v19, v2
	v_pk_add_f16 v15, v49, v4
	;; [unrolled: 1-line block ×32, first 2 shown]
	s_branch .LBB295_12
.LBB295_11:                             ;   in Loop: Header=BB295_12 Depth=1
	s_add_i32 s0, s6, -1
	s_cmp_eq_u32 s0, 1
	s_cselect_b64 vcc, -1, 0
	s_cmp_eq_u32 s0, 2
	v_cndmask_b32_e32 v48, v0, v53, vcc
	s_cselect_b64 vcc, -1, 0
	s_cmp_eq_u32 s0, 3
	v_cndmask_b32_e32 v48, v48, v1, vcc
	;; [unrolled: 3-line block ×62, first 2 shown]
	s_cselect_b64 vcc, -1, 0
	s_cmp_eq_u32 s6, 1
	s_cselect_b64 s[0:1], -1, 0
	s_cmp_eq_u32 s6, 2
	v_cndmask_b32_e64 v49, v0, v53, s[0:1]
	s_cselect_b64 s[0:1], -1, 0
	s_cmp_eq_u32 s6, 3
	v_cndmask_b32_e64 v49, v49, v1, s[0:1]
	s_cselect_b64 s[0:1], -1, 0
	s_cmp_eq_u32 s6, 4
	v_cndmask_b32_e64 v49, v49, v54, s[0:1]
	s_cselect_b64 s[0:1], -1, 0
	s_cmp_eq_u32 s6, 5
	v_cndmask_b32_e64 v49, v49, v4, s[0:1]
	s_cselect_b64 s[0:1], -1, 0
	s_cmp_eq_u32 s6, 6
	v_cndmask_b32_e64 v49, v49, v55, s[0:1]
	s_cselect_b64 s[0:1], -1, 0
	s_cmp_eq_u32 s6, 7
	v_cndmask_b32_e64 v49, v49, v5, s[0:1]
	s_cselect_b64 s[0:1], -1, 0
	s_cmp_eq_u32 s6, 8
	v_cndmask_b32_e64 v49, v49, v56, s[0:1]
	s_cselect_b64 s[0:1], -1, 0
	s_cmp_eq_u32 s6, 9
	v_cndmask_b32_e64 v49, v49, v16, s[0:1]
	s_cselect_b64 s[0:1], -1, 0
	s_cmp_eq_u32 s6, 10
	v_cndmask_b32_e64 v49, v49, v57, s[0:1]
	s_cselect_b64 s[0:1], -1, 0
	s_cmp_eq_u32 s6, 11
	v_cndmask_b32_e64 v49, v49, v23, s[0:1]
	s_cselect_b64 s[0:1], -1, 0
	s_cmp_eq_u32 s6, 12
	v_cndmask_b32_e64 v49, v49, v58, s[0:1]
	s_cselect_b64 s[0:1], -1, 0
	s_cmp_eq_u32 s6, 13
	v_cndmask_b32_e64 v49, v49, v24, s[0:1]
	s_cselect_b64 s[0:1], -1, 0
	s_cmp_eq_u32 s6, 14
	v_cndmask_b32_e64 v49, v49, v59, s[0:1]
	s_cselect_b64 s[0:1], -1, 0
	s_cmp_eq_u32 s6, 15
	v_cndmask_b32_e64 v49, v49, v7, s[0:1]
	s_cselect_b64 s[0:1], -1, 0
	s_cmp_eq_u32 s6, 16
	v_cndmask_b32_e64 v49, v49, v60, s[0:1]
	s_cselect_b64 s[0:1], -1, 0
	s_cmp_eq_u32 s6, 17
	v_cndmask_b32_e64 v49, v49, v8, s[0:1]
	s_cselect_b64 s[0:1], -1, 0
	s_cmp_eq_u32 s6, 18
	v_cndmask_b32_e64 v49, v49, v61, s[0:1]
	s_cselect_b64 s[0:1], -1, 0
	s_cmp_eq_u32 s6, 19
	v_cndmask_b32_e64 v49, v49, v11, s[0:1]
	s_cselect_b64 s[0:1], -1, 0
	s_cmp_eq_u32 s6, 20
	v_cndmask_b32_e64 v49, v49, v62, s[0:1]
	s_cselect_b64 s[0:1], -1, 0
	s_cmp_eq_u32 s6, 21
	v_cndmask_b32_e64 v49, v49, v12, s[0:1]
	s_cselect_b64 s[0:1], -1, 0
	s_cmp_eq_u32 s6, 22
	v_cndmask_b32_e64 v49, v49, v63, s[0:1]
	s_cselect_b64 s[0:1], -1, 0
	s_cmp_eq_u32 s6, 23
	v_cndmask_b32_e64 v49, v49, v17, s[0:1]
	s_cselect_b64 s[0:1], -1, 0
	s_cmp_eq_u32 s6, 24
	v_cndmask_b32_e64 v49, v49, v64, s[0:1]
	s_cselect_b64 s[0:1], -1, 0
	s_cmp_eq_u32 s6, 25
	v_cndmask_b32_e64 v49, v49, v18, s[0:1]
	s_cselect_b64 s[0:1], -1, 0
	s_cmp_eq_u32 s6, 26
	v_cndmask_b32_e64 v49, v49, v65, s[0:1]
	s_cselect_b64 s[0:1], -1, 0
	s_cmp_eq_u32 s6, 27
	v_cndmask_b32_e64 v49, v49, v25, s[0:1]
	s_cselect_b64 s[0:1], -1, 0
	s_cmp_eq_u32 s6, 28
	v_cndmask_b32_e64 v49, v49, v66, s[0:1]
	s_cselect_b64 s[0:1], -1, 0
	s_cmp_eq_u32 s6, 29
	v_cndmask_b32_e64 v49, v49, v26, s[0:1]
	s_cselect_b64 s[0:1], -1, 0
	s_cmp_eq_u32 s6, 30
	v_cndmask_b32_e64 v49, v49, v67, s[0:1]
	s_cselect_b64 s[0:1], -1, 0
	s_cmp_eq_u32 s6, 31
	v_cndmask_b32_e64 v49, v49, v15, s[0:1]
	s_cselect_b64 s[0:1], -1, 0
	s_cmp_eq_u32 s6, 32
	v_cndmask_b32_e64 v49, v49, v68, s[0:1]
	s_cselect_b64 s[0:1], -1, 0
	s_cmp_eq_u32 s6, 33
	v_cndmask_b32_e64 v49, v49, v2, s[0:1]
	s_cselect_b64 s[0:1], -1, 0
	s_cmp_eq_u32 s6, 34
	v_cndmask_b32_e64 v49, v49, v69, s[0:1]
	s_cselect_b64 s[0:1], -1, 0
	s_cmp_eq_u32 s6, 35
	v_cndmask_b32_e64 v49, v49, v3, s[0:1]
	s_cselect_b64 s[0:1], -1, 0
	s_cmp_eq_u32 s6, 36
	v_cndmask_b32_e64 v49, v49, v70, s[0:1]
	s_cselect_b64 s[0:1], -1, 0
	s_cmp_eq_u32 s6, 37
	v_cndmask_b32_e64 v49, v49, v6, s[0:1]
	s_cselect_b64 s[0:1], -1, 0
	s_cmp_eq_u32 s6, 38
	v_cndmask_b32_e64 v49, v49, v71, s[0:1]
	s_cselect_b64 s[0:1], -1, 0
	s_cmp_eq_u32 s6, 39
	v_cndmask_b32_e64 v49, v49, v19, s[0:1]
	s_cselect_b64 s[0:1], -1, 0
	s_cmp_eq_u32 s6, 40
	v_cndmask_b32_e64 v49, v49, v72, s[0:1]
	s_cselect_b64 s[0:1], -1, 0
	s_cmp_eq_u32 s6, 41
	v_cndmask_b32_e64 v49, v49, v20, s[0:1]
	s_cselect_b64 s[0:1], -1, 0
	s_cmp_eq_u32 s6, 42
	v_cndmask_b32_e64 v49, v49, v73, s[0:1]
	s_cselect_b64 s[0:1], -1, 0
	s_cmp_eq_u32 s6, 43
	v_cndmask_b32_e64 v49, v49, v27, s[0:1]
	s_cselect_b64 s[0:1], -1, 0
	s_cmp_eq_u32 s6, 44
	v_cndmask_b32_e64 v49, v49, v74, s[0:1]
	s_cselect_b64 s[0:1], -1, 0
	s_cmp_eq_u32 s6, 45
	v_cndmask_b32_e64 v49, v49, v28, s[0:1]
	s_cselect_b64 s[0:1], -1, 0
	s_cmp_eq_u32 s6, 46
	v_cndmask_b32_e64 v49, v49, v75, s[0:1]
	s_cselect_b64 s[0:1], -1, 0
	s_cmp_eq_u32 s6, 47
	v_cndmask_b32_e64 v49, v49, v9, s[0:1]
	s_cselect_b64 s[0:1], -1, 0
	s_cmp_eq_u32 s6, 48
	v_cndmask_b32_e64 v49, v49, v76, s[0:1]
	s_cselect_b64 s[0:1], -1, 0
	s_cmp_eq_u32 s6, 49
	v_cndmask_b32_e64 v49, v49, v10, s[0:1]
	s_cselect_b64 s[0:1], -1, 0
	s_cmp_eq_u32 s6, 50
	v_cndmask_b32_e64 v49, v49, v77, s[0:1]
	s_cselect_b64 s[0:1], -1, 0
	s_cmp_eq_u32 s6, 51
	v_cndmask_b32_e64 v49, v49, v13, s[0:1]
	s_cselect_b64 s[0:1], -1, 0
	s_cmp_eq_u32 s6, 52
	v_cndmask_b32_e64 v49, v49, v78, s[0:1]
	s_cselect_b64 s[0:1], -1, 0
	s_cmp_eq_u32 s6, 53
	v_cndmask_b32_e64 v49, v49, v14, s[0:1]
	s_cselect_b64 s[0:1], -1, 0
	s_cmp_eq_u32 s6, 54
	v_cndmask_b32_e64 v49, v49, v79, s[0:1]
	s_cselect_b64 s[0:1], -1, 0
	s_cmp_eq_u32 s6, 55
	v_cndmask_b32_e64 v49, v49, v21, s[0:1]
	s_cselect_b64 s[0:1], -1, 0
	s_cmp_eq_u32 s6, 56
	v_cndmask_b32_e64 v49, v49, v80, s[0:1]
	s_cselect_b64 s[0:1], -1, 0
	s_cmp_eq_u32 s6, 57
	v_cndmask_b32_e64 v49, v49, v22, s[0:1]
	s_cselect_b64 s[0:1], -1, 0
	s_cmp_eq_u32 s6, 58
	v_cndmask_b32_e64 v49, v49, v81, s[0:1]
	s_cselect_b64 s[0:1], -1, 0
	s_cmp_eq_u32 s6, 59
	v_cndmask_b32_e64 v49, v49, v29, s[0:1]
	s_cselect_b64 s[0:1], -1, 0
	s_cmp_eq_u32 s6, 60
	v_cndmask_b32_e64 v49, v49, v82, s[0:1]
	s_cselect_b64 s[0:1], -1, 0
	s_cmp_eq_u32 s6, 61
	v_cndmask_b32_e64 v49, v49, v30, s[0:1]
	s_cselect_b64 s[0:1], -1, 0
	s_cmp_eq_u32 s6, 62
	v_cndmask_b32_e64 v49, v49, v83, s[0:1]
	v_cndmask_b32_e32 v48, v48, v84, vcc
	s_cselect_b64 vcc, -1, 0
	s_cmp_eq_u32 s6, 63
	v_cndmask_b32_e32 v49, v49, v31, vcc
	s_cselect_b64 vcc, -1, 0
	v_cndmask_b32_e32 v49, v49, v84, vcc
	s_add_u32 s6, s6, 16
	v_add_f16_e32 v48, v48, v49
	s_addc_u32 s7, s7, 0
	v_add_f16_e32 v53, v48, v85
	v_lshl_add_u64 v[48:49], v[46:47], 1, v[50:51]
	s_cmpk_lg_i32 s6, 0x4f
	v_add_u32_e32 v52, 32, v52
	global_store_short v[48:49], v53, off
	s_cbranch_scc0 .LBB295_28
.LBB295_12:                             ; =>This Inner Loop Header: Depth=1
	v_mad_i64_i32 v[48:49], s[0:1], v52, s10, 0
	v_cndmask_b32_e64 v50, 0, 1, s[4:5]
	v_lshl_add_u64 v[48:49], v[48:49], 1, s[8:9]
	v_mov_b32_e32 v85, 0
	v_cmp_ne_u32_e64 s[0:1], 1, v50
	s_andn2_b64 vcc, exec, s[4:5]
	v_mov_b32_e32 v50, 0
	s_cbranch_vccnz .LBB295_14
; %bb.13:                               ;   in Loop: Header=BB295_12 Depth=1
	v_lshl_add_u64 v[50:51], v[32:33], 1, v[48:49]
	global_load_ushort v50, v[50:51], off
	s_waitcnt vmcnt(0)
	v_mul_f16_e32 v50, s20, v50
.LBB295_14:                             ;   in Loop: Header=BB295_12 Depth=1
	s_add_i32 s12, s6, -15
	s_cmp_eq_u32 s12, 1
	v_lshrrev_b32_e32 v53, 16, v0
	s_cselect_b64 vcc, -1, 0
	s_cmp_eq_u32 s12, 2
	v_cndmask_b32_e32 v51, v0, v53, vcc
	s_cselect_b64 vcc, -1, 0
	s_cmp_eq_u32 s12, 3
	v_cndmask_b32_e32 v51, v51, v1, vcc
	v_lshrrev_b32_e32 v54, 16, v1
	s_cselect_b64 vcc, -1, 0
	s_cmp_eq_u32 s12, 4
	v_cndmask_b32_e32 v51, v51, v54, vcc
	s_cselect_b64 vcc, -1, 0
	s_cmp_eq_u32 s12, 5
	v_cndmask_b32_e32 v51, v51, v4, vcc
	;; [unrolled: 7-line block ×31, first 2 shown]
	s_cselect_b64 vcc, -1, 0
	s_add_i32 s12, s6, -14
	v_lshrrev_b32_e32 v84, 16, v31
	s_cmp_eq_u32 s12, 1
	v_cndmask_b32_e32 v51, v51, v84, vcc
	s_cselect_b64 vcc, -1, 0
	s_cmp_eq_u32 s12, 2
	v_cndmask_b32_e32 v86, v0, v53, vcc
	s_cselect_b64 vcc, -1, 0
	;; [unrolled: 3-line block ×63, first 2 shown]
	v_cndmask_b32_e32 v86, v86, v84, vcc
	v_add_f16_e32 v51, v51, v86
	v_add_f16_e32 v88, v51, v50
	v_mad_i64_i32 v[50:51], s[12:13], v52, s11, 0
	v_lshl_add_u64 v[50:51], v[50:51], 1, s[2:3]
	v_lshl_add_u64 v[86:87], v[32:33], 1, v[50:51]
	s_and_b64 vcc, exec, s[0:1]
	global_store_short v[86:87], v88, off
	s_cbranch_vccnz .LBB295_16
; %bb.15:                               ;   in Loop: Header=BB295_12 Depth=1
	v_lshl_add_u64 v[86:87], v[34:35], 1, v[48:49]
	global_load_ushort v85, v[86:87], off
	s_waitcnt vmcnt(0)
	v_mul_f16_e32 v85, s20, v85
.LBB295_16:                             ;   in Loop: Header=BB295_12 Depth=1
	s_add_i32 s12, s6, -13
	s_cmp_eq_u32 s12, 1
	s_cselect_b64 vcc, -1, 0
	s_cmp_eq_u32 s12, 2
	v_cndmask_b32_e32 v86, v0, v53, vcc
	s_cselect_b64 vcc, -1, 0
	s_cmp_eq_u32 s12, 3
	v_cndmask_b32_e32 v86, v86, v1, vcc
	;; [unrolled: 3-line block ×62, first 2 shown]
	s_cselect_b64 vcc, -1, 0
	s_add_i32 s12, s6, -12
	s_cmp_eq_u32 s12, 1
	v_cndmask_b32_e32 v86, v86, v84, vcc
	s_cselect_b64 vcc, -1, 0
	s_cmp_eq_u32 s12, 2
	v_cndmask_b32_e32 v87, v0, v53, vcc
	s_cselect_b64 vcc, -1, 0
	;; [unrolled: 3-line block ×63, first 2 shown]
	v_cndmask_b32_e32 v87, v87, v84, vcc
	v_add_f16_e32 v86, v86, v87
	v_add_f16_e32 v85, v86, v85
	v_lshl_add_u64 v[86:87], v[34:35], 1, v[50:51]
	global_store_short v[86:87], v85, off
	s_and_b64 vcc, exec, s[0:1]
	v_mov_b32_e32 v85, 0
	v_mov_b32_e32 v86, 0
	s_cbranch_vccnz .LBB295_18
; %bb.17:                               ;   in Loop: Header=BB295_12 Depth=1
	v_lshl_add_u64 v[86:87], v[36:37], 1, v[48:49]
	global_load_ushort v86, v[86:87], off
	s_waitcnt vmcnt(0)
	v_mul_f16_e32 v86, s20, v86
.LBB295_18:                             ;   in Loop: Header=BB295_12 Depth=1
	s_add_i32 s12, s6, -11
	s_cmp_eq_u32 s12, 1
	s_cselect_b64 vcc, -1, 0
	s_cmp_eq_u32 s12, 2
	v_cndmask_b32_e32 v87, v0, v53, vcc
	s_cselect_b64 vcc, -1, 0
	s_cmp_eq_u32 s12, 3
	v_cndmask_b32_e32 v87, v87, v1, vcc
	;; [unrolled: 3-line block ×62, first 2 shown]
	s_cselect_b64 vcc, -1, 0
	s_add_i32 s12, s6, -10
	s_cmp_eq_u32 s12, 1
	v_cndmask_b32_e32 v87, v87, v84, vcc
	s_cselect_b64 vcc, -1, 0
	s_cmp_eq_u32 s12, 2
	v_cndmask_b32_e32 v88, v0, v53, vcc
	s_cselect_b64 vcc, -1, 0
	;; [unrolled: 3-line block ×63, first 2 shown]
	v_cndmask_b32_e32 v88, v88, v84, vcc
	v_add_f16_e32 v87, v87, v88
	v_add_f16_e32 v88, v87, v86
	v_lshl_add_u64 v[86:87], v[36:37], 1, v[50:51]
	s_and_b64 vcc, exec, s[0:1]
	global_store_short v[86:87], v88, off
	s_cbranch_vccnz .LBB295_20
; %bb.19:                               ;   in Loop: Header=BB295_12 Depth=1
	v_lshl_add_u64 v[86:87], v[38:39], 1, v[48:49]
	global_load_ushort v85, v[86:87], off
	s_waitcnt vmcnt(0)
	v_mul_f16_e32 v85, s20, v85
.LBB295_20:                             ;   in Loop: Header=BB295_12 Depth=1
	s_add_i32 s12, s6, -9
	s_cmp_eq_u32 s12, 1
	s_cselect_b64 vcc, -1, 0
	s_cmp_eq_u32 s12, 2
	v_cndmask_b32_e32 v86, v0, v53, vcc
	s_cselect_b64 vcc, -1, 0
	s_cmp_eq_u32 s12, 3
	v_cndmask_b32_e32 v86, v86, v1, vcc
	;; [unrolled: 3-line block ×62, first 2 shown]
	s_cselect_b64 vcc, -1, 0
	s_add_i32 s12, s6, -8
	s_cmp_eq_u32 s12, 1
	v_cndmask_b32_e32 v86, v86, v84, vcc
	s_cselect_b64 vcc, -1, 0
	s_cmp_eq_u32 s12, 2
	v_cndmask_b32_e32 v87, v0, v53, vcc
	s_cselect_b64 vcc, -1, 0
	;; [unrolled: 3-line block ×63, first 2 shown]
	v_cndmask_b32_e32 v87, v87, v84, vcc
	v_add_f16_e32 v86, v86, v87
	v_add_f16_e32 v85, v86, v85
	v_lshl_add_u64 v[86:87], v[38:39], 1, v[50:51]
	global_store_short v[86:87], v85, off
	s_and_b64 vcc, exec, s[0:1]
	v_mov_b32_e32 v85, 0
	v_mov_b32_e32 v86, 0
	s_cbranch_vccnz .LBB295_22
; %bb.21:                               ;   in Loop: Header=BB295_12 Depth=1
	v_lshl_add_u64 v[86:87], v[40:41], 1, v[48:49]
	global_load_ushort v86, v[86:87], off
	s_waitcnt vmcnt(0)
	v_mul_f16_e32 v86, s20, v86
.LBB295_22:                             ;   in Loop: Header=BB295_12 Depth=1
	s_add_i32 s12, s6, -7
	s_cmp_eq_u32 s12, 1
	s_cselect_b64 vcc, -1, 0
	s_cmp_eq_u32 s12, 2
	v_cndmask_b32_e32 v87, v0, v53, vcc
	s_cselect_b64 vcc, -1, 0
	s_cmp_eq_u32 s12, 3
	v_cndmask_b32_e32 v87, v87, v1, vcc
	;; [unrolled: 3-line block ×62, first 2 shown]
	s_cselect_b64 vcc, -1, 0
	s_add_i32 s12, s6, -6
	s_cmp_eq_u32 s12, 1
	v_cndmask_b32_e32 v87, v87, v84, vcc
	s_cselect_b64 vcc, -1, 0
	s_cmp_eq_u32 s12, 2
	v_cndmask_b32_e32 v88, v0, v53, vcc
	s_cselect_b64 vcc, -1, 0
	;; [unrolled: 3-line block ×63, first 2 shown]
	v_cndmask_b32_e32 v88, v88, v84, vcc
	v_add_f16_e32 v87, v87, v88
	v_add_f16_e32 v88, v87, v86
	v_lshl_add_u64 v[86:87], v[40:41], 1, v[50:51]
	s_and_b64 vcc, exec, s[0:1]
	global_store_short v[86:87], v88, off
	s_cbranch_vccnz .LBB295_24
; %bb.23:                               ;   in Loop: Header=BB295_12 Depth=1
	v_lshl_add_u64 v[86:87], v[42:43], 1, v[48:49]
	global_load_ushort v85, v[86:87], off
	s_waitcnt vmcnt(0)
	v_mul_f16_e32 v85, s20, v85
.LBB295_24:                             ;   in Loop: Header=BB295_12 Depth=1
	s_add_i32 s12, s6, -5
	s_cmp_eq_u32 s12, 1
	s_cselect_b64 vcc, -1, 0
	s_cmp_eq_u32 s12, 2
	v_cndmask_b32_e32 v86, v0, v53, vcc
	s_cselect_b64 vcc, -1, 0
	s_cmp_eq_u32 s12, 3
	v_cndmask_b32_e32 v86, v86, v1, vcc
	;; [unrolled: 3-line block ×62, first 2 shown]
	s_cselect_b64 vcc, -1, 0
	s_add_i32 s12, s6, -4
	s_cmp_eq_u32 s12, 1
	v_cndmask_b32_e32 v86, v86, v84, vcc
	s_cselect_b64 vcc, -1, 0
	s_cmp_eq_u32 s12, 2
	v_cndmask_b32_e32 v87, v0, v53, vcc
	s_cselect_b64 vcc, -1, 0
	s_cmp_eq_u32 s12, 3
	v_cndmask_b32_e32 v87, v87, v1, vcc
	s_cselect_b64 vcc, -1, 0
	s_cmp_eq_u32 s12, 4
	v_cndmask_b32_e32 v87, v87, v54, vcc
	s_cselect_b64 vcc, -1, 0
	s_cmp_eq_u32 s12, 5
	v_cndmask_b32_e32 v87, v87, v4, vcc
	s_cselect_b64 vcc, -1, 0
	s_cmp_eq_u32 s12, 6
	v_cndmask_b32_e32 v87, v87, v55, vcc
	s_cselect_b64 vcc, -1, 0
	s_cmp_eq_u32 s12, 7
	v_cndmask_b32_e32 v87, v87, v5, vcc
	s_cselect_b64 vcc, -1, 0
	s_cmp_eq_u32 s12, 8
	v_cndmask_b32_e32 v87, v87, v56, vcc
	s_cselect_b64 vcc, -1, 0
	s_cmp_eq_u32 s12, 9
	v_cndmask_b32_e32 v87, v87, v16, vcc
	s_cselect_b64 vcc, -1, 0
	s_cmp_eq_u32 s12, 10
	v_cndmask_b32_e32 v87, v87, v57, vcc
	s_cselect_b64 vcc, -1, 0
	s_cmp_eq_u32 s12, 11
	v_cndmask_b32_e32 v87, v87, v23, vcc
	s_cselect_b64 vcc, -1, 0
	s_cmp_eq_u32 s12, 12
	v_cndmask_b32_e32 v87, v87, v58, vcc
	s_cselect_b64 vcc, -1, 0
	s_cmp_eq_u32 s12, 13
	v_cndmask_b32_e32 v87, v87, v24, vcc
	s_cselect_b64 vcc, -1, 0
	s_cmp_eq_u32 s12, 14
	v_cndmask_b32_e32 v87, v87, v59, vcc
	s_cselect_b64 vcc, -1, 0
	s_cmp_eq_u32 s12, 15
	v_cndmask_b32_e32 v87, v87, v7, vcc
	s_cselect_b64 vcc, -1, 0
	s_cmp_eq_u32 s12, 16
	v_cndmask_b32_e32 v87, v87, v60, vcc
	s_cselect_b64 vcc, -1, 0
	s_cmp_eq_u32 s12, 17
	v_cndmask_b32_e32 v87, v87, v8, vcc
	s_cselect_b64 vcc, -1, 0
	s_cmp_eq_u32 s12, 18
	v_cndmask_b32_e32 v87, v87, v61, vcc
	s_cselect_b64 vcc, -1, 0
	s_cmp_eq_u32 s12, 19
	v_cndmask_b32_e32 v87, v87, v11, vcc
	s_cselect_b64 vcc, -1, 0
	s_cmp_eq_u32 s12, 20
	v_cndmask_b32_e32 v87, v87, v62, vcc
	s_cselect_b64 vcc, -1, 0
	s_cmp_eq_u32 s12, 21
	v_cndmask_b32_e32 v87, v87, v12, vcc
	s_cselect_b64 vcc, -1, 0
	s_cmp_eq_u32 s12, 22
	v_cndmask_b32_e32 v87, v87, v63, vcc
	s_cselect_b64 vcc, -1, 0
	s_cmp_eq_u32 s12, 23
	v_cndmask_b32_e32 v87, v87, v17, vcc
	s_cselect_b64 vcc, -1, 0
	s_cmp_eq_u32 s12, 24
	v_cndmask_b32_e32 v87, v87, v64, vcc
	s_cselect_b64 vcc, -1, 0
	s_cmp_eq_u32 s12, 25
	v_cndmask_b32_e32 v87, v87, v18, vcc
	s_cselect_b64 vcc, -1, 0
	s_cmp_eq_u32 s12, 26
	v_cndmask_b32_e32 v87, v87, v65, vcc
	s_cselect_b64 vcc, -1, 0
	s_cmp_eq_u32 s12, 27
	v_cndmask_b32_e32 v87, v87, v25, vcc
	s_cselect_b64 vcc, -1, 0
	s_cmp_eq_u32 s12, 28
	v_cndmask_b32_e32 v87, v87, v66, vcc
	s_cselect_b64 vcc, -1, 0
	s_cmp_eq_u32 s12, 29
	v_cndmask_b32_e32 v87, v87, v26, vcc
	s_cselect_b64 vcc, -1, 0
	s_cmp_eq_u32 s12, 30
	v_cndmask_b32_e32 v87, v87, v67, vcc
	s_cselect_b64 vcc, -1, 0
	s_cmp_eq_u32 s12, 31
	v_cndmask_b32_e32 v87, v87, v15, vcc
	s_cselect_b64 vcc, -1, 0
	s_cmp_eq_u32 s12, 32
	v_cndmask_b32_e32 v87, v87, v68, vcc
	s_cselect_b64 vcc, -1, 0
	s_cmp_eq_u32 s12, 33
	v_cndmask_b32_e32 v87, v87, v2, vcc
	s_cselect_b64 vcc, -1, 0
	s_cmp_eq_u32 s12, 34
	v_cndmask_b32_e32 v87, v87, v69, vcc
	s_cselect_b64 vcc, -1, 0
	s_cmp_eq_u32 s12, 35
	v_cndmask_b32_e32 v87, v87, v3, vcc
	s_cselect_b64 vcc, -1, 0
	s_cmp_eq_u32 s12, 36
	v_cndmask_b32_e32 v87, v87, v70, vcc
	s_cselect_b64 vcc, -1, 0
	s_cmp_eq_u32 s12, 37
	v_cndmask_b32_e32 v87, v87, v6, vcc
	s_cselect_b64 vcc, -1, 0
	s_cmp_eq_u32 s12, 38
	v_cndmask_b32_e32 v87, v87, v71, vcc
	s_cselect_b64 vcc, -1, 0
	s_cmp_eq_u32 s12, 39
	v_cndmask_b32_e32 v87, v87, v19, vcc
	s_cselect_b64 vcc, -1, 0
	s_cmp_eq_u32 s12, 40
	v_cndmask_b32_e32 v87, v87, v72, vcc
	s_cselect_b64 vcc, -1, 0
	s_cmp_eq_u32 s12, 41
	v_cndmask_b32_e32 v87, v87, v20, vcc
	s_cselect_b64 vcc, -1, 0
	s_cmp_eq_u32 s12, 42
	v_cndmask_b32_e32 v87, v87, v73, vcc
	s_cselect_b64 vcc, -1, 0
	s_cmp_eq_u32 s12, 43
	v_cndmask_b32_e32 v87, v87, v27, vcc
	s_cselect_b64 vcc, -1, 0
	s_cmp_eq_u32 s12, 44
	v_cndmask_b32_e32 v87, v87, v74, vcc
	s_cselect_b64 vcc, -1, 0
	s_cmp_eq_u32 s12, 45
	v_cndmask_b32_e32 v87, v87, v28, vcc
	s_cselect_b64 vcc, -1, 0
	s_cmp_eq_u32 s12, 46
	v_cndmask_b32_e32 v87, v87, v75, vcc
	s_cselect_b64 vcc, -1, 0
	s_cmp_eq_u32 s12, 47
	v_cndmask_b32_e32 v87, v87, v9, vcc
	s_cselect_b64 vcc, -1, 0
	s_cmp_eq_u32 s12, 48
	v_cndmask_b32_e32 v87, v87, v76, vcc
	s_cselect_b64 vcc, -1, 0
	s_cmp_eq_u32 s12, 49
	v_cndmask_b32_e32 v87, v87, v10, vcc
	s_cselect_b64 vcc, -1, 0
	s_cmp_eq_u32 s12, 50
	v_cndmask_b32_e32 v87, v87, v77, vcc
	s_cselect_b64 vcc, -1, 0
	s_cmp_eq_u32 s12, 51
	v_cndmask_b32_e32 v87, v87, v13, vcc
	s_cselect_b64 vcc, -1, 0
	s_cmp_eq_u32 s12, 52
	v_cndmask_b32_e32 v87, v87, v78, vcc
	s_cselect_b64 vcc, -1, 0
	s_cmp_eq_u32 s12, 53
	v_cndmask_b32_e32 v87, v87, v14, vcc
	s_cselect_b64 vcc, -1, 0
	s_cmp_eq_u32 s12, 54
	v_cndmask_b32_e32 v87, v87, v79, vcc
	s_cselect_b64 vcc, -1, 0
	s_cmp_eq_u32 s12, 55
	v_cndmask_b32_e32 v87, v87, v21, vcc
	s_cselect_b64 vcc, -1, 0
	s_cmp_eq_u32 s12, 56
	v_cndmask_b32_e32 v87, v87, v80, vcc
	s_cselect_b64 vcc, -1, 0
	s_cmp_eq_u32 s12, 57
	v_cndmask_b32_e32 v87, v87, v22, vcc
	s_cselect_b64 vcc, -1, 0
	s_cmp_eq_u32 s12, 58
	v_cndmask_b32_e32 v87, v87, v81, vcc
	s_cselect_b64 vcc, -1, 0
	s_cmp_eq_u32 s12, 59
	v_cndmask_b32_e32 v87, v87, v29, vcc
	s_cselect_b64 vcc, -1, 0
	s_cmp_eq_u32 s12, 60
	v_cndmask_b32_e32 v87, v87, v82, vcc
	s_cselect_b64 vcc, -1, 0
	s_cmp_eq_u32 s12, 61
	v_cndmask_b32_e32 v87, v87, v30, vcc
	s_cselect_b64 vcc, -1, 0
	s_cmp_eq_u32 s12, 62
	v_cndmask_b32_e32 v87, v87, v83, vcc
	s_cselect_b64 vcc, -1, 0
	s_cmp_eq_u32 s12, 63
	v_cndmask_b32_e32 v87, v87, v31, vcc
	s_cselect_b64 vcc, -1, 0
	v_cndmask_b32_e32 v87, v87, v84, vcc
	v_add_f16_e32 v86, v86, v87
	v_add_f16_e32 v85, v86, v85
	v_lshl_add_u64 v[86:87], v[42:43], 1, v[50:51]
	global_store_short v[86:87], v85, off
	s_and_b64 vcc, exec, s[0:1]
	v_mov_b32_e32 v85, 0
	v_mov_b32_e32 v86, 0
	s_cbranch_vccnz .LBB295_26
; %bb.25:                               ;   in Loop: Header=BB295_12 Depth=1
	v_lshl_add_u64 v[86:87], v[44:45], 1, v[48:49]
	global_load_ushort v86, v[86:87], off
	s_waitcnt vmcnt(0)
	v_mul_f16_e32 v86, s20, v86
.LBB295_26:                             ;   in Loop: Header=BB295_12 Depth=1
	s_add_i32 s12, s6, -3
	s_cmp_eq_u32 s12, 1
	s_cselect_b64 vcc, -1, 0
	s_cmp_eq_u32 s12, 2
	v_cndmask_b32_e32 v87, v0, v53, vcc
	s_cselect_b64 vcc, -1, 0
	s_cmp_eq_u32 s12, 3
	v_cndmask_b32_e32 v87, v87, v1, vcc
	;; [unrolled: 3-line block ×62, first 2 shown]
	s_cselect_b64 vcc, -1, 0
	s_add_i32 s12, s6, -2
	s_cmp_eq_u32 s12, 1
	v_cndmask_b32_e32 v87, v87, v84, vcc
	s_cselect_b64 vcc, -1, 0
	s_cmp_eq_u32 s12, 2
	v_cndmask_b32_e32 v88, v0, v53, vcc
	s_cselect_b64 vcc, -1, 0
	;; [unrolled: 3-line block ×63, first 2 shown]
	v_cndmask_b32_e32 v88, v88, v84, vcc
	v_add_f16_e32 v87, v87, v88
	v_add_f16_e32 v88, v87, v86
	v_lshl_add_u64 v[86:87], v[44:45], 1, v[50:51]
	s_and_b64 vcc, exec, s[0:1]
	global_store_short v[86:87], v88, off
	s_cbranch_vccnz .LBB295_11
; %bb.27:                               ;   in Loop: Header=BB295_12 Depth=1
	v_lshl_add_u64 v[48:49], v[46:47], 1, v[48:49]
	global_load_ushort v48, v[48:49], off
	s_waitcnt vmcnt(0)
	v_mul_f16_e32 v85, s20, v48
	s_branch .LBB295_11
.LBB295_28:
	s_endpgm
.LBB295_29:
	s_mov_b64 s[12:13], 0
	s_andn2_b64 vcc, exec, s[8:9]
	s_mov_b64 s[4:5], -1
	s_cbranch_vccz .LBB295_2
	s_branch .LBB295_3
	.section	.rodata,"a",@progbits
	.p2align	6, 0x0
	.amdhsa_kernel _ZN12_GLOBAL__N_120geam_min_plus_kernelIDF16_Dv2_DF16_S1_Li8ELi32ELi64ELi128ELi4ELi64ELi4ELi64ELi4ELc78ELc84ELb1ELb0ELb0EDF16_KDF16_DF16_EEviiiT16_PT17_ilS5_ilS3_S5_ilPT18_ili26rocblas_geam_ex_operation_
		.amdhsa_group_segment_fixed_size 3072
		.amdhsa_private_segment_fixed_size 0
		.amdhsa_kernarg_size 128
		.amdhsa_user_sgpr_count 2
		.amdhsa_user_sgpr_dispatch_ptr 0
		.amdhsa_user_sgpr_queue_ptr 0
		.amdhsa_user_sgpr_kernarg_segment_ptr 1
		.amdhsa_user_sgpr_dispatch_id 0
		.amdhsa_user_sgpr_kernarg_preload_length 0
		.amdhsa_user_sgpr_kernarg_preload_offset 0
		.amdhsa_user_sgpr_private_segment_size 0
		.amdhsa_uses_dynamic_stack 0
		.amdhsa_enable_private_segment 0
		.amdhsa_system_sgpr_workgroup_id_x 1
		.amdhsa_system_sgpr_workgroup_id_y 0
		.amdhsa_system_sgpr_workgroup_id_z 1
		.amdhsa_system_sgpr_workgroup_info 0
		.amdhsa_system_vgpr_workitem_id 1
		.amdhsa_next_free_vgpr 132
		.amdhsa_next_free_sgpr 23
		.amdhsa_accum_offset 132
		.amdhsa_reserve_vcc 1
		.amdhsa_float_round_mode_32 0
		.amdhsa_float_round_mode_16_64 0
		.amdhsa_float_denorm_mode_32 3
		.amdhsa_float_denorm_mode_16_64 3
		.amdhsa_dx10_clamp 1
		.amdhsa_ieee_mode 1
		.amdhsa_fp16_overflow 0
		.amdhsa_tg_split 0
		.amdhsa_exception_fp_ieee_invalid_op 0
		.amdhsa_exception_fp_denorm_src 0
		.amdhsa_exception_fp_ieee_div_zero 0
		.amdhsa_exception_fp_ieee_overflow 0
		.amdhsa_exception_fp_ieee_underflow 0
		.amdhsa_exception_fp_ieee_inexact 0
		.amdhsa_exception_int_div_zero 0
	.end_amdhsa_kernel
	.section	.text._ZN12_GLOBAL__N_120geam_min_plus_kernelIDF16_Dv2_DF16_S1_Li8ELi32ELi64ELi128ELi4ELi64ELi4ELi64ELi4ELc78ELc84ELb1ELb0ELb0EDF16_KDF16_DF16_EEviiiT16_PT17_ilS5_ilS3_S5_ilPT18_ili26rocblas_geam_ex_operation_,"axG",@progbits,_ZN12_GLOBAL__N_120geam_min_plus_kernelIDF16_Dv2_DF16_S1_Li8ELi32ELi64ELi128ELi4ELi64ELi4ELi64ELi4ELc78ELc84ELb1ELb0ELb0EDF16_KDF16_DF16_EEviiiT16_PT17_ilS5_ilS3_S5_ilPT18_ili26rocblas_geam_ex_operation_,comdat
.Lfunc_end295:
	.size	_ZN12_GLOBAL__N_120geam_min_plus_kernelIDF16_Dv2_DF16_S1_Li8ELi32ELi64ELi128ELi4ELi64ELi4ELi64ELi4ELc78ELc84ELb1ELb0ELb0EDF16_KDF16_DF16_EEviiiT16_PT17_ilS5_ilS3_S5_ilPT18_ili26rocblas_geam_ex_operation_, .Lfunc_end295-_ZN12_GLOBAL__N_120geam_min_plus_kernelIDF16_Dv2_DF16_S1_Li8ELi32ELi64ELi128ELi4ELi64ELi4ELi64ELi4ELc78ELc84ELb1ELb0ELb0EDF16_KDF16_DF16_EEviiiT16_PT17_ilS5_ilS3_S5_ilPT18_ili26rocblas_geam_ex_operation_
                                        ; -- End function
	.set _ZN12_GLOBAL__N_120geam_min_plus_kernelIDF16_Dv2_DF16_S1_Li8ELi32ELi64ELi128ELi4ELi64ELi4ELi64ELi4ELc78ELc84ELb1ELb0ELb0EDF16_KDF16_DF16_EEviiiT16_PT17_ilS5_ilS3_S5_ilPT18_ili26rocblas_geam_ex_operation_.num_vgpr, 132
	.set _ZN12_GLOBAL__N_120geam_min_plus_kernelIDF16_Dv2_DF16_S1_Li8ELi32ELi64ELi128ELi4ELi64ELi4ELi64ELi4ELc78ELc84ELb1ELb0ELb0EDF16_KDF16_DF16_EEviiiT16_PT17_ilS5_ilS3_S5_ilPT18_ili26rocblas_geam_ex_operation_.num_agpr, 0
	.set _ZN12_GLOBAL__N_120geam_min_plus_kernelIDF16_Dv2_DF16_S1_Li8ELi32ELi64ELi128ELi4ELi64ELi4ELi64ELi4ELc78ELc84ELb1ELb0ELb0EDF16_KDF16_DF16_EEviiiT16_PT17_ilS5_ilS3_S5_ilPT18_ili26rocblas_geam_ex_operation_.numbered_sgpr, 23
	.set _ZN12_GLOBAL__N_120geam_min_plus_kernelIDF16_Dv2_DF16_S1_Li8ELi32ELi64ELi128ELi4ELi64ELi4ELi64ELi4ELc78ELc84ELb1ELb0ELb0EDF16_KDF16_DF16_EEviiiT16_PT17_ilS5_ilS3_S5_ilPT18_ili26rocblas_geam_ex_operation_.num_named_barrier, 0
	.set _ZN12_GLOBAL__N_120geam_min_plus_kernelIDF16_Dv2_DF16_S1_Li8ELi32ELi64ELi128ELi4ELi64ELi4ELi64ELi4ELc78ELc84ELb1ELb0ELb0EDF16_KDF16_DF16_EEviiiT16_PT17_ilS5_ilS3_S5_ilPT18_ili26rocblas_geam_ex_operation_.private_seg_size, 0
	.set _ZN12_GLOBAL__N_120geam_min_plus_kernelIDF16_Dv2_DF16_S1_Li8ELi32ELi64ELi128ELi4ELi64ELi4ELi64ELi4ELc78ELc84ELb1ELb0ELb0EDF16_KDF16_DF16_EEviiiT16_PT17_ilS5_ilS3_S5_ilPT18_ili26rocblas_geam_ex_operation_.uses_vcc, 1
	.set _ZN12_GLOBAL__N_120geam_min_plus_kernelIDF16_Dv2_DF16_S1_Li8ELi32ELi64ELi128ELi4ELi64ELi4ELi64ELi4ELc78ELc84ELb1ELb0ELb0EDF16_KDF16_DF16_EEviiiT16_PT17_ilS5_ilS3_S5_ilPT18_ili26rocblas_geam_ex_operation_.uses_flat_scratch, 0
	.set _ZN12_GLOBAL__N_120geam_min_plus_kernelIDF16_Dv2_DF16_S1_Li8ELi32ELi64ELi128ELi4ELi64ELi4ELi64ELi4ELc78ELc84ELb1ELb0ELb0EDF16_KDF16_DF16_EEviiiT16_PT17_ilS5_ilS3_S5_ilPT18_ili26rocblas_geam_ex_operation_.has_dyn_sized_stack, 0
	.set _ZN12_GLOBAL__N_120geam_min_plus_kernelIDF16_Dv2_DF16_S1_Li8ELi32ELi64ELi128ELi4ELi64ELi4ELi64ELi4ELc78ELc84ELb1ELb0ELb0EDF16_KDF16_DF16_EEviiiT16_PT17_ilS5_ilS3_S5_ilPT18_ili26rocblas_geam_ex_operation_.has_recursion, 0
	.set _ZN12_GLOBAL__N_120geam_min_plus_kernelIDF16_Dv2_DF16_S1_Li8ELi32ELi64ELi128ELi4ELi64ELi4ELi64ELi4ELc78ELc84ELb1ELb0ELb0EDF16_KDF16_DF16_EEviiiT16_PT17_ilS5_ilS3_S5_ilPT18_ili26rocblas_geam_ex_operation_.has_indirect_call, 0
	.section	.AMDGPU.csdata,"",@progbits
; Kernel info:
; codeLenInByte = 19416
; TotalNumSgprs: 29
; NumVgprs: 132
; NumAgprs: 0
; TotalNumVgprs: 132
; ScratchSize: 0
; MemoryBound: 0
; FloatMode: 240
; IeeeMode: 1
; LDSByteSize: 3072 bytes/workgroup (compile time only)
; SGPRBlocks: 3
; VGPRBlocks: 16
; NumSGPRsForWavesPerEU: 29
; NumVGPRsForWavesPerEU: 132
; AccumOffset: 132
; Occupancy: 3
; WaveLimiterHint : 1
; COMPUTE_PGM_RSRC2:SCRATCH_EN: 0
; COMPUTE_PGM_RSRC2:USER_SGPR: 2
; COMPUTE_PGM_RSRC2:TRAP_HANDLER: 0
; COMPUTE_PGM_RSRC2:TGID_X_EN: 1
; COMPUTE_PGM_RSRC2:TGID_Y_EN: 0
; COMPUTE_PGM_RSRC2:TGID_Z_EN: 1
; COMPUTE_PGM_RSRC2:TIDIG_COMP_CNT: 1
; COMPUTE_PGM_RSRC3_GFX90A:ACCUM_OFFSET: 32
; COMPUTE_PGM_RSRC3_GFX90A:TG_SPLIT: 0
	.section	.text._ZN12_GLOBAL__N_120geam_min_plus_kernelIDF16_Dv2_DF16_S1_Li8ELi32ELi64ELi128ELi4ELi64ELi4ELi64ELi4ELc78ELc84ELb0ELb0ELb0EDF16_KDF16_DF16_EEviiiT16_PT17_ilS5_ilS3_S5_ilPT18_ili26rocblas_geam_ex_operation_,"axG",@progbits,_ZN12_GLOBAL__N_120geam_min_plus_kernelIDF16_Dv2_DF16_S1_Li8ELi32ELi64ELi128ELi4ELi64ELi4ELi64ELi4ELc78ELc84ELb0ELb0ELb0EDF16_KDF16_DF16_EEviiiT16_PT17_ilS5_ilS3_S5_ilPT18_ili26rocblas_geam_ex_operation_,comdat
	.globl	_ZN12_GLOBAL__N_120geam_min_plus_kernelIDF16_Dv2_DF16_S1_Li8ELi32ELi64ELi128ELi4ELi64ELi4ELi64ELi4ELc78ELc84ELb0ELb0ELb0EDF16_KDF16_DF16_EEviiiT16_PT17_ilS5_ilS3_S5_ilPT18_ili26rocblas_geam_ex_operation_ ; -- Begin function _ZN12_GLOBAL__N_120geam_min_plus_kernelIDF16_Dv2_DF16_S1_Li8ELi32ELi64ELi128ELi4ELi64ELi4ELi64ELi4ELc78ELc84ELb0ELb0ELb0EDF16_KDF16_DF16_EEviiiT16_PT17_ilS5_ilS3_S5_ilPT18_ili26rocblas_geam_ex_operation_
	.p2align	8
	.type	_ZN12_GLOBAL__N_120geam_min_plus_kernelIDF16_Dv2_DF16_S1_Li8ELi32ELi64ELi128ELi4ELi64ELi4ELi64ELi4ELc78ELc84ELb0ELb0ELb0EDF16_KDF16_DF16_EEviiiT16_PT17_ilS5_ilS3_S5_ilPT18_ili26rocblas_geam_ex_operation_,@function
_ZN12_GLOBAL__N_120geam_min_plus_kernelIDF16_Dv2_DF16_S1_Li8ELi32ELi64ELi128ELi4ELi64ELi4ELi64ELi4ELc78ELc84ELb0ELb0ELb0EDF16_KDF16_DF16_EEviiiT16_PT17_ilS5_ilS3_S5_ilPT18_ili26rocblas_geam_ex_operation_: ; @_ZN12_GLOBAL__N_120geam_min_plus_kernelIDF16_Dv2_DF16_S1_Li8ELi32ELi64ELi128ELi4ELi64ELi4ELi64ELi4ELc78ELc84ELb0ELb0ELb0EDF16_KDF16_DF16_EEviiiT16_PT17_ilS5_ilS3_S5_ilPT18_ili26rocblas_geam_ex_operation_
; %bb.0:
	s_load_dwordx2 s[14:15], s[0:1], 0x8
	s_load_dwordx4 s[8:11], s[0:1], 0x20
	s_waitcnt lgkmcnt(0)
	v_cmp_eq_f16_e64 s[4:5], s15, 0
	s_and_b64 s[6:7], exec, s[4:5]
	s_mov_b64 vcc, s[6:7]
	s_cbranch_vccnz .LBB296_10
; %bb.1:
	s_load_dwordx2 s[12:13], s[0:1], 0x10
	s_mul_i32 s9, s9, s3
	s_mul_hi_u32 s16, s8, s3
	s_add_i32 s9, s16, s9
	s_mul_i32 s8, s8, s3
	s_lshl_b64 s[8:9], s[8:9], 1
	s_waitcnt lgkmcnt(0)
	s_add_u32 s16, s12, s8
	s_addc_u32 s17, s13, s9
	s_andn2_b64 vcc, exec, s[4:5]
	s_mov_b64 s[4:5], -1
	s_cbranch_vccnz .LBB296_3
.LBB296_2:
	s_mov_b64 s[4:5], 0
.LBB296_3:
	s_mov_b64 s[12:13], 0
	s_andn2_b64 vcc, exec, s[4:5]
	s_mov_b64 s[18:19], 0
	s_cbranch_vccnz .LBB296_5
; %bb.4:
	s_load_dwordx2 s[4:5], s[0:1], 0x38
	s_waitcnt lgkmcnt(0)
	s_mul_i32 s5, s5, s3
	s_mul_hi_u32 s8, s4, s3
	s_add_i32 s5, s8, s5
	s_mul_i32 s4, s4, s3
	s_lshl_b64 s[4:5], s[4:5], 1
	s_add_u32 s18, s10, s4
	s_addc_u32 s19, s11, s5
.LBB296_5:
	s_load_dword s26, s[0:1], 0x40
	s_load_dwordx4 s[8:11], s[0:1], 0x58
	v_cmp_neq_f16_e64 s[24:25], s15, 0
	s_waitcnt lgkmcnt(0)
	v_cmp_eq_f16_e64 s[4:5], s26, 0
	s_and_b64 vcc, exec, s[4:5]
	s_cbranch_vccnz .LBB296_7
; %bb.6:
	s_load_dwordx2 s[4:5], s[0:1], 0x48
	s_mul_i32 s9, s9, s3
	s_mul_hi_u32 s12, s8, s3
	s_add_i32 s9, s12, s9
	s_mul_i32 s8, s8, s3
	s_lshl_b64 s[8:9], s[8:9], 1
	s_waitcnt lgkmcnt(0)
	s_add_u32 s12, s4, s8
	s_addc_u32 s13, s5, s9
.LBB296_7:
	s_load_dword s4, s[0:1], 0x0
	s_load_dword s22, s[0:1], 0x18
	;; [unrolled: 1-line block ×3, first 2 shown]
	v_and_b32_e32 v36, 0x3ff, v0
	v_bfe_u32 v48, v0, 10, 10
	s_waitcnt lgkmcnt(0)
	s_add_i32 s4, s4, -1
	s_ashr_i32 s5, s4, 31
	s_lshr_b32 s5, s5, 26
	s_add_i32 s4, s4, s5
	s_ashr_i32 s4, s4, 6
	s_add_i32 s5, s4, 1
	v_cvt_f32_u32_e32 v1, s5
	s_not_b32 s4, s4
	s_ashr_i32 s23, s22, 31
	s_ashr_i32 s21, s20, 31
	v_rcp_iflag_f32_e32 v0, v1
	v_lshl_add_u32 v1, v48, 3, v36
	v_and_b32_e32 v4, 63, v1
	v_lshrrev_b32_e32 v5, 6, v1
	v_mul_f32_e32 v0, 0x4f7ffffe, v0
	v_cvt_u32_f32_e32 v0, v0
	v_mov_b32_e32 v8, 0
	v_readfirstlane_b32 s8, v0
	s_mul_i32 s4, s4, s8
	s_mul_hi_u32 s4, s8, s4
	s_add_i32 s8, s8, s4
	s_mul_hi_u32 s4, s2, s8
	s_mul_i32 s8, s4, s5
	s_sub_i32 s8, s2, s8
	s_add_i32 s9, s4, 1
	s_sub_i32 s27, s8, s5
	s_cmp_ge_u32 s8, s5
	s_cselect_b32 s4, s9, s4
	s_cselect_b32 s8, s27, s8
	s_add_i32 s9, s4, 1
	s_cmp_ge_u32 s8, s5
	s_cselect_b32 s4, s9, s4
	s_mul_i32 s8, s4, s5
	s_lshl_b32 s27, s4, 7
	s_sub_i32 s4, s2, s8
	s_lshl_b32 s28, s4, 6
	v_cndmask_b32_e64 v0, 0, 1, s[24:25]
	v_cmp_ne_u32_e64 s[4:5], 1, v0
	v_or_b32_e32 v2, s28, v4
	v_or_b32_e32 v0, s27, v4
	s_andn2_b64 vcc, exec, s[24:25]
	v_ashrrev_i32_e32 v3, 31, v2
	v_ashrrev_i32_e32 v1, 31, v0
	s_cbranch_vccnz .LBB296_11
; %bb.8:
	v_mad_i64_i32 v[6:7], s[24:25], s22, v5, 0
	v_lshl_add_u64 v[6:7], v[6:7], 1, s[16:17]
	v_lshl_add_u64 v[6:7], v[2:3], 1, v[6:7]
	global_load_ushort v9, v[6:7], off
	v_mad_i64_i32 v[6:7], s[24:25], s20, v5, 0
	v_lshl_add_u64 v[6:7], v[6:7], 1, s[18:19]
	v_lshl_add_u64 v[6:7], v[0:1], 1, v[6:7]
	global_load_ushort v10, v[6:7], off
	global_load_ushort v11, v[6:7], off offset:128
	s_waitcnt vmcnt(2)
	v_mul_f16_e32 v9, s15, v9
	s_waitcnt vmcnt(1)
	v_mul_f16_e32 v6, s15, v10
	v_pack_b32_f16 v6, v6, 0
	s_waitcnt vmcnt(0)
	v_mul_f16_e32 v7, s15, v11
	s_and_b64 vcc, exec, s[4:5]
	s_cbranch_vccnz .LBB296_12
.LBB296_9:
	v_add_u32_e32 v8, 4, v5
	v_mad_i64_i32 v[10:11], s[4:5], s22, v8, 0
	v_lshl_add_u64 v[10:11], v[10:11], 1, s[16:17]
	v_lshl_add_u64 v[2:3], v[2:3], 1, v[10:11]
	global_load_ushort v10, v[2:3], off
	v_mad_i64_i32 v[2:3], s[4:5], s20, v8, 0
	v_lshl_add_u64 v[2:3], v[2:3], 1, s[18:19]
	v_lshl_add_u64 v[0:1], v[0:1], 1, v[2:3]
	global_load_ushort v2, v[0:1], off
	global_load_ushort v3, v[0:1], off offset:128
	s_waitcnt vmcnt(2)
	v_mul_f16_e32 v8, s15, v10
	s_waitcnt vmcnt(1)
	v_mul_f16_e32 v0, s15, v2
	v_pack_b32_f16 v1, v0, 0
	s_waitcnt vmcnt(0)
	v_mul_f16_e32 v2, s15, v3
	s_branch .LBB296_13
.LBB296_10:
	s_mov_b64 s[16:17], 0
	s_andn2_b64 vcc, exec, s[4:5]
	s_mov_b64 s[4:5], -1
	s_cbranch_vccz .LBB296_2
	s_branch .LBB296_3
.LBB296_11:
	v_mov_b32_e32 v6, 0
	v_mov_b32_e32 v9, 0
	;; [unrolled: 1-line block ×3, first 2 shown]
	s_and_b64 vcc, exec, s[4:5]
	s_cbranch_vccz .LBB296_9
.LBB296_12:
	v_mov_b32_e32 v1, 0
	v_mov_b32_e32 v2, 0
.LBB296_13:
	v_lshlrev_b32_e32 v0, 3, v4
	v_lshl_add_u32 v39, v5, 1, v0
	v_lshlrev_b32_e32 v38, 3, v36
	v_lshlrev_b32_e32 v37, 3, v48
	ds_write_b16 v39, v9 offset:2048
	ds_write_b16 v39, v6
	ds_write_b16 v39, v7 offset:512
	s_waitcnt lgkmcnt(0)
	s_barrier
	ds_read2_b64 v[10:13], v37 offset1:32
	v_add_u32_e32 v40, 0x800, v38
	ds_read2_b64 v[14:17], v40 offset0:48 offset1:56
	ds_read2_b64 v[18:21], v37 offset0:64 offset1:96
	ds_read2_b64 v[22:25], v40 offset1:8
	ds_read2_b64 v[26:29], v40 offset0:16 offset1:24
	ds_read2_b64 v[30:33], v40 offset0:32 offset1:40
	s_waitcnt lgkmcnt(5)
	v_pk_max_f16 v0, v10, v10
	s_waitcnt lgkmcnt(4)
	v_pk_max_f16 v3, v16, v16
	v_pk_max_f16 v10, v12, v12
	v_pk_min_f16 v9, v3, v0
	s_waitcnt lgkmcnt(3)
	v_pk_max_f16 v12, v18, v18
	s_waitcnt lgkmcnt(2)
	v_pk_max_f16 v16, v22, v22
	v_pk_max_f16 v20, v20, v20
	v_pk_max_f16 v24, v24, v24
	s_waitcnt lgkmcnt(1)
	v_pk_max_f16 v26, v26, v26
	v_pk_max_f16 v28, v28, v28
	;; [unrolled: 4-line block ×3, first 2 shown]
	v_pk_max_f16 v14, v14, v14
	v_pk_max_f16 v17, v17, v17
	v_pk_min_f16 v18, v16, v0
	v_pk_min_f16 v22, v16, v10
	;; [unrolled: 1-line block ×16, first 2 shown]
	v_pk_max_f16 v13, v13, v13
	v_pk_min_f16 v60, v30, v0
	v_pk_min_f16 v61, v30, v10
	;; [unrolled: 1-line block ×15, first 2 shown]
	v_pk_add_f16 v9, v9, 0
	v_pk_min_f16 v20, v17, v11
	v_pk_max_f16 v19, v19, v19
	v_pk_add_f16 v44, v9, v20
	v_pk_add_f16 v9, v41, 0
	v_pk_min_f16 v20, v17, v13
	v_pk_max_f16 v23, v23, v23
	v_pk_add_f16 v41, v9, v20
	;; [unrolled: 4-line block ×6, first 2 shown]
	v_pk_add_f16 v9, v16, 0
	v_pk_min_f16 v16, v23, v21
	v_pk_add_f16 v23, v60, 0
	v_pk_add_f16 v47, v9, v16
	v_pk_add_f16 v9, v35, 0
	v_pk_min_f16 v16, v25, v11
	v_pk_add_f16 v18, v58, 0
	v_pk_add_f16 v50, v9, v16
	;; [unrolled: 4-line block ×7, first 2 shown]
	v_pk_add_f16 v9, v56, 0
	v_pk_min_f16 v16, v27, v19
	v_pk_min_f16 v27, v27, v21
	v_pk_add_f16 v55, v9, v16
	v_pk_add_f16 v9, v26, 0
	;; [unrolled: 1-line block ×4, first 2 shown]
	v_pk_min_f16 v9, v29, v11
	v_pk_add_f16 v26, v30, 0
	v_pk_add_f16 v61, v16, v9
	v_pk_min_f16 v9, v29, v13
	v_pk_add_f16 v30, v64, 0
	v_pk_add_f16 v63, v18, v9
	;; [unrolled: 3-line block ×4, first 2 shown]
	v_pk_max_f16 v9, v31, v31
	v_pk_add_f16 v0, v0, 0
	v_pk_min_f16 v16, v9, v11
	v_pk_add_f16 v10, v10, 0
	v_pk_add_f16 v57, v23, v16
	v_pk_min_f16 v16, v9, v13
	v_pk_add_f16 v12, v12, 0
	v_pk_add_f16 v59, v24, v16
	v_pk_min_f16 v16, v9, v19
	v_pk_min_f16 v9, v9, v21
	v_pk_add_f16 v62, v25, v16
	v_pk_add_f16 v64, v26, v9
	v_pk_max_f16 v9, v33, v33
	v_pk_add_f16 v14, v14, 0
	v_pk_min_f16 v16, v9, v11
	v_pk_add_f16 v3, v3, 0
	v_pk_add_f16 v65, v28, v16
	v_pk_min_f16 v16, v9, v13
	s_cmp_lt_i32 s14, 9
	v_pk_add_f16 v66, v30, v16
	v_pk_min_f16 v16, v9, v19
	v_pk_min_f16 v9, v9, v21
	v_pk_add_f16 v67, v34, v16
	v_pk_add_f16 v68, v32, v9
	v_pk_max_f16 v9, v15, v15
	ds_write_b16 v39, v8 offset:2560
	ds_write_b16 v39, v1 offset:1024
	;; [unrolled: 1-line block ×3, first 2 shown]
	v_pk_min_f16 v11, v9, v11
	s_waitcnt lgkmcnt(0)
	v_pk_add_f16 v69, v0, v11
	v_pk_min_f16 v0, v9, v13
	s_barrier
	v_pk_add_f16 v70, v10, v0
	v_pk_min_f16 v0, v9, v19
	s_nop 0
	v_pk_add_f16 v71, v12, v0
	v_pk_min_f16 v0, v9, v21
	s_nop 0
	;; [unrolled: 3-line block ×3, first 2 shown]
	v_pk_add_f16 v73, v3, v0
	s_cbranch_scc1 .LBB296_24
; %bb.14:
	s_mov_b32 s24, 0x5040100
	v_perm_b32 v84, v2, v1, s24
	v_mov_b32_e32 v1, 0xa00
	v_lshl_add_u32 v77, v36, 3, v1
	v_mov_b32_e32 v1, 0x400
	v_lshl_add_u32 v78, v48, 3, v1
	v_add_u32_e32 v1, 12, v5
	v_mad_i64_i32 v[2:3], s[4:5], v1, s22, 0
	v_lshlrev_b64 v[24:25], 1, v[2:3]
	v_lshl_or_b32 v2, s2, 6, v4
	s_lshl_b32 s2, s8, 6
	v_subrev_u32_e32 v2, s2, v2
	v_ashrrev_i32_e32 v3, 31, v2
	v_add_u32_e32 v5, 8, v5
	v_lshl_add_u64 v[26:27], v[2:3], 1, s[16:17]
	v_mad_i64_i32 v[2:3], s[8:9], v5, s20, 0
	v_lshlrev_b64 v[28:29], 1, v[2:3]
	v_add_u32_e32 v2, s27, v4
	v_ashrrev_i32_e32 v3, 31, v2
	v_lshl_add_u64 v[2:3], v[2:3], 1, s[18:19]
	s_mov_b64 s[8:9], 0x80
	v_lshl_add_u64 v[30:31], v[2:3], 0, s[8:9]
	v_mad_i64_i32 v[2:3], s[16:17], v5, s22, 0
	v_lshlrev_b64 v[32:33], 1, v[2:3]
	v_mad_i64_i32 v[2:3], s[16:17], v1, s20, 0
	v_or_b32_e32 v74, 0x800, v39
	v_add_u32_e32 v75, 0xa00, v39
	v_or_b32_e32 v76, 0x400, v39
	s_add_i32 s14, s14, -8
	v_perm_b32 v0, v7, v6, s24
	s_lshl_b64 s[4:5], s[22:23], 4
	s_lshl_b64 s[8:9], s[20:21], 4
	v_lshlrev_b64 v[34:35], 1, v[2:3]
	s_mov_b32 s2, 0
	s_mov_b32 s18, 0xffff
	s_branch .LBB296_16
.LBB296_15:                             ;   in Loop: Header=BB296_16 Depth=1
	v_pk_max_f16 v2, v2, v2
	v_pk_max_f16 v20, v20, v20
	;; [unrolled: 1-line block ×10, first 2 shown]
	v_pk_min_f16 v90, v8, v20
	v_pk_max_f16 v21, v21, v21
	v_pk_max_f16 v23, v23, v23
	v_pk_min_f16 v91, v8, v22
	v_pk_min_f16 v92, v8, v16
	;; [unrolled: 1-line block ×3, first 2 shown]
	v_pk_max_f16 v17, v17, v17
	v_pk_max_f16 v19, v19, v19
	;; [unrolled: 1-line block ×9, first 2 shown]
	v_pk_min_f16 v96, v4, v20
	v_pk_max_f16 v0, v0, v0
	v_pk_max_f16 v3, v3, v3
	;; [unrolled: 1-line block ×3, first 2 shown]
	v_pk_min_f16 v97, v4, v22
	v_pk_min_f16 v98, v4, v16
	;; [unrolled: 1-line block ×59, first 2 shown]
	v_pk_add_f16 v3, v44, v102
	v_pk_add_f16 v8, v60, v8
	;; [unrolled: 1-line block ×25, first 2 shown]
	ds_read2_b64 v[2:5], v40 offset0:48 offset1:56
	ds_read2_b64 v[6:9], v37 offset1:32
	v_pk_add_f16 v42, v42, v84
	v_pk_add_f16 v12, v47, v12
	;; [unrolled: 1-line block ×3, first 2 shown]
	s_waitcnt lgkmcnt(1)
	v_pk_max_f16 v4, v4, v4
	s_waitcnt lgkmcnt(0)
	v_pk_max_f16 v6, v6, v6
	v_pk_add_f16 v18, v42, v18
	v_pk_add_f16 v42, v44, v105
	;; [unrolled: 1-line block ×6, first 2 shown]
	ds_read2_b64 v[10:13], v37 offset0:64 offset1:96
	v_pk_min_f16 v14, v4, v6
	v_pk_add_f16 v22, v22, v23
	v_pk_add_f16 v23, v16, v17
	v_pk_add_f16 v63, v63, v14
	ds_read2_b64 v[14:17], v40 offset1:8
	v_pk_add_f16 v41, v41, v103
	v_pk_max_f16 v8, v8, v8
	v_pk_add_f16 v43, v43, v104
	v_pk_add_f16 v41, v41, v123
	;; [unrolled: 1-line block ×3, first 2 shown]
	v_pk_min_f16 v19, v4, v8
	s_waitcnt lgkmcnt(1)
	v_pk_max_f16 v10, v10, v10
	v_pk_add_f16 v43, v43, v124
	v_pk_add_f16 v41, v41, v19
	v_pk_min_f16 v19, v4, v10
	s_waitcnt lgkmcnt(0)
	v_pk_max_f16 v14, v14, v14
	v_pk_add_f16 v43, v43, v19
	v_pk_min_f16 v19, v14, v6
	v_pk_add_f16 v0, v72, v0
	v_pk_add_f16 v72, v18, v19
	v_pk_min_f16 v18, v14, v8
	v_pk_max_f16 v16, v16, v16
	v_pk_add_f16 v73, v42, v18
	v_pk_min_f16 v18, v14, v10
	v_pk_add_f16 v47, v53, v88
	v_pk_add_f16 v46, v46, v107
	;; [unrolled: 1-line block ×3, first 2 shown]
	v_perm_b32 v0, v83, v82, s24
	v_pk_add_f16 v82, v44, v18
	v_pk_min_f16 v18, v16, v6
	v_pk_add_f16 v47, v47, v108
	v_pk_add_f16 v83, v46, v18
	v_pk_min_f16 v18, v16, v8
	v_pk_add_f16 v71, v20, v21
	v_pk_add_f16 v84, v47, v18
	ds_read2_b64 v[18:21], v40 offset0:16 offset1:24
	v_pk_add_f16 v49, v49, v89
	v_pk_min_f16 v42, v16, v10
	v_pk_add_f16 v49, v49, v109
	v_pk_add_f16 v50, v50, v110
	s_waitcnt lgkmcnt(0)
	v_pk_max_f16 v18, v18, v18
	v_pk_add_f16 v49, v49, v42
	v_pk_min_f16 v42, v18, v6
	v_pk_add_f16 v51, v51, v111
	v_pk_max_f16 v12, v12, v12
	v_pk_add_f16 v85, v50, v42
	v_pk_min_f16 v42, v18, v8
	v_pk_min_f16 v16, v16, v12
	v_pk_add_f16 v86, v51, v42
	v_pk_min_f16 v42, v18, v10
	v_pk_min_f16 v18, v18, v12
	v_pk_add_f16 v53, v61, v93
	v_pk_add_f16 v60, v66, v100
	;; [unrolled: 1-line block ×5, first 2 shown]
	ds_read2_b64 v[64:67], v40 offset0:32 offset1:40
	v_pk_add_f16 v52, v52, v112
	v_pk_max_f16 v20, v20, v20
	v_pk_add_f16 v53, v53, v113
	v_pk_add_f16 v87, v52, v42
	v_pk_min_f16 v42, v20, v6
	v_pk_add_f16 v54, v54, v114
	v_pk_add_f16 v88, v53, v42
	v_pk_min_f16 v42, v20, v8
	;; [unrolled: 3-line block ×3, first 2 shown]
	v_pk_add_f16 v56, v56, v116
	v_pk_add_f16 v90, v55, v42
	s_waitcnt lgkmcnt(0)
	v_pk_max_f16 v42, v64, v64
	v_pk_add_f16 v57, v57, v117
	v_pk_min_f16 v44, v42, v6
	v_pk_min_f16 v20, v20, v12
	v_pk_add_f16 v64, v56, v44
	v_pk_min_f16 v44, v42, v8
	v_pk_add_f16 v20, v68, v20
	v_pk_add_f16 v68, v57, v44
	v_pk_min_f16 v44, v42, v10
	v_pk_min_f16 v42, v42, v12
	v_pk_add_f16 v58, v58, v118
	v_pk_add_f16 v69, v69, v42
	v_pk_max_f16 v42, v66, v66
	v_pk_add_f16 v59, v59, v119
	v_pk_add_f16 v91, v58, v44
	v_pk_min_f16 v44, v42, v6
	v_pk_add_f16 v60, v60, v120
	v_pk_add_f16 v66, v59, v44
	v_pk_min_f16 v44, v42, v8
	v_pk_max_f16 v2, v2, v2
	v_pk_add_f16 v92, v60, v44
	v_pk_min_f16 v44, v42, v10
	v_pk_min_f16 v6, v2, v6
	;; [unrolled: 1-line block ×5, first 2 shown]
	v_pk_add_f16 v61, v61, v121
	v_pk_add_f16 v1, v1, v2
	v_pk_min_f16 v2, v4, v12
	v_pk_max_f16 v4, v5, v5
	v_pk_max_f16 v5, v7, v7
	v_pk_add_f16 v93, v61, v44
	v_pk_min_f16 v7, v4, v5
	v_pk_min_f16 v14, v14, v12
	v_pk_add_f16 v44, v63, v7
	v_pk_max_f16 v7, v9, v9
	v_pk_min_f16 v42, v42, v12
	v_pk_min_f16 v9, v4, v7
	v_pk_add_f16 v70, v70, v42
	v_pk_add_f16 v41, v41, v9
	v_pk_max_f16 v9, v11, v11
	v_pk_add_f16 v14, v45, v14
	v_pk_min_f16 v11, v4, v9
	v_pk_add_f16 v2, v62, v2
	v_pk_add_f16 v43, v43, v11
	v_pk_max_f16 v11, v15, v15
	v_pk_max_f16 v3, v3, v3
	v_pk_min_f16 v12, v11, v5
	v_pk_add_f16 v6, v71, v6
	v_pk_add_f16 v42, v72, v12
	v_pk_min_f16 v12, v11, v7
	v_pk_add_f16 v8, v22, v8
	v_pk_add_f16 v45, v73, v12
	v_pk_min_f16 v12, v11, v9
	v_pk_add_f16 v10, v23, v10
	v_pk_add_f16 v46, v82, v12
	v_pk_max_f16 v12, v13, v13
	s_add_i32 s2, s2, 8
	v_pk_min_f16 v11, v11, v12
	v_lshl_add_u64 v[26:27], v[26:27], 0, s[4:5]
	v_pk_add_f16 v47, v14, v11
	v_pk_max_f16 v11, v17, v17
	s_cmp_ge_i32 s2, s14
	v_pk_min_f16 v13, v11, v5
	v_lshl_add_u64 v[30:31], v[30:31], 0, s[8:9]
	v_pk_add_f16 v50, v83, v13
	v_pk_min_f16 v13, v11, v7
	ds_write_b16 v75, v80
	ds_write_b16 v76, v79
	ds_write_b16 v76, v81 offset:512
	v_pk_add_f16 v53, v84, v13
	v_pk_min_f16 v13, v11, v9
	v_pk_min_f16 v11, v11, v12
	v_pk_add_f16 v49, v49, v13
	v_pk_add_f16 v52, v16, v11
	v_pk_max_f16 v11, v19, v19
	v_perm_b32 v84, v81, v79, s24
	v_pk_min_f16 v13, v11, v5
	s_waitcnt lgkmcnt(0)
	v_pk_add_f16 v51, v85, v13
	v_pk_min_f16 v13, v11, v7
	s_barrier
	v_pk_add_f16 v54, v86, v13
	v_pk_min_f16 v13, v11, v9
	v_pk_min_f16 v11, v11, v12
	v_pk_add_f16 v55, v87, v13
	v_pk_add_f16 v60, v18, v11
	v_pk_max_f16 v11, v21, v21
	s_nop 0
	v_pk_min_f16 v13, v11, v5
	s_nop 0
	v_pk_add_f16 v61, v88, v13
	v_pk_min_f16 v13, v11, v7
	s_nop 0
	v_pk_add_f16 v63, v89, v13
	v_pk_min_f16 v13, v11, v9
	v_pk_min_f16 v11, v11, v12
	v_pk_add_f16 v56, v90, v13
	v_pk_add_f16 v58, v20, v11
	v_pk_max_f16 v11, v65, v65
	s_nop 0
	v_pk_min_f16 v13, v11, v5
	s_nop 0
	v_pk_add_f16 v57, v64, v13
	v_pk_min_f16 v13, v11, v7
	s_nop 0
	v_pk_add_f16 v59, v68, v13
	v_pk_min_f16 v13, v11, v9
	v_pk_min_f16 v11, v11, v12
	v_pk_add_f16 v62, v91, v13
	v_pk_add_f16 v64, v69, v11
	v_pk_max_f16 v11, v67, v67
	s_nop 0
	v_pk_min_f16 v13, v11, v5
	v_pk_min_f16 v5, v3, v5
	v_pk_add_f16 v65, v66, v13
	v_pk_min_f16 v13, v11, v7
	v_pk_add_f16 v69, v6, v5
	v_pk_add_f16 v66, v92, v13
	v_pk_min_f16 v13, v11, v9
	v_pk_min_f16 v11, v11, v12
	;; [unrolled: 1-line block ×3, first 2 shown]
	v_pk_add_f16 v68, v70, v11
	v_pk_add_f16 v70, v8, v5
	v_pk_min_f16 v5, v3, v9
	v_pk_min_f16 v3, v3, v12
	v_pk_add_f16 v67, v93, v13
	v_pk_add_f16 v72, v1, v3
	v_pk_min_f16 v1, v4, v12
	v_pk_add_f16 v71, v10, v5
	v_pk_add_f16 v73, v2, v1
	s_cbranch_scc1 .LBB296_24
.LBB296_16:                             ; =>This Inner Loop Header: Depth=1
	s_mov_b64 s[16:17], -1
	s_mov_b64 vcc, s[6:7]
                                        ; implicit-def: $vgpr82
	s_cbranch_vccz .LBB296_18
; %bb.17:                               ;   in Loop: Header=BB296_16 Depth=1
	v_and_b32_e32 v82, 0xffff0000, v0
	s_mov_b64 s[16:17], 0
.LBB296_18:                             ;   in Loop: Header=BB296_16 Depth=1
	v_mov_b32_e32 v79, 0
	s_andn2_b64 vcc, exec, s[16:17]
	v_mov_b32_e32 v83, 0
	s_cbranch_vccnz .LBB296_20
; %bb.19:                               ;   in Loop: Header=BB296_16 Depth=1
	v_lshl_add_u64 v[2:3], v[26:27], 0, v[32:33]
	global_load_ushort v1, v[2:3], off
	v_lshl_add_u64 v[2:3], v[30:31], 0, v[28:29]
	global_load_ushort v4, v[2:3], off offset:-128
	global_load_ushort v5, v[2:3], off
	s_waitcnt vmcnt(2)
	v_mul_f16_e32 v79, s15, v1
	s_waitcnt vmcnt(1)
	v_mul_f16_e32 v1, s15, v4
	v_bfi_b32 v82, s18, v1, v0
	s_waitcnt vmcnt(0)
	v_mul_f16_e32 v83, s15, v5
.LBB296_20:                             ;   in Loop: Header=BB296_16 Depth=1
	ds_read2_b64 v[0:3], v77 offset0:48 offset1:56
	ds_read2_b64 v[16:19], v78 offset0:64 offset1:96
	ds_read2_b64 v[20:23], v78 offset1:32
	ds_read2_b64 v[12:15], v77 offset1:8
	ds_read2_b64 v[8:11], v77 offset0:16 offset1:24
	ds_read2_b64 v[4:7], v77 offset0:32 offset1:40
	s_mov_b64 s[16:17], -1
	s_mov_b64 vcc, s[6:7]
	ds_write_b16 v74, v79
	ds_write_b16 v39, v82
	ds_write_b16 v39, v83 offset:512
	s_waitcnt lgkmcnt(0)
	s_barrier
                                        ; implicit-def: $vgpr79
	s_cbranch_vccz .LBB296_22
; %bb.21:                               ;   in Loop: Header=BB296_16 Depth=1
	v_and_b32_e32 v79, 0xffff0000, v84
	s_mov_b64 s[16:17], 0
.LBB296_22:                             ;   in Loop: Header=BB296_16 Depth=1
	v_mov_b32_e32 v80, 0
	s_andn2_b64 vcc, exec, s[16:17]
	v_mov_b32_e32 v81, 0
	s_cbranch_vccnz .LBB296_15
; %bb.23:                               ;   in Loop: Header=BB296_16 Depth=1
	v_lshl_add_u64 v[80:81], v[26:27], 0, v[24:25]
	global_load_ushort v79, v[80:81], off
	v_lshl_add_u64 v[80:81], v[30:31], 0, v[34:35]
	global_load_ushort v85, v[80:81], off offset:-128
	global_load_ushort v86, v[80:81], off
	s_waitcnt vmcnt(2)
	v_mul_f16_e32 v80, s15, v79
	s_waitcnt vmcnt(1)
	v_mul_f16_e32 v79, s15, v85
	v_bfi_b32 v79, s18, v79, v84
	s_waitcnt vmcnt(0)
	v_mul_f16_e32 v81, s15, v86
	s_branch .LBB296_15
.LBB296_24:
	s_load_dwordx2 s[6:7], s[0:1], 0x70
	s_load_dword s8, s[0:1], 0x50
	s_load_dword s9, s[0:1], 0x68
	v_add_u32_e32 v12, 0x800, v38
	ds_read2_b64 v[0:3], v37 offset0:128 offset1:160
	ds_read2_b64 v[4:7], v12 offset0:112 offset1:120
	;; [unrolled: 1-line block ×4, first 2 shown]
	s_waitcnt lgkmcnt(0)
	s_mul_i32 s1, s7, s3
	v_pk_max_f16 v2, v2, v2
	v_pk_max_f16 v6, v6, v6
	;; [unrolled: 1-line block ×4, first 2 shown]
	v_pk_min_f16 v15, v6, v8
	v_pk_max_f16 v10, v10, v10
	v_pk_add_f16 v28, v43, v15
	v_pk_max_f16 v15, v16, v16
	v_pk_max_f16 v4, v4, v4
	v_pk_min_f16 v20, v15, v2
	v_pk_min_f16 v16, v15, v0
	v_pk_add_f16 v29, v45, v20
	v_pk_min_f16 v20, v15, v8
	v_pk_min_f16 v15, v15, v10
	v_pk_add_f16 v30, v46, v20
	v_pk_add_f16 v31, v47, v15
	v_pk_max_f16 v15, v18, v18
	v_pk_min_f16 v13, v6, v0
	v_pk_min_f16 v18, v15, v0
	;; [unrolled: 1-line block ×3, first 2 shown]
	v_pk_add_f16 v18, v50, v18
	v_pk_add_f16 v50, v53, v20
	ds_read2_b64 v[20:23], v12 offset0:80 offset1:88
	v_pk_min_f16 v24, v15, v8
	v_pk_min_f16 v15, v15, v10
	v_pk_add_f16 v49, v49, v24
	v_pk_add_f16 v53, v52, v15
	s_waitcnt lgkmcnt(0)
	v_pk_max_f16 v15, v20, v20
	v_pk_add_f16 v13, v44, v13
	v_pk_min_f16 v20, v15, v0
	v_pk_min_f16 v24, v15, v2
	v_pk_add_f16 v20, v51, v20
	v_pk_add_f16 v51, v54, v24
	v_pk_min_f16 v24, v15, v8
	v_pk_min_f16 v15, v15, v10
	v_pk_add_f16 v54, v55, v24
	v_pk_add_f16 v55, v60, v15
	v_pk_max_f16 v15, v22, v22
	v_pk_min_f16 v14, v6, v2
	v_pk_min_f16 v24, v15, v2
	;; [unrolled: 1-line block ×3, first 2 shown]
	v_pk_add_f16 v60, v63, v24
	ds_read2_b64 v[24:27], v12 offset0:96 offset1:104
	v_pk_min_f16 v12, v15, v8
	v_pk_add_f16 v22, v61, v22
	v_pk_add_f16 v56, v56, v12
	v_pk_min_f16 v12, v15, v10
	v_pk_add_f16 v14, v41, v14
	v_pk_add_f16 v58, v58, v12
	s_waitcnt lgkmcnt(0)
	v_pk_max_f16 v12, v24, v24
	s_mul_hi_u32 s2, s6, s3
	v_pk_min_f16 v15, v12, v0
	s_mul_i32 s0, s6, s3
	v_pk_add_f16 v24, v57, v15
	v_pk_min_f16 v15, v12, v2
	s_add_i32 s1, s2, s1
	v_pk_add_f16 v57, v59, v15
	v_pk_min_f16 v15, v12, v8
	v_pk_min_f16 v12, v12, v10
	v_pk_add_f16 v59, v62, v15
	v_pk_add_f16 v61, v64, v12
	v_pk_max_f16 v12, v26, v26
	s_lshl_b64 s[0:1], s[0:1], 1
	v_pk_min_f16 v15, v12, v0
	v_pk_min_f16 v0, v4, v0
	v_pk_add_f16 v26, v65, v15
	v_pk_min_f16 v15, v12, v2
	v_pk_add_f16 v65, v69, v0
	;; [unrolled: 2-line block ×7, first 2 shown]
	v_pk_add_f16 v68, v72, v0
	v_pk_min_f16 v0, v6, v10
	v_pk_max_f16 v11, v11, v11
	v_pk_add_f16 v69, v73, v0
	v_pk_max_f16 v0, v1, v1
	v_pk_max_f16 v1, v7, v7
	;; [unrolled: 1-line block ×3, first 2 shown]
	v_pk_min_f16 v2, v1, v0
	v_pk_max_f16 v19, v21, v21
	v_pk_add_f16 v7, v13, v2
	v_pk_max_f16 v2, v3, v3
	v_pk_max_f16 v23, v23, v23
	v_pk_min_f16 v3, v1, v2
	v_pk_max_f16 v25, v25, v25
	v_pk_add_f16 v15, v14, v3
	v_pk_max_f16 v3, v9, v9
	v_pk_max_f16 v27, v27, v27
	v_pk_min_f16 v4, v1, v3
	v_pk_max_f16 v5, v5, v5
	v_pk_add_f16 v9, v28, v4
	v_pk_max_f16 v4, v17, v17
	v_add_u32_e32 v32, s28, v36
	s_add_u32 s2, s10, s0
	v_pk_add_f16 v16, v42, v16
	v_pk_min_f16 v6, v4, v0
	v_pk_min_f16 v8, v4, v2
	;; [unrolled: 1-line block ×29, first 2 shown]
	v_add_u32_e32 v34, 8, v32
	v_add_u32_e32 v36, 16, v32
	;; [unrolled: 1-line block ×7, first 2 shown]
	v_cmp_neq_f16_e64 s[4:5], s26, 0
	s_addc_u32 s3, s11, s1
	v_ashrrev_i32_e32 v33, 31, v32
	v_ashrrev_i32_e32 v35, 31, v34
	;; [unrolled: 1-line block ×8, first 2 shown]
	v_add_u32_e32 v52, s27, v48
	s_mov_b64 s[6:7], 15
	v_pk_add_f16 v0, v16, v6
	v_pk_add_f16 v8, v29, v8
	;; [unrolled: 1-line block ×29, first 2 shown]
	s_branch .LBB296_26
.LBB296_25:                             ;   in Loop: Header=BB296_26 Depth=1
	s_add_i32 s0, s6, -1
	s_cmp_eq_u32 s0, 1
	s_cselect_b64 vcc, -1, 0
	s_cmp_eq_u32 s0, 2
	v_cndmask_b32_e32 v48, v0, v53, vcc
	s_cselect_b64 vcc, -1, 0
	s_cmp_eq_u32 s0, 3
	v_cndmask_b32_e32 v48, v48, v1, vcc
	;; [unrolled: 3-line block ×62, first 2 shown]
	s_cselect_b64 vcc, -1, 0
	s_cmp_eq_u32 s6, 1
	s_cselect_b64 s[0:1], -1, 0
	s_cmp_eq_u32 s6, 2
	v_cndmask_b32_e64 v49, v0, v53, s[0:1]
	s_cselect_b64 s[0:1], -1, 0
	s_cmp_eq_u32 s6, 3
	v_cndmask_b32_e64 v49, v49, v1, s[0:1]
	;; [unrolled: 3-line block ×61, first 2 shown]
	v_cndmask_b32_e32 v48, v48, v84, vcc
	s_cselect_b64 vcc, -1, 0
	s_cmp_eq_u32 s6, 63
	v_cndmask_b32_e32 v49, v49, v31, vcc
	s_cselect_b64 vcc, -1, 0
	v_cndmask_b32_e32 v49, v49, v84, vcc
	s_add_u32 s6, s6, 16
	v_add_f16_e32 v48, v48, v49
	s_addc_u32 s7, s7, 0
	v_add_f16_e32 v53, v48, v85
	v_lshl_add_u64 v[48:49], v[46:47], 1, v[50:51]
	s_cmpk_lg_i32 s6, 0x4f
	v_add_u32_e32 v52, 32, v52
	global_store_short v[48:49], v53, off
	s_cbranch_scc0 .LBB296_42
.LBB296_26:                             ; =>This Inner Loop Header: Depth=1
	v_mad_i64_i32 v[48:49], s[0:1], v52, s8, 0
	v_cndmask_b32_e64 v50, 0, 1, s[4:5]
	v_lshl_add_u64 v[48:49], v[48:49], 1, s[12:13]
	v_mov_b32_e32 v85, 0
	v_cmp_ne_u32_e64 s[0:1], 1, v50
	s_andn2_b64 vcc, exec, s[4:5]
	v_mov_b32_e32 v50, 0
	s_cbranch_vccnz .LBB296_28
; %bb.27:                               ;   in Loop: Header=BB296_26 Depth=1
	v_lshl_add_u64 v[50:51], v[32:33], 1, v[48:49]
	global_load_ushort v50, v[50:51], off
	s_waitcnt vmcnt(0)
	v_mul_f16_e32 v50, s26, v50
.LBB296_28:                             ;   in Loop: Header=BB296_26 Depth=1
	s_add_i32 s10, s6, -15
	s_cmp_eq_u32 s10, 1
	v_lshrrev_b32_e32 v53, 16, v0
	s_cselect_b64 vcc, -1, 0
	s_cmp_eq_u32 s10, 2
	v_cndmask_b32_e32 v51, v0, v53, vcc
	s_cselect_b64 vcc, -1, 0
	s_cmp_eq_u32 s10, 3
	v_cndmask_b32_e32 v51, v51, v1, vcc
	v_lshrrev_b32_e32 v54, 16, v1
	s_cselect_b64 vcc, -1, 0
	s_cmp_eq_u32 s10, 4
	v_cndmask_b32_e32 v51, v51, v54, vcc
	s_cselect_b64 vcc, -1, 0
	s_cmp_eq_u32 s10, 5
	v_cndmask_b32_e32 v51, v51, v4, vcc
	;; [unrolled: 7-line block ×31, first 2 shown]
	s_cselect_b64 vcc, -1, 0
	s_add_i32 s10, s6, -14
	v_lshrrev_b32_e32 v84, 16, v31
	s_cmp_eq_u32 s10, 1
	v_cndmask_b32_e32 v51, v51, v84, vcc
	s_cselect_b64 vcc, -1, 0
	s_cmp_eq_u32 s10, 2
	v_cndmask_b32_e32 v86, v0, v53, vcc
	s_cselect_b64 vcc, -1, 0
	;; [unrolled: 3-line block ×63, first 2 shown]
	v_cndmask_b32_e32 v86, v86, v84, vcc
	v_add_f16_e32 v51, v51, v86
	v_add_f16_e32 v88, v51, v50
	v_mad_i64_i32 v[50:51], s[10:11], v52, s9, 0
	v_lshl_add_u64 v[50:51], v[50:51], 1, s[2:3]
	v_lshl_add_u64 v[86:87], v[32:33], 1, v[50:51]
	s_and_b64 vcc, exec, s[0:1]
	global_store_short v[86:87], v88, off
	s_cbranch_vccnz .LBB296_30
; %bb.29:                               ;   in Loop: Header=BB296_26 Depth=1
	v_lshl_add_u64 v[86:87], v[34:35], 1, v[48:49]
	global_load_ushort v85, v[86:87], off
	s_waitcnt vmcnt(0)
	v_mul_f16_e32 v85, s26, v85
.LBB296_30:                             ;   in Loop: Header=BB296_26 Depth=1
	s_add_i32 s10, s6, -13
	s_cmp_eq_u32 s10, 1
	s_cselect_b64 vcc, -1, 0
	s_cmp_eq_u32 s10, 2
	v_cndmask_b32_e32 v86, v0, v53, vcc
	s_cselect_b64 vcc, -1, 0
	s_cmp_eq_u32 s10, 3
	v_cndmask_b32_e32 v86, v86, v1, vcc
	;; [unrolled: 3-line block ×62, first 2 shown]
	s_cselect_b64 vcc, -1, 0
	s_add_i32 s10, s6, -12
	s_cmp_eq_u32 s10, 1
	v_cndmask_b32_e32 v86, v86, v84, vcc
	s_cselect_b64 vcc, -1, 0
	s_cmp_eq_u32 s10, 2
	v_cndmask_b32_e32 v87, v0, v53, vcc
	s_cselect_b64 vcc, -1, 0
	;; [unrolled: 3-line block ×63, first 2 shown]
	v_cndmask_b32_e32 v87, v87, v84, vcc
	v_add_f16_e32 v86, v86, v87
	v_add_f16_e32 v85, v86, v85
	v_lshl_add_u64 v[86:87], v[34:35], 1, v[50:51]
	global_store_short v[86:87], v85, off
	s_and_b64 vcc, exec, s[0:1]
	v_mov_b32_e32 v85, 0
	v_mov_b32_e32 v86, 0
	s_cbranch_vccnz .LBB296_32
; %bb.31:                               ;   in Loop: Header=BB296_26 Depth=1
	v_lshl_add_u64 v[86:87], v[36:37], 1, v[48:49]
	global_load_ushort v86, v[86:87], off
	s_waitcnt vmcnt(0)
	v_mul_f16_e32 v86, s26, v86
.LBB296_32:                             ;   in Loop: Header=BB296_26 Depth=1
	s_add_i32 s10, s6, -11
	s_cmp_eq_u32 s10, 1
	s_cselect_b64 vcc, -1, 0
	s_cmp_eq_u32 s10, 2
	v_cndmask_b32_e32 v87, v0, v53, vcc
	s_cselect_b64 vcc, -1, 0
	s_cmp_eq_u32 s10, 3
	v_cndmask_b32_e32 v87, v87, v1, vcc
	;; [unrolled: 3-line block ×62, first 2 shown]
	s_cselect_b64 vcc, -1, 0
	s_add_i32 s10, s6, -10
	s_cmp_eq_u32 s10, 1
	v_cndmask_b32_e32 v87, v87, v84, vcc
	s_cselect_b64 vcc, -1, 0
	s_cmp_eq_u32 s10, 2
	v_cndmask_b32_e32 v88, v0, v53, vcc
	s_cselect_b64 vcc, -1, 0
	s_cmp_eq_u32 s10, 3
	v_cndmask_b32_e32 v88, v88, v1, vcc
	s_cselect_b64 vcc, -1, 0
	s_cmp_eq_u32 s10, 4
	v_cndmask_b32_e32 v88, v88, v54, vcc
	s_cselect_b64 vcc, -1, 0
	s_cmp_eq_u32 s10, 5
	v_cndmask_b32_e32 v88, v88, v4, vcc
	s_cselect_b64 vcc, -1, 0
	s_cmp_eq_u32 s10, 6
	v_cndmask_b32_e32 v88, v88, v55, vcc
	s_cselect_b64 vcc, -1, 0
	s_cmp_eq_u32 s10, 7
	v_cndmask_b32_e32 v88, v88, v5, vcc
	s_cselect_b64 vcc, -1, 0
	s_cmp_eq_u32 s10, 8
	v_cndmask_b32_e32 v88, v88, v56, vcc
	s_cselect_b64 vcc, -1, 0
	s_cmp_eq_u32 s10, 9
	v_cndmask_b32_e32 v88, v88, v16, vcc
	s_cselect_b64 vcc, -1, 0
	s_cmp_eq_u32 s10, 10
	v_cndmask_b32_e32 v88, v88, v57, vcc
	s_cselect_b64 vcc, -1, 0
	s_cmp_eq_u32 s10, 11
	v_cndmask_b32_e32 v88, v88, v23, vcc
	s_cselect_b64 vcc, -1, 0
	s_cmp_eq_u32 s10, 12
	v_cndmask_b32_e32 v88, v88, v58, vcc
	s_cselect_b64 vcc, -1, 0
	s_cmp_eq_u32 s10, 13
	v_cndmask_b32_e32 v88, v88, v24, vcc
	s_cselect_b64 vcc, -1, 0
	s_cmp_eq_u32 s10, 14
	v_cndmask_b32_e32 v88, v88, v59, vcc
	s_cselect_b64 vcc, -1, 0
	s_cmp_eq_u32 s10, 15
	v_cndmask_b32_e32 v88, v88, v7, vcc
	s_cselect_b64 vcc, -1, 0
	s_cmp_eq_u32 s10, 16
	v_cndmask_b32_e32 v88, v88, v60, vcc
	s_cselect_b64 vcc, -1, 0
	s_cmp_eq_u32 s10, 17
	v_cndmask_b32_e32 v88, v88, v8, vcc
	s_cselect_b64 vcc, -1, 0
	s_cmp_eq_u32 s10, 18
	v_cndmask_b32_e32 v88, v88, v61, vcc
	s_cselect_b64 vcc, -1, 0
	s_cmp_eq_u32 s10, 19
	v_cndmask_b32_e32 v88, v88, v11, vcc
	s_cselect_b64 vcc, -1, 0
	s_cmp_eq_u32 s10, 20
	v_cndmask_b32_e32 v88, v88, v62, vcc
	s_cselect_b64 vcc, -1, 0
	s_cmp_eq_u32 s10, 21
	v_cndmask_b32_e32 v88, v88, v12, vcc
	s_cselect_b64 vcc, -1, 0
	s_cmp_eq_u32 s10, 22
	v_cndmask_b32_e32 v88, v88, v63, vcc
	s_cselect_b64 vcc, -1, 0
	s_cmp_eq_u32 s10, 23
	v_cndmask_b32_e32 v88, v88, v17, vcc
	s_cselect_b64 vcc, -1, 0
	s_cmp_eq_u32 s10, 24
	v_cndmask_b32_e32 v88, v88, v64, vcc
	s_cselect_b64 vcc, -1, 0
	s_cmp_eq_u32 s10, 25
	v_cndmask_b32_e32 v88, v88, v18, vcc
	s_cselect_b64 vcc, -1, 0
	s_cmp_eq_u32 s10, 26
	v_cndmask_b32_e32 v88, v88, v65, vcc
	s_cselect_b64 vcc, -1, 0
	s_cmp_eq_u32 s10, 27
	v_cndmask_b32_e32 v88, v88, v25, vcc
	s_cselect_b64 vcc, -1, 0
	s_cmp_eq_u32 s10, 28
	v_cndmask_b32_e32 v88, v88, v66, vcc
	s_cselect_b64 vcc, -1, 0
	s_cmp_eq_u32 s10, 29
	v_cndmask_b32_e32 v88, v88, v26, vcc
	s_cselect_b64 vcc, -1, 0
	s_cmp_eq_u32 s10, 30
	v_cndmask_b32_e32 v88, v88, v67, vcc
	s_cselect_b64 vcc, -1, 0
	s_cmp_eq_u32 s10, 31
	v_cndmask_b32_e32 v88, v88, v15, vcc
	s_cselect_b64 vcc, -1, 0
	s_cmp_eq_u32 s10, 32
	v_cndmask_b32_e32 v88, v88, v68, vcc
	s_cselect_b64 vcc, -1, 0
	s_cmp_eq_u32 s10, 33
	v_cndmask_b32_e32 v88, v88, v2, vcc
	s_cselect_b64 vcc, -1, 0
	s_cmp_eq_u32 s10, 34
	v_cndmask_b32_e32 v88, v88, v69, vcc
	s_cselect_b64 vcc, -1, 0
	s_cmp_eq_u32 s10, 35
	v_cndmask_b32_e32 v88, v88, v3, vcc
	s_cselect_b64 vcc, -1, 0
	s_cmp_eq_u32 s10, 36
	v_cndmask_b32_e32 v88, v88, v70, vcc
	s_cselect_b64 vcc, -1, 0
	s_cmp_eq_u32 s10, 37
	v_cndmask_b32_e32 v88, v88, v6, vcc
	s_cselect_b64 vcc, -1, 0
	s_cmp_eq_u32 s10, 38
	v_cndmask_b32_e32 v88, v88, v71, vcc
	s_cselect_b64 vcc, -1, 0
	s_cmp_eq_u32 s10, 39
	v_cndmask_b32_e32 v88, v88, v19, vcc
	s_cselect_b64 vcc, -1, 0
	s_cmp_eq_u32 s10, 40
	v_cndmask_b32_e32 v88, v88, v72, vcc
	s_cselect_b64 vcc, -1, 0
	s_cmp_eq_u32 s10, 41
	v_cndmask_b32_e32 v88, v88, v20, vcc
	s_cselect_b64 vcc, -1, 0
	s_cmp_eq_u32 s10, 42
	v_cndmask_b32_e32 v88, v88, v73, vcc
	s_cselect_b64 vcc, -1, 0
	s_cmp_eq_u32 s10, 43
	v_cndmask_b32_e32 v88, v88, v27, vcc
	s_cselect_b64 vcc, -1, 0
	s_cmp_eq_u32 s10, 44
	v_cndmask_b32_e32 v88, v88, v74, vcc
	s_cselect_b64 vcc, -1, 0
	s_cmp_eq_u32 s10, 45
	v_cndmask_b32_e32 v88, v88, v28, vcc
	s_cselect_b64 vcc, -1, 0
	s_cmp_eq_u32 s10, 46
	v_cndmask_b32_e32 v88, v88, v75, vcc
	s_cselect_b64 vcc, -1, 0
	s_cmp_eq_u32 s10, 47
	v_cndmask_b32_e32 v88, v88, v9, vcc
	s_cselect_b64 vcc, -1, 0
	s_cmp_eq_u32 s10, 48
	v_cndmask_b32_e32 v88, v88, v76, vcc
	s_cselect_b64 vcc, -1, 0
	s_cmp_eq_u32 s10, 49
	v_cndmask_b32_e32 v88, v88, v10, vcc
	s_cselect_b64 vcc, -1, 0
	s_cmp_eq_u32 s10, 50
	v_cndmask_b32_e32 v88, v88, v77, vcc
	s_cselect_b64 vcc, -1, 0
	s_cmp_eq_u32 s10, 51
	v_cndmask_b32_e32 v88, v88, v13, vcc
	s_cselect_b64 vcc, -1, 0
	s_cmp_eq_u32 s10, 52
	v_cndmask_b32_e32 v88, v88, v78, vcc
	s_cselect_b64 vcc, -1, 0
	s_cmp_eq_u32 s10, 53
	v_cndmask_b32_e32 v88, v88, v14, vcc
	s_cselect_b64 vcc, -1, 0
	s_cmp_eq_u32 s10, 54
	v_cndmask_b32_e32 v88, v88, v79, vcc
	s_cselect_b64 vcc, -1, 0
	s_cmp_eq_u32 s10, 55
	v_cndmask_b32_e32 v88, v88, v21, vcc
	s_cselect_b64 vcc, -1, 0
	s_cmp_eq_u32 s10, 56
	v_cndmask_b32_e32 v88, v88, v80, vcc
	s_cselect_b64 vcc, -1, 0
	s_cmp_eq_u32 s10, 57
	v_cndmask_b32_e32 v88, v88, v22, vcc
	s_cselect_b64 vcc, -1, 0
	s_cmp_eq_u32 s10, 58
	v_cndmask_b32_e32 v88, v88, v81, vcc
	s_cselect_b64 vcc, -1, 0
	s_cmp_eq_u32 s10, 59
	v_cndmask_b32_e32 v88, v88, v29, vcc
	s_cselect_b64 vcc, -1, 0
	s_cmp_eq_u32 s10, 60
	v_cndmask_b32_e32 v88, v88, v82, vcc
	s_cselect_b64 vcc, -1, 0
	s_cmp_eq_u32 s10, 61
	v_cndmask_b32_e32 v88, v88, v30, vcc
	s_cselect_b64 vcc, -1, 0
	s_cmp_eq_u32 s10, 62
	v_cndmask_b32_e32 v88, v88, v83, vcc
	s_cselect_b64 vcc, -1, 0
	s_cmp_eq_u32 s10, 63
	v_cndmask_b32_e32 v88, v88, v31, vcc
	s_cselect_b64 vcc, -1, 0
	v_cndmask_b32_e32 v88, v88, v84, vcc
	v_add_f16_e32 v87, v87, v88
	v_add_f16_e32 v88, v87, v86
	v_lshl_add_u64 v[86:87], v[36:37], 1, v[50:51]
	s_and_b64 vcc, exec, s[0:1]
	global_store_short v[86:87], v88, off
	s_cbranch_vccnz .LBB296_34
; %bb.33:                               ;   in Loop: Header=BB296_26 Depth=1
	v_lshl_add_u64 v[86:87], v[38:39], 1, v[48:49]
	global_load_ushort v85, v[86:87], off
	s_waitcnt vmcnt(0)
	v_mul_f16_e32 v85, s26, v85
.LBB296_34:                             ;   in Loop: Header=BB296_26 Depth=1
	s_add_i32 s10, s6, -9
	s_cmp_eq_u32 s10, 1
	s_cselect_b64 vcc, -1, 0
	s_cmp_eq_u32 s10, 2
	v_cndmask_b32_e32 v86, v0, v53, vcc
	s_cselect_b64 vcc, -1, 0
	s_cmp_eq_u32 s10, 3
	v_cndmask_b32_e32 v86, v86, v1, vcc
	;; [unrolled: 3-line block ×62, first 2 shown]
	s_cselect_b64 vcc, -1, 0
	s_add_i32 s10, s6, -8
	s_cmp_eq_u32 s10, 1
	v_cndmask_b32_e32 v86, v86, v84, vcc
	s_cselect_b64 vcc, -1, 0
	s_cmp_eq_u32 s10, 2
	v_cndmask_b32_e32 v87, v0, v53, vcc
	s_cselect_b64 vcc, -1, 0
	;; [unrolled: 3-line block ×63, first 2 shown]
	v_cndmask_b32_e32 v87, v87, v84, vcc
	v_add_f16_e32 v86, v86, v87
	v_add_f16_e32 v85, v86, v85
	v_lshl_add_u64 v[86:87], v[38:39], 1, v[50:51]
	global_store_short v[86:87], v85, off
	s_and_b64 vcc, exec, s[0:1]
	v_mov_b32_e32 v85, 0
	v_mov_b32_e32 v86, 0
	s_cbranch_vccnz .LBB296_36
; %bb.35:                               ;   in Loop: Header=BB296_26 Depth=1
	v_lshl_add_u64 v[86:87], v[40:41], 1, v[48:49]
	global_load_ushort v86, v[86:87], off
	s_waitcnt vmcnt(0)
	v_mul_f16_e32 v86, s26, v86
.LBB296_36:                             ;   in Loop: Header=BB296_26 Depth=1
	s_add_i32 s10, s6, -7
	s_cmp_eq_u32 s10, 1
	s_cselect_b64 vcc, -1, 0
	s_cmp_eq_u32 s10, 2
	v_cndmask_b32_e32 v87, v0, v53, vcc
	s_cselect_b64 vcc, -1, 0
	s_cmp_eq_u32 s10, 3
	v_cndmask_b32_e32 v87, v87, v1, vcc
	;; [unrolled: 3-line block ×62, first 2 shown]
	s_cselect_b64 vcc, -1, 0
	s_add_i32 s10, s6, -6
	s_cmp_eq_u32 s10, 1
	v_cndmask_b32_e32 v87, v87, v84, vcc
	s_cselect_b64 vcc, -1, 0
	s_cmp_eq_u32 s10, 2
	v_cndmask_b32_e32 v88, v0, v53, vcc
	s_cselect_b64 vcc, -1, 0
	;; [unrolled: 3-line block ×63, first 2 shown]
	v_cndmask_b32_e32 v88, v88, v84, vcc
	v_add_f16_e32 v87, v87, v88
	v_add_f16_e32 v88, v87, v86
	v_lshl_add_u64 v[86:87], v[40:41], 1, v[50:51]
	s_and_b64 vcc, exec, s[0:1]
	global_store_short v[86:87], v88, off
	s_cbranch_vccnz .LBB296_38
; %bb.37:                               ;   in Loop: Header=BB296_26 Depth=1
	v_lshl_add_u64 v[86:87], v[42:43], 1, v[48:49]
	global_load_ushort v85, v[86:87], off
	s_waitcnt vmcnt(0)
	v_mul_f16_e32 v85, s26, v85
.LBB296_38:                             ;   in Loop: Header=BB296_26 Depth=1
	s_add_i32 s10, s6, -5
	s_cmp_eq_u32 s10, 1
	s_cselect_b64 vcc, -1, 0
	s_cmp_eq_u32 s10, 2
	v_cndmask_b32_e32 v86, v0, v53, vcc
	s_cselect_b64 vcc, -1, 0
	s_cmp_eq_u32 s10, 3
	v_cndmask_b32_e32 v86, v86, v1, vcc
	;; [unrolled: 3-line block ×62, first 2 shown]
	s_cselect_b64 vcc, -1, 0
	s_add_i32 s10, s6, -4
	s_cmp_eq_u32 s10, 1
	v_cndmask_b32_e32 v86, v86, v84, vcc
	s_cselect_b64 vcc, -1, 0
	s_cmp_eq_u32 s10, 2
	v_cndmask_b32_e32 v87, v0, v53, vcc
	s_cselect_b64 vcc, -1, 0
	;; [unrolled: 3-line block ×63, first 2 shown]
	v_cndmask_b32_e32 v87, v87, v84, vcc
	v_add_f16_e32 v86, v86, v87
	v_add_f16_e32 v85, v86, v85
	v_lshl_add_u64 v[86:87], v[42:43], 1, v[50:51]
	global_store_short v[86:87], v85, off
	s_and_b64 vcc, exec, s[0:1]
	v_mov_b32_e32 v85, 0
	v_mov_b32_e32 v86, 0
	s_cbranch_vccnz .LBB296_40
; %bb.39:                               ;   in Loop: Header=BB296_26 Depth=1
	v_lshl_add_u64 v[86:87], v[44:45], 1, v[48:49]
	global_load_ushort v86, v[86:87], off
	s_waitcnt vmcnt(0)
	v_mul_f16_e32 v86, s26, v86
.LBB296_40:                             ;   in Loop: Header=BB296_26 Depth=1
	s_add_i32 s10, s6, -3
	s_cmp_eq_u32 s10, 1
	s_cselect_b64 vcc, -1, 0
	s_cmp_eq_u32 s10, 2
	v_cndmask_b32_e32 v87, v0, v53, vcc
	s_cselect_b64 vcc, -1, 0
	s_cmp_eq_u32 s10, 3
	v_cndmask_b32_e32 v87, v87, v1, vcc
	s_cselect_b64 vcc, -1, 0
	s_cmp_eq_u32 s10, 4
	v_cndmask_b32_e32 v87, v87, v54, vcc
	s_cselect_b64 vcc, -1, 0
	s_cmp_eq_u32 s10, 5
	v_cndmask_b32_e32 v87, v87, v4, vcc
	s_cselect_b64 vcc, -1, 0
	s_cmp_eq_u32 s10, 6
	v_cndmask_b32_e32 v87, v87, v55, vcc
	s_cselect_b64 vcc, -1, 0
	s_cmp_eq_u32 s10, 7
	v_cndmask_b32_e32 v87, v87, v5, vcc
	s_cselect_b64 vcc, -1, 0
	s_cmp_eq_u32 s10, 8
	v_cndmask_b32_e32 v87, v87, v56, vcc
	s_cselect_b64 vcc, -1, 0
	s_cmp_eq_u32 s10, 9
	v_cndmask_b32_e32 v87, v87, v16, vcc
	s_cselect_b64 vcc, -1, 0
	s_cmp_eq_u32 s10, 10
	v_cndmask_b32_e32 v87, v87, v57, vcc
	s_cselect_b64 vcc, -1, 0
	s_cmp_eq_u32 s10, 11
	v_cndmask_b32_e32 v87, v87, v23, vcc
	s_cselect_b64 vcc, -1, 0
	s_cmp_eq_u32 s10, 12
	v_cndmask_b32_e32 v87, v87, v58, vcc
	s_cselect_b64 vcc, -1, 0
	s_cmp_eq_u32 s10, 13
	v_cndmask_b32_e32 v87, v87, v24, vcc
	s_cselect_b64 vcc, -1, 0
	s_cmp_eq_u32 s10, 14
	v_cndmask_b32_e32 v87, v87, v59, vcc
	s_cselect_b64 vcc, -1, 0
	s_cmp_eq_u32 s10, 15
	v_cndmask_b32_e32 v87, v87, v7, vcc
	s_cselect_b64 vcc, -1, 0
	s_cmp_eq_u32 s10, 16
	v_cndmask_b32_e32 v87, v87, v60, vcc
	s_cselect_b64 vcc, -1, 0
	s_cmp_eq_u32 s10, 17
	v_cndmask_b32_e32 v87, v87, v8, vcc
	s_cselect_b64 vcc, -1, 0
	s_cmp_eq_u32 s10, 18
	v_cndmask_b32_e32 v87, v87, v61, vcc
	s_cselect_b64 vcc, -1, 0
	s_cmp_eq_u32 s10, 19
	v_cndmask_b32_e32 v87, v87, v11, vcc
	s_cselect_b64 vcc, -1, 0
	s_cmp_eq_u32 s10, 20
	v_cndmask_b32_e32 v87, v87, v62, vcc
	s_cselect_b64 vcc, -1, 0
	s_cmp_eq_u32 s10, 21
	v_cndmask_b32_e32 v87, v87, v12, vcc
	s_cselect_b64 vcc, -1, 0
	s_cmp_eq_u32 s10, 22
	v_cndmask_b32_e32 v87, v87, v63, vcc
	s_cselect_b64 vcc, -1, 0
	s_cmp_eq_u32 s10, 23
	v_cndmask_b32_e32 v87, v87, v17, vcc
	s_cselect_b64 vcc, -1, 0
	s_cmp_eq_u32 s10, 24
	v_cndmask_b32_e32 v87, v87, v64, vcc
	s_cselect_b64 vcc, -1, 0
	s_cmp_eq_u32 s10, 25
	v_cndmask_b32_e32 v87, v87, v18, vcc
	s_cselect_b64 vcc, -1, 0
	s_cmp_eq_u32 s10, 26
	v_cndmask_b32_e32 v87, v87, v65, vcc
	s_cselect_b64 vcc, -1, 0
	s_cmp_eq_u32 s10, 27
	v_cndmask_b32_e32 v87, v87, v25, vcc
	s_cselect_b64 vcc, -1, 0
	s_cmp_eq_u32 s10, 28
	v_cndmask_b32_e32 v87, v87, v66, vcc
	s_cselect_b64 vcc, -1, 0
	s_cmp_eq_u32 s10, 29
	v_cndmask_b32_e32 v87, v87, v26, vcc
	s_cselect_b64 vcc, -1, 0
	s_cmp_eq_u32 s10, 30
	v_cndmask_b32_e32 v87, v87, v67, vcc
	s_cselect_b64 vcc, -1, 0
	s_cmp_eq_u32 s10, 31
	v_cndmask_b32_e32 v87, v87, v15, vcc
	s_cselect_b64 vcc, -1, 0
	s_cmp_eq_u32 s10, 32
	v_cndmask_b32_e32 v87, v87, v68, vcc
	s_cselect_b64 vcc, -1, 0
	s_cmp_eq_u32 s10, 33
	v_cndmask_b32_e32 v87, v87, v2, vcc
	s_cselect_b64 vcc, -1, 0
	s_cmp_eq_u32 s10, 34
	v_cndmask_b32_e32 v87, v87, v69, vcc
	s_cselect_b64 vcc, -1, 0
	s_cmp_eq_u32 s10, 35
	v_cndmask_b32_e32 v87, v87, v3, vcc
	s_cselect_b64 vcc, -1, 0
	s_cmp_eq_u32 s10, 36
	v_cndmask_b32_e32 v87, v87, v70, vcc
	s_cselect_b64 vcc, -1, 0
	s_cmp_eq_u32 s10, 37
	v_cndmask_b32_e32 v87, v87, v6, vcc
	s_cselect_b64 vcc, -1, 0
	s_cmp_eq_u32 s10, 38
	v_cndmask_b32_e32 v87, v87, v71, vcc
	s_cselect_b64 vcc, -1, 0
	s_cmp_eq_u32 s10, 39
	v_cndmask_b32_e32 v87, v87, v19, vcc
	s_cselect_b64 vcc, -1, 0
	s_cmp_eq_u32 s10, 40
	v_cndmask_b32_e32 v87, v87, v72, vcc
	s_cselect_b64 vcc, -1, 0
	s_cmp_eq_u32 s10, 41
	v_cndmask_b32_e32 v87, v87, v20, vcc
	s_cselect_b64 vcc, -1, 0
	s_cmp_eq_u32 s10, 42
	v_cndmask_b32_e32 v87, v87, v73, vcc
	s_cselect_b64 vcc, -1, 0
	s_cmp_eq_u32 s10, 43
	v_cndmask_b32_e32 v87, v87, v27, vcc
	s_cselect_b64 vcc, -1, 0
	s_cmp_eq_u32 s10, 44
	v_cndmask_b32_e32 v87, v87, v74, vcc
	s_cselect_b64 vcc, -1, 0
	s_cmp_eq_u32 s10, 45
	v_cndmask_b32_e32 v87, v87, v28, vcc
	s_cselect_b64 vcc, -1, 0
	s_cmp_eq_u32 s10, 46
	v_cndmask_b32_e32 v87, v87, v75, vcc
	s_cselect_b64 vcc, -1, 0
	s_cmp_eq_u32 s10, 47
	v_cndmask_b32_e32 v87, v87, v9, vcc
	s_cselect_b64 vcc, -1, 0
	s_cmp_eq_u32 s10, 48
	v_cndmask_b32_e32 v87, v87, v76, vcc
	s_cselect_b64 vcc, -1, 0
	s_cmp_eq_u32 s10, 49
	v_cndmask_b32_e32 v87, v87, v10, vcc
	s_cselect_b64 vcc, -1, 0
	s_cmp_eq_u32 s10, 50
	v_cndmask_b32_e32 v87, v87, v77, vcc
	s_cselect_b64 vcc, -1, 0
	s_cmp_eq_u32 s10, 51
	v_cndmask_b32_e32 v87, v87, v13, vcc
	s_cselect_b64 vcc, -1, 0
	s_cmp_eq_u32 s10, 52
	v_cndmask_b32_e32 v87, v87, v78, vcc
	s_cselect_b64 vcc, -1, 0
	s_cmp_eq_u32 s10, 53
	v_cndmask_b32_e32 v87, v87, v14, vcc
	s_cselect_b64 vcc, -1, 0
	s_cmp_eq_u32 s10, 54
	v_cndmask_b32_e32 v87, v87, v79, vcc
	s_cselect_b64 vcc, -1, 0
	s_cmp_eq_u32 s10, 55
	v_cndmask_b32_e32 v87, v87, v21, vcc
	s_cselect_b64 vcc, -1, 0
	s_cmp_eq_u32 s10, 56
	v_cndmask_b32_e32 v87, v87, v80, vcc
	s_cselect_b64 vcc, -1, 0
	s_cmp_eq_u32 s10, 57
	v_cndmask_b32_e32 v87, v87, v22, vcc
	s_cselect_b64 vcc, -1, 0
	s_cmp_eq_u32 s10, 58
	v_cndmask_b32_e32 v87, v87, v81, vcc
	s_cselect_b64 vcc, -1, 0
	s_cmp_eq_u32 s10, 59
	v_cndmask_b32_e32 v87, v87, v29, vcc
	s_cselect_b64 vcc, -1, 0
	s_cmp_eq_u32 s10, 60
	v_cndmask_b32_e32 v87, v87, v82, vcc
	s_cselect_b64 vcc, -1, 0
	s_cmp_eq_u32 s10, 61
	v_cndmask_b32_e32 v87, v87, v30, vcc
	s_cselect_b64 vcc, -1, 0
	s_cmp_eq_u32 s10, 62
	v_cndmask_b32_e32 v87, v87, v83, vcc
	s_cselect_b64 vcc, -1, 0
	s_cmp_eq_u32 s10, 63
	v_cndmask_b32_e32 v87, v87, v31, vcc
	s_cselect_b64 vcc, -1, 0
	s_add_i32 s10, s6, -2
	s_cmp_eq_u32 s10, 1
	v_cndmask_b32_e32 v87, v87, v84, vcc
	s_cselect_b64 vcc, -1, 0
	s_cmp_eq_u32 s10, 2
	v_cndmask_b32_e32 v88, v0, v53, vcc
	s_cselect_b64 vcc, -1, 0
	;; [unrolled: 3-line block ×63, first 2 shown]
	v_cndmask_b32_e32 v88, v88, v84, vcc
	v_add_f16_e32 v87, v87, v88
	v_add_f16_e32 v88, v87, v86
	v_lshl_add_u64 v[86:87], v[44:45], 1, v[50:51]
	s_and_b64 vcc, exec, s[0:1]
	global_store_short v[86:87], v88, off
	s_cbranch_vccnz .LBB296_25
; %bb.41:                               ;   in Loop: Header=BB296_26 Depth=1
	v_lshl_add_u64 v[48:49], v[46:47], 1, v[48:49]
	global_load_ushort v48, v[48:49], off
	s_waitcnt vmcnt(0)
	v_mul_f16_e32 v85, s26, v48
	s_branch .LBB296_25
.LBB296_42:
	s_endpgm
	.section	.rodata,"a",@progbits
	.p2align	6, 0x0
	.amdhsa_kernel _ZN12_GLOBAL__N_120geam_min_plus_kernelIDF16_Dv2_DF16_S1_Li8ELi32ELi64ELi128ELi4ELi64ELi4ELi64ELi4ELc78ELc84ELb0ELb0ELb0EDF16_KDF16_DF16_EEviiiT16_PT17_ilS5_ilS3_S5_ilPT18_ili26rocblas_geam_ex_operation_
		.amdhsa_group_segment_fixed_size 3072
		.amdhsa_private_segment_fixed_size 0
		.amdhsa_kernarg_size 128
		.amdhsa_user_sgpr_count 2
		.amdhsa_user_sgpr_dispatch_ptr 0
		.amdhsa_user_sgpr_queue_ptr 0
		.amdhsa_user_sgpr_kernarg_segment_ptr 1
		.amdhsa_user_sgpr_dispatch_id 0
		.amdhsa_user_sgpr_kernarg_preload_length 0
		.amdhsa_user_sgpr_kernarg_preload_offset 0
		.amdhsa_user_sgpr_private_segment_size 0
		.amdhsa_uses_dynamic_stack 0
		.amdhsa_enable_private_segment 0
		.amdhsa_system_sgpr_workgroup_id_x 1
		.amdhsa_system_sgpr_workgroup_id_y 0
		.amdhsa_system_sgpr_workgroup_id_z 1
		.amdhsa_system_sgpr_workgroup_info 0
		.amdhsa_system_vgpr_workitem_id 1
		.amdhsa_next_free_vgpr 125
		.amdhsa_next_free_sgpr 29
		.amdhsa_accum_offset 128
		.amdhsa_reserve_vcc 1
		.amdhsa_float_round_mode_32 0
		.amdhsa_float_round_mode_16_64 0
		.amdhsa_float_denorm_mode_32 3
		.amdhsa_float_denorm_mode_16_64 3
		.amdhsa_dx10_clamp 1
		.amdhsa_ieee_mode 1
		.amdhsa_fp16_overflow 0
		.amdhsa_tg_split 0
		.amdhsa_exception_fp_ieee_invalid_op 0
		.amdhsa_exception_fp_denorm_src 0
		.amdhsa_exception_fp_ieee_div_zero 0
		.amdhsa_exception_fp_ieee_overflow 0
		.amdhsa_exception_fp_ieee_underflow 0
		.amdhsa_exception_fp_ieee_inexact 0
		.amdhsa_exception_int_div_zero 0
	.end_amdhsa_kernel
	.section	.text._ZN12_GLOBAL__N_120geam_min_plus_kernelIDF16_Dv2_DF16_S1_Li8ELi32ELi64ELi128ELi4ELi64ELi4ELi64ELi4ELc78ELc84ELb0ELb0ELb0EDF16_KDF16_DF16_EEviiiT16_PT17_ilS5_ilS3_S5_ilPT18_ili26rocblas_geam_ex_operation_,"axG",@progbits,_ZN12_GLOBAL__N_120geam_min_plus_kernelIDF16_Dv2_DF16_S1_Li8ELi32ELi64ELi128ELi4ELi64ELi4ELi64ELi4ELc78ELc84ELb0ELb0ELb0EDF16_KDF16_DF16_EEviiiT16_PT17_ilS5_ilS3_S5_ilPT18_ili26rocblas_geam_ex_operation_,comdat
.Lfunc_end296:
	.size	_ZN12_GLOBAL__N_120geam_min_plus_kernelIDF16_Dv2_DF16_S1_Li8ELi32ELi64ELi128ELi4ELi64ELi4ELi64ELi4ELc78ELc84ELb0ELb0ELb0EDF16_KDF16_DF16_EEviiiT16_PT17_ilS5_ilS3_S5_ilPT18_ili26rocblas_geam_ex_operation_, .Lfunc_end296-_ZN12_GLOBAL__N_120geam_min_plus_kernelIDF16_Dv2_DF16_S1_Li8ELi32ELi64ELi128ELi4ELi64ELi4ELi64ELi4ELc78ELc84ELb0ELb0ELb0EDF16_KDF16_DF16_EEviiiT16_PT17_ilS5_ilS3_S5_ilPT18_ili26rocblas_geam_ex_operation_
                                        ; -- End function
	.set _ZN12_GLOBAL__N_120geam_min_plus_kernelIDF16_Dv2_DF16_S1_Li8ELi32ELi64ELi128ELi4ELi64ELi4ELi64ELi4ELc78ELc84ELb0ELb0ELb0EDF16_KDF16_DF16_EEviiiT16_PT17_ilS5_ilS3_S5_ilPT18_ili26rocblas_geam_ex_operation_.num_vgpr, 125
	.set _ZN12_GLOBAL__N_120geam_min_plus_kernelIDF16_Dv2_DF16_S1_Li8ELi32ELi64ELi128ELi4ELi64ELi4ELi64ELi4ELc78ELc84ELb0ELb0ELb0EDF16_KDF16_DF16_EEviiiT16_PT17_ilS5_ilS3_S5_ilPT18_ili26rocblas_geam_ex_operation_.num_agpr, 0
	.set _ZN12_GLOBAL__N_120geam_min_plus_kernelIDF16_Dv2_DF16_S1_Li8ELi32ELi64ELi128ELi4ELi64ELi4ELi64ELi4ELc78ELc84ELb0ELb0ELb0EDF16_KDF16_DF16_EEviiiT16_PT17_ilS5_ilS3_S5_ilPT18_ili26rocblas_geam_ex_operation_.numbered_sgpr, 29
	.set _ZN12_GLOBAL__N_120geam_min_plus_kernelIDF16_Dv2_DF16_S1_Li8ELi32ELi64ELi128ELi4ELi64ELi4ELi64ELi4ELc78ELc84ELb0ELb0ELb0EDF16_KDF16_DF16_EEviiiT16_PT17_ilS5_ilS3_S5_ilPT18_ili26rocblas_geam_ex_operation_.num_named_barrier, 0
	.set _ZN12_GLOBAL__N_120geam_min_plus_kernelIDF16_Dv2_DF16_S1_Li8ELi32ELi64ELi128ELi4ELi64ELi4ELi64ELi4ELc78ELc84ELb0ELb0ELb0EDF16_KDF16_DF16_EEviiiT16_PT17_ilS5_ilS3_S5_ilPT18_ili26rocblas_geam_ex_operation_.private_seg_size, 0
	.set _ZN12_GLOBAL__N_120geam_min_plus_kernelIDF16_Dv2_DF16_S1_Li8ELi32ELi64ELi128ELi4ELi64ELi4ELi64ELi4ELc78ELc84ELb0ELb0ELb0EDF16_KDF16_DF16_EEviiiT16_PT17_ilS5_ilS3_S5_ilPT18_ili26rocblas_geam_ex_operation_.uses_vcc, 1
	.set _ZN12_GLOBAL__N_120geam_min_plus_kernelIDF16_Dv2_DF16_S1_Li8ELi32ELi64ELi128ELi4ELi64ELi4ELi64ELi4ELc78ELc84ELb0ELb0ELb0EDF16_KDF16_DF16_EEviiiT16_PT17_ilS5_ilS3_S5_ilPT18_ili26rocblas_geam_ex_operation_.uses_flat_scratch, 0
	.set _ZN12_GLOBAL__N_120geam_min_plus_kernelIDF16_Dv2_DF16_S1_Li8ELi32ELi64ELi128ELi4ELi64ELi4ELi64ELi4ELc78ELc84ELb0ELb0ELb0EDF16_KDF16_DF16_EEviiiT16_PT17_ilS5_ilS3_S5_ilPT18_ili26rocblas_geam_ex_operation_.has_dyn_sized_stack, 0
	.set _ZN12_GLOBAL__N_120geam_min_plus_kernelIDF16_Dv2_DF16_S1_Li8ELi32ELi64ELi128ELi4ELi64ELi4ELi64ELi4ELc78ELc84ELb0ELb0ELb0EDF16_KDF16_DF16_EEviiiT16_PT17_ilS5_ilS3_S5_ilPT18_ili26rocblas_geam_ex_operation_.has_recursion, 0
	.set _ZN12_GLOBAL__N_120geam_min_plus_kernelIDF16_Dv2_DF16_S1_Li8ELi32ELi64ELi128ELi4ELi64ELi4ELi64ELi4ELc78ELc84ELb0ELb0ELb0EDF16_KDF16_DF16_EEviiiT16_PT17_ilS5_ilS3_S5_ilPT18_ili26rocblas_geam_ex_operation_.has_indirect_call, 0
	.section	.AMDGPU.csdata,"",@progbits
; Kernel info:
; codeLenInByte = 19804
; TotalNumSgprs: 35
; NumVgprs: 125
; NumAgprs: 0
; TotalNumVgprs: 125
; ScratchSize: 0
; MemoryBound: 0
; FloatMode: 240
; IeeeMode: 1
; LDSByteSize: 3072 bytes/workgroup (compile time only)
; SGPRBlocks: 4
; VGPRBlocks: 15
; NumSGPRsForWavesPerEU: 35
; NumVGPRsForWavesPerEU: 125
; AccumOffset: 128
; Occupancy: 4
; WaveLimiterHint : 1
; COMPUTE_PGM_RSRC2:SCRATCH_EN: 0
; COMPUTE_PGM_RSRC2:USER_SGPR: 2
; COMPUTE_PGM_RSRC2:TRAP_HANDLER: 0
; COMPUTE_PGM_RSRC2:TGID_X_EN: 1
; COMPUTE_PGM_RSRC2:TGID_Y_EN: 0
; COMPUTE_PGM_RSRC2:TGID_Z_EN: 1
; COMPUTE_PGM_RSRC2:TIDIG_COMP_CNT: 1
; COMPUTE_PGM_RSRC3_GFX90A:ACCUM_OFFSET: 31
; COMPUTE_PGM_RSRC3_GFX90A:TG_SPLIT: 0
	.section	.text._ZN12_GLOBAL__N_120geam_min_plus_kernelIDF16_Dv2_DF16_S1_Li8ELi32ELi64ELi128ELi4ELi64ELi4ELi64ELi4ELc78ELc84ELb0ELb1ELb0EPKDF16_S2_DF16_EEviiiT16_PT17_ilS6_ilS4_S6_ilPT18_ili26rocblas_geam_ex_operation_,"axG",@progbits,_ZN12_GLOBAL__N_120geam_min_plus_kernelIDF16_Dv2_DF16_S1_Li8ELi32ELi64ELi128ELi4ELi64ELi4ELi64ELi4ELc78ELc84ELb0ELb1ELb0EPKDF16_S2_DF16_EEviiiT16_PT17_ilS6_ilS4_S6_ilPT18_ili26rocblas_geam_ex_operation_,comdat
	.globl	_ZN12_GLOBAL__N_120geam_min_plus_kernelIDF16_Dv2_DF16_S1_Li8ELi32ELi64ELi128ELi4ELi64ELi4ELi64ELi4ELc78ELc84ELb0ELb1ELb0EPKDF16_S2_DF16_EEviiiT16_PT17_ilS6_ilS4_S6_ilPT18_ili26rocblas_geam_ex_operation_ ; -- Begin function _ZN12_GLOBAL__N_120geam_min_plus_kernelIDF16_Dv2_DF16_S1_Li8ELi32ELi64ELi128ELi4ELi64ELi4ELi64ELi4ELc78ELc84ELb0ELb1ELb0EPKDF16_S2_DF16_EEviiiT16_PT17_ilS6_ilS4_S6_ilPT18_ili26rocblas_geam_ex_operation_
	.p2align	8
	.type	_ZN12_GLOBAL__N_120geam_min_plus_kernelIDF16_Dv2_DF16_S1_Li8ELi32ELi64ELi128ELi4ELi64ELi4ELi64ELi4ELc78ELc84ELb0ELb1ELb0EPKDF16_S2_DF16_EEviiiT16_PT17_ilS6_ilS4_S6_ilPT18_ili26rocblas_geam_ex_operation_,@function
_ZN12_GLOBAL__N_120geam_min_plus_kernelIDF16_Dv2_DF16_S1_Li8ELi32ELi64ELi128ELi4ELi64ELi4ELi64ELi4ELc78ELc84ELb0ELb1ELb0EPKDF16_S2_DF16_EEviiiT16_PT17_ilS6_ilS4_S6_ilPT18_ili26rocblas_geam_ex_operation_: ; @_ZN12_GLOBAL__N_120geam_min_plus_kernelIDF16_Dv2_DF16_S1_Li8ELi32ELi64ELi128ELi4ELi64ELi4ELi64ELi4ELc78ELc84ELb0ELb1ELb0EPKDF16_S2_DF16_EEviiiT16_PT17_ilS6_ilS4_S6_ilPT18_ili26rocblas_geam_ex_operation_
; %bb.0:
	s_load_dwordx4 s[4:7], s[0:1], 0x10
	s_load_dwordx4 s[8:11], s[0:1], 0x28
	;; [unrolled: 1-line block ×3, first 2 shown]
	s_mov_b32 s26, s3
	s_mov_b32 s27, 0
	s_lshl_b64 s[16:17], s[26:27], 1
	s_waitcnt lgkmcnt(0)
	s_add_u32 s4, s4, s16
	s_addc_u32 s5, s5, s17
	v_mov_b32_e32 v1, 0
	global_load_ushort v36, v1, s[4:5]
	s_add_u32 s4, s14, s16
	s_addc_u32 s5, s15, s17
	global_load_ushort v44, v1, s[4:5]
	s_load_dwordx2 s[20:21], s[0:1], 0x50
	s_mov_b64 s[14:15], 0
	s_mov_b64 s[28:29], 0
	s_waitcnt vmcnt(1)
	v_cmp_eq_f16_e32 vcc, 0, v36
	v_cmp_neq_f16_e64 s[4:5], 0, v36
	s_cbranch_vccnz .LBB297_2
; %bb.1:
	s_mul_i32 s3, s9, s26
	s_mul_hi_u32 s9, s8, s26
	s_add_i32 s9, s9, s3
	s_mul_i32 s8, s8, s26
	s_lshl_b64 s[8:9], s[8:9], 1
	s_add_u32 s28, s6, s8
	s_addc_u32 s29, s7, s9
.LBB297_2:
	s_andn2_b64 vcc, exec, s[4:5]
	s_cbranch_vccnz .LBB297_4
; %bb.3:
	s_mul_i32 s3, s13, s26
	s_mul_hi_u32 s6, s12, s26
	s_add_i32 s7, s6, s3
	s_mul_i32 s6, s12, s26
	s_lshl_b64 s[6:7], s[6:7], 1
	s_add_u32 s14, s10, s6
	s_addc_u32 s15, s11, s7
.LBB297_4:
	s_load_dwordx4 s[16:19], s[0:1], 0x60
	s_waitcnt vmcnt(0)
	v_cmp_eq_f16_e32 vcc, 0, v44
	v_cmp_neq_f16_e64 s[12:13], 0, v44
	s_cbranch_vccnz .LBB297_6
; %bb.5:
	s_waitcnt lgkmcnt(0)
	s_mul_i32 s3, s17, s26
	s_mul_hi_u32 s6, s16, s26
	s_add_i32 s7, s6, s3
	s_mul_i32 s6, s16, s26
	s_lshl_b64 s[6:7], s[6:7], 1
	s_add_u32 s24, s20, s6
	s_addc_u32 s25, s21, s7
	s_branch .LBB297_7
.LBB297_6:
	s_mov_b64 s[24:25], 0
.LBB297_7:
	s_waitcnt lgkmcnt(0)
	s_load_dwordx4 s[20:23], s[0:1], 0x0
	s_load_dword s30, s[0:1], 0x20
	v_and_b32_e32 v34, 0x3ff, v0
	v_bfe_u32 v35, v0, 10, 10
	v_mov_b32_e32 v7, 0
	s_waitcnt lgkmcnt(0)
	s_add_i32 s3, s20, -1
	s_ashr_i32 s6, s3, 31
	s_lshr_b32 s6, s6, 26
	s_add_i32 s3, s3, s6
	s_ashr_i32 s3, s3, 6
	s_add_i32 s9, s3, 1
	v_cvt_f32_u32_e32 v1, s9
	s_not_b32 s3, s3
	s_ashr_i32 s31, s30, 31
	v_mov_b32_e32 v9, 0
	v_rcp_iflag_f32_e32 v0, v1
	v_lshl_add_u32 v1, v35, 3, v34
	v_and_b32_e32 v8, 63, v1
	v_lshrrev_b32_e32 v37, 6, v1
	v_mul_f32_e32 v0, 0x4f7ffffe, v0
	v_cvt_u32_f32_e32 v0, v0
	v_cmp_gt_i32_e64 s[6:7], s22, v37
	v_readfirstlane_b32 s8, v0
	s_mul_i32 s3, s3, s8
	s_mul_hi_u32 s3, s8, s3
	s_add_i32 s8, s8, s3
	s_mul_hi_u32 s3, s2, s8
	s_mul_i32 s8, s3, s9
	s_sub_i32 s8, s2, s8
	s_add_i32 s10, s3, 1
	s_sub_i32 s11, s8, s9
	s_cmp_ge_u32 s8, s9
	s_cselect_b32 s3, s10, s3
	s_cselect_b32 s8, s11, s8
	s_add_i32 s10, s3, 1
	s_cmp_ge_u32 s8, s9
	s_cselect_b32 s8, s10, s3
	s_mul_i32 s3, s8, s9
	s_sub_i32 s2, s2, s3
	s_lshl_b32 s27, s2, 6
	v_or_b32_e32 v0, s27, v8
	v_cmp_gt_i32_e32 vcc, s20, v0
	s_and_b64 s[2:3], s[6:7], vcc
	v_ashrrev_i32_e32 v1, 31, v0
	s_and_b64 s[6:7], s[4:5], s[2:3]
	s_and_saveexec_b64 s[2:3], s[6:7]
	s_cbranch_execz .LBB297_9
; %bb.8:
	v_mad_i64_i32 v[2:3], s[6:7], s30, v37, 0
	v_lshl_add_u64 v[2:3], v[2:3], 1, s[28:29]
	v_lshl_add_u64 v[2:3], v[0:1], 1, v[2:3]
	global_load_ushort v2, v[2:3], off
	s_waitcnt vmcnt(0)
	v_mul_f16_e32 v9, v36, v2
.LBB297_9:
	s_or_b64 exec, exec, s[2:3]
	s_load_dword s23, s[0:1], 0x38
	s_lshl_b32 s33, s8, 7
	s_add_i32 s34, s22, -1
	v_or_b32_e32 v24, s33, v8
	v_min_i32_e32 v2, s34, v37
	v_cmp_le_i32_e64 s[10:11], s22, v37
	s_waitcnt lgkmcnt(0)
	v_mad_i64_i32 v[2:3], s[2:3], s23, v2, 0
	v_cmp_le_i32_e64 s[6:7], s21, v24
	s_or_b64 s[2:3], s[10:11], s[6:7]
	s_xor_b64 s[16:17], s[4:5], -1
	v_lshl_add_u64 v[2:3], v[2:3], 1, s[14:15]
	s_nor_b64 s[8:9], s[2:3], s[16:17]
	v_ashrrev_i32_e32 v25, 31, v24
	s_and_saveexec_b64 s[2:3], s[8:9]
	s_cbranch_execz .LBB297_11
; %bb.10:
	v_lshl_add_u64 v[4:5], v[24:25], 1, v[2:3]
	global_load_ushort v4, v[4:5], off
	s_waitcnt vmcnt(0)
	v_mul_f16_e32 v7, v36, v4
.LBB297_11:
	s_or_b64 exec, exec, s[2:3]
	v_or_b32_e32 v4, 64, v24
	v_cmp_le_i32_e64 s[8:9], s21, v4
	s_or_b64 s[2:3], s[10:11], s[8:9]
	s_nor_b64 s[10:11], s[2:3], s[16:17]
	v_mov_b32_e32 v4, 0
	v_mov_b32_e32 v10, 0
	s_and_saveexec_b64 s[2:3], s[10:11]
	s_cbranch_execz .LBB297_13
; %bb.12:
	v_lshl_add_u64 v[2:3], v[24:25], 1, v[2:3]
	global_load_ushort v2, v[2:3], off offset:128
	s_waitcnt vmcnt(0)
	v_mul_f16_e32 v10, v36, v2
.LBB297_13:
	s_or_b64 exec, exec, s[2:3]
	v_add_u32_e32 v2, 4, v37
	v_cmp_gt_i32_e64 s[2:3], s22, v2
	s_and_b64 s[2:3], vcc, s[2:3]
	s_and_b64 s[10:11], s[4:5], s[2:3]
	s_and_saveexec_b64 s[2:3], s[10:11]
	s_cbranch_execz .LBB297_15
; %bb.14:
	v_mad_u64_u32 v[4:5], s[10:11], s30, v2, 0
	v_mov_b32_e32 v6, v5
	v_mad_u64_u32 v[12:13], s[10:11], s31, v2, v[6:7]
	v_mov_b32_e32 v5, v12
	v_lshl_add_u64 v[4:5], v[4:5], 1, s[28:29]
	v_lshl_add_u64 v[4:5], v[0:1], 1, v[4:5]
	global_load_ushort v3, v[4:5], off
	s_waitcnt vmcnt(0)
	v_mul_f16_e32 v4, v36, v3
.LBB297_15:
	s_or_b64 exec, exec, s[2:3]
	v_cmp_le_i32_e64 s[10:11], s22, v2
	v_min_i32_e32 v2, s34, v2
	v_mad_i64_i32 v[2:3], s[2:3], s23, v2, 0
	s_or_b64 s[2:3], s[6:7], s[10:11]
	v_lshl_add_u64 v[2:3], v[2:3], 1, s[14:15]
	s_nor_b64 s[36:37], s[2:3], s[16:17]
	v_mov_b32_e32 v5, 0
	v_mov_b32_e32 v6, 0
	s_and_saveexec_b64 s[2:3], s[36:37]
	s_cbranch_execz .LBB297_17
; %bb.16:
	v_lshl_add_u64 v[12:13], v[24:25], 1, v[2:3]
	global_load_ushort v6, v[12:13], off
	s_waitcnt vmcnt(0)
	v_mul_f16_e32 v6, v36, v6
.LBB297_17:
	s_or_b64 exec, exec, s[2:3]
	s_or_b64 s[2:3], s[8:9], s[10:11]
	s_nor_b64 s[10:11], s[2:3], s[16:17]
	s_and_saveexec_b64 s[2:3], s[10:11]
	s_cbranch_execz .LBB297_19
; %bb.18:
	v_lshl_add_u64 v[2:3], v[24:25], 1, v[2:3]
	global_load_ushort v2, v[2:3], off offset:128
	s_waitcnt vmcnt(0)
	v_mul_f16_e32 v5, v36, v2
.LBB297_19:
	s_or_b64 exec, exec, s[2:3]
	v_lshlrev_b32_e32 v2, 3, v8
	v_lshlrev_b32_e32 v39, 3, v34
	v_lshl_add_u32 v40, v37, 1, v2
	v_lshlrev_b32_e32 v38, 3, v35
	v_add_u32_e32 v41, 0x800, v39
	ds_write_b16 v40, v9 offset:2048
	ds_write_b16 v40, v7
	ds_write_b16 v40, v10 offset:512
	s_waitcnt lgkmcnt(0)
	s_barrier
	ds_read2_b64 v[8:11], v38 offset1:32
	ds_read2_b64 v[12:15], v41 offset0:48 offset1:56
	ds_read2_b64 v[16:19], v38 offset0:64 offset1:96
	ds_read2_b64 v[20:23], v41 offset1:8
	ds_read2_b64 v[26:29], v41 offset0:16 offset1:24
	ds_read2_b64 v[30:33], v41 offset0:32 offset1:40
	s_waitcnt lgkmcnt(5)
	v_pk_max_f16 v2, v8, v8
	s_waitcnt lgkmcnt(4)
	v_pk_max_f16 v3, v14, v14
	v_pk_max_f16 v8, v10, v10
	v_pk_min_f16 v7, v3, v2
	s_waitcnt lgkmcnt(3)
	v_pk_max_f16 v14, v16, v16
	s_waitcnt lgkmcnt(2)
	v_pk_max_f16 v16, v20, v20
	v_pk_max_f16 v18, v18, v18
	;; [unrolled: 1-line block ×3, first 2 shown]
	s_waitcnt lgkmcnt(1)
	v_pk_max_f16 v26, v26, v26
	v_pk_max_f16 v28, v28, v28
	s_waitcnt lgkmcnt(0)
	v_pk_max_f16 v30, v30, v30
	v_pk_max_f16 v9, v9, v9
	v_pk_max_f16 v32, v32, v32
	v_pk_max_f16 v12, v12, v12
	v_pk_max_f16 v15, v15, v15
	v_pk_min_f16 v10, v3, v8
	v_pk_min_f16 v20, v16, v2
	;; [unrolled: 1-line block ×18, first 2 shown]
	v_pk_max_f16 v11, v11, v11
	v_pk_min_f16 v62, v30, v8
	v_pk_min_f16 v63, v30, v14
	;; [unrolled: 1-line block ×13, first 2 shown]
	v_pk_add_f16 v7, v7, 0
	v_pk_min_f16 v18, v15, v9
	v_pk_max_f16 v17, v17, v17
	v_pk_add_f16 v69, v7, v18
	v_pk_add_f16 v7, v10, 0
	v_pk_min_f16 v10, v15, v11
	v_pk_max_f16 v21, v21, v21
	v_pk_add_f16 v61, v7, v10
	;; [unrolled: 4-line block ×4, first 2 shown]
	v_pk_add_f16 v7, v42, 0
	v_pk_min_f16 v10, v21, v11
	v_pk_add_f16 v18, v55, 0
	v_pk_add_f16 v68, v7, v10
	;; [unrolled: 1-line block ×3, first 2 shown]
	v_pk_min_f16 v10, v21, v17
	v_pk_add_f16 v20, v56, 0
	v_pk_add_f16 v60, v7, v10
	v_pk_add_f16 v7, v16, 0
	v_pk_min_f16 v10, v21, v19
	v_pk_min_f16 v16, v23, v19
	v_pk_add_f16 v52, v7, v10
	v_pk_add_f16 v7, v45, 0
	v_pk_min_f16 v10, v23, v9
	v_pk_add_f16 v21, v28, 0
	v_pk_add_f16 v76, v7, v10
	v_pk_add_f16 v7, v46, 0
	v_pk_min_f16 v10, v23, v11
	v_pk_add_f16 v28, v64, 0
	v_pk_add_f16 v67, v7, v10
	v_pk_add_f16 v7, v47, 0
	v_pk_min_f16 v10, v23, v17
	v_pk_add_f16 v23, v62, 0
	v_pk_add_f16 v59, v7, v10
	v_pk_add_f16 v7, v22, 0
	;; [unrolled: 1-line block ×4, first 2 shown]
	v_pk_max_f16 v7, v27, v27
	v_pk_add_f16 v27, v30, 0
	v_pk_min_f16 v16, v7, v9
	v_pk_add_f16 v30, v65, 0
	v_pk_add_f16 v75, v10, v16
	;; [unrolled: 1-line block ×3, first 2 shown]
	v_pk_min_f16 v16, v7, v11
	v_pk_add_f16 v22, v57, 0
	v_pk_add_f16 v66, v10, v16
	;; [unrolled: 1-line block ×3, first 2 shown]
	v_pk_min_f16 v16, v7, v17
	v_pk_min_f16 v7, v7, v19
	v_pk_add_f16 v58, v10, v16
	v_pk_add_f16 v10, v26, 0
	;; [unrolled: 1-line block ×4, first 2 shown]
	v_pk_max_f16 v7, v29, v29
	v_pk_add_f16 v26, v63, 0
	v_pk_min_f16 v10, v7, v9
	v_pk_add_f16 v32, v32, 0
	v_pk_add_f16 v74, v16, v10
	v_pk_min_f16 v10, v7, v11
	v_pk_add_f16 v2, v2, 0
	v_pk_add_f16 v65, v18, v10
	v_pk_min_f16 v10, v7, v17
	v_pk_min_f16 v7, v7, v19
	v_pk_add_f16 v57, v20, v10
	v_pk_add_f16 v49, v21, v7
	v_pk_max_f16 v7, v31, v31
	v_pk_add_f16 v8, v8, 0
	v_pk_min_f16 v10, v7, v9
	v_pk_add_f16 v14, v14, 0
	v_pk_add_f16 v73, v22, v10
	v_pk_min_f16 v10, v7, v11
	v_pk_add_f16 v12, v12, 0
	v_pk_add_f16 v64, v23, v10
	v_pk_min_f16 v10, v7, v17
	v_pk_min_f16 v7, v7, v19
	v_pk_add_f16 v56, v26, v10
	v_pk_add_f16 v48, v27, v7
	v_pk_max_f16 v7, v33, v33
	v_pk_add_f16 v42, v70, 0
	v_pk_min_f16 v10, v7, v9
	v_pk_add_f16 v3, v3, 0
	v_pk_add_f16 v72, v28, v10
	v_pk_min_f16 v10, v7, v11
	s_mov_b32 s35, 0
	v_pk_add_f16 v63, v30, v10
	v_pk_min_f16 v10, v7, v17
	v_pk_min_f16 v7, v7, v19
	v_pk_add_f16 v55, v42, v10
	v_pk_add_f16 v47, v32, v7
	v_pk_max_f16 v7, v13, v13
	s_cmp_lt_i32 s22, 9
	v_pk_min_f16 v9, v7, v9
	ds_write_b16 v40, v4 offset:2560
	ds_write_b16 v40, v6 offset:1024
	;; [unrolled: 1-line block ×3, first 2 shown]
	v_pk_add_f16 v71, v2, v9
	v_pk_min_f16 v2, v7, v11
	s_waitcnt lgkmcnt(0)
	v_pk_add_f16 v62, v8, v2
	v_pk_min_f16 v2, v7, v17
	s_barrier
	v_pk_add_f16 v54, v14, v2
	v_pk_min_f16 v2, v7, v19
	s_nop 0
	v_pk_add_f16 v46, v12, v2
	v_pk_min_f16 v2, v15, v19
	s_nop 0
	v_pk_add_f16 v45, v3, v2
	s_cbranch_scc1 .LBB297_34
; %bb.20:
	v_lshl_add_u64 v[26:27], v[0:1], 1, s[28:29]
	v_mov_b32_e32 v0, 0xa00
	v_lshl_add_u32 v78, v34, 3, v0
	v_add_u32_e32 v0, v38, v34
	v_lshrrev_b32_e32 v2, 6, v0
	v_add_u32_e32 v0, 12, v2
	v_mad_i64_i32 v[0:1], s[2:3], v0, s30, 0
	v_lshlrev_b64 v[28:29], 1, v[0:1]
	v_add_u32_e32 v0, 8, v2
	v_mad_i64_i32 v[0:1], s[2:3], v0, s30, 0
	v_or_b32_e32 v42, 0x800, v40
	v_add_u32_e32 v43, 0xa00, v40
	v_or_b32_e32 v70, 0x400, v40
	s_add_i32 s36, s22, -8
	v_add_u32_e32 v79, 0x400, v38
	s_lshl_b64 s[28:29], s[30:31], 4
	v_lshlrev_b64 v[30:31], 1, v[0:1]
	s_branch .LBB297_22
.LBB297_21:                             ;   in Loop: Header=BB297_22 Depth=1
	s_or_b64 exec, exec, s[2:3]
	v_pk_max_f16 v2, v2, v2
	v_pk_max_f16 v20, v20, v20
	;; [unrolled: 1-line block ×7, first 2 shown]
	v_pk_min_f16 v32, v2, v20
	v_pk_min_f16 v33, v2, v22
	v_pk_max_f16 v12, v12, v12
	v_pk_max_f16 v14, v14, v14
	;; [unrolled: 1-line block ×10, first 2 shown]
	v_pk_min_f16 v95, v4, v20
	v_pk_max_f16 v9, v9, v9
	v_pk_max_f16 v11, v11, v11
	v_pk_min_f16 v96, v4, v22
	v_pk_max_f16 v5, v5, v5
	v_pk_max_f16 v7, v7, v7
	v_pk_min_f16 v97, v4, v16
	v_pk_min_f16 v4, v4, v18
	v_pk_max_f16 v0, v0, v0
	v_pk_max_f16 v3, v3, v3
	;; [unrolled: 1-line block ×3, first 2 shown]
	v_pk_min_f16 v98, v6, v20
	v_pk_min_f16 v99, v6, v22
	;; [unrolled: 1-line block ×58, first 2 shown]
	v_pk_add_f16 v1, v69, v32
	v_pk_add_f16 v3, v61, v33
	;; [unrolled: 1-line block ×12, first 2 shown]
	ds_read2_b64 v[0:3], v41 offset0:48 offset1:56
	ds_read2_b64 v[4:7], v38 offset1:32
	v_pk_add_f16 v32, v53, v101
	v_pk_add_f16 v33, v77, v83
	v_pk_add_f16 v53, v68, v84
	v_pk_add_f16 v60, v60, v85
	v_pk_add_f16 v12, v52, v12
	v_pk_add_f16 v8, v50, v8
	v_pk_add_f16 v10, v49, v10
	s_waitcnt lgkmcnt(1)
	v_pk_max_f16 v2, v2, v2
	s_waitcnt lgkmcnt(0)
	v_pk_max_f16 v4, v4, v4
	v_pk_add_f16 v61, v67, v87
	v_pk_add_f16 v14, v51, v14
	;; [unrolled: 1-line block ×8, first 2 shown]
	ds_read2_b64 v[8:11], v38 offset0:64 offset1:96
	v_pk_min_f16 v12, v2, v4
	v_pk_add_f16 v22, v62, v22
	v_pk_add_f16 v62, v14, v15
	;; [unrolled: 1-line block ×3, first 2 shown]
	ds_read2_b64 v[12:15], v41 offset1:8
	v_pk_max_f16 v6, v6, v6
	v_pk_add_f16 v50, v74, v92
	v_pk_add_f16 v74, v16, v17
	v_pk_min_f16 v16, v2, v6
	s_waitcnt lgkmcnt(1)
	v_pk_max_f16 v8, v8, v8
	v_pk_add_f16 v32, v32, v121
	v_pk_add_f16 v54, v54, v16
	v_pk_min_f16 v16, v2, v8
	s_waitcnt lgkmcnt(0)
	v_pk_max_f16 v12, v12, v12
	v_pk_add_f16 v32, v32, v16
	v_pk_min_f16 v16, v12, v4
	v_pk_add_f16 v51, v75, v89
	v_pk_add_f16 v75, v18, v16
	v_pk_min_f16 v16, v12, v6
	v_pk_add_f16 v52, v76, v86
	v_pk_add_f16 v33, v33, v16
	v_pk_min_f16 v16, v12, v8
	v_pk_max_f16 v14, v14, v14
	v_pk_add_f16 v52, v52, v104
	v_pk_add_f16 v76, v53, v16
	v_pk_min_f16 v16, v14, v4
	v_pk_add_f16 v61, v61, v105
	v_pk_add_f16 v83, v52, v16
	v_pk_min_f16 v16, v14, v6
	v_pk_add_f16 v45, v45, v19
	v_pk_add_f16 v84, v61, v16
	ds_read2_b64 v[16:19], v41 offset0:16 offset1:24
	v_pk_add_f16 v59, v59, v88
	v_pk_add_f16 v48, v72, v98
	;; [unrolled: 1-line block ×4, first 2 shown]
	v_pk_max_f16 v10, v10, v10
	v_pk_min_f16 v20, v14, v8
	s_waitcnt lgkmcnt(0)
	v_pk_max_f16 v16, v16, v16
	v_pk_add_f16 v66, v66, v90
	v_pk_add_f16 v51, v51, v107
	;; [unrolled: 1-line block ×3, first 2 shown]
	v_pk_min_f16 v14, v14, v10
	v_pk_min_f16 v20, v16, v4
	v_pk_add_f16 v58, v58, v91
	v_pk_add_f16 v66, v66, v108
	;; [unrolled: 1-line block ×4, first 2 shown]
	v_pk_min_f16 v20, v16, v6
	v_pk_add_f16 v58, v58, v109
	v_pk_add_f16 v66, v66, v20
	v_pk_min_f16 v20, v16, v8
	v_pk_max_f16 v18, v18, v18
	v_pk_add_f16 v65, v65, v93
	v_pk_add_f16 v50, v50, v110
	;; [unrolled: 1-line block ×3, first 2 shown]
	v_pk_min_f16 v20, v18, v4
	v_pk_add_f16 v65, v65, v111
	v_pk_add_f16 v85, v50, v20
	v_pk_min_f16 v20, v18, v6
	v_pk_add_f16 v49, v73, v95
	v_pk_add_f16 v73, v22, v23
	;; [unrolled: 1-line block ×3, first 2 shown]
	ds_read2_b64 v[20:23], v41 offset0:32 offset1:40
	v_pk_add_f16 v57, v57, v94
	v_pk_min_f16 v50, v18, v8
	v_pk_add_f16 v57, v57, v112
	v_pk_add_f16 v64, v64, v96
	s_waitcnt lgkmcnt(0)
	v_pk_max_f16 v20, v20, v20
	v_pk_add_f16 v49, v49, v113
	v_pk_add_f16 v57, v57, v50
	v_pk_min_f16 v50, v20, v4
	v_pk_add_f16 v56, v56, v97
	v_pk_add_f16 v64, v64, v114
	;; [unrolled: 1-line block ×3, first 2 shown]
	v_pk_min_f16 v49, v20, v6
	v_pk_add_f16 v56, v56, v115
	v_pk_add_f16 v64, v64, v49
	v_pk_min_f16 v49, v20, v8
	v_pk_max_f16 v22, v22, v22
	v_pk_add_f16 v63, v63, v99
	v_pk_add_f16 v48, v48, v116
	;; [unrolled: 1-line block ×3, first 2 shown]
	v_pk_min_f16 v49, v22, v4
	v_pk_add_f16 v63, v63, v117
	v_pk_add_f16 v87, v48, v49
	v_pk_min_f16 v48, v22, v6
	v_pk_max_f16 v0, v0, v0
	v_pk_max_f16 v3, v3, v3
	v_pk_max_f16 v5, v5, v5
	v_pk_min_f16 v12, v12, v10
	v_pk_min_f16 v16, v16, v10
	;; [unrolled: 1-line block ×4, first 2 shown]
	v_pk_add_f16 v63, v63, v48
	v_pk_min_f16 v48, v22, v8
	v_pk_min_f16 v22, v22, v10
	;; [unrolled: 1-line block ×8, first 2 shown]
	v_pk_max_f16 v7, v7, v7
	v_pk_add_f16 v20, v69, v20
	v_pk_add_f16 v69, v47, v10
	v_pk_min_f16 v10, v3, v7
	v_pk_max_f16 v9, v9, v9
	v_pk_add_f16 v61, v54, v10
	v_pk_min_f16 v10, v3, v9
	v_pk_max_f16 v11, v11, v11
	v_pk_add_f16 v53, v32, v10
	v_pk_max_f16 v10, v13, v13
	v_pk_add_f16 v12, v60, v12
	v_pk_min_f16 v13, v10, v5
	v_pk_add_f16 v18, v68, v18
	v_pk_add_f16 v77, v75, v13
	v_pk_min_f16 v13, v10, v7
	v_pk_add_f16 v16, v67, v16
	v_pk_add_f16 v68, v33, v13
	v_pk_min_f16 v13, v10, v9
	v_pk_min_f16 v10, v10, v11
	v_pk_add_f16 v60, v76, v13
	v_pk_add_f16 v52, v12, v10
	v_pk_max_f16 v10, v15, v15
	v_pk_add_f16 v8, v74, v8
	v_pk_min_f16 v12, v10, v5
	v_pk_add_f16 v55, v55, v100
	v_pk_add_f16 v76, v83, v12
	v_pk_min_f16 v12, v10, v7
	v_pk_add_f16 v6, v73, v6
	v_pk_add_f16 v67, v84, v12
	v_pk_min_f16 v12, v10, v9
	v_pk_min_f16 v10, v10, v11
	v_pk_add_f16 v59, v59, v12
	v_pk_add_f16 v51, v14, v10
	v_pk_max_f16 v10, v17, v17
	v_pk_add_f16 v55, v55, v118
	v_pk_min_f16 v12, v10, v5
	v_pk_add_f16 v55, v55, v48
	v_pk_add_f16 v75, v62, v12
	v_pk_min_f16 v12, v10, v7
	v_pk_max_f16 v1, v1, v1
	v_pk_add_f16 v66, v66, v12
	v_pk_min_f16 v12, v10, v9
	v_pk_min_f16 v10, v10, v11
	v_pk_add_f16 v58, v58, v12
	v_pk_add_f16 v50, v16, v10
	v_pk_max_f16 v10, v19, v19
	v_pk_add_f16 v4, v72, v4
	v_pk_min_f16 v12, v10, v5
	v_pk_add_f16 v46, v46, v122
	v_pk_add_f16 v74, v85, v12
	v_pk_min_f16 v12, v10, v7
	v_pk_add_f16 v22, v71, v22
	v_pk_add_f16 v65, v65, v12
	v_pk_min_f16 v12, v10, v9
	v_pk_min_f16 v10, v10, v11
	v_pk_add_f16 v57, v57, v12
	v_pk_add_f16 v49, v18, v10
	v_pk_max_f16 v10, v21, v21
	v_pk_add_f16 v0, v46, v0
	v_pk_min_f16 v12, v10, v5
	v_pk_add_f16 v2, v45, v2
	v_pk_add_f16 v73, v86, v12
	v_pk_min_f16 v12, v10, v7
	s_add_i32 s35, s35, 8
	v_pk_add_f16 v64, v64, v12
	v_pk_min_f16 v12, v10, v9
	v_pk_min_f16 v10, v10, v11
	v_pk_add_f16 v56, v56, v12
	v_pk_add_f16 v48, v20, v10
	v_pk_max_f16 v10, v23, v23
	s_cmp_ge_i32 s35, s36
	v_pk_min_f16 v12, v10, v5
	v_pk_min_f16 v5, v1, v5
	v_pk_add_f16 v72, v87, v12
	v_pk_add_f16 v71, v4, v5
	v_pk_min_f16 v4, v1, v7
	v_pk_min_f16 v12, v10, v7
	v_pk_add_f16 v62, v6, v4
	v_pk_min_f16 v4, v1, v9
	v_pk_min_f16 v1, v1, v11
	;; [unrolled: 3-line block ×3, first 2 shown]
	v_pk_add_f16 v46, v0, v1
	v_pk_min_f16 v0, v3, v11
	v_pk_add_f16 v55, v55, v12
	v_pk_add_f16 v47, v22, v10
	v_pk_add_f16 v54, v8, v4
	v_pk_add_f16 v45, v2, v0
	v_lshl_add_u64 v[26:27], v[26:27], 0, s[28:29]
	ds_write_b16 v43, v80
	ds_write_b16 v70, v82
	ds_write_b16 v70, v81 offset:512
	s_waitcnt lgkmcnt(0)
	s_barrier
	s_cbranch_scc1 .LBB297_34
.LBB297_22:                             ; =>This Inner Loop Header: Depth=1
	v_add_u32_e32 v32, s35, v37
	v_add_u32_e32 v0, 8, v32
	v_cmp_gt_i32_e64 s[2:3], s22, v0
	s_and_b64 s[2:3], vcc, s[2:3]
	s_and_b64 s[10:11], s[4:5], s[2:3]
	v_mov_b32_e32 v33, 0
	v_mov_b32_e32 v81, 0
	s_and_saveexec_b64 s[2:3], s[10:11]
	s_cbranch_execz .LBB297_24
; %bb.23:                               ;   in Loop: Header=BB297_22 Depth=1
	v_lshl_add_u64 v[2:3], v[26:27], 0, v[30:31]
	global_load_ushort v1, v[2:3], off
	s_waitcnt vmcnt(0)
	v_mul_f16_e32 v81, v36, v1
.LBB297_24:                             ;   in Loop: Header=BB297_22 Depth=1
	s_or_b64 exec, exec, s[2:3]
	v_cmp_le_i32_e64 s[10:11], s22, v0
	v_min_i32_e32 v0, s34, v0
	v_mad_i64_i32 v[0:1], s[2:3], v0, s23, 0
	v_lshl_add_u64 v[0:1], v[0:1], 1, s[14:15]
	s_or_b64 s[2:3], s[6:7], s[10:11]
	s_nor_b64 s[30:31], s[2:3], s[16:17]
	v_lshl_add_u64 v[0:1], v[24:25], 1, v[0:1]
	s_and_saveexec_b64 s[2:3], s[30:31]
	s_cbranch_execz .LBB297_26
; %bb.25:                               ;   in Loop: Header=BB297_22 Depth=1
	global_load_ushort v2, v[0:1], off
	s_waitcnt vmcnt(0)
	v_mul_f16_e32 v33, v36, v2
.LBB297_26:                             ;   in Loop: Header=BB297_22 Depth=1
	s_or_b64 exec, exec, s[2:3]
	s_or_b64 s[2:3], s[8:9], s[10:11]
	s_nor_b64 s[10:11], s[2:3], s[16:17]
	v_mov_b32_e32 v80, 0
	v_mov_b32_e32 v82, 0
	s_and_saveexec_b64 s[2:3], s[10:11]
	s_cbranch_execz .LBB297_28
; %bb.27:                               ;   in Loop: Header=BB297_22 Depth=1
	global_load_ushort v0, v[0:1], off offset:128
	s_waitcnt vmcnt(0)
	v_mul_f16_e32 v82, v36, v0
.LBB297_28:                             ;   in Loop: Header=BB297_22 Depth=1
	s_or_b64 exec, exec, s[2:3]
	ds_read2_b64 v[0:3], v78 offset0:48 offset1:56
	ds_read2_b64 v[16:19], v79 offset0:64 offset1:96
	ds_read2_b64 v[20:23], v79 offset1:32
	ds_read2_b64 v[12:15], v78 offset1:8
	ds_read2_b64 v[8:11], v78 offset0:16 offset1:24
	ds_read2_b64 v[4:7], v78 offset0:32 offset1:40
	v_add_u32_e32 v32, 12, v32
	v_cmp_gt_i32_e64 s[2:3], s22, v32
	s_and_b64 s[2:3], vcc, s[2:3]
	s_and_b64 s[2:3], s[4:5], s[2:3]
	ds_write_b16 v42, v81
	ds_write_b16 v40, v33
	ds_write_b16 v40, v82 offset:512
	s_waitcnt lgkmcnt(0)
	s_barrier
	s_and_saveexec_b64 s[10:11], s[2:3]
	s_xor_b64 s[2:3], exec, s[10:11]
	s_cbranch_execz .LBB297_30
; %bb.29:                               ;   in Loop: Header=BB297_22 Depth=1
	v_lshl_add_u64 v[80:81], v[26:27], 0, v[28:29]
	global_load_ushort v33, v[80:81], off
	s_waitcnt vmcnt(0)
	v_mul_f16_e32 v80, v36, v33
.LBB297_30:                             ;   in Loop: Header=BB297_22 Depth=1
	s_or_b64 exec, exec, s[2:3]
	v_cmp_le_i32_e64 s[10:11], s22, v32
	v_min_i32_e32 v32, s34, v32
	v_mad_i64_i32 v[32:33], s[2:3], v32, s23, 0
	v_lshl_add_u64 v[32:33], v[32:33], 1, s[14:15]
	s_or_b64 s[2:3], s[6:7], s[10:11]
	s_nor_b64 s[30:31], s[2:3], s[16:17]
	v_mov_b32_e32 v81, 0
	v_lshl_add_u64 v[32:33], v[24:25], 1, v[32:33]
	v_mov_b32_e32 v82, 0
	s_and_saveexec_b64 s[2:3], s[30:31]
	s_cbranch_execz .LBB297_32
; %bb.31:                               ;   in Loop: Header=BB297_22 Depth=1
	global_load_ushort v82, v[32:33], off
	s_waitcnt vmcnt(0)
	v_mul_f16_e32 v82, v36, v82
.LBB297_32:                             ;   in Loop: Header=BB297_22 Depth=1
	s_or_b64 exec, exec, s[2:3]
	s_or_b64 s[2:3], s[8:9], s[10:11]
	s_nor_b64 s[10:11], s[2:3], s[16:17]
	s_and_saveexec_b64 s[2:3], s[10:11]
	s_cbranch_execz .LBB297_21
; %bb.33:                               ;   in Loop: Header=BB297_22 Depth=1
	global_load_ushort v32, v[32:33], off offset:128
	s_waitcnt vmcnt(0)
	v_mul_f16_e32 v81, v36, v32
	s_branch .LBB297_21
.LBB297_34:
	s_load_dwordx2 s[2:3], s[0:1], 0x78
	s_load_dword s29, s[0:1], 0x58
	s_load_dword s28, s[0:1], 0x70
	v_add_u32_e32 v8, 0x800, v39
	ds_read2_b64 v[0:3], v8 offset0:112 offset1:120
	ds_read2_b64 v[4:7], v38 offset0:192 offset1:224
	;; [unrolled: 1-line block ×6, first 2 shown]
	s_waitcnt lgkmcnt(0)
	s_mul_i32 s1, s3, s26
	s_mul_hi_u32 s3, s2, s26
	s_mul_i32 s0, s2, s26
	s_add_i32 s1, s3, s1
	s_lshl_b64 s[0:1], s[0:1], 1
	s_add_u32 s22, s18, s0
	v_add_u32_e32 v70, s33, v35
	s_addc_u32 s23, s19, s1
	v_mad_i64_i32 v[26:27], s[0:1], v70, s29, 0
	v_add_u32_e32 v24, s27, v34
	v_lshl_add_u64 v[42:43], v[26:27], 1, s[24:25]
	v_mad_i64_i32 v[26:27], s[0:1], v70, s28, 0
	v_cmp_gt_i32_e64 s[18:19], s21, v70
	v_lshl_add_u64 v[40:41], v[26:27], 1, s[22:23]
	v_cmp_gt_i32_e64 s[4:5], s20, v24
	v_cndmask_b32_e64 v26, 0, 1, s[12:13]
	s_and_b64 s[2:3], s[4:5], s[18:19]
	v_ashrrev_i32_e32 v25, 31, v24
	v_cmp_ne_u32_e64 s[0:1], 1, v26
	s_and_saveexec_b64 s[6:7], s[2:3]
	s_xor_b64 s[2:3], exec, s[6:7]
	s_cbranch_execz .LBB297_39
; %bb.35:
	s_and_b64 vcc, exec, s[0:1]
	s_cbranch_vccnz .LBB297_37
; %bb.36:
	v_lshl_add_u64 v[26:27], v[24:25], 1, v[42:43]
	global_load_ushort v26, v[26:27], off
	s_waitcnt vmcnt(0)
	v_mul_f16_e32 v26, v44, v26
	s_branch .LBB297_38
.LBB297_37:
	v_mov_b32_e32 v26, 0
.LBB297_38:
	v_pk_max_f16 v27, v20, v20
	v_pk_max_f16 v28, v16, v16
	v_pk_max_f16 v29, v17, v17
	v_pk_min_f16 v27, v28, v27
	v_pk_max_f16 v28, v21, v21
	v_pk_add_f16 v27, v77, v27
	v_pk_min_f16 v28, v29, v28
	s_nop 0
	v_pk_add_f16 v27, v27, v28
	s_nop 0
	v_add_f16_sdwa v27, v27, v27 dst_sel:DWORD dst_unused:UNUSED_PAD src0_sel:DWORD src1_sel:WORD_1
	v_add_f16_e32 v28, v27, v26
	v_lshl_add_u64 v[26:27], v[24:25], 1, v[40:41]
	global_store_short v[26:27], v28, off
.LBB297_39:
	s_or_b64 exec, exec, s[2:3]
	v_add_u32_e32 v26, 8, v24
	v_cmp_gt_i32_e64 s[2:3], s20, v26
	s_and_b64 s[8:9], s[2:3], s[18:19]
	v_ashrrev_i32_e32 v27, 31, v26
	s_and_saveexec_b64 s[6:7], s[8:9]
	s_cbranch_execz .LBB297_44
; %bb.40:
	s_and_b64 vcc, exec, s[0:1]
	s_cbranch_vccnz .LBB297_42
; %bb.41:
	v_lshl_add_u64 v[28:29], v[26:27], 1, v[42:43]
	global_load_ushort v28, v[28:29], off
	s_waitcnt vmcnt(0)
	v_mul_f16_e32 v28, v44, v28
	s_branch .LBB297_43
.LBB297_42:
	v_mov_b32_e32 v28, 0
.LBB297_43:
	v_pk_max_f16 v29, v20, v20
	v_pk_max_f16 v30, v18, v18
	v_pk_max_f16 v31, v19, v19
	v_pk_min_f16 v29, v30, v29
	v_pk_max_f16 v30, v21, v21
	v_pk_add_f16 v29, v76, v29
	v_pk_min_f16 v30, v31, v30
	s_nop 0
	v_pk_add_f16 v29, v29, v30
	s_nop 0
	v_add_f16_sdwa v29, v29, v29 dst_sel:DWORD dst_unused:UNUSED_PAD src0_sel:DWORD src1_sel:WORD_1
	v_add_f16_e32 v30, v29, v28
	v_lshl_add_u64 v[28:29], v[26:27], 1, v[40:41]
	global_store_short v[28:29], v30, off
.LBB297_44:
	s_or_b64 exec, exec, s[6:7]
	v_add_u32_e32 v28, 16, v24
	v_cmp_gt_i32_e64 s[6:7], s20, v28
	s_and_b64 s[10:11], s[6:7], s[18:19]
	v_ashrrev_i32_e32 v29, 31, v28
	s_and_saveexec_b64 s[8:9], s[10:11]
	;; [unrolled: 34-line block ×6, first 2 shown]
	s_cbranch_execz .LBB297_69
; %bb.65:
	s_and_b64 vcc, exec, s[0:1]
	s_cbranch_vccnz .LBB297_67
; %bb.66:
	v_lshl_add_u64 v[38:39], v[36:37], 1, v[42:43]
	global_load_ushort v38, v[38:39], off
	s_waitcnt vmcnt(0)
	v_mul_f16_e32 v38, v44, v38
	s_branch .LBB297_68
.LBB297_67:
	v_mov_b32_e32 v38, 0
.LBB297_68:
	v_pk_max_f16 v39, v20, v20
	v_pk_max_f16 v72, v0, v0
	s_nop 0
	v_pk_min_f16 v39, v72, v39
	v_pk_max_f16 v72, v1, v1
	v_pk_add_f16 v39, v71, v39
	v_pk_max_f16 v71, v21, v21
	s_nop 0
	v_pk_min_f16 v71, v72, v71
	s_nop 0
	v_pk_add_f16 v39, v39, v71
	s_nop 0
	v_add_f16_sdwa v39, v39, v39 dst_sel:DWORD dst_unused:UNUSED_PAD src0_sel:DWORD src1_sel:WORD_1
	v_add_f16_e32 v71, v39, v38
	v_lshl_add_u64 v[38:39], v[36:37], 1, v[40:41]
	global_store_short v[38:39], v71, off
.LBB297_69:
	s_or_b64 exec, exec, s[16:17]
	v_add_u32_e32 v38, 56, v24
	v_cmp_gt_i32_e64 s[16:17], s20, v38
	s_and_b64 s[26:27], s[16:17], s[18:19]
	v_ashrrev_i32_e32 v39, 31, v38
	s_and_saveexec_b64 s[18:19], s[26:27]
	s_cbranch_execz .LBB297_74
; %bb.70:
	s_and_b64 vcc, exec, s[0:1]
	s_cbranch_vccnz .LBB297_72
; %bb.71:
	v_lshl_add_u64 v[42:43], v[38:39], 1, v[42:43]
	global_load_ushort v42, v[42:43], off
	s_waitcnt vmcnt(0)
	v_mul_f16_e32 v42, v44, v42
	s_branch .LBB297_73
.LBB297_72:
	v_mov_b32_e32 v42, 0
.LBB297_73:
	v_pk_max_f16 v20, v20, v20
	v_pk_max_f16 v43, v2, v2
	;; [unrolled: 1-line block ×3, first 2 shown]
	v_pk_min_f16 v20, v43, v20
	v_pk_max_f16 v43, v3, v3
	v_pk_add_f16 v20, v69, v20
	v_pk_min_f16 v21, v43, v21
	s_nop 0
	v_pk_add_f16 v20, v20, v21
	s_nop 0
	v_add_f16_sdwa v20, v20, v20 dst_sel:DWORD dst_unused:UNUSED_PAD src0_sel:DWORD src1_sel:WORD_1
	v_add_f16_e32 v42, v20, v42
	v_lshl_add_u64 v[20:21], v[38:39], 1, v[40:41]
	global_store_short v[20:21], v42, off
.LBB297_74:
	s_or_b64 exec, exec, s[18:19]
	v_add_u32_e32 v42, 32, v70
	v_mad_i64_i32 v[20:21], s[26:27], v42, s29, 0
	v_cmp_gt_i32_e64 s[18:19], s21, v42
	v_lshl_add_u64 v[40:41], v[20:21], 1, s[24:25]
	v_mad_i64_i32 v[20:21], s[26:27], v42, s28, 0
	v_lshl_add_u64 v[20:21], v[20:21], 1, s[22:23]
	s_and_b64 s[30:31], s[4:5], s[18:19]
	s_and_saveexec_b64 s[26:27], s[30:31]
	s_cbranch_execnz .LBB297_82
; %bb.75:
	s_or_b64 exec, exec, s[26:27]
	s_and_b64 s[30:31], s[2:3], s[18:19]
	s_and_saveexec_b64 s[26:27], s[30:31]
	s_cbranch_execnz .LBB297_86
.LBB297_76:
	s_or_b64 exec, exec, s[26:27]
	s_and_b64 s[30:31], s[6:7], s[18:19]
	s_and_saveexec_b64 s[26:27], s[30:31]
	s_cbranch_execnz .LBB297_90
.LBB297_77:
	s_or_b64 exec, exec, s[26:27]
	s_and_b64 s[30:31], s[8:9], s[18:19]
	s_and_saveexec_b64 s[26:27], s[30:31]
	s_cbranch_execnz .LBB297_94
.LBB297_78:
	s_or_b64 exec, exec, s[26:27]
	s_and_b64 s[30:31], s[10:11], s[18:19]
	s_and_saveexec_b64 s[26:27], s[30:31]
	s_cbranch_execnz .LBB297_98
.LBB297_79:
	s_or_b64 exec, exec, s[26:27]
	s_and_b64 s[30:31], s[12:13], s[18:19]
	s_and_saveexec_b64 s[26:27], s[30:31]
	s_cbranch_execnz .LBB297_102
.LBB297_80:
	s_or_b64 exec, exec, s[26:27]
	s_and_b64 s[30:31], s[14:15], s[18:19]
	s_and_saveexec_b64 s[26:27], s[30:31]
	s_cbranch_execnz .LBB297_106
.LBB297_81:
	s_or_b64 exec, exec, s[26:27]
	s_and_b64 s[26:27], s[16:17], s[18:19]
	s_and_saveexec_b64 s[18:19], s[26:27]
	s_cbranch_execnz .LBB297_110
	s_branch .LBB297_114
.LBB297_82:
	s_and_b64 vcc, exec, s[0:1]
	s_cbranch_vccnz .LBB297_84
; %bb.83:
	v_lshl_add_u64 v[42:43], v[24:25], 1, v[40:41]
	global_load_ushort v42, v[42:43], off
	s_waitcnt vmcnt(0)
	v_mul_f16_e32 v42, v44, v42
	s_branch .LBB297_85
.LBB297_84:
	v_mov_b32_e32 v42, 0
.LBB297_85:
	v_pk_max_f16 v43, v22, v22
	v_pk_max_f16 v69, v16, v16
	s_nop 0
	v_pk_min_f16 v43, v69, v43
	v_pk_max_f16 v69, v17, v17
	v_pk_add_f16 v43, v68, v43
	v_pk_max_f16 v68, v23, v23
	s_nop 0
	v_pk_min_f16 v68, v69, v68
	s_nop 0
	v_pk_add_f16 v43, v43, v68
	s_nop 0
	v_add_f16_sdwa v43, v43, v43 dst_sel:DWORD dst_unused:UNUSED_PAD src0_sel:DWORD src1_sel:WORD_1
	v_add_f16_e32 v68, v43, v42
	v_lshl_add_u64 v[42:43], v[24:25], 1, v[20:21]
	global_store_short v[42:43], v68, off
	s_or_b64 exec, exec, s[26:27]
	s_and_b64 s[30:31], s[2:3], s[18:19]
	s_and_saveexec_b64 s[26:27], s[30:31]
	s_cbranch_execz .LBB297_76
.LBB297_86:
	s_and_b64 vcc, exec, s[0:1]
	s_cbranch_vccnz .LBB297_88
; %bb.87:
	v_lshl_add_u64 v[42:43], v[26:27], 1, v[40:41]
	global_load_ushort v42, v[42:43], off
	s_waitcnt vmcnt(0)
	v_mul_f16_e32 v42, v44, v42
	s_branch .LBB297_89
.LBB297_88:
	v_mov_b32_e32 v42, 0
.LBB297_89:
	v_pk_max_f16 v43, v22, v22
	v_pk_max_f16 v68, v18, v18
	s_nop 0
	v_pk_min_f16 v43, v68, v43
	v_pk_max_f16 v68, v19, v19
	v_pk_add_f16 v43, v67, v43
	v_pk_max_f16 v67, v23, v23
	s_nop 0
	v_pk_min_f16 v67, v68, v67
	s_nop 0
	v_pk_add_f16 v43, v43, v67
	s_nop 0
	v_add_f16_sdwa v43, v43, v43 dst_sel:DWORD dst_unused:UNUSED_PAD src0_sel:DWORD src1_sel:WORD_1
	v_add_f16_e32 v67, v43, v42
	v_lshl_add_u64 v[42:43], v[26:27], 1, v[20:21]
	global_store_short v[42:43], v67, off
	s_or_b64 exec, exec, s[26:27]
	s_and_b64 s[30:31], s[6:7], s[18:19]
	s_and_saveexec_b64 s[26:27], s[30:31]
	s_cbranch_execz .LBB297_77
.LBB297_90:
	s_and_b64 vcc, exec, s[0:1]
	s_cbranch_vccnz .LBB297_92
; %bb.91:
	v_lshl_add_u64 v[42:43], v[28:29], 1, v[40:41]
	global_load_ushort v42, v[42:43], off
	s_waitcnt vmcnt(0)
	v_mul_f16_e32 v42, v44, v42
	s_branch .LBB297_93
.LBB297_92:
	v_mov_b32_e32 v42, 0
.LBB297_93:
	v_pk_max_f16 v43, v22, v22
	v_pk_max_f16 v67, v12, v12
	s_nop 0
	v_pk_min_f16 v43, v67, v43
	v_pk_max_f16 v67, v13, v13
	v_pk_add_f16 v43, v66, v43
	v_pk_max_f16 v66, v23, v23
	s_nop 0
	v_pk_min_f16 v66, v67, v66
	s_nop 0
	v_pk_add_f16 v43, v43, v66
	s_nop 0
	v_add_f16_sdwa v43, v43, v43 dst_sel:DWORD dst_unused:UNUSED_PAD src0_sel:DWORD src1_sel:WORD_1
	v_add_f16_e32 v66, v43, v42
	v_lshl_add_u64 v[42:43], v[28:29], 1, v[20:21]
	global_store_short v[42:43], v66, off
	s_or_b64 exec, exec, s[26:27]
	s_and_b64 s[30:31], s[8:9], s[18:19]
	s_and_saveexec_b64 s[26:27], s[30:31]
	s_cbranch_execz .LBB297_78
.LBB297_94:
	s_and_b64 vcc, exec, s[0:1]
	s_cbranch_vccnz .LBB297_96
; %bb.95:
	v_lshl_add_u64 v[42:43], v[30:31], 1, v[40:41]
	global_load_ushort v42, v[42:43], off
	s_waitcnt vmcnt(0)
	v_mul_f16_e32 v42, v44, v42
	s_branch .LBB297_97
.LBB297_96:
	v_mov_b32_e32 v42, 0
.LBB297_97:
	v_pk_max_f16 v43, v22, v22
	v_pk_max_f16 v66, v14, v14
	s_nop 0
	v_pk_min_f16 v43, v66, v43
	v_pk_max_f16 v66, v15, v15
	v_pk_add_f16 v43, v65, v43
	v_pk_max_f16 v65, v23, v23
	s_nop 0
	v_pk_min_f16 v65, v66, v65
	s_nop 0
	v_pk_add_f16 v43, v43, v65
	s_nop 0
	v_add_f16_sdwa v43, v43, v43 dst_sel:DWORD dst_unused:UNUSED_PAD src0_sel:DWORD src1_sel:WORD_1
	v_add_f16_e32 v65, v43, v42
	v_lshl_add_u64 v[42:43], v[30:31], 1, v[20:21]
	global_store_short v[42:43], v65, off
	s_or_b64 exec, exec, s[26:27]
	s_and_b64 s[30:31], s[10:11], s[18:19]
	s_and_saveexec_b64 s[26:27], s[30:31]
	s_cbranch_execz .LBB297_79
.LBB297_98:
	s_and_b64 vcc, exec, s[0:1]
	s_cbranch_vccnz .LBB297_100
; %bb.99:
	v_lshl_add_u64 v[42:43], v[32:33], 1, v[40:41]
	global_load_ushort v42, v[42:43], off
	s_waitcnt vmcnt(0)
	v_mul_f16_e32 v42, v44, v42
	s_branch .LBB297_101
.LBB297_100:
	v_mov_b32_e32 v42, 0
.LBB297_101:
	v_pk_max_f16 v43, v22, v22
	v_pk_max_f16 v65, v8, v8
	s_nop 0
	v_pk_min_f16 v43, v65, v43
	v_pk_max_f16 v65, v9, v9
	v_pk_add_f16 v43, v64, v43
	v_pk_max_f16 v64, v23, v23
	s_nop 0
	v_pk_min_f16 v64, v65, v64
	s_nop 0
	v_pk_add_f16 v43, v43, v64
	s_nop 0
	v_add_f16_sdwa v43, v43, v43 dst_sel:DWORD dst_unused:UNUSED_PAD src0_sel:DWORD src1_sel:WORD_1
	v_add_f16_e32 v64, v43, v42
	v_lshl_add_u64 v[42:43], v[32:33], 1, v[20:21]
	global_store_short v[42:43], v64, off
	s_or_b64 exec, exec, s[26:27]
	s_and_b64 s[30:31], s[12:13], s[18:19]
	s_and_saveexec_b64 s[26:27], s[30:31]
	s_cbranch_execz .LBB297_80
.LBB297_102:
	s_and_b64 vcc, exec, s[0:1]
	s_cbranch_vccnz .LBB297_104
; %bb.103:
	v_lshl_add_u64 v[42:43], v[34:35], 1, v[40:41]
	global_load_ushort v42, v[42:43], off
	s_waitcnt vmcnt(0)
	v_mul_f16_e32 v42, v44, v42
	s_branch .LBB297_105
.LBB297_104:
	v_mov_b32_e32 v42, 0
.LBB297_105:
	v_pk_max_f16 v43, v22, v22
	v_pk_max_f16 v64, v10, v10
	s_nop 0
	v_pk_min_f16 v43, v64, v43
	v_pk_max_f16 v64, v11, v11
	v_pk_add_f16 v43, v63, v43
	v_pk_max_f16 v63, v23, v23
	s_nop 0
	v_pk_min_f16 v63, v64, v63
	s_nop 0
	v_pk_add_f16 v43, v43, v63
	s_nop 0
	v_add_f16_sdwa v43, v43, v43 dst_sel:DWORD dst_unused:UNUSED_PAD src0_sel:DWORD src1_sel:WORD_1
	v_add_f16_e32 v63, v43, v42
	v_lshl_add_u64 v[42:43], v[34:35], 1, v[20:21]
	global_store_short v[42:43], v63, off
	s_or_b64 exec, exec, s[26:27]
	s_and_b64 s[30:31], s[14:15], s[18:19]
	s_and_saveexec_b64 s[26:27], s[30:31]
	s_cbranch_execz .LBB297_81
.LBB297_106:
	s_and_b64 vcc, exec, s[0:1]
	s_cbranch_vccnz .LBB297_108
; %bb.107:
	v_lshl_add_u64 v[42:43], v[36:37], 1, v[40:41]
	global_load_ushort v42, v[42:43], off
	s_waitcnt vmcnt(0)
	v_mul_f16_e32 v42, v44, v42
	s_branch .LBB297_109
.LBB297_108:
	v_mov_b32_e32 v42, 0
.LBB297_109:
	v_pk_max_f16 v43, v22, v22
	v_pk_max_f16 v63, v0, v0
	s_nop 0
	v_pk_min_f16 v43, v63, v43
	v_pk_max_f16 v63, v1, v1
	v_pk_add_f16 v43, v62, v43
	v_pk_max_f16 v62, v23, v23
	s_nop 0
	v_pk_min_f16 v62, v63, v62
	s_nop 0
	v_pk_add_f16 v43, v43, v62
	s_nop 0
	v_add_f16_sdwa v43, v43, v43 dst_sel:DWORD dst_unused:UNUSED_PAD src0_sel:DWORD src1_sel:WORD_1
	v_add_f16_e32 v62, v43, v42
	v_lshl_add_u64 v[42:43], v[36:37], 1, v[20:21]
	global_store_short v[42:43], v62, off
	s_or_b64 exec, exec, s[26:27]
	s_and_b64 s[26:27], s[16:17], s[18:19]
	s_and_saveexec_b64 s[18:19], s[26:27]
	s_cbranch_execz .LBB297_114
.LBB297_110:
	s_and_b64 vcc, exec, s[0:1]
	s_cbranch_vccnz .LBB297_112
; %bb.111:
	v_lshl_add_u64 v[40:41], v[38:39], 1, v[40:41]
	global_load_ushort v40, v[40:41], off
	s_waitcnt vmcnt(0)
	v_mul_f16_e32 v40, v44, v40
	s_branch .LBB297_113
.LBB297_112:
	v_mov_b32_e32 v40, 0
.LBB297_113:
	v_pk_max_f16 v22, v22, v22
	v_pk_max_f16 v41, v2, v2
	;; [unrolled: 1-line block ×3, first 2 shown]
	v_pk_min_f16 v22, v41, v22
	v_pk_max_f16 v41, v3, v3
	v_pk_add_f16 v22, v61, v22
	v_pk_min_f16 v23, v41, v23
	v_lshl_add_u64 v[20:21], v[38:39], 1, v[20:21]
	v_pk_add_f16 v22, v22, v23
	s_nop 0
	v_add_f16_sdwa v22, v22, v22 dst_sel:DWORD dst_unused:UNUSED_PAD src0_sel:DWORD src1_sel:WORD_1
	v_add_f16_e32 v22, v22, v40
	global_store_short v[20:21], v22, off
.LBB297_114:
	s_or_b64 exec, exec, s[18:19]
	v_add_u32_e32 v40, 64, v70
	v_mad_i64_i32 v[20:21], s[26:27], v40, s29, 0
	v_cmp_gt_i32_e64 s[18:19], s21, v40
	v_lshl_add_u64 v[22:23], v[20:21], 1, s[24:25]
	v_mad_i64_i32 v[20:21], s[26:27], v40, s28, 0
	v_lshl_add_u64 v[20:21], v[20:21], 1, s[22:23]
	s_and_b64 s[30:31], s[4:5], s[18:19]
	s_and_saveexec_b64 s[26:27], s[30:31]
	s_cbranch_execnz .LBB297_122
; %bb.115:
	s_or_b64 exec, exec, s[26:27]
	s_and_b64 s[30:31], s[2:3], s[18:19]
	s_and_saveexec_b64 s[26:27], s[30:31]
	s_cbranch_execnz .LBB297_126
.LBB297_116:
	s_or_b64 exec, exec, s[26:27]
	s_and_b64 s[30:31], s[6:7], s[18:19]
	s_and_saveexec_b64 s[26:27], s[30:31]
	s_cbranch_execnz .LBB297_130
.LBB297_117:
	s_or_b64 exec, exec, s[26:27]
	s_and_b64 s[30:31], s[8:9], s[18:19]
	s_and_saveexec_b64 s[26:27], s[30:31]
	s_cbranch_execnz .LBB297_134
.LBB297_118:
	s_or_b64 exec, exec, s[26:27]
	s_and_b64 s[30:31], s[10:11], s[18:19]
	s_and_saveexec_b64 s[26:27], s[30:31]
	s_cbranch_execnz .LBB297_138
.LBB297_119:
	s_or_b64 exec, exec, s[26:27]
	s_and_b64 s[30:31], s[12:13], s[18:19]
	s_and_saveexec_b64 s[26:27], s[30:31]
	s_cbranch_execnz .LBB297_142
.LBB297_120:
	s_or_b64 exec, exec, s[26:27]
	s_and_b64 s[30:31], s[14:15], s[18:19]
	s_and_saveexec_b64 s[26:27], s[30:31]
	s_cbranch_execnz .LBB297_146
.LBB297_121:
	s_or_b64 exec, exec, s[26:27]
	s_and_b64 s[26:27], s[16:17], s[18:19]
	s_and_saveexec_b64 s[18:19], s[26:27]
	s_cbranch_execnz .LBB297_150
	s_branch .LBB297_154
.LBB297_122:
	s_and_b64 vcc, exec, s[0:1]
	s_cbranch_vccnz .LBB297_124
; %bb.123:
	v_lshl_add_u64 v[40:41], v[24:25], 1, v[22:23]
	global_load_ushort v40, v[40:41], off
	s_waitcnt vmcnt(0)
	v_mul_f16_e32 v40, v44, v40
	s_branch .LBB297_125
.LBB297_124:
	v_mov_b32_e32 v40, 0
.LBB297_125:
	v_pk_max_f16 v41, v4, v4
	v_pk_max_f16 v42, v16, v16
	;; [unrolled: 1-line block ×3, first 2 shown]
	v_pk_min_f16 v41, v42, v41
	v_pk_max_f16 v42, v5, v5
	v_pk_add_f16 v41, v60, v41
	v_pk_min_f16 v42, v43, v42
	s_nop 0
	v_pk_add_f16 v41, v41, v42
	s_nop 0
	v_add_f16_sdwa v41, v41, v41 dst_sel:DWORD dst_unused:UNUSED_PAD src0_sel:DWORD src1_sel:WORD_1
	v_add_f16_e32 v42, v41, v40
	v_lshl_add_u64 v[40:41], v[24:25], 1, v[20:21]
	global_store_short v[40:41], v42, off
	s_or_b64 exec, exec, s[26:27]
	s_and_b64 s[30:31], s[2:3], s[18:19]
	s_and_saveexec_b64 s[26:27], s[30:31]
	s_cbranch_execz .LBB297_116
.LBB297_126:
	s_and_b64 vcc, exec, s[0:1]
	s_cbranch_vccnz .LBB297_128
; %bb.127:
	v_lshl_add_u64 v[40:41], v[26:27], 1, v[22:23]
	global_load_ushort v40, v[40:41], off
	s_waitcnt vmcnt(0)
	v_mul_f16_e32 v40, v44, v40
	s_branch .LBB297_129
.LBB297_128:
	v_mov_b32_e32 v40, 0
.LBB297_129:
	v_pk_max_f16 v41, v4, v4
	v_pk_max_f16 v42, v18, v18
	;; [unrolled: 1-line block ×3, first 2 shown]
	v_pk_min_f16 v41, v42, v41
	v_pk_max_f16 v42, v5, v5
	v_pk_add_f16 v41, v59, v41
	v_pk_min_f16 v42, v43, v42
	s_nop 0
	v_pk_add_f16 v41, v41, v42
	s_nop 0
	v_add_f16_sdwa v41, v41, v41 dst_sel:DWORD dst_unused:UNUSED_PAD src0_sel:DWORD src1_sel:WORD_1
	v_add_f16_e32 v42, v41, v40
	v_lshl_add_u64 v[40:41], v[26:27], 1, v[20:21]
	global_store_short v[40:41], v42, off
	s_or_b64 exec, exec, s[26:27]
	s_and_b64 s[30:31], s[6:7], s[18:19]
	s_and_saveexec_b64 s[26:27], s[30:31]
	s_cbranch_execz .LBB297_117
.LBB297_130:
	s_and_b64 vcc, exec, s[0:1]
	s_cbranch_vccnz .LBB297_132
; %bb.131:
	v_lshl_add_u64 v[40:41], v[28:29], 1, v[22:23]
	global_load_ushort v40, v[40:41], off
	s_waitcnt vmcnt(0)
	v_mul_f16_e32 v40, v44, v40
	s_branch .LBB297_133
.LBB297_132:
	v_mov_b32_e32 v40, 0
.LBB297_133:
	v_pk_max_f16 v41, v4, v4
	v_pk_max_f16 v42, v12, v12
	;; [unrolled: 1-line block ×3, first 2 shown]
	v_pk_min_f16 v41, v42, v41
	v_pk_max_f16 v42, v5, v5
	v_pk_add_f16 v41, v58, v41
	v_pk_min_f16 v42, v43, v42
	s_nop 0
	v_pk_add_f16 v41, v41, v42
	s_nop 0
	v_add_f16_sdwa v41, v41, v41 dst_sel:DWORD dst_unused:UNUSED_PAD src0_sel:DWORD src1_sel:WORD_1
	v_add_f16_e32 v42, v41, v40
	v_lshl_add_u64 v[40:41], v[28:29], 1, v[20:21]
	global_store_short v[40:41], v42, off
	s_or_b64 exec, exec, s[26:27]
	s_and_b64 s[30:31], s[8:9], s[18:19]
	s_and_saveexec_b64 s[26:27], s[30:31]
	s_cbranch_execz .LBB297_118
.LBB297_134:
	s_and_b64 vcc, exec, s[0:1]
	s_cbranch_vccnz .LBB297_136
; %bb.135:
	v_lshl_add_u64 v[40:41], v[30:31], 1, v[22:23]
	global_load_ushort v40, v[40:41], off
	s_waitcnt vmcnt(0)
	v_mul_f16_e32 v40, v44, v40
	s_branch .LBB297_137
.LBB297_136:
	v_mov_b32_e32 v40, 0
.LBB297_137:
	v_pk_max_f16 v41, v4, v4
	v_pk_max_f16 v42, v14, v14
	v_pk_max_f16 v43, v15, v15
	v_pk_min_f16 v41, v42, v41
	v_pk_max_f16 v42, v5, v5
	v_pk_add_f16 v41, v57, v41
	v_pk_min_f16 v42, v43, v42
	s_nop 0
	v_pk_add_f16 v41, v41, v42
	s_nop 0
	v_add_f16_sdwa v41, v41, v41 dst_sel:DWORD dst_unused:UNUSED_PAD src0_sel:DWORD src1_sel:WORD_1
	v_add_f16_e32 v42, v41, v40
	v_lshl_add_u64 v[40:41], v[30:31], 1, v[20:21]
	global_store_short v[40:41], v42, off
	s_or_b64 exec, exec, s[26:27]
	s_and_b64 s[30:31], s[10:11], s[18:19]
	s_and_saveexec_b64 s[26:27], s[30:31]
	s_cbranch_execz .LBB297_119
.LBB297_138:
	s_and_b64 vcc, exec, s[0:1]
	s_cbranch_vccnz .LBB297_140
; %bb.139:
	v_lshl_add_u64 v[40:41], v[32:33], 1, v[22:23]
	global_load_ushort v40, v[40:41], off
	s_waitcnt vmcnt(0)
	v_mul_f16_e32 v40, v44, v40
	s_branch .LBB297_141
.LBB297_140:
	v_mov_b32_e32 v40, 0
.LBB297_141:
	v_pk_max_f16 v41, v4, v4
	v_pk_max_f16 v42, v8, v8
	v_pk_max_f16 v43, v9, v9
	v_pk_min_f16 v41, v42, v41
	v_pk_max_f16 v42, v5, v5
	v_pk_add_f16 v41, v56, v41
	v_pk_min_f16 v42, v43, v42
	s_nop 0
	v_pk_add_f16 v41, v41, v42
	s_nop 0
	v_add_f16_sdwa v41, v41, v41 dst_sel:DWORD dst_unused:UNUSED_PAD src0_sel:DWORD src1_sel:WORD_1
	v_add_f16_e32 v42, v41, v40
	v_lshl_add_u64 v[40:41], v[32:33], 1, v[20:21]
	global_store_short v[40:41], v42, off
	s_or_b64 exec, exec, s[26:27]
	s_and_b64 s[30:31], s[12:13], s[18:19]
	s_and_saveexec_b64 s[26:27], s[30:31]
	s_cbranch_execz .LBB297_120
.LBB297_142:
	s_and_b64 vcc, exec, s[0:1]
	s_cbranch_vccnz .LBB297_144
; %bb.143:
	v_lshl_add_u64 v[40:41], v[34:35], 1, v[22:23]
	global_load_ushort v40, v[40:41], off
	s_waitcnt vmcnt(0)
	v_mul_f16_e32 v40, v44, v40
	s_branch .LBB297_145
.LBB297_144:
	v_mov_b32_e32 v40, 0
.LBB297_145:
	v_pk_max_f16 v41, v4, v4
	v_pk_max_f16 v42, v10, v10
	v_pk_max_f16 v43, v11, v11
	v_pk_min_f16 v41, v42, v41
	v_pk_max_f16 v42, v5, v5
	v_pk_add_f16 v41, v55, v41
	v_pk_min_f16 v42, v43, v42
	s_nop 0
	v_pk_add_f16 v41, v41, v42
	s_nop 0
	v_add_f16_sdwa v41, v41, v41 dst_sel:DWORD dst_unused:UNUSED_PAD src0_sel:DWORD src1_sel:WORD_1
	v_add_f16_e32 v42, v41, v40
	v_lshl_add_u64 v[40:41], v[34:35], 1, v[20:21]
	global_store_short v[40:41], v42, off
	s_or_b64 exec, exec, s[26:27]
	s_and_b64 s[30:31], s[14:15], s[18:19]
	s_and_saveexec_b64 s[26:27], s[30:31]
	s_cbranch_execz .LBB297_121
.LBB297_146:
	s_and_b64 vcc, exec, s[0:1]
	s_cbranch_vccnz .LBB297_148
; %bb.147:
	v_lshl_add_u64 v[40:41], v[36:37], 1, v[22:23]
	global_load_ushort v40, v[40:41], off
	s_waitcnt vmcnt(0)
	v_mul_f16_e32 v40, v44, v40
	s_branch .LBB297_149
.LBB297_148:
	v_mov_b32_e32 v40, 0
.LBB297_149:
	v_pk_max_f16 v41, v4, v4
	v_pk_max_f16 v42, v0, v0
	;; [unrolled: 1-line block ×3, first 2 shown]
	v_pk_min_f16 v41, v42, v41
	v_pk_max_f16 v42, v5, v5
	v_pk_add_f16 v41, v54, v41
	v_pk_min_f16 v42, v43, v42
	s_nop 0
	v_pk_add_f16 v41, v41, v42
	s_nop 0
	v_add_f16_sdwa v41, v41, v41 dst_sel:DWORD dst_unused:UNUSED_PAD src0_sel:DWORD src1_sel:WORD_1
	v_add_f16_e32 v42, v41, v40
	v_lshl_add_u64 v[40:41], v[36:37], 1, v[20:21]
	global_store_short v[40:41], v42, off
	s_or_b64 exec, exec, s[26:27]
	s_and_b64 s[26:27], s[16:17], s[18:19]
	s_and_saveexec_b64 s[18:19], s[26:27]
	s_cbranch_execz .LBB297_154
.LBB297_150:
	s_and_b64 vcc, exec, s[0:1]
	s_cbranch_vccnz .LBB297_152
; %bb.151:
	v_lshl_add_u64 v[22:23], v[38:39], 1, v[22:23]
	global_load_ushort v22, v[22:23], off
	s_waitcnt vmcnt(0)
	v_mul_f16_e32 v22, v44, v22
	s_branch .LBB297_153
.LBB297_152:
	v_mov_b32_e32 v22, 0
.LBB297_153:
	v_pk_max_f16 v4, v4, v4
	v_pk_max_f16 v23, v2, v2
	;; [unrolled: 1-line block ×3, first 2 shown]
	v_pk_min_f16 v4, v23, v4
	v_pk_max_f16 v23, v3, v3
	v_pk_add_f16 v4, v53, v4
	v_pk_min_f16 v5, v23, v5
	s_nop 0
	v_pk_add_f16 v4, v4, v5
	s_nop 0
	v_add_f16_sdwa v4, v4, v4 dst_sel:DWORD dst_unused:UNUSED_PAD src0_sel:DWORD src1_sel:WORD_1
	v_add_f16_e32 v22, v4, v22
	v_lshl_add_u64 v[4:5], v[38:39], 1, v[20:21]
	global_store_short v[4:5], v22, off
.LBB297_154:
	s_or_b64 exec, exec, s[18:19]
	v_add_u32_e32 v22, 0x60, v70
	v_cmp_gt_i32_e64 s[18:19], s21, v22
	v_mad_i64_i32 v[4:5], s[20:21], v22, s29, 0
	v_lshl_add_u64 v[20:21], v[4:5], 1, s[24:25]
	v_mad_i64_i32 v[4:5], s[20:21], v22, s28, 0
	v_lshl_add_u64 v[4:5], v[4:5], 1, s[22:23]
	s_and_b64 s[20:21], s[4:5], s[18:19]
	s_and_saveexec_b64 s[4:5], s[20:21]
	s_cbranch_execnz .LBB297_163
; %bb.155:
	s_or_b64 exec, exec, s[4:5]
	s_and_b64 s[4:5], s[2:3], s[18:19]
	s_and_saveexec_b64 s[2:3], s[4:5]
	s_cbranch_execnz .LBB297_167
.LBB297_156:
	s_or_b64 exec, exec, s[2:3]
	s_and_b64 s[4:5], s[6:7], s[18:19]
	s_and_saveexec_b64 s[2:3], s[4:5]
	s_cbranch_execnz .LBB297_171
.LBB297_157:
	s_or_b64 exec, exec, s[2:3]
	s_and_b64 s[4:5], s[8:9], s[18:19]
	s_and_saveexec_b64 s[2:3], s[4:5]
	s_cbranch_execnz .LBB297_175
.LBB297_158:
	s_or_b64 exec, exec, s[2:3]
	s_and_b64 s[4:5], s[10:11], s[18:19]
	s_and_saveexec_b64 s[2:3], s[4:5]
	s_cbranch_execnz .LBB297_179
.LBB297_159:
	s_or_b64 exec, exec, s[2:3]
	s_and_b64 s[4:5], s[12:13], s[18:19]
	s_and_saveexec_b64 s[2:3], s[4:5]
	s_cbranch_execnz .LBB297_183
.LBB297_160:
	s_or_b64 exec, exec, s[2:3]
	s_and_b64 s[4:5], s[14:15], s[18:19]
	s_and_saveexec_b64 s[2:3], s[4:5]
	s_cbranch_execnz .LBB297_187
.LBB297_161:
	s_or_b64 exec, exec, s[2:3]
	s_and_b64 s[2:3], s[16:17], s[18:19]
	s_and_saveexec_b64 s[4:5], s[2:3]
	s_cbranch_execnz .LBB297_191
.LBB297_162:
	s_endpgm
.LBB297_163:
	s_and_b64 vcc, exec, s[0:1]
	s_cbranch_vccnz .LBB297_165
; %bb.164:
	v_lshl_add_u64 v[22:23], v[24:25], 1, v[20:21]
	global_load_ushort v22, v[22:23], off
	s_waitcnt vmcnt(0)
	v_mul_f16_e32 v22, v44, v22
	s_branch .LBB297_166
.LBB297_165:
	v_mov_b32_e32 v22, 0
.LBB297_166:
	v_pk_max_f16 v23, v6, v6
	v_pk_max_f16 v16, v16, v16
	;; [unrolled: 1-line block ×3, first 2 shown]
	v_pk_min_f16 v16, v16, v23
	v_pk_max_f16 v23, v7, v7
	v_pk_add_f16 v16, v52, v16
	v_pk_min_f16 v17, v17, v23
	s_nop 0
	v_pk_add_f16 v16, v16, v17
	s_nop 0
	v_add_f16_sdwa v16, v16, v16 dst_sel:DWORD dst_unused:UNUSED_PAD src0_sel:DWORD src1_sel:WORD_1
	v_add_f16_e32 v22, v16, v22
	v_lshl_add_u64 v[16:17], v[24:25], 1, v[4:5]
	global_store_short v[16:17], v22, off
	s_or_b64 exec, exec, s[4:5]
	s_and_b64 s[4:5], s[2:3], s[18:19]
	s_and_saveexec_b64 s[2:3], s[4:5]
	s_cbranch_execz .LBB297_156
.LBB297_167:
	s_and_b64 vcc, exec, s[0:1]
	s_cbranch_vccnz .LBB297_169
; %bb.168:
	v_lshl_add_u64 v[16:17], v[26:27], 1, v[20:21]
	global_load_ushort v16, v[16:17], off
	s_waitcnt vmcnt(0)
	v_mul_f16_e32 v16, v44, v16
	s_branch .LBB297_170
.LBB297_169:
	v_mov_b32_e32 v16, 0
.LBB297_170:
	v_pk_max_f16 v17, v6, v6
	v_pk_max_f16 v18, v18, v18
	;; [unrolled: 1-line block ×3, first 2 shown]
	v_pk_min_f16 v17, v18, v17
	v_pk_max_f16 v18, v7, v7
	v_pk_add_f16 v17, v51, v17
	v_pk_min_f16 v18, v19, v18
	s_nop 0
	v_pk_add_f16 v17, v17, v18
	s_nop 0
	v_add_f16_sdwa v17, v17, v17 dst_sel:DWORD dst_unused:UNUSED_PAD src0_sel:DWORD src1_sel:WORD_1
	v_add_f16_e32 v18, v17, v16
	v_lshl_add_u64 v[16:17], v[26:27], 1, v[4:5]
	global_store_short v[16:17], v18, off
	s_or_b64 exec, exec, s[2:3]
	s_and_b64 s[4:5], s[6:7], s[18:19]
	s_and_saveexec_b64 s[2:3], s[4:5]
	s_cbranch_execz .LBB297_157
.LBB297_171:
	s_and_b64 vcc, exec, s[0:1]
	s_cbranch_vccnz .LBB297_173
; %bb.172:
	v_lshl_add_u64 v[16:17], v[28:29], 1, v[20:21]
	global_load_ushort v16, v[16:17], off
	s_waitcnt vmcnt(0)
	v_mul_f16_e32 v16, v44, v16
	s_branch .LBB297_174
.LBB297_173:
	v_mov_b32_e32 v16, 0
.LBB297_174:
	v_pk_max_f16 v17, v6, v6
	v_pk_max_f16 v12, v12, v12
	;; [unrolled: 1-line block ×3, first 2 shown]
	v_pk_min_f16 v12, v12, v17
	v_pk_max_f16 v17, v7, v7
	v_pk_add_f16 v12, v50, v12
	v_pk_min_f16 v13, v13, v17
	s_nop 0
	v_pk_add_f16 v12, v12, v13
	s_nop 0
	v_add_f16_sdwa v12, v12, v12 dst_sel:DWORD dst_unused:UNUSED_PAD src0_sel:DWORD src1_sel:WORD_1
	v_add_f16_e32 v16, v12, v16
	v_lshl_add_u64 v[12:13], v[28:29], 1, v[4:5]
	global_store_short v[12:13], v16, off
	s_or_b64 exec, exec, s[2:3]
	s_and_b64 s[4:5], s[8:9], s[18:19]
	s_and_saveexec_b64 s[2:3], s[4:5]
	s_cbranch_execz .LBB297_158
.LBB297_175:
	s_and_b64 vcc, exec, s[0:1]
	s_cbranch_vccnz .LBB297_177
; %bb.176:
	v_lshl_add_u64 v[12:13], v[30:31], 1, v[20:21]
	global_load_ushort v12, v[12:13], off
	s_waitcnt vmcnt(0)
	v_mul_f16_e32 v12, v44, v12
	s_branch .LBB297_178
.LBB297_177:
	v_mov_b32_e32 v12, 0
.LBB297_178:
	v_pk_max_f16 v13, v6, v6
	v_pk_max_f16 v14, v14, v14
	;; [unrolled: 1-line block ×3, first 2 shown]
	v_pk_min_f16 v13, v14, v13
	v_pk_max_f16 v14, v7, v7
	v_pk_add_f16 v13, v49, v13
	v_pk_min_f16 v14, v15, v14
	s_nop 0
	v_pk_add_f16 v13, v13, v14
	s_nop 0
	v_add_f16_sdwa v13, v13, v13 dst_sel:DWORD dst_unused:UNUSED_PAD src0_sel:DWORD src1_sel:WORD_1
	v_add_f16_e32 v14, v13, v12
	v_lshl_add_u64 v[12:13], v[30:31], 1, v[4:5]
	global_store_short v[12:13], v14, off
	s_or_b64 exec, exec, s[2:3]
	s_and_b64 s[4:5], s[10:11], s[18:19]
	s_and_saveexec_b64 s[2:3], s[4:5]
	s_cbranch_execz .LBB297_159
.LBB297_179:
	s_and_b64 vcc, exec, s[0:1]
	s_cbranch_vccnz .LBB297_181
; %bb.180:
	v_lshl_add_u64 v[12:13], v[32:33], 1, v[20:21]
	global_load_ushort v12, v[12:13], off
	s_waitcnt vmcnt(0)
	v_mul_f16_e32 v12, v44, v12
	s_branch .LBB297_182
.LBB297_181:
	v_mov_b32_e32 v12, 0
.LBB297_182:
	v_pk_max_f16 v13, v6, v6
	v_pk_max_f16 v8, v8, v8
	;; [unrolled: 1-line block ×3, first 2 shown]
	v_pk_min_f16 v8, v8, v13
	v_pk_max_f16 v13, v7, v7
	v_pk_add_f16 v8, v48, v8
	v_pk_min_f16 v9, v9, v13
	s_nop 0
	v_pk_add_f16 v8, v8, v9
	s_nop 0
	v_add_f16_sdwa v8, v8, v8 dst_sel:DWORD dst_unused:UNUSED_PAD src0_sel:DWORD src1_sel:WORD_1
	v_add_f16_e32 v12, v8, v12
	v_lshl_add_u64 v[8:9], v[32:33], 1, v[4:5]
	global_store_short v[8:9], v12, off
	s_or_b64 exec, exec, s[2:3]
	s_and_b64 s[4:5], s[12:13], s[18:19]
	s_and_saveexec_b64 s[2:3], s[4:5]
	s_cbranch_execz .LBB297_160
.LBB297_183:
	s_and_b64 vcc, exec, s[0:1]
	s_cbranch_vccnz .LBB297_185
; %bb.184:
	v_lshl_add_u64 v[8:9], v[34:35], 1, v[20:21]
	global_load_ushort v8, v[8:9], off
	s_waitcnt vmcnt(0)
	v_mul_f16_e32 v8, v44, v8
	s_branch .LBB297_186
.LBB297_185:
	v_mov_b32_e32 v8, 0
.LBB297_186:
	v_pk_max_f16 v9, v6, v6
	v_pk_max_f16 v10, v10, v10
	;; [unrolled: 1-line block ×3, first 2 shown]
	v_pk_min_f16 v9, v10, v9
	v_pk_max_f16 v10, v7, v7
	v_pk_add_f16 v9, v47, v9
	v_pk_min_f16 v10, v11, v10
	s_nop 0
	v_pk_add_f16 v9, v9, v10
	s_nop 0
	v_add_f16_sdwa v9, v9, v9 dst_sel:DWORD dst_unused:UNUSED_PAD src0_sel:DWORD src1_sel:WORD_1
	v_add_f16_e32 v10, v9, v8
	v_lshl_add_u64 v[8:9], v[34:35], 1, v[4:5]
	global_store_short v[8:9], v10, off
	s_or_b64 exec, exec, s[2:3]
	s_and_b64 s[4:5], s[14:15], s[18:19]
	s_and_saveexec_b64 s[2:3], s[4:5]
	s_cbranch_execz .LBB297_161
.LBB297_187:
	s_and_b64 vcc, exec, s[0:1]
	s_cbranch_vccnz .LBB297_189
; %bb.188:
	v_lshl_add_u64 v[8:9], v[36:37], 1, v[20:21]
	global_load_ushort v8, v[8:9], off
	s_waitcnt vmcnt(0)
	v_mul_f16_e32 v8, v44, v8
	s_branch .LBB297_190
.LBB297_189:
	v_mov_b32_e32 v8, 0
.LBB297_190:
	v_pk_max_f16 v9, v6, v6
	v_pk_max_f16 v0, v0, v0
	;; [unrolled: 1-line block ×3, first 2 shown]
	v_pk_min_f16 v0, v0, v9
	v_pk_max_f16 v9, v7, v7
	v_pk_add_f16 v0, v46, v0
	v_pk_min_f16 v1, v1, v9
	s_nop 0
	v_pk_add_f16 v0, v0, v1
	s_nop 0
	v_add_f16_sdwa v0, v0, v0 dst_sel:DWORD dst_unused:UNUSED_PAD src0_sel:DWORD src1_sel:WORD_1
	v_add_f16_e32 v8, v0, v8
	v_lshl_add_u64 v[0:1], v[36:37], 1, v[4:5]
	global_store_short v[0:1], v8, off
	s_or_b64 exec, exec, s[2:3]
	s_and_b64 s[2:3], s[16:17], s[18:19]
	s_and_saveexec_b64 s[4:5], s[2:3]
	s_cbranch_execz .LBB297_162
.LBB297_191:
	s_and_b64 vcc, exec, s[0:1]
	s_cbranch_vccnz .LBB297_193
; %bb.192:
	v_lshl_add_u64 v[0:1], v[38:39], 1, v[20:21]
	global_load_ushort v0, v[0:1], off
	s_waitcnt vmcnt(0)
	v_mul_f16_e32 v0, v44, v0
	s_branch .LBB297_194
.LBB297_193:
	v_mov_b32_e32 v0, 0
.LBB297_194:
	v_pk_max_f16 v1, v6, v6
	v_pk_max_f16 v2, v2, v2
	;; [unrolled: 1-line block ×3, first 2 shown]
	v_pk_min_f16 v1, v2, v1
	v_pk_max_f16 v2, v7, v7
	v_pk_add_f16 v1, v45, v1
	v_pk_min_f16 v2, v3, v2
	s_nop 0
	v_pk_add_f16 v1, v1, v2
	s_nop 0
	v_add_f16_sdwa v1, v1, v1 dst_sel:DWORD dst_unused:UNUSED_PAD src0_sel:DWORD src1_sel:WORD_1
	v_add_f16_e32 v2, v1, v0
	v_lshl_add_u64 v[0:1], v[38:39], 1, v[4:5]
	global_store_short v[0:1], v2, off
	s_endpgm
	.section	.rodata,"a",@progbits
	.p2align	6, 0x0
	.amdhsa_kernel _ZN12_GLOBAL__N_120geam_min_plus_kernelIDF16_Dv2_DF16_S1_Li8ELi32ELi64ELi128ELi4ELi64ELi4ELi64ELi4ELc78ELc84ELb0ELb1ELb0EPKDF16_S2_DF16_EEviiiT16_PT17_ilS6_ilS4_S6_ilPT18_ili26rocblas_geam_ex_operation_
		.amdhsa_group_segment_fixed_size 3072
		.amdhsa_private_segment_fixed_size 0
		.amdhsa_kernarg_size 136
		.amdhsa_user_sgpr_count 2
		.amdhsa_user_sgpr_dispatch_ptr 0
		.amdhsa_user_sgpr_queue_ptr 0
		.amdhsa_user_sgpr_kernarg_segment_ptr 1
		.amdhsa_user_sgpr_dispatch_id 0
		.amdhsa_user_sgpr_kernarg_preload_length 0
		.amdhsa_user_sgpr_kernarg_preload_offset 0
		.amdhsa_user_sgpr_private_segment_size 0
		.amdhsa_uses_dynamic_stack 0
		.amdhsa_enable_private_segment 0
		.amdhsa_system_sgpr_workgroup_id_x 1
		.amdhsa_system_sgpr_workgroup_id_y 0
		.amdhsa_system_sgpr_workgroup_id_z 1
		.amdhsa_system_sgpr_workgroup_info 0
		.amdhsa_system_vgpr_workitem_id 1
		.amdhsa_next_free_vgpr 123
		.amdhsa_next_free_sgpr 38
		.amdhsa_accum_offset 124
		.amdhsa_reserve_vcc 1
		.amdhsa_float_round_mode_32 0
		.amdhsa_float_round_mode_16_64 0
		.amdhsa_float_denorm_mode_32 3
		.amdhsa_float_denorm_mode_16_64 3
		.amdhsa_dx10_clamp 1
		.amdhsa_ieee_mode 1
		.amdhsa_fp16_overflow 0
		.amdhsa_tg_split 0
		.amdhsa_exception_fp_ieee_invalid_op 0
		.amdhsa_exception_fp_denorm_src 0
		.amdhsa_exception_fp_ieee_div_zero 0
		.amdhsa_exception_fp_ieee_overflow 0
		.amdhsa_exception_fp_ieee_underflow 0
		.amdhsa_exception_fp_ieee_inexact 0
		.amdhsa_exception_int_div_zero 0
	.end_amdhsa_kernel
	.section	.text._ZN12_GLOBAL__N_120geam_min_plus_kernelIDF16_Dv2_DF16_S1_Li8ELi32ELi64ELi128ELi4ELi64ELi4ELi64ELi4ELc78ELc84ELb0ELb1ELb0EPKDF16_S2_DF16_EEviiiT16_PT17_ilS6_ilS4_S6_ilPT18_ili26rocblas_geam_ex_operation_,"axG",@progbits,_ZN12_GLOBAL__N_120geam_min_plus_kernelIDF16_Dv2_DF16_S1_Li8ELi32ELi64ELi128ELi4ELi64ELi4ELi64ELi4ELc78ELc84ELb0ELb1ELb0EPKDF16_S2_DF16_EEviiiT16_PT17_ilS6_ilS4_S6_ilPT18_ili26rocblas_geam_ex_operation_,comdat
.Lfunc_end297:
	.size	_ZN12_GLOBAL__N_120geam_min_plus_kernelIDF16_Dv2_DF16_S1_Li8ELi32ELi64ELi128ELi4ELi64ELi4ELi64ELi4ELc78ELc84ELb0ELb1ELb0EPKDF16_S2_DF16_EEviiiT16_PT17_ilS6_ilS4_S6_ilPT18_ili26rocblas_geam_ex_operation_, .Lfunc_end297-_ZN12_GLOBAL__N_120geam_min_plus_kernelIDF16_Dv2_DF16_S1_Li8ELi32ELi64ELi128ELi4ELi64ELi4ELi64ELi4ELc78ELc84ELb0ELb1ELb0EPKDF16_S2_DF16_EEviiiT16_PT17_ilS6_ilS4_S6_ilPT18_ili26rocblas_geam_ex_operation_
                                        ; -- End function
	.set _ZN12_GLOBAL__N_120geam_min_plus_kernelIDF16_Dv2_DF16_S1_Li8ELi32ELi64ELi128ELi4ELi64ELi4ELi64ELi4ELc78ELc84ELb0ELb1ELb0EPKDF16_S2_DF16_EEviiiT16_PT17_ilS6_ilS4_S6_ilPT18_ili26rocblas_geam_ex_operation_.num_vgpr, 123
	.set _ZN12_GLOBAL__N_120geam_min_plus_kernelIDF16_Dv2_DF16_S1_Li8ELi32ELi64ELi128ELi4ELi64ELi4ELi64ELi4ELc78ELc84ELb0ELb1ELb0EPKDF16_S2_DF16_EEviiiT16_PT17_ilS6_ilS4_S6_ilPT18_ili26rocblas_geam_ex_operation_.num_agpr, 0
	.set _ZN12_GLOBAL__N_120geam_min_plus_kernelIDF16_Dv2_DF16_S1_Li8ELi32ELi64ELi128ELi4ELi64ELi4ELi64ELi4ELc78ELc84ELb0ELb1ELb0EPKDF16_S2_DF16_EEviiiT16_PT17_ilS6_ilS4_S6_ilPT18_ili26rocblas_geam_ex_operation_.numbered_sgpr, 38
	.set _ZN12_GLOBAL__N_120geam_min_plus_kernelIDF16_Dv2_DF16_S1_Li8ELi32ELi64ELi128ELi4ELi64ELi4ELi64ELi4ELc78ELc84ELb0ELb1ELb0EPKDF16_S2_DF16_EEviiiT16_PT17_ilS6_ilS4_S6_ilPT18_ili26rocblas_geam_ex_operation_.num_named_barrier, 0
	.set _ZN12_GLOBAL__N_120geam_min_plus_kernelIDF16_Dv2_DF16_S1_Li8ELi32ELi64ELi128ELi4ELi64ELi4ELi64ELi4ELc78ELc84ELb0ELb1ELb0EPKDF16_S2_DF16_EEviiiT16_PT17_ilS6_ilS4_S6_ilPT18_ili26rocblas_geam_ex_operation_.private_seg_size, 0
	.set _ZN12_GLOBAL__N_120geam_min_plus_kernelIDF16_Dv2_DF16_S1_Li8ELi32ELi64ELi128ELi4ELi64ELi4ELi64ELi4ELc78ELc84ELb0ELb1ELb0EPKDF16_S2_DF16_EEviiiT16_PT17_ilS6_ilS4_S6_ilPT18_ili26rocblas_geam_ex_operation_.uses_vcc, 1
	.set _ZN12_GLOBAL__N_120geam_min_plus_kernelIDF16_Dv2_DF16_S1_Li8ELi32ELi64ELi128ELi4ELi64ELi4ELi64ELi4ELc78ELc84ELb0ELb1ELb0EPKDF16_S2_DF16_EEviiiT16_PT17_ilS6_ilS4_S6_ilPT18_ili26rocblas_geam_ex_operation_.uses_flat_scratch, 0
	.set _ZN12_GLOBAL__N_120geam_min_plus_kernelIDF16_Dv2_DF16_S1_Li8ELi32ELi64ELi128ELi4ELi64ELi4ELi64ELi4ELc78ELc84ELb0ELb1ELb0EPKDF16_S2_DF16_EEviiiT16_PT17_ilS6_ilS4_S6_ilPT18_ili26rocblas_geam_ex_operation_.has_dyn_sized_stack, 0
	.set _ZN12_GLOBAL__N_120geam_min_plus_kernelIDF16_Dv2_DF16_S1_Li8ELi32ELi64ELi128ELi4ELi64ELi4ELi64ELi4ELc78ELc84ELb0ELb1ELb0EPKDF16_S2_DF16_EEviiiT16_PT17_ilS6_ilS4_S6_ilPT18_ili26rocblas_geam_ex_operation_.has_recursion, 0
	.set _ZN12_GLOBAL__N_120geam_min_plus_kernelIDF16_Dv2_DF16_S1_Li8ELi32ELi64ELi128ELi4ELi64ELi4ELi64ELi4ELc78ELc84ELb0ELb1ELb0EPKDF16_S2_DF16_EEviiiT16_PT17_ilS6_ilS4_S6_ilPT18_ili26rocblas_geam_ex_operation_.has_indirect_call, 0
	.section	.AMDGPU.csdata,"",@progbits
; Kernel info:
; codeLenInByte = 11256
; TotalNumSgprs: 44
; NumVgprs: 123
; NumAgprs: 0
; TotalNumVgprs: 123
; ScratchSize: 0
; MemoryBound: 0
; FloatMode: 240
; IeeeMode: 1
; LDSByteSize: 3072 bytes/workgroup (compile time only)
; SGPRBlocks: 5
; VGPRBlocks: 15
; NumSGPRsForWavesPerEU: 44
; NumVGPRsForWavesPerEU: 123
; AccumOffset: 124
; Occupancy: 4
; WaveLimiterHint : 0
; COMPUTE_PGM_RSRC2:SCRATCH_EN: 0
; COMPUTE_PGM_RSRC2:USER_SGPR: 2
; COMPUTE_PGM_RSRC2:TRAP_HANDLER: 0
; COMPUTE_PGM_RSRC2:TGID_X_EN: 1
; COMPUTE_PGM_RSRC2:TGID_Y_EN: 0
; COMPUTE_PGM_RSRC2:TGID_Z_EN: 1
; COMPUTE_PGM_RSRC2:TIDIG_COMP_CNT: 1
; COMPUTE_PGM_RSRC3_GFX90A:ACCUM_OFFSET: 30
; COMPUTE_PGM_RSRC3_GFX90A:TG_SPLIT: 0
	.section	.text._ZN12_GLOBAL__N_120geam_min_plus_kernelIDF16_Dv2_DF16_S1_Li8ELi32ELi64ELi128ELi4ELi64ELi4ELi64ELi4ELc78ELc84ELb1ELb1ELb0EDF16_KDF16_DF16_EEviiiT16_PT17_ilS5_ilS3_S5_ilPT18_ili26rocblas_geam_ex_operation_,"axG",@progbits,_ZN12_GLOBAL__N_120geam_min_plus_kernelIDF16_Dv2_DF16_S1_Li8ELi32ELi64ELi128ELi4ELi64ELi4ELi64ELi4ELc78ELc84ELb1ELb1ELb0EDF16_KDF16_DF16_EEviiiT16_PT17_ilS5_ilS3_S5_ilPT18_ili26rocblas_geam_ex_operation_,comdat
	.globl	_ZN12_GLOBAL__N_120geam_min_plus_kernelIDF16_Dv2_DF16_S1_Li8ELi32ELi64ELi128ELi4ELi64ELi4ELi64ELi4ELc78ELc84ELb1ELb1ELb0EDF16_KDF16_DF16_EEviiiT16_PT17_ilS5_ilS3_S5_ilPT18_ili26rocblas_geam_ex_operation_ ; -- Begin function _ZN12_GLOBAL__N_120geam_min_plus_kernelIDF16_Dv2_DF16_S1_Li8ELi32ELi64ELi128ELi4ELi64ELi4ELi64ELi4ELc78ELc84ELb1ELb1ELb0EDF16_KDF16_DF16_EEviiiT16_PT17_ilS5_ilS3_S5_ilPT18_ili26rocblas_geam_ex_operation_
	.p2align	8
	.type	_ZN12_GLOBAL__N_120geam_min_plus_kernelIDF16_Dv2_DF16_S1_Li8ELi32ELi64ELi128ELi4ELi64ELi4ELi64ELi4ELc78ELc84ELb1ELb1ELb0EDF16_KDF16_DF16_EEviiiT16_PT17_ilS5_ilS3_S5_ilPT18_ili26rocblas_geam_ex_operation_,@function
_ZN12_GLOBAL__N_120geam_min_plus_kernelIDF16_Dv2_DF16_S1_Li8ELi32ELi64ELi128ELi4ELi64ELi4ELi64ELi4ELc78ELc84ELb1ELb1ELb0EDF16_KDF16_DF16_EEviiiT16_PT17_ilS5_ilS3_S5_ilPT18_ili26rocblas_geam_ex_operation_: ; @_ZN12_GLOBAL__N_120geam_min_plus_kernelIDF16_Dv2_DF16_S1_Li8ELi32ELi64ELi128ELi4ELi64ELi4ELi64ELi4ELc78ELc84ELb1ELb1ELb0EDF16_KDF16_DF16_EEviiiT16_PT17_ilS5_ilS3_S5_ilPT18_ili26rocblas_geam_ex_operation_
; %bb.0:
	s_load_dwordx4 s[20:23], s[0:1], 0x0
	s_load_dwordx4 s[4:7], s[0:1], 0x20
	s_waitcnt lgkmcnt(0)
	v_cmp_eq_f16_e64 s[8:9], s23, 0
	s_and_b64 vcc, exec, s[8:9]
	s_cbranch_vccnz .LBB298_37
; %bb.1:
	s_load_dwordx2 s[10:11], s[0:1], 0x10
	s_mul_i32 s5, s5, s3
	s_mul_hi_u32 s12, s4, s3
	s_add_i32 s5, s12, s5
	s_mul_i32 s4, s4, s3
	s_lshl_b64 s[4:5], s[4:5], 1
	s_waitcnt lgkmcnt(0)
	s_add_u32 s14, s10, s4
	s_addc_u32 s15, s11, s5
	s_andn2_b64 vcc, exec, s[8:9]
	s_mov_b64 s[4:5], -1
	s_cbranch_vccnz .LBB298_3
.LBB298_2:
	s_mov_b64 s[4:5], 0
.LBB298_3:
	s_mov_b64 s[24:25], 0
	s_andn2_b64 vcc, exec, s[4:5]
	s_mov_b64 s[16:17], 0
	s_cbranch_vccnz .LBB298_5
; %bb.4:
	s_load_dwordx2 s[4:5], s[0:1], 0x38
	s_waitcnt lgkmcnt(0)
	s_mul_i32 s5, s5, s3
	s_mul_hi_u32 s8, s4, s3
	s_add_i32 s5, s8, s5
	s_mul_i32 s4, s4, s3
	s_lshl_b64 s[4:5], s[4:5], 1
	s_add_u32 s16, s6, s4
	s_addc_u32 s17, s7, s5
.LBB298_5:
	s_load_dword s30, s[0:1], 0x40
	s_load_dwordx4 s[8:11], s[0:1], 0x58
	s_waitcnt lgkmcnt(0)
	v_cmp_eq_f16_e64 s[4:5], s30, 0
	v_cmp_neq_f16_e64 s[12:13], s30, 0
	s_and_b64 vcc, exec, s[4:5]
	s_cbranch_vccnz .LBB298_7
; %bb.6:
	s_load_dwordx2 s[4:5], s[0:1], 0x48
	s_mul_i32 s6, s9, s3
	s_mul_hi_u32 s7, s8, s3
	s_add_i32 s7, s7, s6
	s_mul_i32 s6, s8, s3
	s_lshl_b64 s[6:7], s[6:7], 1
	s_waitcnt lgkmcnt(0)
	s_add_u32 s24, s4, s6
	s_addc_u32 s25, s5, s7
.LBB298_7:
	s_add_i32 s4, s20, -1
	s_ashr_i32 s5, s4, 31
	s_lshr_b32 s5, s5, 26
	s_add_i32 s4, s4, s5
	s_ashr_i32 s4, s4, 6
	s_add_i32 s5, s4, 1
	v_cvt_f32_u32_e32 v1, s5
	s_not_b32 s4, s4
	s_load_dword s18, s[0:1], 0x18
	v_and_b32_e32 v25, 0x3ff, v0
	v_rcp_iflag_f32_e32 v1, v1
	v_bfe_u32 v40, v0, 10, 10
	v_lshl_add_u32 v0, v40, 3, v25
	s_waitcnt lgkmcnt(0)
	s_ashr_i32 s19, s18, 31
	v_mul_f32_e32 v1, 0x4f7ffffe, v1
	v_cvt_u32_f32_e32 v1, v1
	v_and_b32_e32 v6, 63, v0
	v_lshrrev_b32_e32 v24, 6, v0
	v_mov_b32_e32 v10, 0
	v_readfirstlane_b32 s6, v1
	s_mul_i32 s4, s4, s6
	s_mul_hi_u32 s4, s6, s4
	s_add_i32 s6, s6, s4
	s_mul_hi_u32 s4, s2, s6
	s_mul_i32 s6, s4, s5
	s_sub_i32 s6, s2, s6
	s_add_i32 s7, s4, 1
	s_sub_i32 s8, s6, s5
	s_cmp_ge_u32 s6, s5
	s_cselect_b32 s4, s7, s4
	s_cselect_b32 s6, s8, s6
	s_add_i32 s7, s4, 1
	s_cmp_ge_u32 s6, s5
	s_cselect_b32 s8, s7, s4
	s_mul_i32 s4, s8, s5
	s_sub_i32 s2, s2, s4
	s_lshl_b32 s2, s2, 6
	v_or_b32_e32 v0, s2, v6
	v_cmp_le_i32_e32 vcc, s20, v0
	v_cmp_le_i32_e64 s[6:7], s22, v24
	s_nor_b64 s[26:27], s[6:7], vcc
	v_ashrrev_i32_e32 v1, 31, v0
	v_mov_b32_e32 v11, 0
	s_and_saveexec_b64 s[4:5], s[26:27]
	s_cbranch_execz .LBB298_9
; %bb.8:
	v_mad_i64_i32 v[2:3], s[26:27], s18, v24, 0
	v_lshl_add_u64 v[2:3], v[2:3], 1, s[14:15]
	v_lshl_add_u64 v[2:3], v[0:1], 1, v[2:3]
	global_load_ushort v11, v[2:3], off
.LBB298_9:
	s_or_b64 exec, exec, s[4:5]
	s_load_dword s26, s[0:1], 0x30
	s_lshl_b32 s31, s8, 7
	v_or_b32_e32 v2, s31, v6
	v_cmp_le_i32_e64 s[8:9], s21, v2
	s_nor_b64 s[28:29], s[6:7], s[8:9]
	s_waitcnt lgkmcnt(0)
	v_mad_i64_i32 v[4:5], s[4:5], v24, s26, 0
	s_ashr_i32 s27, s26, 31
	v_lshl_add_u64 v[4:5], v[4:5], 1, s[16:17]
	v_ashrrev_i32_e32 v3, 31, v2
	s_and_saveexec_b64 s[4:5], s[28:29]
	s_cbranch_execz .LBB298_11
; %bb.10:
	v_lshl_add_u64 v[8:9], v[2:3], 1, v[4:5]
	global_load_ushort v10, v[8:9], off
.LBB298_11:
	s_or_b64 exec, exec, s[4:5]
	v_or_b32_e32 v7, 64, v2
	v_cmp_le_i32_e64 s[4:5], s21, v7
	s_nor_b64 s[28:29], s[6:7], s[4:5]
	v_mov_b32_e32 v7, 0
	v_mov_b32_e32 v12, 0
	s_and_saveexec_b64 s[6:7], s[28:29]
	s_cbranch_execz .LBB298_13
; %bb.12:
	v_lshl_add_u64 v[4:5], v[2:3], 1, v[4:5]
	global_load_ushort v12, v[4:5], off offset:128
.LBB298_13:
	s_or_b64 exec, exec, s[6:7]
	v_add_u32_e32 v4, 4, v24
	v_cmp_le_i32_e64 s[6:7], s22, v4
	s_nor_b64 s[34:35], vcc, s[6:7]
	s_and_saveexec_b64 s[28:29], s[34:35]
	s_cbranch_execz .LBB298_15
; %bb.14:
	v_mad_u64_u32 v[8:9], s[34:35], s18, v4, 0
	v_mov_b32_e32 v14, v9
	v_mad_u64_u32 v[14:15], s[34:35], s19, v4, v[14:15]
	v_mov_b32_e32 v9, v14
	v_lshl_add_u64 v[8:9], v[8:9], 1, s[14:15]
	v_lshl_add_u64 v[8:9], v[0:1], 1, v[8:9]
	global_load_ushort v7, v[8:9], off
.LBB298_15:
	s_or_b64 exec, exec, s[28:29]
	v_mad_u64_u32 v[8:9], s[28:29], v4, s26, 0
	v_mov_b32_e32 v14, v9
	v_mad_u64_u32 v[4:5], s[28:29], v4, s27, v[14:15]
	v_mov_b32_e32 v9, v4
	v_lshl_add_u64 v[4:5], v[8:9], 1, s[16:17]
	s_nor_b64 s[34:35], s[8:9], s[6:7]
	v_mov_b32_e32 v8, 0
	v_mov_b32_e32 v9, 0
	s_and_saveexec_b64 s[28:29], s[34:35]
	s_cbranch_execz .LBB298_17
; %bb.16:
	v_lshl_add_u64 v[14:15], v[2:3], 1, v[4:5]
	global_load_ushort v9, v[14:15], off
.LBB298_17:
	s_or_b64 exec, exec, s[28:29]
	s_nor_b64 s[28:29], s[4:5], s[6:7]
	s_and_saveexec_b64 s[6:7], s[28:29]
	s_cbranch_execz .LBB298_19
; %bb.18:
	v_lshl_add_u64 v[4:5], v[2:3], 1, v[4:5]
	global_load_ushort v8, v[4:5], off offset:128
.LBB298_19:
	s_or_b64 exec, exec, s[6:7]
	v_lshlrev_b32_e32 v4, 3, v6
	v_lshlrev_b32_e32 v42, 3, v25
	v_lshl_add_u32 v43, v24, 1, v4
	v_lshlrev_b32_e32 v41, 3, v40
	v_add_u32_e32 v69, 0x800, v42
	s_waitcnt vmcnt(0)
	ds_write_b16 v43, v11 offset:2048
	ds_write_b16 v43, v10
	ds_write_b16 v43, v12 offset:512
	s_waitcnt lgkmcnt(0)
	s_barrier
	ds_read2_b64 v[10:13], v41 offset1:32
	ds_read2_b64 v[14:17], v69 offset0:48 offset1:56
	ds_read2_b64 v[18:21], v41 offset0:64 offset1:96
	ds_read2_b64 v[26:29], v69 offset1:8
	s_mov_b32 s23, 0
	s_waitcnt lgkmcnt(3)
	v_pk_max_f16 v4, v10, v10
	s_waitcnt lgkmcnt(2)
	v_pk_max_f16 v5, v16, v16
	;; [unrolled: 2-line block ×4, first 2 shown]
	v_pk_max_f16 v28, v28, v28
	v_pk_min_f16 v30, v22, v16
	v_pk_max_f16 v10, v12, v12
	v_pk_add_f16 v38, v30, 0
	v_pk_min_f16 v30, v28, v4
	v_pk_min_f16 v34, v28, v16
	v_pk_add_f16 v39, v30, 0
	v_pk_min_f16 v30, v28, v10
	v_pk_add_f16 v45, v34, 0
	v_pk_add_f16 v44, v30, 0
	ds_read2_b64 v[30:33], v69 offset0:16 offset1:24
	v_pk_min_f16 v6, v5, v4
	v_pk_max_f16 v20, v20, v20
	v_pk_max_f16 v11, v11, v11
	;; [unrolled: 1-line block ×3, first 2 shown]
	s_waitcnt lgkmcnt(0)
	v_pk_max_f16 v30, v30, v30
	v_pk_max_f16 v32, v32, v32
	v_pk_min_f16 v34, v30, v4
	v_pk_min_f16 v49, v32, v16
	v_pk_add_f16 v46, v34, 0
	v_pk_min_f16 v34, v30, v10
	v_pk_add_f16 v55, v49, 0
	v_pk_add_f16 v47, v34, 0
	v_pk_min_f16 v34, v30, v16
	v_pk_max_f16 v17, v17, v17
	v_pk_add_f16 v48, v34, 0
	v_pk_min_f16 v34, v32, v4
	v_pk_add_f16 v6, v6, 0
	v_pk_add_f16 v53, v34, 0
	v_pk_min_f16 v34, v32, v10
	v_pk_min_f16 v12, v5, v10
	v_pk_add_f16 v54, v34, 0
	ds_read2_b64 v[34:37], v69 offset0:32 offset1:40
	v_pk_min_f16 v18, v5, v16
	v_pk_min_f16 v23, v22, v4
	;; [unrolled: 1-line block ×4, first 2 shown]
	s_waitcnt lgkmcnt(0)
	v_pk_max_f16 v34, v34, v34
	v_pk_max_f16 v36, v36, v36
	v_pk_min_f16 v49, v34, v4
	v_pk_min_f16 v28, v28, v20
	v_pk_add_f16 v61, v49, 0
	v_pk_min_f16 v49, v34, v10
	v_pk_min_f16 v30, v30, v20
	v_pk_add_f16 v62, v49, 0
	;; [unrolled: 3-line block ×3, first 2 shown]
	v_pk_min_f16 v49, v36, v4
	v_pk_max_f16 v13, v13, v13
	v_pk_add_f16 v71, v49, 0
	v_pk_min_f16 v49, v36, v10
	v_pk_min_f16 v34, v34, v20
	v_pk_add_f16 v77, v49, 0
	v_pk_min_f16 v49, v36, v16
	v_pk_min_f16 v36, v36, v20
	;; [unrolled: 1-line block ×8, first 2 shown]
	v_pk_add_f16 v12, v12, 0
	v_pk_max_f16 v19, v19, v19
	v_pk_add_f16 v68, v6, v20
	v_pk_min_f16 v6, v17, v13
	v_pk_add_f16 v18, v18, 0
	v_pk_max_f16 v27, v27, v27
	v_pk_add_f16 v60, v12, v6
	v_pk_min_f16 v6, v17, v19
	v_pk_add_f16 v23, v23, 0
	v_pk_add_f16 v52, v18, v6
	v_pk_min_f16 v6, v27, v11
	v_pk_add_f16 v26, v26, 0
	v_pk_add_f16 v76, v23, v6
	v_pk_min_f16 v6, v27, v13
	v_pk_max_f16 v21, v21, v21
	v_pk_add_f16 v67, v26, v6
	v_pk_min_f16 v6, v27, v19
	v_pk_add_f16 v22, v22, 0
	v_pk_max_f16 v29, v29, v29
	v_pk_add_f16 v59, v38, v6
	v_pk_min_f16 v6, v27, v21
	v_pk_add_f16 v28, v28, 0
	v_pk_add_f16 v51, v22, v6
	v_pk_min_f16 v6, v29, v11
	v_pk_add_f16 v30, v30, 0
	;; [unrolled: 3-line block ×5, first 2 shown]
	v_pk_add_f16 v50, v28, v6
	v_pk_max_f16 v6, v31, v31
	v_pk_add_f16 v36, v36, 0
	v_pk_min_f16 v12, v6, v11
	v_pk_add_f16 v4, v4, 0
	v_pk_add_f16 v74, v46, v12
	v_pk_min_f16 v12, v6, v13
	v_pk_add_f16 v10, v10, 0
	v_pk_add_f16 v65, v47, v12
	v_pk_min_f16 v12, v6, v19
	v_pk_min_f16 v6, v6, v21
	v_pk_add_f16 v57, v48, v12
	v_pk_add_f16 v49, v30, v6
	v_pk_max_f16 v6, v33, v33
	v_pk_add_f16 v16, v16, 0
	v_pk_min_f16 v12, v6, v11
	v_pk_add_f16 v14, v14, 0
	v_pk_add_f16 v73, v53, v12
	v_pk_min_f16 v12, v6, v13
	v_pk_add_f16 v5, v5, 0
	v_pk_add_f16 v64, v54, v12
	v_pk_min_f16 v12, v6, v19
	v_pk_min_f16 v6, v6, v21
	v_pk_add_f16 v56, v55, v12
	v_pk_add_f16 v48, v32, v6
	v_pk_max_f16 v6, v35, v35
	s_cmp_lt_i32 s22, 9
	v_pk_min_f16 v12, v6, v11
	ds_write_b16 v43, v7 offset:2560
	ds_write_b16 v43, v9 offset:1024
	;; [unrolled: 1-line block ×3, first 2 shown]
	v_pk_add_f16 v72, v61, v12
	v_pk_min_f16 v12, v6, v13
	s_waitcnt lgkmcnt(0)
	v_pk_add_f16 v63, v62, v12
	v_pk_min_f16 v12, v6, v19
	v_pk_min_f16 v6, v6, v21
	v_pk_add_f16 v55, v70, v12
	v_pk_add_f16 v47, v34, v6
	v_pk_max_f16 v6, v37, v37
	s_barrier
	v_pk_min_f16 v12, v6, v11
	s_nop 0
	v_pk_add_f16 v71, v71, v12
	v_pk_min_f16 v12, v6, v13
	s_nop 0
	v_pk_add_f16 v62, v77, v12
	v_pk_min_f16 v12, v6, v19
	v_pk_min_f16 v6, v6, v21
	v_pk_add_f16 v54, v78, v12
	v_pk_add_f16 v46, v36, v6
	v_pk_max_f16 v6, v15, v15
	s_nop 0
	v_pk_min_f16 v11, v6, v11
	s_nop 0
	v_pk_add_f16 v70, v4, v11
	v_pk_min_f16 v4, v6, v13
	s_nop 0
	v_pk_add_f16 v61, v10, v4
	;; [unrolled: 3-line block ×5, first 2 shown]
	s_cbranch_scc1 .LBB298_34
; %bb.20:
	v_lshl_add_u64 v[26:27], v[0:1], 1, s[14:15]
	v_mov_b32_e32 v0, 0xa00
	v_lshl_add_u32 v80, v25, 3, v0
	v_add_u32_e32 v0, v41, v25
	v_lshrrev_b32_e32 v4, 6, v0
	v_add_u32_e32 v5, 12, v4
	v_mad_i64_i32 v[0:1], s[6:7], v5, s26, 0
	v_lshlrev_b64 v[28:29], 1, v[0:1]
	v_lshl_add_u64 v[30:31], v[2:3], 1, s[16:17]
	v_mad_i64_i32 v[0:1], s[6:7], v5, s18, 0
	v_add_u32_e32 v2, 8, v4
	v_lshlrev_b64 v[32:33], 1, v[0:1]
	v_mad_i64_i32 v[0:1], s[6:7], v2, s18, 0
	v_lshlrev_b64 v[34:35], 1, v[0:1]
	v_mad_i64_i32 v[0:1], s[6:7], v2, s26, 0
	v_or_b32_e32 v77, 0x800, v43
	v_add_u32_e32 v78, 0xa00, v43
	v_or_b32_e32 v79, 0x400, v43
	s_add_i32 s28, s22, -8
	v_add_u32_e32 v81, 0x400, v41
	s_lshl_b64 s[14:15], s[26:27], 4
	s_lshl_b64 s[16:17], s[18:19], 4
	v_lshlrev_b64 v[36:37], 1, v[0:1]
	s_branch .LBB298_22
.LBB298_21:                             ;   in Loop: Header=BB298_22 Depth=1
	s_or_b64 exec, exec, s[6:7]
	v_pk_max_f16 v2, v2, v2
	v_pk_max_f16 v20, v20, v20
	;; [unrolled: 1-line block ×7, first 2 shown]
	v_pk_min_f16 v38, v2, v20
	v_pk_min_f16 v39, v2, v22
	v_pk_max_f16 v12, v12, v12
	v_pk_max_f16 v14, v14, v14
	;; [unrolled: 1-line block ×10, first 2 shown]
	v_pk_min_f16 v98, v4, v20
	v_pk_max_f16 v9, v9, v9
	v_pk_max_f16 v11, v11, v11
	v_pk_min_f16 v99, v4, v22
	v_pk_max_f16 v5, v5, v5
	v_pk_max_f16 v7, v7, v7
	v_pk_min_f16 v100, v4, v16
	v_pk_min_f16 v4, v4, v18
	v_pk_max_f16 v0, v0, v0
	v_pk_max_f16 v3, v3, v3
	;; [unrolled: 1-line block ×3, first 2 shown]
	v_pk_min_f16 v101, v6, v20
	v_pk_min_f16 v102, v6, v22
	;; [unrolled: 1-line block ×58, first 2 shown]
	v_pk_add_f16 v1, v68, v38
	v_pk_add_f16 v3, v60, v39
	;; [unrolled: 1-line block ×12, first 2 shown]
	ds_read2_b64 v[0:3], v69 offset0:48 offset1:56
	ds_read2_b64 v[4:7], v41 offset1:32
	v_pk_add_f16 v38, v52, v85
	v_pk_add_f16 v39, v76, v86
	;; [unrolled: 1-line block ×7, first 2 shown]
	s_waitcnt lgkmcnt(1)
	v_pk_max_f16 v2, v2, v2
	s_waitcnt lgkmcnt(0)
	v_pk_max_f16 v4, v4, v4
	v_pk_add_f16 v60, v66, v90
	v_pk_add_f16 v14, v50, v14
	;; [unrolled: 1-line block ×8, first 2 shown]
	ds_read2_b64 v[8:11], v41 offset0:64 offset1:96
	v_pk_min_f16 v12, v2, v4
	v_pk_add_f16 v22, v61, v22
	v_pk_add_f16 v61, v14, v15
	;; [unrolled: 1-line block ×3, first 2 shown]
	ds_read2_b64 v[12:15], v69 offset1:8
	v_pk_max_f16 v6, v6, v6
	v_pk_add_f16 v49, v73, v95
	v_pk_add_f16 v73, v16, v17
	v_pk_min_f16 v16, v2, v6
	s_waitcnt lgkmcnt(1)
	v_pk_max_f16 v8, v8, v8
	v_pk_add_f16 v38, v38, v123
	v_pk_add_f16 v53, v53, v16
	v_pk_min_f16 v16, v2, v8
	s_waitcnt lgkmcnt(0)
	v_pk_max_f16 v12, v12, v12
	v_pk_add_f16 v38, v38, v16
	v_pk_min_f16 v16, v12, v4
	v_pk_add_f16 v50, v74, v92
	v_pk_add_f16 v74, v18, v16
	v_pk_min_f16 v16, v12, v6
	v_pk_add_f16 v51, v75, v89
	v_pk_add_f16 v39, v39, v16
	v_pk_min_f16 v16, v12, v8
	v_pk_max_f16 v14, v14, v14
	v_pk_add_f16 v51, v51, v106
	v_pk_add_f16 v75, v52, v16
	v_pk_min_f16 v16, v14, v4
	v_pk_add_f16 v60, v60, v107
	v_pk_add_f16 v85, v51, v16
	v_pk_min_f16 v16, v14, v6
	v_pk_add_f16 v44, v44, v19
	v_pk_add_f16 v86, v60, v16
	ds_read2_b64 v[16:19], v69 offset0:16 offset1:24
	v_pk_add_f16 v58, v58, v91
	v_pk_add_f16 v47, v71, v101
	;; [unrolled: 1-line block ×4, first 2 shown]
	v_pk_max_f16 v10, v10, v10
	v_pk_min_f16 v20, v14, v8
	s_waitcnt lgkmcnt(0)
	v_pk_max_f16 v16, v16, v16
	v_pk_add_f16 v65, v65, v93
	v_pk_add_f16 v50, v50, v109
	;; [unrolled: 1-line block ×3, first 2 shown]
	v_pk_min_f16 v14, v14, v10
	v_pk_min_f16 v20, v16, v4
	v_pk_add_f16 v57, v57, v94
	v_pk_add_f16 v65, v65, v110
	;; [unrolled: 1-line block ×4, first 2 shown]
	v_pk_min_f16 v20, v16, v6
	v_pk_add_f16 v57, v57, v111
	v_pk_add_f16 v65, v65, v20
	v_pk_min_f16 v20, v16, v8
	v_pk_max_f16 v18, v18, v18
	v_pk_add_f16 v64, v64, v96
	v_pk_add_f16 v49, v49, v112
	;; [unrolled: 1-line block ×3, first 2 shown]
	v_pk_min_f16 v20, v18, v4
	v_pk_add_f16 v64, v64, v113
	v_pk_add_f16 v87, v49, v20
	v_pk_min_f16 v20, v18, v6
	v_pk_add_f16 v48, v72, v98
	v_pk_add_f16 v72, v22, v23
	;; [unrolled: 1-line block ×3, first 2 shown]
	ds_read2_b64 v[20:23], v69 offset0:32 offset1:40
	v_pk_add_f16 v56, v56, v97
	v_pk_min_f16 v49, v18, v8
	v_pk_add_f16 v56, v56, v114
	v_pk_add_f16 v63, v63, v99
	s_waitcnt lgkmcnt(0)
	v_pk_max_f16 v20, v20, v20
	v_pk_add_f16 v48, v48, v115
	v_pk_add_f16 v56, v56, v49
	v_pk_min_f16 v49, v20, v4
	v_pk_add_f16 v55, v55, v100
	v_pk_add_f16 v63, v63, v116
	;; [unrolled: 1-line block ×3, first 2 shown]
	v_pk_min_f16 v48, v20, v6
	v_pk_add_f16 v55, v55, v117
	v_pk_add_f16 v63, v63, v48
	v_pk_min_f16 v48, v20, v8
	v_pk_max_f16 v22, v22, v22
	v_pk_add_f16 v62, v62, v102
	v_pk_add_f16 v47, v47, v118
	;; [unrolled: 1-line block ×3, first 2 shown]
	v_pk_min_f16 v48, v22, v4
	v_pk_add_f16 v62, v62, v119
	v_pk_add_f16 v89, v47, v48
	v_pk_min_f16 v47, v22, v6
	v_pk_max_f16 v0, v0, v0
	v_pk_max_f16 v3, v3, v3
	;; [unrolled: 1-line block ×3, first 2 shown]
	v_pk_min_f16 v12, v12, v10
	v_pk_min_f16 v16, v16, v10
	;; [unrolled: 1-line block ×4, first 2 shown]
	v_pk_add_f16 v62, v62, v47
	v_pk_min_f16 v47, v22, v8
	v_pk_min_f16 v22, v22, v10
	;; [unrolled: 1-line block ×8, first 2 shown]
	v_pk_max_f16 v7, v7, v7
	v_pk_add_f16 v20, v68, v20
	v_pk_add_f16 v68, v46, v10
	v_pk_min_f16 v10, v3, v7
	v_pk_max_f16 v9, v9, v9
	v_pk_add_f16 v60, v53, v10
	v_pk_min_f16 v10, v3, v9
	v_pk_max_f16 v11, v11, v11
	v_pk_add_f16 v52, v38, v10
	v_pk_max_f16 v10, v13, v13
	v_pk_add_f16 v12, v59, v12
	v_pk_min_f16 v13, v10, v5
	v_pk_add_f16 v18, v67, v18
	v_pk_add_f16 v76, v74, v13
	v_pk_min_f16 v13, v10, v7
	v_pk_add_f16 v16, v66, v16
	v_pk_add_f16 v67, v39, v13
	v_pk_min_f16 v13, v10, v9
	v_pk_min_f16 v10, v10, v11
	v_pk_add_f16 v59, v75, v13
	v_pk_add_f16 v51, v12, v10
	v_pk_max_f16 v10, v15, v15
	v_pk_add_f16 v8, v73, v8
	v_pk_min_f16 v12, v10, v5
	v_pk_add_f16 v54, v54, v103
	v_pk_add_f16 v75, v85, v12
	v_pk_min_f16 v12, v10, v7
	v_pk_add_f16 v6, v72, v6
	v_pk_add_f16 v66, v86, v12
	v_pk_min_f16 v12, v10, v9
	v_pk_min_f16 v10, v10, v11
	v_pk_add_f16 v58, v58, v12
	v_pk_add_f16 v50, v14, v10
	v_pk_max_f16 v10, v17, v17
	v_pk_add_f16 v54, v54, v120
	v_pk_min_f16 v12, v10, v5
	v_pk_add_f16 v54, v54, v47
	v_pk_add_f16 v74, v61, v12
	v_pk_min_f16 v12, v10, v7
	v_pk_max_f16 v1, v1, v1
	v_pk_add_f16 v65, v65, v12
	v_pk_min_f16 v12, v10, v9
	v_pk_min_f16 v10, v10, v11
	v_pk_add_f16 v57, v57, v12
	v_pk_add_f16 v49, v16, v10
	v_pk_max_f16 v10, v19, v19
	v_pk_add_f16 v4, v71, v4
	v_pk_min_f16 v12, v10, v5
	v_pk_add_f16 v45, v45, v124
	v_pk_add_f16 v73, v87, v12
	v_pk_min_f16 v12, v10, v7
	v_pk_add_f16 v22, v70, v22
	v_pk_add_f16 v64, v64, v12
	v_pk_min_f16 v12, v10, v9
	v_pk_min_f16 v10, v10, v11
	v_pk_add_f16 v56, v56, v12
	v_pk_add_f16 v48, v18, v10
	v_pk_max_f16 v10, v21, v21
	v_pk_add_f16 v0, v45, v0
	v_pk_min_f16 v12, v10, v5
	v_pk_add_f16 v2, v44, v2
	v_pk_add_f16 v72, v88, v12
	v_pk_min_f16 v12, v10, v7
	s_add_i32 s23, s23, 8
	v_pk_add_f16 v63, v63, v12
	v_pk_min_f16 v12, v10, v9
	v_pk_min_f16 v10, v10, v11
	v_pk_add_f16 v55, v55, v12
	v_pk_add_f16 v47, v20, v10
	v_pk_max_f16 v10, v23, v23
	v_lshl_add_u64 v[30:31], v[30:31], 0, s[14:15]
	v_pk_min_f16 v12, v10, v5
	v_pk_min_f16 v5, v1, v5
	v_pk_add_f16 v71, v89, v12
	v_pk_add_f16 v70, v4, v5
	v_pk_min_f16 v4, v1, v7
	v_pk_min_f16 v12, v10, v7
	v_pk_add_f16 v61, v6, v4
	v_pk_min_f16 v4, v1, v9
	v_pk_min_f16 v1, v1, v11
	;; [unrolled: 3-line block ×3, first 2 shown]
	v_pk_add_f16 v45, v0, v1
	v_pk_min_f16 v0, v3, v11
	v_pk_add_f16 v54, v54, v12
	v_pk_add_f16 v46, v22, v10
	;; [unrolled: 1-line block ×4, first 2 shown]
	s_cmp_ge_i32 s23, s28
	v_lshl_add_u64 v[26:27], v[26:27], 0, s[16:17]
	s_waitcnt vmcnt(0)
	ds_write_b16 v78, v82
	ds_write_b16 v79, v84
	ds_write_b16 v79, v83 offset:512
	s_waitcnt lgkmcnt(0)
	s_barrier
	s_cbranch_scc1 .LBB298_34
.LBB298_22:                             ; =>This Inner Loop Header: Depth=1
	v_add_u32_e32 v38, s23, v24
	v_add_u32_e32 v0, 8, v38
	v_cmp_le_i32_e64 s[6:7], s22, v0
	s_nor_b64 s[26:27], vcc, s[6:7]
	v_mov_b32_e32 v39, 0
	v_mov_b32_e32 v83, 0
	s_and_saveexec_b64 s[18:19], s[26:27]
	s_cbranch_execz .LBB298_24
; %bb.23:                               ;   in Loop: Header=BB298_22 Depth=1
	v_lshl_add_u64 v[0:1], v[26:27], 0, v[34:35]
	global_load_ushort v83, v[0:1], off
.LBB298_24:                             ;   in Loop: Header=BB298_22 Depth=1
	s_or_b64 exec, exec, s[18:19]
	s_nor_b64 s[26:27], s[8:9], s[6:7]
	v_lshl_add_u64 v[0:1], v[30:31], 0, v[36:37]
	s_and_saveexec_b64 s[18:19], s[26:27]
	s_cbranch_execz .LBB298_26
; %bb.25:                               ;   in Loop: Header=BB298_22 Depth=1
	global_load_ushort v39, v[0:1], off
.LBB298_26:                             ;   in Loop: Header=BB298_22 Depth=1
	s_or_b64 exec, exec, s[18:19]
	s_nor_b64 s[18:19], s[4:5], s[6:7]
	v_mov_b32_e32 v82, 0
	v_mov_b32_e32 v84, 0
	s_and_saveexec_b64 s[6:7], s[18:19]
	s_cbranch_execz .LBB298_28
; %bb.27:                               ;   in Loop: Header=BB298_22 Depth=1
	global_load_ushort v84, v[0:1], off offset:128
.LBB298_28:                             ;   in Loop: Header=BB298_22 Depth=1
	s_or_b64 exec, exec, s[6:7]
	ds_read2_b64 v[0:3], v80 offset0:48 offset1:56
	ds_read2_b64 v[16:19], v81 offset0:64 offset1:96
	ds_read2_b64 v[20:23], v81 offset1:32
	ds_read2_b64 v[12:15], v80 offset1:8
	ds_read2_b64 v[8:11], v80 offset0:16 offset1:24
	ds_read2_b64 v[4:7], v80 offset0:32 offset1:40
	v_add_u32_e32 v38, 12, v38
	v_cmp_le_i32_e64 s[6:7], s22, v38
	s_nor_b64 s[18:19], vcc, s[6:7]
	s_waitcnt vmcnt(0)
	ds_write_b16 v77, v83
	ds_write_b16 v43, v39
	ds_write_b16 v43, v84 offset:512
	s_waitcnt lgkmcnt(0)
	s_barrier
	s_and_saveexec_b64 s[26:27], s[18:19]
	s_xor_b64 s[18:19], exec, s[26:27]
	s_cbranch_execz .LBB298_30
; %bb.29:                               ;   in Loop: Header=BB298_22 Depth=1
	v_lshl_add_u64 v[38:39], v[26:27], 0, v[32:33]
	global_load_ushort v82, v[38:39], off
.LBB298_30:                             ;   in Loop: Header=BB298_22 Depth=1
	s_or_b64 exec, exec, s[18:19]
	s_nor_b64 s[26:27], s[8:9], s[6:7]
	v_mov_b32_e32 v83, 0
	v_lshl_add_u64 v[38:39], v[30:31], 0, v[28:29]
	v_mov_b32_e32 v84, 0
	s_and_saveexec_b64 s[18:19], s[26:27]
	s_cbranch_execz .LBB298_32
; %bb.31:                               ;   in Loop: Header=BB298_22 Depth=1
	global_load_ushort v84, v[38:39], off
.LBB298_32:                             ;   in Loop: Header=BB298_22 Depth=1
	s_or_b64 exec, exec, s[18:19]
	s_nor_b64 s[18:19], s[4:5], s[6:7]
	s_and_saveexec_b64 s[6:7], s[18:19]
	s_cbranch_execz .LBB298_21
; %bb.33:                               ;   in Loop: Header=BB298_22 Depth=1
	global_load_ushort v83, v[38:39], off offset:128
	s_branch .LBB298_21
.LBB298_34:
	s_load_dwordx2 s[4:5], s[0:1], 0x70
	s_load_dword s29, s[0:1], 0x50
	s_load_dword s28, s[0:1], 0x68
	v_add_u32_e32 v8, 0x800, v42
	ds_read2_b64 v[0:3], v8 offset0:112 offset1:120
	ds_read2_b64 v[4:7], v41 offset0:192 offset1:224
	;; [unrolled: 1-line block ×6, first 2 shown]
	s_waitcnt lgkmcnt(0)
	s_mul_i32 s1, s5, s3
	s_mul_hi_u32 s5, s4, s3
	s_mul_i32 s0, s4, s3
	s_add_i32 s1, s5, s1
	s_lshl_b64 s[0:1], s[0:1], 1
	s_add_u32 s22, s10, s0
	v_add_u32_e32 v69, s31, v40
	s_addc_u32 s23, s11, s1
	v_mad_i64_i32 v[26:27], s[0:1], v69, s29, 0
	v_add_u32_e32 v24, s2, v25
	v_lshl_add_u64 v[42:43], v[26:27], 1, s[24:25]
	v_mad_i64_i32 v[26:27], s[0:1], v69, s28, 0
	v_cmp_gt_i32_e64 s[18:19], s21, v69
	v_lshl_add_u64 v[40:41], v[26:27], 1, s[22:23]
	v_cmp_gt_i32_e64 s[2:3], s20, v24
	v_cndmask_b32_e64 v26, 0, 1, s[12:13]
	s_and_b64 s[4:5], s[2:3], s[18:19]
	v_ashrrev_i32_e32 v25, 31, v24
	v_cmp_ne_u32_e64 s[0:1], 1, v26
	s_and_saveexec_b64 s[6:7], s[4:5]
	s_xor_b64 s[4:5], exec, s[6:7]
	s_cbranch_execz .LBB298_40
; %bb.35:
	s_and_b64 vcc, exec, s[0:1]
	s_cbranch_vccnz .LBB298_38
; %bb.36:
	v_lshl_add_u64 v[26:27], v[24:25], 1, v[42:43]
	global_load_ushort v26, v[26:27], off
	s_waitcnt vmcnt(0)
	v_mul_f16_e32 v26, s30, v26
	s_branch .LBB298_39
.LBB298_37:
	s_mov_b64 s[14:15], 0
	s_andn2_b64 vcc, exec, s[8:9]
	s_mov_b64 s[4:5], -1
	s_cbranch_vccz .LBB298_2
	s_branch .LBB298_3
.LBB298_38:
	v_mov_b32_e32 v26, 0
.LBB298_39:
	v_pk_max_f16 v27, v20, v20
	v_pk_max_f16 v28, v16, v16
	;; [unrolled: 1-line block ×3, first 2 shown]
	v_pk_min_f16 v27, v28, v27
	v_pk_max_f16 v28, v21, v21
	v_pk_add_f16 v27, v76, v27
	v_pk_min_f16 v28, v29, v28
	s_nop 0
	v_pk_add_f16 v27, v27, v28
	s_nop 0
	v_add_f16_sdwa v27, v27, v27 dst_sel:DWORD dst_unused:UNUSED_PAD src0_sel:DWORD src1_sel:WORD_1
	v_add_f16_e32 v28, v27, v26
	v_lshl_add_u64 v[26:27], v[24:25], 1, v[40:41]
	global_store_short v[26:27], v28, off
.LBB298_40:
	s_or_b64 exec, exec, s[4:5]
	v_add_u32_e32 v26, 8, v24
	v_cmp_gt_i32_e64 s[4:5], s20, v26
	s_and_b64 s[8:9], s[4:5], s[18:19]
	v_ashrrev_i32_e32 v27, 31, v26
	s_and_saveexec_b64 s[6:7], s[8:9]
	s_cbranch_execz .LBB298_45
; %bb.41:
	s_and_b64 vcc, exec, s[0:1]
	s_cbranch_vccnz .LBB298_43
; %bb.42:
	v_lshl_add_u64 v[28:29], v[26:27], 1, v[42:43]
	global_load_ushort v28, v[28:29], off
	s_waitcnt vmcnt(0)
	v_mul_f16_e32 v28, s30, v28
	s_branch .LBB298_44
.LBB298_43:
	v_mov_b32_e32 v28, 0
.LBB298_44:
	v_pk_max_f16 v29, v20, v20
	v_pk_max_f16 v30, v18, v18
	v_pk_max_f16 v31, v19, v19
	v_pk_min_f16 v29, v30, v29
	v_pk_max_f16 v30, v21, v21
	v_pk_add_f16 v29, v75, v29
	v_pk_min_f16 v30, v31, v30
	s_nop 0
	v_pk_add_f16 v29, v29, v30
	s_nop 0
	v_add_f16_sdwa v29, v29, v29 dst_sel:DWORD dst_unused:UNUSED_PAD src0_sel:DWORD src1_sel:WORD_1
	v_add_f16_e32 v30, v29, v28
	v_lshl_add_u64 v[28:29], v[26:27], 1, v[40:41]
	global_store_short v[28:29], v30, off
.LBB298_45:
	s_or_b64 exec, exec, s[6:7]
	v_add_u32_e32 v28, 16, v24
	v_cmp_gt_i32_e64 s[6:7], s20, v28
	s_and_b64 s[10:11], s[6:7], s[18:19]
	v_ashrrev_i32_e32 v29, 31, v28
	s_and_saveexec_b64 s[8:9], s[10:11]
	s_cbranch_execz .LBB298_50
; %bb.46:
	s_and_b64 vcc, exec, s[0:1]
	s_cbranch_vccnz .LBB298_48
; %bb.47:
	v_lshl_add_u64 v[30:31], v[28:29], 1, v[42:43]
	global_load_ushort v30, v[30:31], off
	s_waitcnt vmcnt(0)
	v_mul_f16_e32 v30, s30, v30
	s_branch .LBB298_49
.LBB298_48:
	v_mov_b32_e32 v30, 0
.LBB298_49:
	v_pk_max_f16 v31, v20, v20
	v_pk_max_f16 v32, v12, v12
	v_pk_max_f16 v33, v13, v13
	v_pk_min_f16 v31, v32, v31
	v_pk_max_f16 v32, v21, v21
	v_pk_add_f16 v31, v74, v31
	v_pk_min_f16 v32, v33, v32
	s_nop 0
	v_pk_add_f16 v31, v31, v32
	s_nop 0
	v_add_f16_sdwa v31, v31, v31 dst_sel:DWORD dst_unused:UNUSED_PAD src0_sel:DWORD src1_sel:WORD_1
	v_add_f16_e32 v32, v31, v30
	v_lshl_add_u64 v[30:31], v[28:29], 1, v[40:41]
	global_store_short v[30:31], v32, off
.LBB298_50:
	;; [unrolled: 34-line block ×5, first 2 shown]
	s_or_b64 exec, exec, s[14:15]
	v_add_u32_e32 v36, 48, v24
	v_cmp_gt_i32_e64 s[14:15], s20, v36
	s_and_b64 s[26:27], s[14:15], s[18:19]
	v_ashrrev_i32_e32 v37, 31, v36
	s_and_saveexec_b64 s[16:17], s[26:27]
	s_cbranch_execz .LBB298_70
; %bb.66:
	s_and_b64 vcc, exec, s[0:1]
	s_cbranch_vccnz .LBB298_68
; %bb.67:
	v_lshl_add_u64 v[38:39], v[36:37], 1, v[42:43]
	global_load_ushort v38, v[38:39], off
	s_waitcnt vmcnt(0)
	v_mul_f16_e32 v38, s30, v38
	s_branch .LBB298_69
.LBB298_68:
	v_mov_b32_e32 v38, 0
.LBB298_69:
	v_pk_max_f16 v39, v20, v20
	v_pk_max_f16 v71, v0, v0
	s_nop 0
	v_pk_min_f16 v39, v71, v39
	v_pk_max_f16 v71, v1, v1
	v_pk_add_f16 v39, v70, v39
	v_pk_max_f16 v70, v21, v21
	s_nop 0
	v_pk_min_f16 v70, v71, v70
	s_nop 0
	v_pk_add_f16 v39, v39, v70
	s_nop 0
	v_add_f16_sdwa v39, v39, v39 dst_sel:DWORD dst_unused:UNUSED_PAD src0_sel:DWORD src1_sel:WORD_1
	v_add_f16_e32 v70, v39, v38
	v_lshl_add_u64 v[38:39], v[36:37], 1, v[40:41]
	global_store_short v[38:39], v70, off
.LBB298_70:
	s_or_b64 exec, exec, s[16:17]
	v_add_u32_e32 v38, 56, v24
	v_cmp_gt_i32_e64 s[16:17], s20, v38
	s_and_b64 s[26:27], s[16:17], s[18:19]
	v_ashrrev_i32_e32 v39, 31, v38
	s_and_saveexec_b64 s[18:19], s[26:27]
	s_cbranch_execz .LBB298_75
; %bb.71:
	s_and_b64 vcc, exec, s[0:1]
	s_cbranch_vccnz .LBB298_73
; %bb.72:
	v_lshl_add_u64 v[42:43], v[38:39], 1, v[42:43]
	global_load_ushort v42, v[42:43], off
	s_waitcnt vmcnt(0)
	v_mul_f16_e32 v42, s30, v42
	s_branch .LBB298_74
.LBB298_73:
	v_mov_b32_e32 v42, 0
.LBB298_74:
	v_pk_max_f16 v20, v20, v20
	v_pk_max_f16 v43, v2, v2
	;; [unrolled: 1-line block ×3, first 2 shown]
	v_pk_min_f16 v20, v43, v20
	v_pk_max_f16 v43, v3, v3
	v_pk_add_f16 v20, v68, v20
	v_pk_min_f16 v21, v43, v21
	s_nop 0
	v_pk_add_f16 v20, v20, v21
	s_nop 0
	v_add_f16_sdwa v20, v20, v20 dst_sel:DWORD dst_unused:UNUSED_PAD src0_sel:DWORD src1_sel:WORD_1
	v_add_f16_e32 v42, v20, v42
	v_lshl_add_u64 v[20:21], v[38:39], 1, v[40:41]
	global_store_short v[20:21], v42, off
.LBB298_75:
	s_or_b64 exec, exec, s[18:19]
	v_add_u32_e32 v42, 32, v69
	v_mad_i64_i32 v[20:21], s[26:27], v42, s29, 0
	v_cmp_gt_i32_e64 s[18:19], s21, v42
	v_lshl_add_u64 v[40:41], v[20:21], 1, s[24:25]
	v_mad_i64_i32 v[20:21], s[26:27], v42, s28, 0
	v_lshl_add_u64 v[20:21], v[20:21], 1, s[22:23]
	s_and_b64 s[34:35], s[2:3], s[18:19]
	s_and_saveexec_b64 s[26:27], s[34:35]
	s_cbranch_execnz .LBB298_83
; %bb.76:
	s_or_b64 exec, exec, s[26:27]
	s_and_b64 s[34:35], s[4:5], s[18:19]
	s_and_saveexec_b64 s[26:27], s[34:35]
	s_cbranch_execnz .LBB298_87
.LBB298_77:
	s_or_b64 exec, exec, s[26:27]
	s_and_b64 s[34:35], s[6:7], s[18:19]
	s_and_saveexec_b64 s[26:27], s[34:35]
	s_cbranch_execnz .LBB298_91
.LBB298_78:
	s_or_b64 exec, exec, s[26:27]
	s_and_b64 s[34:35], s[8:9], s[18:19]
	s_and_saveexec_b64 s[26:27], s[34:35]
	s_cbranch_execnz .LBB298_95
.LBB298_79:
	s_or_b64 exec, exec, s[26:27]
	s_and_b64 s[34:35], s[10:11], s[18:19]
	s_and_saveexec_b64 s[26:27], s[34:35]
	s_cbranch_execnz .LBB298_99
.LBB298_80:
	s_or_b64 exec, exec, s[26:27]
	s_and_b64 s[34:35], s[12:13], s[18:19]
	s_and_saveexec_b64 s[26:27], s[34:35]
	s_cbranch_execnz .LBB298_103
.LBB298_81:
	s_or_b64 exec, exec, s[26:27]
	s_and_b64 s[34:35], s[14:15], s[18:19]
	s_and_saveexec_b64 s[26:27], s[34:35]
	s_cbranch_execnz .LBB298_107
.LBB298_82:
	s_or_b64 exec, exec, s[26:27]
	s_and_b64 s[26:27], s[16:17], s[18:19]
	s_and_saveexec_b64 s[18:19], s[26:27]
	s_cbranch_execnz .LBB298_111
	s_branch .LBB298_115
.LBB298_83:
	s_and_b64 vcc, exec, s[0:1]
	s_cbranch_vccnz .LBB298_85
; %bb.84:
	v_lshl_add_u64 v[42:43], v[24:25], 1, v[40:41]
	global_load_ushort v42, v[42:43], off
	s_waitcnt vmcnt(0)
	v_mul_f16_e32 v42, s30, v42
	s_branch .LBB298_86
.LBB298_85:
	v_mov_b32_e32 v42, 0
.LBB298_86:
	v_pk_max_f16 v43, v22, v22
	v_pk_max_f16 v68, v16, v16
	s_nop 0
	v_pk_min_f16 v43, v68, v43
	v_pk_max_f16 v68, v17, v17
	v_pk_add_f16 v43, v67, v43
	v_pk_max_f16 v67, v23, v23
	s_nop 0
	v_pk_min_f16 v67, v68, v67
	s_nop 0
	v_pk_add_f16 v43, v43, v67
	s_nop 0
	v_add_f16_sdwa v43, v43, v43 dst_sel:DWORD dst_unused:UNUSED_PAD src0_sel:DWORD src1_sel:WORD_1
	v_add_f16_e32 v67, v43, v42
	v_lshl_add_u64 v[42:43], v[24:25], 1, v[20:21]
	global_store_short v[42:43], v67, off
	s_or_b64 exec, exec, s[26:27]
	s_and_b64 s[34:35], s[4:5], s[18:19]
	s_and_saveexec_b64 s[26:27], s[34:35]
	s_cbranch_execz .LBB298_77
.LBB298_87:
	s_and_b64 vcc, exec, s[0:1]
	s_cbranch_vccnz .LBB298_89
; %bb.88:
	v_lshl_add_u64 v[42:43], v[26:27], 1, v[40:41]
	global_load_ushort v42, v[42:43], off
	s_waitcnt vmcnt(0)
	v_mul_f16_e32 v42, s30, v42
	s_branch .LBB298_90
.LBB298_89:
	v_mov_b32_e32 v42, 0
.LBB298_90:
	v_pk_max_f16 v43, v22, v22
	v_pk_max_f16 v67, v18, v18
	s_nop 0
	v_pk_min_f16 v43, v67, v43
	v_pk_max_f16 v67, v19, v19
	v_pk_add_f16 v43, v66, v43
	v_pk_max_f16 v66, v23, v23
	s_nop 0
	v_pk_min_f16 v66, v67, v66
	s_nop 0
	v_pk_add_f16 v43, v43, v66
	s_nop 0
	v_add_f16_sdwa v43, v43, v43 dst_sel:DWORD dst_unused:UNUSED_PAD src0_sel:DWORD src1_sel:WORD_1
	v_add_f16_e32 v66, v43, v42
	v_lshl_add_u64 v[42:43], v[26:27], 1, v[20:21]
	global_store_short v[42:43], v66, off
	s_or_b64 exec, exec, s[26:27]
	s_and_b64 s[34:35], s[6:7], s[18:19]
	s_and_saveexec_b64 s[26:27], s[34:35]
	s_cbranch_execz .LBB298_78
.LBB298_91:
	s_and_b64 vcc, exec, s[0:1]
	s_cbranch_vccnz .LBB298_93
; %bb.92:
	v_lshl_add_u64 v[42:43], v[28:29], 1, v[40:41]
	global_load_ushort v42, v[42:43], off
	s_waitcnt vmcnt(0)
	v_mul_f16_e32 v42, s30, v42
	s_branch .LBB298_94
.LBB298_93:
	v_mov_b32_e32 v42, 0
.LBB298_94:
	v_pk_max_f16 v43, v22, v22
	v_pk_max_f16 v66, v12, v12
	s_nop 0
	v_pk_min_f16 v43, v66, v43
	v_pk_max_f16 v66, v13, v13
	v_pk_add_f16 v43, v65, v43
	v_pk_max_f16 v65, v23, v23
	s_nop 0
	v_pk_min_f16 v65, v66, v65
	s_nop 0
	v_pk_add_f16 v43, v43, v65
	s_nop 0
	v_add_f16_sdwa v43, v43, v43 dst_sel:DWORD dst_unused:UNUSED_PAD src0_sel:DWORD src1_sel:WORD_1
	v_add_f16_e32 v65, v43, v42
	v_lshl_add_u64 v[42:43], v[28:29], 1, v[20:21]
	global_store_short v[42:43], v65, off
	s_or_b64 exec, exec, s[26:27]
	s_and_b64 s[34:35], s[8:9], s[18:19]
	s_and_saveexec_b64 s[26:27], s[34:35]
	s_cbranch_execz .LBB298_79
.LBB298_95:
	s_and_b64 vcc, exec, s[0:1]
	s_cbranch_vccnz .LBB298_97
; %bb.96:
	v_lshl_add_u64 v[42:43], v[30:31], 1, v[40:41]
	global_load_ushort v42, v[42:43], off
	s_waitcnt vmcnt(0)
	v_mul_f16_e32 v42, s30, v42
	s_branch .LBB298_98
.LBB298_97:
	v_mov_b32_e32 v42, 0
.LBB298_98:
	v_pk_max_f16 v43, v22, v22
	v_pk_max_f16 v65, v14, v14
	s_nop 0
	v_pk_min_f16 v43, v65, v43
	v_pk_max_f16 v65, v15, v15
	v_pk_add_f16 v43, v64, v43
	v_pk_max_f16 v64, v23, v23
	s_nop 0
	v_pk_min_f16 v64, v65, v64
	s_nop 0
	v_pk_add_f16 v43, v43, v64
	s_nop 0
	v_add_f16_sdwa v43, v43, v43 dst_sel:DWORD dst_unused:UNUSED_PAD src0_sel:DWORD src1_sel:WORD_1
	v_add_f16_e32 v64, v43, v42
	v_lshl_add_u64 v[42:43], v[30:31], 1, v[20:21]
	global_store_short v[42:43], v64, off
	s_or_b64 exec, exec, s[26:27]
	s_and_b64 s[34:35], s[10:11], s[18:19]
	s_and_saveexec_b64 s[26:27], s[34:35]
	s_cbranch_execz .LBB298_80
.LBB298_99:
	s_and_b64 vcc, exec, s[0:1]
	s_cbranch_vccnz .LBB298_101
; %bb.100:
	v_lshl_add_u64 v[42:43], v[32:33], 1, v[40:41]
	global_load_ushort v42, v[42:43], off
	s_waitcnt vmcnt(0)
	v_mul_f16_e32 v42, s30, v42
	s_branch .LBB298_102
.LBB298_101:
	v_mov_b32_e32 v42, 0
.LBB298_102:
	v_pk_max_f16 v43, v22, v22
	v_pk_max_f16 v64, v8, v8
	s_nop 0
	v_pk_min_f16 v43, v64, v43
	v_pk_max_f16 v64, v9, v9
	v_pk_add_f16 v43, v63, v43
	v_pk_max_f16 v63, v23, v23
	s_nop 0
	v_pk_min_f16 v63, v64, v63
	s_nop 0
	v_pk_add_f16 v43, v43, v63
	s_nop 0
	v_add_f16_sdwa v43, v43, v43 dst_sel:DWORD dst_unused:UNUSED_PAD src0_sel:DWORD src1_sel:WORD_1
	v_add_f16_e32 v63, v43, v42
	v_lshl_add_u64 v[42:43], v[32:33], 1, v[20:21]
	global_store_short v[42:43], v63, off
	s_or_b64 exec, exec, s[26:27]
	s_and_b64 s[34:35], s[12:13], s[18:19]
	s_and_saveexec_b64 s[26:27], s[34:35]
	s_cbranch_execz .LBB298_81
.LBB298_103:
	s_and_b64 vcc, exec, s[0:1]
	s_cbranch_vccnz .LBB298_105
; %bb.104:
	v_lshl_add_u64 v[42:43], v[34:35], 1, v[40:41]
	global_load_ushort v42, v[42:43], off
	s_waitcnt vmcnt(0)
	v_mul_f16_e32 v42, s30, v42
	s_branch .LBB298_106
.LBB298_105:
	v_mov_b32_e32 v42, 0
.LBB298_106:
	v_pk_max_f16 v43, v22, v22
	v_pk_max_f16 v63, v10, v10
	s_nop 0
	v_pk_min_f16 v43, v63, v43
	v_pk_max_f16 v63, v11, v11
	v_pk_add_f16 v43, v62, v43
	v_pk_max_f16 v62, v23, v23
	s_nop 0
	v_pk_min_f16 v62, v63, v62
	s_nop 0
	v_pk_add_f16 v43, v43, v62
	s_nop 0
	v_add_f16_sdwa v43, v43, v43 dst_sel:DWORD dst_unused:UNUSED_PAD src0_sel:DWORD src1_sel:WORD_1
	v_add_f16_e32 v62, v43, v42
	v_lshl_add_u64 v[42:43], v[34:35], 1, v[20:21]
	global_store_short v[42:43], v62, off
	s_or_b64 exec, exec, s[26:27]
	s_and_b64 s[34:35], s[14:15], s[18:19]
	s_and_saveexec_b64 s[26:27], s[34:35]
	s_cbranch_execz .LBB298_82
.LBB298_107:
	s_and_b64 vcc, exec, s[0:1]
	s_cbranch_vccnz .LBB298_109
; %bb.108:
	v_lshl_add_u64 v[42:43], v[36:37], 1, v[40:41]
	global_load_ushort v42, v[42:43], off
	s_waitcnt vmcnt(0)
	v_mul_f16_e32 v42, s30, v42
	s_branch .LBB298_110
.LBB298_109:
	v_mov_b32_e32 v42, 0
.LBB298_110:
	v_pk_max_f16 v43, v22, v22
	v_pk_max_f16 v62, v0, v0
	s_nop 0
	v_pk_min_f16 v43, v62, v43
	v_pk_max_f16 v62, v1, v1
	v_pk_add_f16 v43, v61, v43
	v_pk_max_f16 v61, v23, v23
	s_nop 0
	v_pk_min_f16 v61, v62, v61
	s_nop 0
	v_pk_add_f16 v43, v43, v61
	s_nop 0
	v_add_f16_sdwa v43, v43, v43 dst_sel:DWORD dst_unused:UNUSED_PAD src0_sel:DWORD src1_sel:WORD_1
	v_add_f16_e32 v61, v43, v42
	v_lshl_add_u64 v[42:43], v[36:37], 1, v[20:21]
	global_store_short v[42:43], v61, off
	s_or_b64 exec, exec, s[26:27]
	s_and_b64 s[26:27], s[16:17], s[18:19]
	s_and_saveexec_b64 s[18:19], s[26:27]
	s_cbranch_execz .LBB298_115
.LBB298_111:
	s_and_b64 vcc, exec, s[0:1]
	s_cbranch_vccnz .LBB298_113
; %bb.112:
	v_lshl_add_u64 v[40:41], v[38:39], 1, v[40:41]
	global_load_ushort v40, v[40:41], off
	s_waitcnt vmcnt(0)
	v_mul_f16_e32 v40, s30, v40
	s_branch .LBB298_114
.LBB298_113:
	v_mov_b32_e32 v40, 0
.LBB298_114:
	v_pk_max_f16 v22, v22, v22
	v_pk_max_f16 v41, v2, v2
	;; [unrolled: 1-line block ×3, first 2 shown]
	v_pk_min_f16 v22, v41, v22
	v_pk_max_f16 v41, v3, v3
	v_pk_add_f16 v22, v60, v22
	v_pk_min_f16 v23, v41, v23
	v_lshl_add_u64 v[20:21], v[38:39], 1, v[20:21]
	v_pk_add_f16 v22, v22, v23
	s_nop 0
	v_add_f16_sdwa v22, v22, v22 dst_sel:DWORD dst_unused:UNUSED_PAD src0_sel:DWORD src1_sel:WORD_1
	v_add_f16_e32 v22, v22, v40
	global_store_short v[20:21], v22, off
.LBB298_115:
	s_or_b64 exec, exec, s[18:19]
	v_add_u32_e32 v40, 64, v69
	v_mad_i64_i32 v[20:21], s[26:27], v40, s29, 0
	v_cmp_gt_i32_e64 s[18:19], s21, v40
	v_lshl_add_u64 v[22:23], v[20:21], 1, s[24:25]
	v_mad_i64_i32 v[20:21], s[26:27], v40, s28, 0
	v_lshl_add_u64 v[20:21], v[20:21], 1, s[22:23]
	s_and_b64 s[34:35], s[2:3], s[18:19]
	s_and_saveexec_b64 s[26:27], s[34:35]
	s_cbranch_execnz .LBB298_123
; %bb.116:
	s_or_b64 exec, exec, s[26:27]
	s_and_b64 s[34:35], s[4:5], s[18:19]
	s_and_saveexec_b64 s[26:27], s[34:35]
	s_cbranch_execnz .LBB298_127
.LBB298_117:
	s_or_b64 exec, exec, s[26:27]
	s_and_b64 s[34:35], s[6:7], s[18:19]
	s_and_saveexec_b64 s[26:27], s[34:35]
	s_cbranch_execnz .LBB298_131
.LBB298_118:
	s_or_b64 exec, exec, s[26:27]
	s_and_b64 s[34:35], s[8:9], s[18:19]
	s_and_saveexec_b64 s[26:27], s[34:35]
	s_cbranch_execnz .LBB298_135
.LBB298_119:
	s_or_b64 exec, exec, s[26:27]
	s_and_b64 s[34:35], s[10:11], s[18:19]
	s_and_saveexec_b64 s[26:27], s[34:35]
	s_cbranch_execnz .LBB298_139
.LBB298_120:
	s_or_b64 exec, exec, s[26:27]
	s_and_b64 s[34:35], s[12:13], s[18:19]
	s_and_saveexec_b64 s[26:27], s[34:35]
	s_cbranch_execnz .LBB298_143
.LBB298_121:
	s_or_b64 exec, exec, s[26:27]
	s_and_b64 s[34:35], s[14:15], s[18:19]
	s_and_saveexec_b64 s[26:27], s[34:35]
	s_cbranch_execnz .LBB298_147
.LBB298_122:
	s_or_b64 exec, exec, s[26:27]
	s_and_b64 s[26:27], s[16:17], s[18:19]
	s_and_saveexec_b64 s[18:19], s[26:27]
	s_cbranch_execnz .LBB298_151
	s_branch .LBB298_155
.LBB298_123:
	s_and_b64 vcc, exec, s[0:1]
	s_cbranch_vccnz .LBB298_125
; %bb.124:
	v_lshl_add_u64 v[40:41], v[24:25], 1, v[22:23]
	global_load_ushort v40, v[40:41], off
	s_waitcnt vmcnt(0)
	v_mul_f16_e32 v40, s30, v40
	s_branch .LBB298_126
.LBB298_125:
	v_mov_b32_e32 v40, 0
.LBB298_126:
	v_pk_max_f16 v41, v4, v4
	v_pk_max_f16 v42, v16, v16
	;; [unrolled: 1-line block ×3, first 2 shown]
	v_pk_min_f16 v41, v42, v41
	v_pk_max_f16 v42, v5, v5
	v_pk_add_f16 v41, v59, v41
	v_pk_min_f16 v42, v43, v42
	s_nop 0
	v_pk_add_f16 v41, v41, v42
	s_nop 0
	v_add_f16_sdwa v41, v41, v41 dst_sel:DWORD dst_unused:UNUSED_PAD src0_sel:DWORD src1_sel:WORD_1
	v_add_f16_e32 v42, v41, v40
	v_lshl_add_u64 v[40:41], v[24:25], 1, v[20:21]
	global_store_short v[40:41], v42, off
	s_or_b64 exec, exec, s[26:27]
	s_and_b64 s[34:35], s[4:5], s[18:19]
	s_and_saveexec_b64 s[26:27], s[34:35]
	s_cbranch_execz .LBB298_117
.LBB298_127:
	s_and_b64 vcc, exec, s[0:1]
	s_cbranch_vccnz .LBB298_129
; %bb.128:
	v_lshl_add_u64 v[40:41], v[26:27], 1, v[22:23]
	global_load_ushort v40, v[40:41], off
	s_waitcnt vmcnt(0)
	v_mul_f16_e32 v40, s30, v40
	s_branch .LBB298_130
.LBB298_129:
	v_mov_b32_e32 v40, 0
.LBB298_130:
	v_pk_max_f16 v41, v4, v4
	v_pk_max_f16 v42, v18, v18
	;; [unrolled: 1-line block ×3, first 2 shown]
	v_pk_min_f16 v41, v42, v41
	v_pk_max_f16 v42, v5, v5
	v_pk_add_f16 v41, v58, v41
	v_pk_min_f16 v42, v43, v42
	s_nop 0
	v_pk_add_f16 v41, v41, v42
	s_nop 0
	v_add_f16_sdwa v41, v41, v41 dst_sel:DWORD dst_unused:UNUSED_PAD src0_sel:DWORD src1_sel:WORD_1
	v_add_f16_e32 v42, v41, v40
	v_lshl_add_u64 v[40:41], v[26:27], 1, v[20:21]
	global_store_short v[40:41], v42, off
	s_or_b64 exec, exec, s[26:27]
	s_and_b64 s[34:35], s[6:7], s[18:19]
	s_and_saveexec_b64 s[26:27], s[34:35]
	s_cbranch_execz .LBB298_118
.LBB298_131:
	s_and_b64 vcc, exec, s[0:1]
	s_cbranch_vccnz .LBB298_133
; %bb.132:
	v_lshl_add_u64 v[40:41], v[28:29], 1, v[22:23]
	global_load_ushort v40, v[40:41], off
	s_waitcnt vmcnt(0)
	v_mul_f16_e32 v40, s30, v40
	s_branch .LBB298_134
.LBB298_133:
	v_mov_b32_e32 v40, 0
.LBB298_134:
	v_pk_max_f16 v41, v4, v4
	v_pk_max_f16 v42, v12, v12
	;; [unrolled: 1-line block ×3, first 2 shown]
	v_pk_min_f16 v41, v42, v41
	v_pk_max_f16 v42, v5, v5
	v_pk_add_f16 v41, v57, v41
	v_pk_min_f16 v42, v43, v42
	s_nop 0
	v_pk_add_f16 v41, v41, v42
	s_nop 0
	v_add_f16_sdwa v41, v41, v41 dst_sel:DWORD dst_unused:UNUSED_PAD src0_sel:DWORD src1_sel:WORD_1
	v_add_f16_e32 v42, v41, v40
	v_lshl_add_u64 v[40:41], v[28:29], 1, v[20:21]
	global_store_short v[40:41], v42, off
	s_or_b64 exec, exec, s[26:27]
	s_and_b64 s[34:35], s[8:9], s[18:19]
	s_and_saveexec_b64 s[26:27], s[34:35]
	s_cbranch_execz .LBB298_119
.LBB298_135:
	s_and_b64 vcc, exec, s[0:1]
	s_cbranch_vccnz .LBB298_137
; %bb.136:
	v_lshl_add_u64 v[40:41], v[30:31], 1, v[22:23]
	global_load_ushort v40, v[40:41], off
	s_waitcnt vmcnt(0)
	v_mul_f16_e32 v40, s30, v40
	s_branch .LBB298_138
.LBB298_137:
	v_mov_b32_e32 v40, 0
.LBB298_138:
	v_pk_max_f16 v41, v4, v4
	v_pk_max_f16 v42, v14, v14
	;; [unrolled: 1-line block ×3, first 2 shown]
	v_pk_min_f16 v41, v42, v41
	v_pk_max_f16 v42, v5, v5
	v_pk_add_f16 v41, v56, v41
	v_pk_min_f16 v42, v43, v42
	s_nop 0
	v_pk_add_f16 v41, v41, v42
	s_nop 0
	v_add_f16_sdwa v41, v41, v41 dst_sel:DWORD dst_unused:UNUSED_PAD src0_sel:DWORD src1_sel:WORD_1
	v_add_f16_e32 v42, v41, v40
	v_lshl_add_u64 v[40:41], v[30:31], 1, v[20:21]
	global_store_short v[40:41], v42, off
	s_or_b64 exec, exec, s[26:27]
	s_and_b64 s[34:35], s[10:11], s[18:19]
	s_and_saveexec_b64 s[26:27], s[34:35]
	s_cbranch_execz .LBB298_120
.LBB298_139:
	s_and_b64 vcc, exec, s[0:1]
	s_cbranch_vccnz .LBB298_141
; %bb.140:
	v_lshl_add_u64 v[40:41], v[32:33], 1, v[22:23]
	global_load_ushort v40, v[40:41], off
	s_waitcnt vmcnt(0)
	v_mul_f16_e32 v40, s30, v40
	s_branch .LBB298_142
.LBB298_141:
	v_mov_b32_e32 v40, 0
.LBB298_142:
	v_pk_max_f16 v41, v4, v4
	v_pk_max_f16 v42, v8, v8
	;; [unrolled: 1-line block ×3, first 2 shown]
	v_pk_min_f16 v41, v42, v41
	v_pk_max_f16 v42, v5, v5
	v_pk_add_f16 v41, v55, v41
	v_pk_min_f16 v42, v43, v42
	s_nop 0
	v_pk_add_f16 v41, v41, v42
	s_nop 0
	v_add_f16_sdwa v41, v41, v41 dst_sel:DWORD dst_unused:UNUSED_PAD src0_sel:DWORD src1_sel:WORD_1
	v_add_f16_e32 v42, v41, v40
	v_lshl_add_u64 v[40:41], v[32:33], 1, v[20:21]
	global_store_short v[40:41], v42, off
	s_or_b64 exec, exec, s[26:27]
	s_and_b64 s[34:35], s[12:13], s[18:19]
	s_and_saveexec_b64 s[26:27], s[34:35]
	s_cbranch_execz .LBB298_121
.LBB298_143:
	s_and_b64 vcc, exec, s[0:1]
	s_cbranch_vccnz .LBB298_145
; %bb.144:
	v_lshl_add_u64 v[40:41], v[34:35], 1, v[22:23]
	global_load_ushort v40, v[40:41], off
	s_waitcnt vmcnt(0)
	v_mul_f16_e32 v40, s30, v40
	s_branch .LBB298_146
.LBB298_145:
	v_mov_b32_e32 v40, 0
.LBB298_146:
	v_pk_max_f16 v41, v4, v4
	v_pk_max_f16 v42, v10, v10
	;; [unrolled: 1-line block ×3, first 2 shown]
	v_pk_min_f16 v41, v42, v41
	v_pk_max_f16 v42, v5, v5
	v_pk_add_f16 v41, v54, v41
	v_pk_min_f16 v42, v43, v42
	s_nop 0
	v_pk_add_f16 v41, v41, v42
	s_nop 0
	v_add_f16_sdwa v41, v41, v41 dst_sel:DWORD dst_unused:UNUSED_PAD src0_sel:DWORD src1_sel:WORD_1
	v_add_f16_e32 v42, v41, v40
	v_lshl_add_u64 v[40:41], v[34:35], 1, v[20:21]
	global_store_short v[40:41], v42, off
	s_or_b64 exec, exec, s[26:27]
	s_and_b64 s[34:35], s[14:15], s[18:19]
	s_and_saveexec_b64 s[26:27], s[34:35]
	s_cbranch_execz .LBB298_122
.LBB298_147:
	s_and_b64 vcc, exec, s[0:1]
	s_cbranch_vccnz .LBB298_149
; %bb.148:
	v_lshl_add_u64 v[40:41], v[36:37], 1, v[22:23]
	global_load_ushort v40, v[40:41], off
	s_waitcnt vmcnt(0)
	v_mul_f16_e32 v40, s30, v40
	s_branch .LBB298_150
.LBB298_149:
	v_mov_b32_e32 v40, 0
.LBB298_150:
	v_pk_max_f16 v41, v4, v4
	v_pk_max_f16 v42, v0, v0
	v_pk_max_f16 v43, v1, v1
	v_pk_min_f16 v41, v42, v41
	v_pk_max_f16 v42, v5, v5
	v_pk_add_f16 v41, v53, v41
	v_pk_min_f16 v42, v43, v42
	s_nop 0
	v_pk_add_f16 v41, v41, v42
	s_nop 0
	v_add_f16_sdwa v41, v41, v41 dst_sel:DWORD dst_unused:UNUSED_PAD src0_sel:DWORD src1_sel:WORD_1
	v_add_f16_e32 v42, v41, v40
	v_lshl_add_u64 v[40:41], v[36:37], 1, v[20:21]
	global_store_short v[40:41], v42, off
	s_or_b64 exec, exec, s[26:27]
	s_and_b64 s[26:27], s[16:17], s[18:19]
	s_and_saveexec_b64 s[18:19], s[26:27]
	s_cbranch_execz .LBB298_155
.LBB298_151:
	s_and_b64 vcc, exec, s[0:1]
	s_cbranch_vccnz .LBB298_153
; %bb.152:
	v_lshl_add_u64 v[22:23], v[38:39], 1, v[22:23]
	global_load_ushort v22, v[22:23], off
	s_waitcnt vmcnt(0)
	v_mul_f16_e32 v22, s30, v22
	s_branch .LBB298_154
.LBB298_153:
	v_mov_b32_e32 v22, 0
.LBB298_154:
	v_pk_max_f16 v4, v4, v4
	v_pk_max_f16 v23, v2, v2
	;; [unrolled: 1-line block ×3, first 2 shown]
	v_pk_min_f16 v4, v23, v4
	v_pk_max_f16 v23, v3, v3
	v_pk_add_f16 v4, v52, v4
	v_pk_min_f16 v5, v23, v5
	s_nop 0
	v_pk_add_f16 v4, v4, v5
	s_nop 0
	v_add_f16_sdwa v4, v4, v4 dst_sel:DWORD dst_unused:UNUSED_PAD src0_sel:DWORD src1_sel:WORD_1
	v_add_f16_e32 v22, v4, v22
	v_lshl_add_u64 v[4:5], v[38:39], 1, v[20:21]
	global_store_short v[4:5], v22, off
.LBB298_155:
	s_or_b64 exec, exec, s[18:19]
	v_add_u32_e32 v22, 0x60, v69
	v_cmp_gt_i32_e64 s[18:19], s21, v22
	v_mad_i64_i32 v[4:5], s[20:21], v22, s29, 0
	v_lshl_add_u64 v[20:21], v[4:5], 1, s[24:25]
	v_mad_i64_i32 v[4:5], s[20:21], v22, s28, 0
	v_lshl_add_u64 v[4:5], v[4:5], 1, s[22:23]
	s_and_b64 s[20:21], s[2:3], s[18:19]
	s_and_saveexec_b64 s[2:3], s[20:21]
	s_cbranch_execnz .LBB298_164
; %bb.156:
	s_or_b64 exec, exec, s[2:3]
	s_and_b64 s[4:5], s[4:5], s[18:19]
	s_and_saveexec_b64 s[2:3], s[4:5]
	s_cbranch_execnz .LBB298_168
.LBB298_157:
	s_or_b64 exec, exec, s[2:3]
	s_and_b64 s[4:5], s[6:7], s[18:19]
	s_and_saveexec_b64 s[2:3], s[4:5]
	s_cbranch_execnz .LBB298_172
.LBB298_158:
	s_or_b64 exec, exec, s[2:3]
	s_and_b64 s[4:5], s[8:9], s[18:19]
	s_and_saveexec_b64 s[2:3], s[4:5]
	s_cbranch_execnz .LBB298_176
.LBB298_159:
	s_or_b64 exec, exec, s[2:3]
	s_and_b64 s[4:5], s[10:11], s[18:19]
	s_and_saveexec_b64 s[2:3], s[4:5]
	s_cbranch_execnz .LBB298_180
.LBB298_160:
	s_or_b64 exec, exec, s[2:3]
	s_and_b64 s[4:5], s[12:13], s[18:19]
	s_and_saveexec_b64 s[2:3], s[4:5]
	s_cbranch_execnz .LBB298_184
.LBB298_161:
	s_or_b64 exec, exec, s[2:3]
	s_and_b64 s[4:5], s[14:15], s[18:19]
	s_and_saveexec_b64 s[2:3], s[4:5]
	s_cbranch_execnz .LBB298_188
.LBB298_162:
	s_or_b64 exec, exec, s[2:3]
	s_and_b64 s[2:3], s[16:17], s[18:19]
	s_and_saveexec_b64 s[4:5], s[2:3]
	s_cbranch_execnz .LBB298_192
.LBB298_163:
	s_endpgm
.LBB298_164:
	s_and_b64 vcc, exec, s[0:1]
	s_cbranch_vccnz .LBB298_166
; %bb.165:
	v_lshl_add_u64 v[22:23], v[24:25], 1, v[20:21]
	global_load_ushort v22, v[22:23], off
	s_waitcnt vmcnt(0)
	v_mul_f16_e32 v22, s30, v22
	s_branch .LBB298_167
.LBB298_166:
	v_mov_b32_e32 v22, 0
.LBB298_167:
	v_pk_max_f16 v23, v6, v6
	v_pk_max_f16 v16, v16, v16
	;; [unrolled: 1-line block ×3, first 2 shown]
	v_pk_min_f16 v16, v16, v23
	v_pk_max_f16 v23, v7, v7
	v_pk_add_f16 v16, v51, v16
	v_pk_min_f16 v17, v17, v23
	s_nop 0
	v_pk_add_f16 v16, v16, v17
	s_nop 0
	v_add_f16_sdwa v16, v16, v16 dst_sel:DWORD dst_unused:UNUSED_PAD src0_sel:DWORD src1_sel:WORD_1
	v_add_f16_e32 v22, v16, v22
	v_lshl_add_u64 v[16:17], v[24:25], 1, v[4:5]
	global_store_short v[16:17], v22, off
	s_or_b64 exec, exec, s[2:3]
	s_and_b64 s[4:5], s[4:5], s[18:19]
	s_and_saveexec_b64 s[2:3], s[4:5]
	s_cbranch_execz .LBB298_157
.LBB298_168:
	s_and_b64 vcc, exec, s[0:1]
	s_cbranch_vccnz .LBB298_170
; %bb.169:
	v_lshl_add_u64 v[16:17], v[26:27], 1, v[20:21]
	global_load_ushort v16, v[16:17], off
	s_waitcnt vmcnt(0)
	v_mul_f16_e32 v16, s30, v16
	s_branch .LBB298_171
.LBB298_170:
	v_mov_b32_e32 v16, 0
.LBB298_171:
	v_pk_max_f16 v17, v6, v6
	v_pk_max_f16 v18, v18, v18
	v_pk_max_f16 v19, v19, v19
	v_pk_min_f16 v17, v18, v17
	v_pk_max_f16 v18, v7, v7
	v_pk_add_f16 v17, v50, v17
	v_pk_min_f16 v18, v19, v18
	s_nop 0
	v_pk_add_f16 v17, v17, v18
	s_nop 0
	v_add_f16_sdwa v17, v17, v17 dst_sel:DWORD dst_unused:UNUSED_PAD src0_sel:DWORD src1_sel:WORD_1
	v_add_f16_e32 v18, v17, v16
	v_lshl_add_u64 v[16:17], v[26:27], 1, v[4:5]
	global_store_short v[16:17], v18, off
	s_or_b64 exec, exec, s[2:3]
	s_and_b64 s[4:5], s[6:7], s[18:19]
	s_and_saveexec_b64 s[2:3], s[4:5]
	s_cbranch_execz .LBB298_158
.LBB298_172:
	s_and_b64 vcc, exec, s[0:1]
	s_cbranch_vccnz .LBB298_174
; %bb.173:
	v_lshl_add_u64 v[16:17], v[28:29], 1, v[20:21]
	global_load_ushort v16, v[16:17], off
	s_waitcnt vmcnt(0)
	v_mul_f16_e32 v16, s30, v16
	s_branch .LBB298_175
.LBB298_174:
	v_mov_b32_e32 v16, 0
.LBB298_175:
	v_pk_max_f16 v17, v6, v6
	v_pk_max_f16 v12, v12, v12
	v_pk_max_f16 v13, v13, v13
	v_pk_min_f16 v12, v12, v17
	v_pk_max_f16 v17, v7, v7
	v_pk_add_f16 v12, v49, v12
	v_pk_min_f16 v13, v13, v17
	s_nop 0
	v_pk_add_f16 v12, v12, v13
	s_nop 0
	v_add_f16_sdwa v12, v12, v12 dst_sel:DWORD dst_unused:UNUSED_PAD src0_sel:DWORD src1_sel:WORD_1
	v_add_f16_e32 v16, v12, v16
	v_lshl_add_u64 v[12:13], v[28:29], 1, v[4:5]
	global_store_short v[12:13], v16, off
	s_or_b64 exec, exec, s[2:3]
	s_and_b64 s[4:5], s[8:9], s[18:19]
	s_and_saveexec_b64 s[2:3], s[4:5]
	s_cbranch_execz .LBB298_159
.LBB298_176:
	s_and_b64 vcc, exec, s[0:1]
	s_cbranch_vccnz .LBB298_178
; %bb.177:
	v_lshl_add_u64 v[12:13], v[30:31], 1, v[20:21]
	global_load_ushort v12, v[12:13], off
	s_waitcnt vmcnt(0)
	v_mul_f16_e32 v12, s30, v12
	s_branch .LBB298_179
.LBB298_178:
	v_mov_b32_e32 v12, 0
.LBB298_179:
	v_pk_max_f16 v13, v6, v6
	v_pk_max_f16 v14, v14, v14
	;; [unrolled: 1-line block ×3, first 2 shown]
	v_pk_min_f16 v13, v14, v13
	v_pk_max_f16 v14, v7, v7
	v_pk_add_f16 v13, v48, v13
	v_pk_min_f16 v14, v15, v14
	s_nop 0
	v_pk_add_f16 v13, v13, v14
	s_nop 0
	v_add_f16_sdwa v13, v13, v13 dst_sel:DWORD dst_unused:UNUSED_PAD src0_sel:DWORD src1_sel:WORD_1
	v_add_f16_e32 v14, v13, v12
	v_lshl_add_u64 v[12:13], v[30:31], 1, v[4:5]
	global_store_short v[12:13], v14, off
	s_or_b64 exec, exec, s[2:3]
	s_and_b64 s[4:5], s[10:11], s[18:19]
	s_and_saveexec_b64 s[2:3], s[4:5]
	s_cbranch_execz .LBB298_160
.LBB298_180:
	s_and_b64 vcc, exec, s[0:1]
	s_cbranch_vccnz .LBB298_182
; %bb.181:
	v_lshl_add_u64 v[12:13], v[32:33], 1, v[20:21]
	global_load_ushort v12, v[12:13], off
	s_waitcnt vmcnt(0)
	v_mul_f16_e32 v12, s30, v12
	s_branch .LBB298_183
.LBB298_182:
	v_mov_b32_e32 v12, 0
.LBB298_183:
	v_pk_max_f16 v13, v6, v6
	v_pk_max_f16 v8, v8, v8
	;; [unrolled: 1-line block ×3, first 2 shown]
	v_pk_min_f16 v8, v8, v13
	v_pk_max_f16 v13, v7, v7
	v_pk_add_f16 v8, v47, v8
	v_pk_min_f16 v9, v9, v13
	s_nop 0
	v_pk_add_f16 v8, v8, v9
	s_nop 0
	v_add_f16_sdwa v8, v8, v8 dst_sel:DWORD dst_unused:UNUSED_PAD src0_sel:DWORD src1_sel:WORD_1
	v_add_f16_e32 v12, v8, v12
	v_lshl_add_u64 v[8:9], v[32:33], 1, v[4:5]
	global_store_short v[8:9], v12, off
	s_or_b64 exec, exec, s[2:3]
	s_and_b64 s[4:5], s[12:13], s[18:19]
	s_and_saveexec_b64 s[2:3], s[4:5]
	s_cbranch_execz .LBB298_161
.LBB298_184:
	s_and_b64 vcc, exec, s[0:1]
	s_cbranch_vccnz .LBB298_186
; %bb.185:
	v_lshl_add_u64 v[8:9], v[34:35], 1, v[20:21]
	global_load_ushort v8, v[8:9], off
	s_waitcnt vmcnt(0)
	v_mul_f16_e32 v8, s30, v8
	s_branch .LBB298_187
.LBB298_186:
	v_mov_b32_e32 v8, 0
.LBB298_187:
	v_pk_max_f16 v9, v6, v6
	v_pk_max_f16 v10, v10, v10
	;; [unrolled: 1-line block ×3, first 2 shown]
	v_pk_min_f16 v9, v10, v9
	v_pk_max_f16 v10, v7, v7
	v_pk_add_f16 v9, v46, v9
	v_pk_min_f16 v10, v11, v10
	s_nop 0
	v_pk_add_f16 v9, v9, v10
	s_nop 0
	v_add_f16_sdwa v9, v9, v9 dst_sel:DWORD dst_unused:UNUSED_PAD src0_sel:DWORD src1_sel:WORD_1
	v_add_f16_e32 v10, v9, v8
	v_lshl_add_u64 v[8:9], v[34:35], 1, v[4:5]
	global_store_short v[8:9], v10, off
	s_or_b64 exec, exec, s[2:3]
	s_and_b64 s[4:5], s[14:15], s[18:19]
	s_and_saveexec_b64 s[2:3], s[4:5]
	s_cbranch_execz .LBB298_162
.LBB298_188:
	s_and_b64 vcc, exec, s[0:1]
	s_cbranch_vccnz .LBB298_190
; %bb.189:
	v_lshl_add_u64 v[8:9], v[36:37], 1, v[20:21]
	global_load_ushort v8, v[8:9], off
	s_waitcnt vmcnt(0)
	v_mul_f16_e32 v8, s30, v8
	s_branch .LBB298_191
.LBB298_190:
	v_mov_b32_e32 v8, 0
.LBB298_191:
	v_pk_max_f16 v9, v6, v6
	v_pk_max_f16 v0, v0, v0
	;; [unrolled: 1-line block ×3, first 2 shown]
	v_pk_min_f16 v0, v0, v9
	v_pk_max_f16 v9, v7, v7
	v_pk_add_f16 v0, v45, v0
	v_pk_min_f16 v1, v1, v9
	s_nop 0
	v_pk_add_f16 v0, v0, v1
	s_nop 0
	v_add_f16_sdwa v0, v0, v0 dst_sel:DWORD dst_unused:UNUSED_PAD src0_sel:DWORD src1_sel:WORD_1
	v_add_f16_e32 v8, v0, v8
	v_lshl_add_u64 v[0:1], v[36:37], 1, v[4:5]
	global_store_short v[0:1], v8, off
	s_or_b64 exec, exec, s[2:3]
	s_and_b64 s[2:3], s[16:17], s[18:19]
	s_and_saveexec_b64 s[4:5], s[2:3]
	s_cbranch_execz .LBB298_163
.LBB298_192:
	s_and_b64 vcc, exec, s[0:1]
	s_cbranch_vccnz .LBB298_194
; %bb.193:
	v_lshl_add_u64 v[0:1], v[38:39], 1, v[20:21]
	global_load_ushort v0, v[0:1], off
	s_waitcnt vmcnt(0)
	v_mul_f16_e32 v0, s30, v0
	s_branch .LBB298_195
.LBB298_194:
	v_mov_b32_e32 v0, 0
.LBB298_195:
	v_pk_max_f16 v1, v6, v6
	v_pk_max_f16 v2, v2, v2
	;; [unrolled: 1-line block ×3, first 2 shown]
	v_pk_min_f16 v1, v2, v1
	v_pk_max_f16 v2, v7, v7
	v_pk_add_f16 v1, v44, v1
	v_pk_min_f16 v2, v3, v2
	s_nop 0
	v_pk_add_f16 v1, v1, v2
	s_nop 0
	v_add_f16_sdwa v1, v1, v1 dst_sel:DWORD dst_unused:UNUSED_PAD src0_sel:DWORD src1_sel:WORD_1
	v_add_f16_e32 v2, v1, v0
	v_lshl_add_u64 v[0:1], v[38:39], 1, v[4:5]
	global_store_short v[0:1], v2, off
	s_endpgm
	.section	.rodata,"a",@progbits
	.p2align	6, 0x0
	.amdhsa_kernel _ZN12_GLOBAL__N_120geam_min_plus_kernelIDF16_Dv2_DF16_S1_Li8ELi32ELi64ELi128ELi4ELi64ELi4ELi64ELi4ELc78ELc84ELb1ELb1ELb0EDF16_KDF16_DF16_EEviiiT16_PT17_ilS5_ilS3_S5_ilPT18_ili26rocblas_geam_ex_operation_
		.amdhsa_group_segment_fixed_size 3072
		.amdhsa_private_segment_fixed_size 0
		.amdhsa_kernarg_size 128
		.amdhsa_user_sgpr_count 2
		.amdhsa_user_sgpr_dispatch_ptr 0
		.amdhsa_user_sgpr_queue_ptr 0
		.amdhsa_user_sgpr_kernarg_segment_ptr 1
		.amdhsa_user_sgpr_dispatch_id 0
		.amdhsa_user_sgpr_kernarg_preload_length 0
		.amdhsa_user_sgpr_kernarg_preload_offset 0
		.amdhsa_user_sgpr_private_segment_size 0
		.amdhsa_uses_dynamic_stack 0
		.amdhsa_enable_private_segment 0
		.amdhsa_system_sgpr_workgroup_id_x 1
		.amdhsa_system_sgpr_workgroup_id_y 0
		.amdhsa_system_sgpr_workgroup_id_z 1
		.amdhsa_system_sgpr_workgroup_info 0
		.amdhsa_system_vgpr_workitem_id 1
		.amdhsa_next_free_vgpr 125
		.amdhsa_next_free_sgpr 36
		.amdhsa_accum_offset 128
		.amdhsa_reserve_vcc 1
		.amdhsa_float_round_mode_32 0
		.amdhsa_float_round_mode_16_64 0
		.amdhsa_float_denorm_mode_32 3
		.amdhsa_float_denorm_mode_16_64 3
		.amdhsa_dx10_clamp 1
		.amdhsa_ieee_mode 1
		.amdhsa_fp16_overflow 0
		.amdhsa_tg_split 0
		.amdhsa_exception_fp_ieee_invalid_op 0
		.amdhsa_exception_fp_denorm_src 0
		.amdhsa_exception_fp_ieee_div_zero 0
		.amdhsa_exception_fp_ieee_overflow 0
		.amdhsa_exception_fp_ieee_underflow 0
		.amdhsa_exception_fp_ieee_inexact 0
		.amdhsa_exception_int_div_zero 0
	.end_amdhsa_kernel
	.section	.text._ZN12_GLOBAL__N_120geam_min_plus_kernelIDF16_Dv2_DF16_S1_Li8ELi32ELi64ELi128ELi4ELi64ELi4ELi64ELi4ELc78ELc84ELb1ELb1ELb0EDF16_KDF16_DF16_EEviiiT16_PT17_ilS5_ilS3_S5_ilPT18_ili26rocblas_geam_ex_operation_,"axG",@progbits,_ZN12_GLOBAL__N_120geam_min_plus_kernelIDF16_Dv2_DF16_S1_Li8ELi32ELi64ELi128ELi4ELi64ELi4ELi64ELi4ELc78ELc84ELb1ELb1ELb0EDF16_KDF16_DF16_EEviiiT16_PT17_ilS5_ilS3_S5_ilPT18_ili26rocblas_geam_ex_operation_,comdat
.Lfunc_end298:
	.size	_ZN12_GLOBAL__N_120geam_min_plus_kernelIDF16_Dv2_DF16_S1_Li8ELi32ELi64ELi128ELi4ELi64ELi4ELi64ELi4ELc78ELc84ELb1ELb1ELb0EDF16_KDF16_DF16_EEviiiT16_PT17_ilS5_ilS3_S5_ilPT18_ili26rocblas_geam_ex_operation_, .Lfunc_end298-_ZN12_GLOBAL__N_120geam_min_plus_kernelIDF16_Dv2_DF16_S1_Li8ELi32ELi64ELi128ELi4ELi64ELi4ELi64ELi4ELc78ELc84ELb1ELb1ELb0EDF16_KDF16_DF16_EEviiiT16_PT17_ilS5_ilS3_S5_ilPT18_ili26rocblas_geam_ex_operation_
                                        ; -- End function
	.set _ZN12_GLOBAL__N_120geam_min_plus_kernelIDF16_Dv2_DF16_S1_Li8ELi32ELi64ELi128ELi4ELi64ELi4ELi64ELi4ELc78ELc84ELb1ELb1ELb0EDF16_KDF16_DF16_EEviiiT16_PT17_ilS5_ilS3_S5_ilPT18_ili26rocblas_geam_ex_operation_.num_vgpr, 125
	.set _ZN12_GLOBAL__N_120geam_min_plus_kernelIDF16_Dv2_DF16_S1_Li8ELi32ELi64ELi128ELi4ELi64ELi4ELi64ELi4ELc78ELc84ELb1ELb1ELb0EDF16_KDF16_DF16_EEviiiT16_PT17_ilS5_ilS3_S5_ilPT18_ili26rocblas_geam_ex_operation_.num_agpr, 0
	.set _ZN12_GLOBAL__N_120geam_min_plus_kernelIDF16_Dv2_DF16_S1_Li8ELi32ELi64ELi128ELi4ELi64ELi4ELi64ELi4ELc78ELc84ELb1ELb1ELb0EDF16_KDF16_DF16_EEviiiT16_PT17_ilS5_ilS3_S5_ilPT18_ili26rocblas_geam_ex_operation_.numbered_sgpr, 36
	.set _ZN12_GLOBAL__N_120geam_min_plus_kernelIDF16_Dv2_DF16_S1_Li8ELi32ELi64ELi128ELi4ELi64ELi4ELi64ELi4ELc78ELc84ELb1ELb1ELb0EDF16_KDF16_DF16_EEviiiT16_PT17_ilS5_ilS3_S5_ilPT18_ili26rocblas_geam_ex_operation_.num_named_barrier, 0
	.set _ZN12_GLOBAL__N_120geam_min_plus_kernelIDF16_Dv2_DF16_S1_Li8ELi32ELi64ELi128ELi4ELi64ELi4ELi64ELi4ELc78ELc84ELb1ELb1ELb0EDF16_KDF16_DF16_EEviiiT16_PT17_ilS5_ilS3_S5_ilPT18_ili26rocblas_geam_ex_operation_.private_seg_size, 0
	.set _ZN12_GLOBAL__N_120geam_min_plus_kernelIDF16_Dv2_DF16_S1_Li8ELi32ELi64ELi128ELi4ELi64ELi4ELi64ELi4ELc78ELc84ELb1ELb1ELb0EDF16_KDF16_DF16_EEviiiT16_PT17_ilS5_ilS3_S5_ilPT18_ili26rocblas_geam_ex_operation_.uses_vcc, 1
	.set _ZN12_GLOBAL__N_120geam_min_plus_kernelIDF16_Dv2_DF16_S1_Li8ELi32ELi64ELi128ELi4ELi64ELi4ELi64ELi4ELc78ELc84ELb1ELb1ELb0EDF16_KDF16_DF16_EEviiiT16_PT17_ilS5_ilS3_S5_ilPT18_ili26rocblas_geam_ex_operation_.uses_flat_scratch, 0
	.set _ZN12_GLOBAL__N_120geam_min_plus_kernelIDF16_Dv2_DF16_S1_Li8ELi32ELi64ELi128ELi4ELi64ELi4ELi64ELi4ELc78ELc84ELb1ELb1ELb0EDF16_KDF16_DF16_EEviiiT16_PT17_ilS5_ilS3_S5_ilPT18_ili26rocblas_geam_ex_operation_.has_dyn_sized_stack, 0
	.set _ZN12_GLOBAL__N_120geam_min_plus_kernelIDF16_Dv2_DF16_S1_Li8ELi32ELi64ELi128ELi4ELi64ELi4ELi64ELi4ELc78ELc84ELb1ELb1ELb0EDF16_KDF16_DF16_EEviiiT16_PT17_ilS5_ilS3_S5_ilPT18_ili26rocblas_geam_ex_operation_.has_recursion, 0
	.set _ZN12_GLOBAL__N_120geam_min_plus_kernelIDF16_Dv2_DF16_S1_Li8ELi32ELi64ELi128ELi4ELi64ELi4ELi64ELi4ELc78ELc84ELb1ELb1ELb0EDF16_KDF16_DF16_EEviiiT16_PT17_ilS5_ilS3_S5_ilPT18_ili26rocblas_geam_ex_operation_.has_indirect_call, 0
	.section	.AMDGPU.csdata,"",@progbits
; Kernel info:
; codeLenInByte = 11128
; TotalNumSgprs: 42
; NumVgprs: 125
; NumAgprs: 0
; TotalNumVgprs: 125
; ScratchSize: 0
; MemoryBound: 0
; FloatMode: 240
; IeeeMode: 1
; LDSByteSize: 3072 bytes/workgroup (compile time only)
; SGPRBlocks: 5
; VGPRBlocks: 15
; NumSGPRsForWavesPerEU: 42
; NumVGPRsForWavesPerEU: 125
; AccumOffset: 128
; Occupancy: 4
; WaveLimiterHint : 0
; COMPUTE_PGM_RSRC2:SCRATCH_EN: 0
; COMPUTE_PGM_RSRC2:USER_SGPR: 2
; COMPUTE_PGM_RSRC2:TRAP_HANDLER: 0
; COMPUTE_PGM_RSRC2:TGID_X_EN: 1
; COMPUTE_PGM_RSRC2:TGID_Y_EN: 0
; COMPUTE_PGM_RSRC2:TGID_Z_EN: 1
; COMPUTE_PGM_RSRC2:TIDIG_COMP_CNT: 1
; COMPUTE_PGM_RSRC3_GFX90A:ACCUM_OFFSET: 31
; COMPUTE_PGM_RSRC3_GFX90A:TG_SPLIT: 0
	.section	.text._ZN12_GLOBAL__N_120geam_min_plus_kernelIDF16_Dv2_DF16_S1_Li8ELi32ELi64ELi128ELi4ELi64ELi4ELi64ELi4ELc78ELc84ELb0ELb1ELb0EDF16_KDF16_DF16_EEviiiT16_PT17_ilS5_ilS3_S5_ilPT18_ili26rocblas_geam_ex_operation_,"axG",@progbits,_ZN12_GLOBAL__N_120geam_min_plus_kernelIDF16_Dv2_DF16_S1_Li8ELi32ELi64ELi128ELi4ELi64ELi4ELi64ELi4ELc78ELc84ELb0ELb1ELb0EDF16_KDF16_DF16_EEviiiT16_PT17_ilS5_ilS3_S5_ilPT18_ili26rocblas_geam_ex_operation_,comdat
	.globl	_ZN12_GLOBAL__N_120geam_min_plus_kernelIDF16_Dv2_DF16_S1_Li8ELi32ELi64ELi128ELi4ELi64ELi4ELi64ELi4ELc78ELc84ELb0ELb1ELb0EDF16_KDF16_DF16_EEviiiT16_PT17_ilS5_ilS3_S5_ilPT18_ili26rocblas_geam_ex_operation_ ; -- Begin function _ZN12_GLOBAL__N_120geam_min_plus_kernelIDF16_Dv2_DF16_S1_Li8ELi32ELi64ELi128ELi4ELi64ELi4ELi64ELi4ELc78ELc84ELb0ELb1ELb0EDF16_KDF16_DF16_EEviiiT16_PT17_ilS5_ilS3_S5_ilPT18_ili26rocblas_geam_ex_operation_
	.p2align	8
	.type	_ZN12_GLOBAL__N_120geam_min_plus_kernelIDF16_Dv2_DF16_S1_Li8ELi32ELi64ELi128ELi4ELi64ELi4ELi64ELi4ELc78ELc84ELb0ELb1ELb0EDF16_KDF16_DF16_EEviiiT16_PT17_ilS5_ilS3_S5_ilPT18_ili26rocblas_geam_ex_operation_,@function
_ZN12_GLOBAL__N_120geam_min_plus_kernelIDF16_Dv2_DF16_S1_Li8ELi32ELi64ELi128ELi4ELi64ELi4ELi64ELi4ELc78ELc84ELb0ELb1ELb0EDF16_KDF16_DF16_EEviiiT16_PT17_ilS5_ilS3_S5_ilPT18_ili26rocblas_geam_ex_operation_: ; @_ZN12_GLOBAL__N_120geam_min_plus_kernelIDF16_Dv2_DF16_S1_Li8ELi32ELi64ELi128ELi4ELi64ELi4ELi64ELi4ELc78ELc84ELb0ELb1ELb0EDF16_KDF16_DF16_EEviiiT16_PT17_ilS5_ilS3_S5_ilPT18_ili26rocblas_geam_ex_operation_
; %bb.0:
	s_load_dwordx4 s[20:23], s[0:1], 0x0
	s_load_dwordx4 s[4:7], s[0:1], 0x20
	s_waitcnt lgkmcnt(0)
	v_cmp_eq_f16_e64 s[8:9], s23, 0
	v_cmp_neq_f16_e64 s[14:15], s23, 0
	s_and_b64 vcc, exec, s[8:9]
	s_cbranch_vccnz .LBB299_37
; %bb.1:
	s_load_dwordx2 s[10:11], s[0:1], 0x10
	s_mul_i32 s5, s5, s3
	s_mul_hi_u32 s12, s4, s3
	s_add_i32 s5, s12, s5
	s_mul_i32 s4, s4, s3
	s_lshl_b64 s[4:5], s[4:5], 1
	s_waitcnt lgkmcnt(0)
	s_add_u32 s26, s10, s4
	s_addc_u32 s27, s11, s5
	s_andn2_b64 vcc, exec, s[8:9]
	s_mov_b64 s[4:5], -1
	s_cbranch_vccnz .LBB299_3
.LBB299_2:
	s_mov_b64 s[4:5], 0
.LBB299_3:
	s_mov_b64 s[24:25], 0
	s_andn2_b64 vcc, exec, s[4:5]
	s_mov_b64 s[16:17], 0
	s_cbranch_vccnz .LBB299_5
; %bb.4:
	s_load_dwordx2 s[4:5], s[0:1], 0x38
	s_waitcnt lgkmcnt(0)
	s_mul_i32 s5, s5, s3
	s_mul_hi_u32 s8, s4, s3
	s_add_i32 s5, s8, s5
	s_mul_i32 s4, s4, s3
	s_lshl_b64 s[4:5], s[4:5], 1
	s_add_u32 s16, s6, s4
	s_addc_u32 s17, s7, s5
.LBB299_5:
	s_load_dword s33, s[0:1], 0x40
	s_load_dwordx4 s[8:11], s[0:1], 0x58
	s_waitcnt lgkmcnt(0)
	v_cmp_eq_f16_e64 s[4:5], s33, 0
	v_cmp_neq_f16_e64 s[12:13], s33, 0
	s_and_b64 vcc, exec, s[4:5]
	s_cbranch_vccnz .LBB299_7
; %bb.6:
	s_load_dwordx2 s[4:5], s[0:1], 0x48
	s_mul_i32 s6, s9, s3
	s_mul_hi_u32 s7, s8, s3
	s_add_i32 s7, s7, s6
	s_mul_i32 s6, s8, s3
	s_lshl_b64 s[6:7], s[6:7], 1
	s_waitcnt lgkmcnt(0)
	s_add_u32 s24, s4, s6
	s_addc_u32 s25, s5, s7
.LBB299_7:
	s_add_i32 s4, s20, -1
	s_ashr_i32 s5, s4, 31
	s_lshr_b32 s5, s5, 26
	s_add_i32 s4, s4, s5
	s_ashr_i32 s4, s4, 6
	s_add_i32 s5, s4, 1
	v_cvt_f32_u32_e32 v1, s5
	s_not_b32 s4, s4
	s_load_dword s28, s[0:1], 0x18
	v_and_b32_e32 v34, 0x3ff, v0
	v_rcp_iflag_f32_e32 v1, v1
	v_bfe_u32 v35, v0, 10, 10
	v_lshl_add_u32 v0, v35, 3, v34
	s_waitcnt lgkmcnt(0)
	s_ashr_i32 s29, s28, 31
	v_mul_f32_e32 v1, 0x4f7ffffe, v1
	v_cvt_u32_f32_e32 v1, v1
	v_and_b32_e32 v7, 63, v0
	v_lshrrev_b32_e32 v36, 6, v0
	v_mov_b32_e32 v8, 0
	v_readfirstlane_b32 s6, v1
	s_mul_i32 s4, s4, s6
	s_mul_hi_u32 s4, s6, s4
	s_add_i32 s6, s6, s4
	s_mul_hi_u32 s4, s2, s6
	s_mul_i32 s6, s4, s5
	s_sub_i32 s6, s2, s6
	s_add_i32 s7, s4, 1
	s_sub_i32 s8, s6, s5
	s_cmp_ge_u32 s6, s5
	s_cselect_b32 s4, s7, s4
	s_cselect_b32 s6, s8, s6
	s_add_i32 s7, s4, 1
	s_cmp_ge_u32 s6, s5
	s_cselect_b32 s6, s7, s4
	s_mul_i32 s4, s6, s5
	s_sub_i32 s2, s2, s4
	s_lshl_b32 s2, s2, 6
	v_or_b32_e32 v0, s2, v7
	v_cmp_gt_i32_e32 vcc, s20, v0
	v_cmp_gt_i32_e64 s[4:5], s22, v36
	s_and_b64 s[4:5], s[4:5], vcc
	s_and_b64 s[8:9], s[14:15], s[4:5]
	v_ashrrev_i32_e32 v1, 31, v0
	v_mov_b32_e32 v9, 0
	s_and_saveexec_b64 s[4:5], s[8:9]
	s_cbranch_execz .LBB299_9
; %bb.8:
	v_mad_i64_i32 v[2:3], s[8:9], s28, v36, 0
	v_lshl_add_u64 v[2:3], v[2:3], 1, s[26:27]
	v_lshl_add_u64 v[2:3], v[0:1], 1, v[2:3]
	global_load_ushort v2, v[2:3], off
	s_waitcnt vmcnt(0)
	v_mul_f16_e32 v9, s23, v2
.LBB299_9:
	s_or_b64 exec, exec, s[4:5]
	s_load_dword s35, s[0:1], 0x30
	s_lshl_b32 s34, s6, 7
	s_add_i32 s36, s22, -1
	v_or_b32_e32 v24, s34, v7
	v_min_i32_e32 v2, s36, v36
	v_cmp_le_i32_e64 s[6:7], s22, v36
	s_waitcnt lgkmcnt(0)
	v_mad_i64_i32 v[2:3], s[4:5], s35, v2, 0
	v_cmp_le_i32_e64 s[8:9], s21, v24
	s_or_b64 s[4:5], s[6:7], s[8:9]
	s_xor_b64 s[18:19], s[14:15], -1
	v_lshl_add_u64 v[2:3], v[2:3], 1, s[16:17]
	s_nor_b64 s[30:31], s[4:5], s[18:19]
	v_ashrrev_i32_e32 v25, 31, v24
	s_and_saveexec_b64 s[4:5], s[30:31]
	s_cbranch_execz .LBB299_11
; %bb.10:
	v_lshl_add_u64 v[4:5], v[24:25], 1, v[2:3]
	global_load_ushort v4, v[4:5], off
	s_waitcnt vmcnt(0)
	v_mul_f16_e32 v8, s23, v4
.LBB299_11:
	s_or_b64 exec, exec, s[4:5]
	v_or_b32_e32 v4, 64, v24
	v_cmp_le_i32_e64 s[4:5], s21, v4
	s_or_b64 s[6:7], s[6:7], s[4:5]
	s_nor_b64 s[30:31], s[6:7], s[18:19]
	v_mov_b32_e32 v4, 0
	v_mov_b32_e32 v10, 0
	s_and_saveexec_b64 s[6:7], s[30:31]
	s_cbranch_execz .LBB299_13
; %bb.12:
	v_lshl_add_u64 v[2:3], v[24:25], 1, v[2:3]
	global_load_ushort v2, v[2:3], off offset:128
	s_waitcnt vmcnt(0)
	v_mul_f16_e32 v10, s23, v2
.LBB299_13:
	s_or_b64 exec, exec, s[6:7]
	v_add_u32_e32 v2, 4, v36
	v_cmp_gt_i32_e64 s[6:7], s22, v2
	s_and_b64 s[6:7], vcc, s[6:7]
	s_and_b64 s[30:31], s[14:15], s[6:7]
	s_and_saveexec_b64 s[6:7], s[30:31]
	s_cbranch_execz .LBB299_15
; %bb.14:
	v_mad_u64_u32 v[4:5], s[30:31], s28, v2, 0
	v_mov_b32_e32 v6, v5
	v_mad_u64_u32 v[12:13], s[30:31], s29, v2, v[6:7]
	v_mov_b32_e32 v5, v12
	v_lshl_add_u64 v[4:5], v[4:5], 1, s[26:27]
	v_lshl_add_u64 v[4:5], v[0:1], 1, v[4:5]
	global_load_ushort v3, v[4:5], off
	s_waitcnt vmcnt(0)
	v_mul_f16_e32 v4, s23, v3
.LBB299_15:
	s_or_b64 exec, exec, s[6:7]
	v_cmp_le_i32_e64 s[6:7], s22, v2
	v_min_i32_e32 v2, s36, v2
	v_mad_i64_i32 v[2:3], s[30:31], s35, v2, 0
	s_or_b64 s[30:31], s[8:9], s[6:7]
	v_lshl_add_u64 v[2:3], v[2:3], 1, s[16:17]
	s_nor_b64 s[38:39], s[30:31], s[18:19]
	v_mov_b32_e32 v5, 0
	v_mov_b32_e32 v6, 0
	s_and_saveexec_b64 s[30:31], s[38:39]
	s_cbranch_execz .LBB299_17
; %bb.16:
	v_lshl_add_u64 v[12:13], v[24:25], 1, v[2:3]
	global_load_ushort v6, v[12:13], off
	s_waitcnt vmcnt(0)
	v_mul_f16_e32 v6, s23, v6
.LBB299_17:
	s_or_b64 exec, exec, s[30:31]
	s_or_b64 s[6:7], s[4:5], s[6:7]
	s_nor_b64 s[30:31], s[6:7], s[18:19]
	s_and_saveexec_b64 s[6:7], s[30:31]
	s_cbranch_execz .LBB299_19
; %bb.18:
	v_lshl_add_u64 v[2:3], v[24:25], 1, v[2:3]
	global_load_ushort v2, v[2:3], off offset:128
	s_waitcnt vmcnt(0)
	v_mul_f16_e32 v5, s23, v2
.LBB299_19:
	s_or_b64 exec, exec, s[6:7]
	v_lshlrev_b32_e32 v2, 3, v7
	v_lshlrev_b32_e32 v38, 3, v34
	v_lshl_add_u32 v39, v36, 1, v2
	v_lshlrev_b32_e32 v37, 3, v35
	v_add_u32_e32 v40, 0x800, v38
	ds_write_b16 v39, v9 offset:2048
	ds_write_b16 v39, v8
	ds_write_b16 v39, v10 offset:512
	s_waitcnt lgkmcnt(0)
	s_barrier
	ds_read2_b64 v[8:11], v37 offset1:32
	ds_read2_b64 v[12:15], v40 offset0:48 offset1:56
	ds_read2_b64 v[16:19], v37 offset0:64 offset1:96
	ds_read2_b64 v[20:23], v40 offset1:8
	ds_read2_b64 v[26:29], v40 offset0:16 offset1:24
	ds_read2_b64 v[30:33], v40 offset0:32 offset1:40
	s_waitcnt lgkmcnt(5)
	v_pk_max_f16 v2, v8, v8
	s_waitcnt lgkmcnt(4)
	v_pk_max_f16 v3, v14, v14
	v_pk_max_f16 v8, v10, v10
	v_pk_min_f16 v7, v3, v2
	s_waitcnt lgkmcnt(3)
	v_pk_max_f16 v14, v16, v16
	s_waitcnt lgkmcnt(2)
	v_pk_max_f16 v16, v20, v20
	v_pk_max_f16 v18, v18, v18
	;; [unrolled: 1-line block ×3, first 2 shown]
	s_waitcnt lgkmcnt(1)
	v_pk_max_f16 v26, v26, v26
	v_pk_max_f16 v28, v28, v28
	s_waitcnt lgkmcnt(0)
	v_pk_max_f16 v30, v30, v30
	v_pk_max_f16 v9, v9, v9
	;; [unrolled: 1-line block ×5, first 2 shown]
	v_pk_min_f16 v10, v3, v8
	v_pk_min_f16 v20, v16, v2
	;; [unrolled: 1-line block ×18, first 2 shown]
	v_pk_max_f16 v11, v11, v11
	v_pk_min_f16 v56, v30, v8
	v_pk_min_f16 v61, v30, v14
	v_pk_min_f16 v30, v30, v18
	v_pk_min_f16 v62, v32, v2
	v_pk_min_f16 v63, v32, v8
	v_pk_min_f16 v64, v32, v14
	v_pk_min_f16 v32, v32, v18
	v_pk_min_f16 v2, v12, v2
	v_pk_min_f16 v8, v12, v8
	v_pk_min_f16 v50, v3, v14
	v_pk_min_f16 v14, v12, v14
	v_pk_min_f16 v12, v12, v18
	v_pk_min_f16 v3, v3, v18
	v_pk_add_f16 v7, v7, 0
	v_pk_min_f16 v18, v15, v9
	v_pk_max_f16 v17, v17, v17
	v_pk_add_f16 v68, v7, v18
	v_pk_add_f16 v7, v10, 0
	v_pk_min_f16 v10, v15, v11
	v_pk_max_f16 v21, v21, v21
	v_pk_add_f16 v60, v7, v10
	;; [unrolled: 4-line block ×4, first 2 shown]
	v_pk_add_f16 v7, v41, 0
	v_pk_min_f16 v10, v21, v11
	v_pk_add_f16 v18, v53, 0
	v_pk_add_f16 v67, v7, v10
	;; [unrolled: 1-line block ×3, first 2 shown]
	v_pk_min_f16 v10, v21, v17
	v_pk_add_f16 v41, v64, 0
	v_pk_add_f16 v59, v7, v10
	;; [unrolled: 1-line block ×3, first 2 shown]
	v_pk_min_f16 v10, v21, v19
	v_pk_min_f16 v16, v23, v19
	v_pk_add_f16 v51, v7, v10
	v_pk_add_f16 v7, v43, 0
	v_pk_min_f16 v10, v23, v9
	v_pk_add_f16 v21, v28, 0
	v_pk_add_f16 v75, v7, v10
	v_pk_add_f16 v7, v44, 0
	v_pk_min_f16 v10, v23, v11
	v_pk_add_f16 v20, v54, 0
	;; [unrolled: 4-line block ×3, first 2 shown]
	v_pk_add_f16 v58, v7, v10
	v_pk_add_f16 v7, v22, 0
	v_pk_add_f16 v10, v46, 0
	v_pk_add_f16 v50, v7, v16
	v_pk_max_f16 v7, v27, v27
	v_pk_add_f16 v22, v55, 0
	v_pk_min_f16 v16, v7, v9
	v_pk_add_f16 v27, v30, 0
	v_pk_add_f16 v74, v10, v16
	;; [unrolled: 1-line block ×3, first 2 shown]
	v_pk_min_f16 v16, v7, v11
	v_pk_add_f16 v30, v63, 0
	v_pk_add_f16 v65, v10, v16
	;; [unrolled: 1-line block ×3, first 2 shown]
	v_pk_min_f16 v16, v7, v17
	v_pk_min_f16 v7, v7, v19
	v_pk_add_f16 v57, v10, v16
	v_pk_add_f16 v10, v26, 0
	;; [unrolled: 1-line block ×4, first 2 shown]
	v_pk_max_f16 v7, v29, v29
	v_pk_add_f16 v26, v61, 0
	v_pk_min_f16 v10, v7, v9
	v_pk_add_f16 v28, v62, 0
	v_pk_add_f16 v73, v16, v10
	v_pk_min_f16 v10, v7, v11
	v_pk_add_f16 v32, v32, 0
	v_pk_add_f16 v64, v18, v10
	v_pk_min_f16 v10, v7, v17
	v_pk_min_f16 v7, v7, v19
	v_pk_add_f16 v56, v20, v10
	v_pk_add_f16 v48, v21, v7
	v_pk_max_f16 v7, v31, v31
	v_pk_add_f16 v2, v2, 0
	v_pk_min_f16 v10, v7, v9
	v_pk_add_f16 v8, v8, 0
	v_pk_add_f16 v72, v22, v10
	v_pk_min_f16 v10, v7, v11
	v_pk_add_f16 v14, v14, 0
	v_pk_add_f16 v63, v23, v10
	v_pk_min_f16 v10, v7, v17
	v_pk_min_f16 v7, v7, v19
	v_pk_add_f16 v55, v26, v10
	v_pk_add_f16 v47, v27, v7
	v_pk_max_f16 v7, v33, v33
	v_pk_add_f16 v12, v12, 0
	v_pk_min_f16 v10, v7, v9
	v_pk_add_f16 v3, v3, 0
	v_pk_add_f16 v71, v28, v10
	v_pk_min_f16 v10, v7, v11
	s_mov_b32 s30, 0
	v_pk_add_f16 v62, v30, v10
	v_pk_min_f16 v10, v7, v17
	v_pk_min_f16 v7, v7, v19
	v_pk_add_f16 v54, v41, v10
	v_pk_add_f16 v46, v32, v7
	v_pk_max_f16 v7, v13, v13
	s_cmp_lt_i32 s22, 9
	v_pk_min_f16 v9, v7, v9
	ds_write_b16 v39, v4 offset:2560
	ds_write_b16 v39, v6 offset:1024
	;; [unrolled: 1-line block ×3, first 2 shown]
	v_pk_add_f16 v70, v2, v9
	v_pk_min_f16 v2, v7, v11
	s_waitcnt lgkmcnt(0)
	v_pk_add_f16 v61, v8, v2
	v_pk_min_f16 v2, v7, v17
	s_barrier
	v_pk_add_f16 v53, v14, v2
	v_pk_min_f16 v2, v7, v19
	s_nop 0
	v_pk_add_f16 v45, v12, v2
	v_pk_min_f16 v2, v15, v19
	s_nop 0
	v_pk_add_f16 v44, v3, v2
	s_cbranch_scc1 .LBB299_34
; %bb.20:
	v_lshl_add_u64 v[26:27], v[0:1], 1, s[26:27]
	v_mov_b32_e32 v0, 0xa00
	v_lshl_add_u32 v69, v34, 3, v0
	v_add_u32_e32 v0, v37, v34
	v_lshrrev_b32_e32 v2, 6, v0
	v_add_u32_e32 v0, 12, v2
	v_mad_i64_i32 v[0:1], s[6:7], v0, s28, 0
	v_lshlrev_b64 v[28:29], 1, v[0:1]
	v_add_u32_e32 v0, 8, v2
	v_mad_i64_i32 v[0:1], s[6:7], v0, s28, 0
	v_or_b32_e32 v41, 0x800, v39
	v_add_u32_e32 v42, 0xa00, v39
	v_or_b32_e32 v43, 0x400, v39
	s_add_i32 s31, s22, -8
	v_add_u32_e32 v77, 0x400, v37
	s_lshl_b64 s[26:27], s[28:29], 4
	v_lshlrev_b64 v[30:31], 1, v[0:1]
	s_branch .LBB299_22
.LBB299_21:                             ;   in Loop: Header=BB299_22 Depth=1
	s_or_b64 exec, exec, s[6:7]
	v_pk_max_f16 v2, v2, v2
	v_pk_max_f16 v20, v20, v20
	v_pk_max_f16 v22, v22, v22
	v_pk_max_f16 v16, v16, v16
	v_pk_max_f16 v18, v18, v18
	v_pk_max_f16 v4, v4, v4
	v_pk_max_f16 v6, v6, v6
	v_pk_min_f16 v32, v2, v20
	v_pk_min_f16 v33, v2, v22
	v_pk_max_f16 v12, v12, v12
	v_pk_max_f16 v14, v14, v14
	;; [unrolled: 1-line block ×10, first 2 shown]
	v_pk_min_f16 v93, v4, v20
	v_pk_max_f16 v9, v9, v9
	v_pk_max_f16 v11, v11, v11
	v_pk_min_f16 v94, v4, v22
	v_pk_max_f16 v5, v5, v5
	v_pk_max_f16 v7, v7, v7
	v_pk_min_f16 v95, v4, v16
	v_pk_min_f16 v4, v4, v18
	v_pk_max_f16 v0, v0, v0
	v_pk_max_f16 v3, v3, v3
	;; [unrolled: 1-line block ×3, first 2 shown]
	v_pk_min_f16 v96, v6, v20
	v_pk_min_f16 v97, v6, v22
	;; [unrolled: 1-line block ×58, first 2 shown]
	v_pk_add_f16 v1, v68, v32
	v_pk_add_f16 v3, v60, v33
	;; [unrolled: 1-line block ×12, first 2 shown]
	ds_read2_b64 v[0:3], v40 offset0:48 offset1:56
	ds_read2_b64 v[4:7], v37 offset1:32
	v_pk_add_f16 v32, v52, v99
	v_pk_add_f16 v33, v76, v81
	;; [unrolled: 1-line block ×7, first 2 shown]
	s_waitcnt lgkmcnt(1)
	v_pk_max_f16 v2, v2, v2
	s_waitcnt lgkmcnt(0)
	v_pk_max_f16 v4, v4, v4
	v_pk_add_f16 v60, v66, v85
	v_pk_add_f16 v14, v50, v14
	;; [unrolled: 1-line block ×8, first 2 shown]
	ds_read2_b64 v[8:11], v37 offset0:64 offset1:96
	v_pk_min_f16 v12, v2, v4
	v_pk_add_f16 v22, v61, v22
	v_pk_add_f16 v61, v14, v15
	v_pk_add_f16 v46, v46, v12
	ds_read2_b64 v[12:15], v40 offset1:8
	v_pk_max_f16 v6, v6, v6
	v_pk_add_f16 v49, v73, v90
	v_pk_add_f16 v73, v16, v17
	v_pk_min_f16 v16, v2, v6
	s_waitcnt lgkmcnt(1)
	v_pk_max_f16 v8, v8, v8
	v_pk_add_f16 v32, v32, v119
	v_pk_add_f16 v53, v53, v16
	v_pk_min_f16 v16, v2, v8
	s_waitcnt lgkmcnt(0)
	v_pk_max_f16 v12, v12, v12
	v_pk_add_f16 v32, v32, v16
	v_pk_min_f16 v16, v12, v4
	v_pk_add_f16 v50, v74, v87
	v_pk_add_f16 v74, v18, v16
	v_pk_min_f16 v16, v12, v6
	v_pk_add_f16 v51, v75, v84
	v_pk_add_f16 v33, v33, v16
	v_pk_min_f16 v16, v12, v8
	v_pk_max_f16 v14, v14, v14
	v_pk_add_f16 v51, v51, v102
	v_pk_add_f16 v75, v52, v16
	v_pk_min_f16 v16, v14, v4
	v_pk_add_f16 v60, v60, v103
	v_pk_add_f16 v81, v51, v16
	v_pk_min_f16 v16, v14, v6
	v_pk_add_f16 v44, v44, v19
	v_pk_add_f16 v82, v60, v16
	ds_read2_b64 v[16:19], v40 offset0:16 offset1:24
	v_pk_add_f16 v58, v58, v86
	v_pk_add_f16 v47, v71, v96
	;; [unrolled: 1-line block ×4, first 2 shown]
	v_pk_max_f16 v10, v10, v10
	v_pk_min_f16 v20, v14, v8
	s_waitcnt lgkmcnt(0)
	v_pk_max_f16 v16, v16, v16
	v_pk_add_f16 v65, v65, v88
	v_pk_add_f16 v50, v50, v105
	;; [unrolled: 1-line block ×3, first 2 shown]
	v_pk_min_f16 v14, v14, v10
	v_pk_min_f16 v20, v16, v4
	v_pk_add_f16 v57, v57, v89
	v_pk_add_f16 v65, v65, v106
	;; [unrolled: 1-line block ×4, first 2 shown]
	v_pk_min_f16 v20, v16, v6
	v_pk_add_f16 v57, v57, v107
	v_pk_add_f16 v65, v65, v20
	v_pk_min_f16 v20, v16, v8
	v_pk_max_f16 v18, v18, v18
	v_pk_add_f16 v64, v64, v91
	v_pk_add_f16 v49, v49, v108
	;; [unrolled: 1-line block ×3, first 2 shown]
	v_pk_min_f16 v20, v18, v4
	v_pk_add_f16 v64, v64, v109
	v_pk_add_f16 v83, v49, v20
	v_pk_min_f16 v20, v18, v6
	v_pk_add_f16 v48, v72, v93
	v_pk_add_f16 v72, v22, v23
	;; [unrolled: 1-line block ×3, first 2 shown]
	ds_read2_b64 v[20:23], v40 offset0:32 offset1:40
	v_pk_add_f16 v56, v56, v92
	v_pk_min_f16 v49, v18, v8
	v_pk_add_f16 v56, v56, v110
	v_pk_add_f16 v63, v63, v94
	s_waitcnt lgkmcnt(0)
	v_pk_max_f16 v20, v20, v20
	v_pk_add_f16 v48, v48, v111
	v_pk_add_f16 v56, v56, v49
	v_pk_min_f16 v49, v20, v4
	v_pk_add_f16 v55, v55, v95
	v_pk_add_f16 v63, v63, v112
	;; [unrolled: 1-line block ×3, first 2 shown]
	v_pk_min_f16 v48, v20, v6
	v_pk_add_f16 v55, v55, v113
	v_pk_add_f16 v63, v63, v48
	v_pk_min_f16 v48, v20, v8
	v_pk_max_f16 v22, v22, v22
	v_pk_add_f16 v62, v62, v97
	v_pk_add_f16 v47, v47, v114
	v_pk_add_f16 v55, v55, v48
	v_pk_min_f16 v48, v22, v4
	v_pk_add_f16 v62, v62, v115
	v_pk_add_f16 v85, v47, v48
	v_pk_min_f16 v47, v22, v6
	v_pk_max_f16 v0, v0, v0
	v_pk_max_f16 v3, v3, v3
	;; [unrolled: 1-line block ×3, first 2 shown]
	v_pk_min_f16 v12, v12, v10
	v_pk_min_f16 v16, v16, v10
	;; [unrolled: 1-line block ×4, first 2 shown]
	v_pk_add_f16 v62, v62, v47
	v_pk_min_f16 v47, v22, v8
	v_pk_min_f16 v22, v22, v10
	;; [unrolled: 1-line block ×8, first 2 shown]
	v_pk_max_f16 v7, v7, v7
	v_pk_add_f16 v20, v68, v20
	v_pk_add_f16 v68, v46, v10
	v_pk_min_f16 v10, v3, v7
	v_pk_max_f16 v9, v9, v9
	v_pk_add_f16 v60, v53, v10
	v_pk_min_f16 v10, v3, v9
	v_pk_max_f16 v11, v11, v11
	v_pk_add_f16 v52, v32, v10
	v_pk_max_f16 v10, v13, v13
	v_pk_add_f16 v12, v59, v12
	v_pk_min_f16 v13, v10, v5
	v_pk_add_f16 v18, v67, v18
	v_pk_add_f16 v76, v74, v13
	v_pk_min_f16 v13, v10, v7
	v_pk_add_f16 v16, v66, v16
	v_pk_add_f16 v67, v33, v13
	v_pk_min_f16 v13, v10, v9
	v_pk_min_f16 v10, v10, v11
	v_pk_add_f16 v59, v75, v13
	v_pk_add_f16 v51, v12, v10
	v_pk_max_f16 v10, v15, v15
	v_pk_add_f16 v8, v73, v8
	v_pk_min_f16 v12, v10, v5
	v_pk_add_f16 v54, v54, v98
	v_pk_add_f16 v75, v81, v12
	v_pk_min_f16 v12, v10, v7
	v_pk_add_f16 v6, v72, v6
	v_pk_add_f16 v66, v82, v12
	v_pk_min_f16 v12, v10, v9
	v_pk_min_f16 v10, v10, v11
	v_pk_add_f16 v58, v58, v12
	v_pk_add_f16 v50, v14, v10
	v_pk_max_f16 v10, v17, v17
	v_pk_add_f16 v54, v54, v116
	v_pk_min_f16 v12, v10, v5
	v_pk_add_f16 v54, v54, v47
	v_pk_add_f16 v74, v61, v12
	v_pk_min_f16 v12, v10, v7
	v_pk_max_f16 v1, v1, v1
	v_pk_add_f16 v65, v65, v12
	v_pk_min_f16 v12, v10, v9
	v_pk_min_f16 v10, v10, v11
	v_pk_add_f16 v57, v57, v12
	v_pk_add_f16 v49, v16, v10
	v_pk_max_f16 v10, v19, v19
	v_pk_add_f16 v4, v71, v4
	v_pk_min_f16 v12, v10, v5
	v_pk_add_f16 v45, v45, v120
	v_pk_add_f16 v73, v83, v12
	v_pk_min_f16 v12, v10, v7
	v_pk_add_f16 v22, v70, v22
	v_pk_add_f16 v64, v64, v12
	v_pk_min_f16 v12, v10, v9
	v_pk_min_f16 v10, v10, v11
	v_pk_add_f16 v56, v56, v12
	v_pk_add_f16 v48, v18, v10
	v_pk_max_f16 v10, v21, v21
	v_pk_add_f16 v0, v45, v0
	v_pk_min_f16 v12, v10, v5
	v_pk_add_f16 v2, v44, v2
	v_pk_add_f16 v72, v84, v12
	v_pk_min_f16 v12, v10, v7
	s_add_i32 s30, s30, 8
	v_pk_add_f16 v63, v63, v12
	v_pk_min_f16 v12, v10, v9
	v_pk_min_f16 v10, v10, v11
	v_pk_add_f16 v55, v55, v12
	v_pk_add_f16 v47, v20, v10
	v_pk_max_f16 v10, v23, v23
	s_cmp_ge_i32 s30, s31
	v_pk_min_f16 v12, v10, v5
	v_pk_min_f16 v5, v1, v5
	v_pk_add_f16 v71, v85, v12
	v_pk_add_f16 v70, v4, v5
	v_pk_min_f16 v4, v1, v7
	v_pk_min_f16 v12, v10, v7
	v_pk_add_f16 v61, v6, v4
	v_pk_min_f16 v4, v1, v9
	v_pk_min_f16 v1, v1, v11
	;; [unrolled: 3-line block ×3, first 2 shown]
	v_pk_add_f16 v45, v0, v1
	v_pk_min_f16 v0, v3, v11
	v_pk_add_f16 v54, v54, v12
	v_pk_add_f16 v46, v22, v10
	;; [unrolled: 1-line block ×4, first 2 shown]
	v_lshl_add_u64 v[26:27], v[26:27], 0, s[26:27]
	ds_write_b16 v42, v78
	ds_write_b16 v43, v80
	ds_write_b16 v43, v79 offset:512
	s_waitcnt lgkmcnt(0)
	s_barrier
	s_cbranch_scc1 .LBB299_34
.LBB299_22:                             ; =>This Inner Loop Header: Depth=1
	v_add_u32_e32 v32, s30, v36
	v_add_u32_e32 v0, 8, v32
	v_cmp_gt_i32_e64 s[6:7], s22, v0
	s_and_b64 s[6:7], vcc, s[6:7]
	s_and_b64 s[28:29], s[14:15], s[6:7]
	v_mov_b32_e32 v33, 0
	v_mov_b32_e32 v79, 0
	s_and_saveexec_b64 s[6:7], s[28:29]
	s_cbranch_execz .LBB299_24
; %bb.23:                               ;   in Loop: Header=BB299_22 Depth=1
	v_lshl_add_u64 v[2:3], v[26:27], 0, v[30:31]
	global_load_ushort v1, v[2:3], off
	s_waitcnt vmcnt(0)
	v_mul_f16_e32 v79, s23, v1
.LBB299_24:                             ;   in Loop: Header=BB299_22 Depth=1
	s_or_b64 exec, exec, s[6:7]
	v_cmp_le_i32_e64 s[6:7], s22, v0
	v_min_i32_e32 v0, s36, v0
	v_mad_i64_i32 v[0:1], s[28:29], v0, s35, 0
	v_lshl_add_u64 v[0:1], v[0:1], 1, s[16:17]
	s_or_b64 s[28:29], s[8:9], s[6:7]
	s_nor_b64 s[38:39], s[28:29], s[18:19]
	v_lshl_add_u64 v[0:1], v[24:25], 1, v[0:1]
	s_and_saveexec_b64 s[28:29], s[38:39]
	s_cbranch_execz .LBB299_26
; %bb.25:                               ;   in Loop: Header=BB299_22 Depth=1
	global_load_ushort v2, v[0:1], off
	s_waitcnt vmcnt(0)
	v_mul_f16_e32 v33, s23, v2
.LBB299_26:                             ;   in Loop: Header=BB299_22 Depth=1
	s_or_b64 exec, exec, s[28:29]
	s_or_b64 s[6:7], s[4:5], s[6:7]
	s_nor_b64 s[28:29], s[6:7], s[18:19]
	v_mov_b32_e32 v78, 0
	v_mov_b32_e32 v80, 0
	s_and_saveexec_b64 s[6:7], s[28:29]
	s_cbranch_execz .LBB299_28
; %bb.27:                               ;   in Loop: Header=BB299_22 Depth=1
	global_load_ushort v0, v[0:1], off offset:128
	s_waitcnt vmcnt(0)
	v_mul_f16_e32 v80, s23, v0
.LBB299_28:                             ;   in Loop: Header=BB299_22 Depth=1
	s_or_b64 exec, exec, s[6:7]
	ds_read2_b64 v[0:3], v69 offset0:48 offset1:56
	ds_read2_b64 v[16:19], v77 offset0:64 offset1:96
	ds_read2_b64 v[20:23], v77 offset1:32
	ds_read2_b64 v[12:15], v69 offset1:8
	ds_read2_b64 v[8:11], v69 offset0:16 offset1:24
	ds_read2_b64 v[4:7], v69 offset0:32 offset1:40
	v_add_u32_e32 v32, 12, v32
	v_cmp_gt_i32_e64 s[6:7], s22, v32
	s_and_b64 s[6:7], vcc, s[6:7]
	s_and_b64 s[6:7], s[14:15], s[6:7]
	ds_write_b16 v41, v79
	ds_write_b16 v39, v33
	ds_write_b16 v39, v80 offset:512
	s_waitcnt lgkmcnt(0)
	s_barrier
	s_and_saveexec_b64 s[28:29], s[6:7]
	s_xor_b64 s[6:7], exec, s[28:29]
	s_cbranch_execz .LBB299_30
; %bb.29:                               ;   in Loop: Header=BB299_22 Depth=1
	v_lshl_add_u64 v[78:79], v[26:27], 0, v[28:29]
	global_load_ushort v33, v[78:79], off
	s_waitcnt vmcnt(0)
	v_mul_f16_e32 v78, s23, v33
.LBB299_30:                             ;   in Loop: Header=BB299_22 Depth=1
	s_or_b64 exec, exec, s[6:7]
	v_cmp_le_i32_e64 s[6:7], s22, v32
	v_min_i32_e32 v32, s36, v32
	v_mad_i64_i32 v[32:33], s[28:29], v32, s35, 0
	v_lshl_add_u64 v[32:33], v[32:33], 1, s[16:17]
	s_or_b64 s[28:29], s[8:9], s[6:7]
	s_nor_b64 s[38:39], s[28:29], s[18:19]
	v_mov_b32_e32 v79, 0
	v_lshl_add_u64 v[32:33], v[24:25], 1, v[32:33]
	v_mov_b32_e32 v80, 0
	s_and_saveexec_b64 s[28:29], s[38:39]
	s_cbranch_execz .LBB299_32
; %bb.31:                               ;   in Loop: Header=BB299_22 Depth=1
	global_load_ushort v80, v[32:33], off
	s_waitcnt vmcnt(0)
	v_mul_f16_e32 v80, s23, v80
.LBB299_32:                             ;   in Loop: Header=BB299_22 Depth=1
	s_or_b64 exec, exec, s[28:29]
	s_or_b64 s[6:7], s[4:5], s[6:7]
	s_nor_b64 s[28:29], s[6:7], s[18:19]
	s_and_saveexec_b64 s[6:7], s[28:29]
	s_cbranch_execz .LBB299_21
; %bb.33:                               ;   in Loop: Header=BB299_22 Depth=1
	global_load_ushort v32, v[32:33], off offset:128
	s_waitcnt vmcnt(0)
	v_mul_f16_e32 v79, s23, v32
	s_branch .LBB299_21
.LBB299_34:
	s_load_dwordx2 s[4:5], s[0:1], 0x70
	s_load_dword s29, s[0:1], 0x50
	s_load_dword s28, s[0:1], 0x68
	v_add_u32_e32 v8, 0x800, v38
	ds_read2_b64 v[0:3], v8 offset0:112 offset1:120
	ds_read2_b64 v[4:7], v37 offset0:192 offset1:224
	;; [unrolled: 1-line block ×6, first 2 shown]
	s_waitcnt lgkmcnt(0)
	s_mul_i32 s1, s5, s3
	s_mul_hi_u32 s5, s4, s3
	s_mul_i32 s0, s4, s3
	s_add_i32 s1, s5, s1
	s_lshl_b64 s[0:1], s[0:1], 1
	s_add_u32 s22, s10, s0
	v_add_u32_e32 v69, s34, v35
	s_addc_u32 s23, s11, s1
	v_mad_i64_i32 v[26:27], s[0:1], v69, s29, 0
	v_add_u32_e32 v24, s2, v34
	v_lshl_add_u64 v[42:43], v[26:27], 1, s[24:25]
	v_mad_i64_i32 v[26:27], s[0:1], v69, s28, 0
	v_cmp_gt_i32_e64 s[18:19], s21, v69
	v_lshl_add_u64 v[40:41], v[26:27], 1, s[22:23]
	v_cmp_gt_i32_e64 s[2:3], s20, v24
	v_cndmask_b32_e64 v26, 0, 1, s[12:13]
	s_and_b64 s[4:5], s[2:3], s[18:19]
	v_ashrrev_i32_e32 v25, 31, v24
	v_cmp_ne_u32_e64 s[0:1], 1, v26
	s_and_saveexec_b64 s[6:7], s[4:5]
	s_xor_b64 s[4:5], exec, s[6:7]
	s_cbranch_execz .LBB299_40
; %bb.35:
	s_and_b64 vcc, exec, s[0:1]
	s_cbranch_vccnz .LBB299_38
; %bb.36:
	v_lshl_add_u64 v[26:27], v[24:25], 1, v[42:43]
	global_load_ushort v26, v[26:27], off
	s_waitcnt vmcnt(0)
	v_mul_f16_e32 v26, s33, v26
	s_branch .LBB299_39
.LBB299_37:
	s_mov_b64 s[26:27], 0
	s_andn2_b64 vcc, exec, s[8:9]
	s_mov_b64 s[4:5], -1
	s_cbranch_vccz .LBB299_2
	s_branch .LBB299_3
.LBB299_38:
	v_mov_b32_e32 v26, 0
.LBB299_39:
	v_pk_max_f16 v27, v20, v20
	v_pk_max_f16 v28, v16, v16
	v_pk_max_f16 v29, v17, v17
	v_pk_min_f16 v27, v28, v27
	v_pk_max_f16 v28, v21, v21
	v_pk_add_f16 v27, v76, v27
	v_pk_min_f16 v28, v29, v28
	s_nop 0
	v_pk_add_f16 v27, v27, v28
	s_nop 0
	v_add_f16_sdwa v27, v27, v27 dst_sel:DWORD dst_unused:UNUSED_PAD src0_sel:DWORD src1_sel:WORD_1
	v_add_f16_e32 v28, v27, v26
	v_lshl_add_u64 v[26:27], v[24:25], 1, v[40:41]
	global_store_short v[26:27], v28, off
.LBB299_40:
	s_or_b64 exec, exec, s[4:5]
	v_add_u32_e32 v26, 8, v24
	v_cmp_gt_i32_e64 s[4:5], s20, v26
	s_and_b64 s[8:9], s[4:5], s[18:19]
	v_ashrrev_i32_e32 v27, 31, v26
	s_and_saveexec_b64 s[6:7], s[8:9]
	s_cbranch_execz .LBB299_45
; %bb.41:
	s_and_b64 vcc, exec, s[0:1]
	s_cbranch_vccnz .LBB299_43
; %bb.42:
	v_lshl_add_u64 v[28:29], v[26:27], 1, v[42:43]
	global_load_ushort v28, v[28:29], off
	s_waitcnt vmcnt(0)
	v_mul_f16_e32 v28, s33, v28
	s_branch .LBB299_44
.LBB299_43:
	v_mov_b32_e32 v28, 0
.LBB299_44:
	v_pk_max_f16 v29, v20, v20
	v_pk_max_f16 v30, v18, v18
	v_pk_max_f16 v31, v19, v19
	v_pk_min_f16 v29, v30, v29
	v_pk_max_f16 v30, v21, v21
	v_pk_add_f16 v29, v75, v29
	v_pk_min_f16 v30, v31, v30
	s_nop 0
	v_pk_add_f16 v29, v29, v30
	s_nop 0
	v_add_f16_sdwa v29, v29, v29 dst_sel:DWORD dst_unused:UNUSED_PAD src0_sel:DWORD src1_sel:WORD_1
	v_add_f16_e32 v30, v29, v28
	v_lshl_add_u64 v[28:29], v[26:27], 1, v[40:41]
	global_store_short v[28:29], v30, off
.LBB299_45:
	s_or_b64 exec, exec, s[6:7]
	v_add_u32_e32 v28, 16, v24
	v_cmp_gt_i32_e64 s[6:7], s20, v28
	s_and_b64 s[10:11], s[6:7], s[18:19]
	v_ashrrev_i32_e32 v29, 31, v28
	s_and_saveexec_b64 s[8:9], s[10:11]
	s_cbranch_execz .LBB299_50
; %bb.46:
	s_and_b64 vcc, exec, s[0:1]
	s_cbranch_vccnz .LBB299_48
; %bb.47:
	v_lshl_add_u64 v[30:31], v[28:29], 1, v[42:43]
	global_load_ushort v30, v[30:31], off
	s_waitcnt vmcnt(0)
	v_mul_f16_e32 v30, s33, v30
	s_branch .LBB299_49
.LBB299_48:
	v_mov_b32_e32 v30, 0
.LBB299_49:
	v_pk_max_f16 v31, v20, v20
	v_pk_max_f16 v32, v12, v12
	v_pk_max_f16 v33, v13, v13
	v_pk_min_f16 v31, v32, v31
	v_pk_max_f16 v32, v21, v21
	v_pk_add_f16 v31, v74, v31
	v_pk_min_f16 v32, v33, v32
	s_nop 0
	v_pk_add_f16 v31, v31, v32
	s_nop 0
	v_add_f16_sdwa v31, v31, v31 dst_sel:DWORD dst_unused:UNUSED_PAD src0_sel:DWORD src1_sel:WORD_1
	v_add_f16_e32 v32, v31, v30
	v_lshl_add_u64 v[30:31], v[28:29], 1, v[40:41]
	global_store_short v[30:31], v32, off
.LBB299_50:
	s_or_b64 exec, exec, s[8:9]
	v_add_u32_e32 v30, 24, v24
	v_cmp_gt_i32_e64 s[8:9], s20, v30
	s_and_b64 s[12:13], s[8:9], s[18:19]
	v_ashrrev_i32_e32 v31, 31, v30
	s_and_saveexec_b64 s[10:11], s[12:13]
	s_cbranch_execz .LBB299_55
; %bb.51:
	s_and_b64 vcc, exec, s[0:1]
	s_cbranch_vccnz .LBB299_53
; %bb.52:
	v_lshl_add_u64 v[32:33], v[30:31], 1, v[42:43]
	global_load_ushort v32, v[32:33], off
	s_waitcnt vmcnt(0)
	v_mul_f16_e32 v32, s33, v32
	s_branch .LBB299_54
.LBB299_53:
	v_mov_b32_e32 v32, 0
.LBB299_54:
	v_pk_max_f16 v33, v20, v20
	v_pk_max_f16 v34, v14, v14
	v_pk_max_f16 v35, v15, v15
	v_pk_min_f16 v33, v34, v33
	v_pk_max_f16 v34, v21, v21
	v_pk_add_f16 v33, v73, v33
	v_pk_min_f16 v34, v35, v34
	s_nop 0
	v_pk_add_f16 v33, v33, v34
	s_nop 0
	v_add_f16_sdwa v33, v33, v33 dst_sel:DWORD dst_unused:UNUSED_PAD src0_sel:DWORD src1_sel:WORD_1
	v_add_f16_e32 v34, v33, v32
	v_lshl_add_u64 v[32:33], v[30:31], 1, v[40:41]
	global_store_short v[32:33], v34, off
.LBB299_55:
	s_or_b64 exec, exec, s[10:11]
	v_add_u32_e32 v32, 32, v24
	v_cmp_gt_i32_e64 s[10:11], s20, v32
	s_and_b64 s[14:15], s[10:11], s[18:19]
	v_ashrrev_i32_e32 v33, 31, v32
	s_and_saveexec_b64 s[12:13], s[14:15]
	s_cbranch_execz .LBB299_60
; %bb.56:
	s_and_b64 vcc, exec, s[0:1]
	s_cbranch_vccnz .LBB299_58
; %bb.57:
	v_lshl_add_u64 v[34:35], v[32:33], 1, v[42:43]
	global_load_ushort v34, v[34:35], off
	s_waitcnt vmcnt(0)
	v_mul_f16_e32 v34, s33, v34
	s_branch .LBB299_59
.LBB299_58:
	v_mov_b32_e32 v34, 0
.LBB299_59:
	v_pk_max_f16 v35, v20, v20
	v_pk_max_f16 v36, v8, v8
	v_pk_max_f16 v37, v9, v9
	v_pk_min_f16 v35, v36, v35
	v_pk_max_f16 v36, v21, v21
	v_pk_add_f16 v35, v72, v35
	v_pk_min_f16 v36, v37, v36
	s_nop 0
	v_pk_add_f16 v35, v35, v36
	s_nop 0
	v_add_f16_sdwa v35, v35, v35 dst_sel:DWORD dst_unused:UNUSED_PAD src0_sel:DWORD src1_sel:WORD_1
	v_add_f16_e32 v36, v35, v34
	v_lshl_add_u64 v[34:35], v[32:33], 1, v[40:41]
	global_store_short v[34:35], v36, off
.LBB299_60:
	s_or_b64 exec, exec, s[12:13]
	v_add_u32_e32 v34, 40, v24
	v_cmp_gt_i32_e64 s[12:13], s20, v34
	s_and_b64 s[16:17], s[12:13], s[18:19]
	v_ashrrev_i32_e32 v35, 31, v34
	s_and_saveexec_b64 s[14:15], s[16:17]
	s_cbranch_execz .LBB299_65
; %bb.61:
	s_and_b64 vcc, exec, s[0:1]
	s_cbranch_vccnz .LBB299_63
; %bb.62:
	v_lshl_add_u64 v[36:37], v[34:35], 1, v[42:43]
	global_load_ushort v36, v[36:37], off
	s_waitcnt vmcnt(0)
	v_mul_f16_e32 v36, s33, v36
	s_branch .LBB299_64
.LBB299_63:
	v_mov_b32_e32 v36, 0
.LBB299_64:
	v_pk_max_f16 v37, v20, v20
	v_pk_max_f16 v38, v10, v10
	v_pk_max_f16 v39, v11, v11
	v_pk_min_f16 v37, v38, v37
	v_pk_max_f16 v38, v21, v21
	v_pk_add_f16 v37, v71, v37
	v_pk_min_f16 v38, v39, v38
	s_nop 0
	v_pk_add_f16 v37, v37, v38
	s_nop 0
	v_add_f16_sdwa v37, v37, v37 dst_sel:DWORD dst_unused:UNUSED_PAD src0_sel:DWORD src1_sel:WORD_1
	v_add_f16_e32 v38, v37, v36
	v_lshl_add_u64 v[36:37], v[34:35], 1, v[40:41]
	global_store_short v[36:37], v38, off
.LBB299_65:
	s_or_b64 exec, exec, s[14:15]
	v_add_u32_e32 v36, 48, v24
	v_cmp_gt_i32_e64 s[14:15], s20, v36
	s_and_b64 s[26:27], s[14:15], s[18:19]
	v_ashrrev_i32_e32 v37, 31, v36
	s_and_saveexec_b64 s[16:17], s[26:27]
	s_cbranch_execz .LBB299_70
; %bb.66:
	s_and_b64 vcc, exec, s[0:1]
	s_cbranch_vccnz .LBB299_68
; %bb.67:
	v_lshl_add_u64 v[38:39], v[36:37], 1, v[42:43]
	global_load_ushort v38, v[38:39], off
	s_waitcnt vmcnt(0)
	v_mul_f16_e32 v38, s33, v38
	s_branch .LBB299_69
.LBB299_68:
	v_mov_b32_e32 v38, 0
.LBB299_69:
	v_pk_max_f16 v39, v20, v20
	v_pk_max_f16 v71, v0, v0
	s_nop 0
	v_pk_min_f16 v39, v71, v39
	v_pk_max_f16 v71, v1, v1
	v_pk_add_f16 v39, v70, v39
	v_pk_max_f16 v70, v21, v21
	s_nop 0
	v_pk_min_f16 v70, v71, v70
	s_nop 0
	v_pk_add_f16 v39, v39, v70
	s_nop 0
	v_add_f16_sdwa v39, v39, v39 dst_sel:DWORD dst_unused:UNUSED_PAD src0_sel:DWORD src1_sel:WORD_1
	v_add_f16_e32 v70, v39, v38
	v_lshl_add_u64 v[38:39], v[36:37], 1, v[40:41]
	global_store_short v[38:39], v70, off
.LBB299_70:
	s_or_b64 exec, exec, s[16:17]
	v_add_u32_e32 v38, 56, v24
	v_cmp_gt_i32_e64 s[16:17], s20, v38
	s_and_b64 s[26:27], s[16:17], s[18:19]
	v_ashrrev_i32_e32 v39, 31, v38
	s_and_saveexec_b64 s[18:19], s[26:27]
	s_cbranch_execz .LBB299_75
; %bb.71:
	s_and_b64 vcc, exec, s[0:1]
	s_cbranch_vccnz .LBB299_73
; %bb.72:
	v_lshl_add_u64 v[42:43], v[38:39], 1, v[42:43]
	global_load_ushort v42, v[42:43], off
	s_waitcnt vmcnt(0)
	v_mul_f16_e32 v42, s33, v42
	s_branch .LBB299_74
.LBB299_73:
	v_mov_b32_e32 v42, 0
.LBB299_74:
	v_pk_max_f16 v20, v20, v20
	v_pk_max_f16 v43, v2, v2
	;; [unrolled: 1-line block ×3, first 2 shown]
	v_pk_min_f16 v20, v43, v20
	v_pk_max_f16 v43, v3, v3
	v_pk_add_f16 v20, v68, v20
	v_pk_min_f16 v21, v43, v21
	s_nop 0
	v_pk_add_f16 v20, v20, v21
	s_nop 0
	v_add_f16_sdwa v20, v20, v20 dst_sel:DWORD dst_unused:UNUSED_PAD src0_sel:DWORD src1_sel:WORD_1
	v_add_f16_e32 v42, v20, v42
	v_lshl_add_u64 v[20:21], v[38:39], 1, v[40:41]
	global_store_short v[20:21], v42, off
.LBB299_75:
	s_or_b64 exec, exec, s[18:19]
	v_add_u32_e32 v42, 32, v69
	v_mad_i64_i32 v[20:21], s[26:27], v42, s29, 0
	v_cmp_gt_i32_e64 s[18:19], s21, v42
	v_lshl_add_u64 v[40:41], v[20:21], 1, s[24:25]
	v_mad_i64_i32 v[20:21], s[26:27], v42, s28, 0
	v_lshl_add_u64 v[20:21], v[20:21], 1, s[22:23]
	s_and_b64 s[30:31], s[2:3], s[18:19]
	s_and_saveexec_b64 s[26:27], s[30:31]
	s_cbranch_execnz .LBB299_83
; %bb.76:
	s_or_b64 exec, exec, s[26:27]
	s_and_b64 s[30:31], s[4:5], s[18:19]
	s_and_saveexec_b64 s[26:27], s[30:31]
	s_cbranch_execnz .LBB299_87
.LBB299_77:
	s_or_b64 exec, exec, s[26:27]
	s_and_b64 s[30:31], s[6:7], s[18:19]
	s_and_saveexec_b64 s[26:27], s[30:31]
	s_cbranch_execnz .LBB299_91
.LBB299_78:
	s_or_b64 exec, exec, s[26:27]
	s_and_b64 s[30:31], s[8:9], s[18:19]
	s_and_saveexec_b64 s[26:27], s[30:31]
	s_cbranch_execnz .LBB299_95
.LBB299_79:
	s_or_b64 exec, exec, s[26:27]
	s_and_b64 s[30:31], s[10:11], s[18:19]
	s_and_saveexec_b64 s[26:27], s[30:31]
	s_cbranch_execnz .LBB299_99
.LBB299_80:
	s_or_b64 exec, exec, s[26:27]
	s_and_b64 s[30:31], s[12:13], s[18:19]
	s_and_saveexec_b64 s[26:27], s[30:31]
	s_cbranch_execnz .LBB299_103
.LBB299_81:
	s_or_b64 exec, exec, s[26:27]
	s_and_b64 s[30:31], s[14:15], s[18:19]
	s_and_saveexec_b64 s[26:27], s[30:31]
	s_cbranch_execnz .LBB299_107
.LBB299_82:
	s_or_b64 exec, exec, s[26:27]
	s_and_b64 s[26:27], s[16:17], s[18:19]
	s_and_saveexec_b64 s[18:19], s[26:27]
	s_cbranch_execnz .LBB299_111
	s_branch .LBB299_115
.LBB299_83:
	s_and_b64 vcc, exec, s[0:1]
	s_cbranch_vccnz .LBB299_85
; %bb.84:
	v_lshl_add_u64 v[42:43], v[24:25], 1, v[40:41]
	global_load_ushort v42, v[42:43], off
	s_waitcnt vmcnt(0)
	v_mul_f16_e32 v42, s33, v42
	s_branch .LBB299_86
.LBB299_85:
	v_mov_b32_e32 v42, 0
.LBB299_86:
	v_pk_max_f16 v43, v22, v22
	v_pk_max_f16 v68, v16, v16
	s_nop 0
	v_pk_min_f16 v43, v68, v43
	v_pk_max_f16 v68, v17, v17
	v_pk_add_f16 v43, v67, v43
	v_pk_max_f16 v67, v23, v23
	s_nop 0
	v_pk_min_f16 v67, v68, v67
	s_nop 0
	v_pk_add_f16 v43, v43, v67
	s_nop 0
	v_add_f16_sdwa v43, v43, v43 dst_sel:DWORD dst_unused:UNUSED_PAD src0_sel:DWORD src1_sel:WORD_1
	v_add_f16_e32 v67, v43, v42
	v_lshl_add_u64 v[42:43], v[24:25], 1, v[20:21]
	global_store_short v[42:43], v67, off
	s_or_b64 exec, exec, s[26:27]
	s_and_b64 s[30:31], s[4:5], s[18:19]
	s_and_saveexec_b64 s[26:27], s[30:31]
	s_cbranch_execz .LBB299_77
.LBB299_87:
	s_and_b64 vcc, exec, s[0:1]
	s_cbranch_vccnz .LBB299_89
; %bb.88:
	v_lshl_add_u64 v[42:43], v[26:27], 1, v[40:41]
	global_load_ushort v42, v[42:43], off
	s_waitcnt vmcnt(0)
	v_mul_f16_e32 v42, s33, v42
	s_branch .LBB299_90
.LBB299_89:
	v_mov_b32_e32 v42, 0
.LBB299_90:
	v_pk_max_f16 v43, v22, v22
	v_pk_max_f16 v67, v18, v18
	s_nop 0
	v_pk_min_f16 v43, v67, v43
	v_pk_max_f16 v67, v19, v19
	v_pk_add_f16 v43, v66, v43
	v_pk_max_f16 v66, v23, v23
	s_nop 0
	v_pk_min_f16 v66, v67, v66
	s_nop 0
	v_pk_add_f16 v43, v43, v66
	s_nop 0
	v_add_f16_sdwa v43, v43, v43 dst_sel:DWORD dst_unused:UNUSED_PAD src0_sel:DWORD src1_sel:WORD_1
	v_add_f16_e32 v66, v43, v42
	v_lshl_add_u64 v[42:43], v[26:27], 1, v[20:21]
	global_store_short v[42:43], v66, off
	s_or_b64 exec, exec, s[26:27]
	s_and_b64 s[30:31], s[6:7], s[18:19]
	s_and_saveexec_b64 s[26:27], s[30:31]
	s_cbranch_execz .LBB299_78
.LBB299_91:
	s_and_b64 vcc, exec, s[0:1]
	s_cbranch_vccnz .LBB299_93
; %bb.92:
	v_lshl_add_u64 v[42:43], v[28:29], 1, v[40:41]
	global_load_ushort v42, v[42:43], off
	s_waitcnt vmcnt(0)
	v_mul_f16_e32 v42, s33, v42
	s_branch .LBB299_94
.LBB299_93:
	v_mov_b32_e32 v42, 0
.LBB299_94:
	v_pk_max_f16 v43, v22, v22
	v_pk_max_f16 v66, v12, v12
	s_nop 0
	v_pk_min_f16 v43, v66, v43
	v_pk_max_f16 v66, v13, v13
	v_pk_add_f16 v43, v65, v43
	v_pk_max_f16 v65, v23, v23
	s_nop 0
	v_pk_min_f16 v65, v66, v65
	s_nop 0
	v_pk_add_f16 v43, v43, v65
	s_nop 0
	v_add_f16_sdwa v43, v43, v43 dst_sel:DWORD dst_unused:UNUSED_PAD src0_sel:DWORD src1_sel:WORD_1
	v_add_f16_e32 v65, v43, v42
	v_lshl_add_u64 v[42:43], v[28:29], 1, v[20:21]
	global_store_short v[42:43], v65, off
	s_or_b64 exec, exec, s[26:27]
	s_and_b64 s[30:31], s[8:9], s[18:19]
	s_and_saveexec_b64 s[26:27], s[30:31]
	s_cbranch_execz .LBB299_79
.LBB299_95:
	s_and_b64 vcc, exec, s[0:1]
	s_cbranch_vccnz .LBB299_97
; %bb.96:
	v_lshl_add_u64 v[42:43], v[30:31], 1, v[40:41]
	global_load_ushort v42, v[42:43], off
	s_waitcnt vmcnt(0)
	v_mul_f16_e32 v42, s33, v42
	s_branch .LBB299_98
.LBB299_97:
	v_mov_b32_e32 v42, 0
.LBB299_98:
	v_pk_max_f16 v43, v22, v22
	v_pk_max_f16 v65, v14, v14
	s_nop 0
	v_pk_min_f16 v43, v65, v43
	v_pk_max_f16 v65, v15, v15
	v_pk_add_f16 v43, v64, v43
	v_pk_max_f16 v64, v23, v23
	s_nop 0
	v_pk_min_f16 v64, v65, v64
	s_nop 0
	v_pk_add_f16 v43, v43, v64
	s_nop 0
	v_add_f16_sdwa v43, v43, v43 dst_sel:DWORD dst_unused:UNUSED_PAD src0_sel:DWORD src1_sel:WORD_1
	v_add_f16_e32 v64, v43, v42
	v_lshl_add_u64 v[42:43], v[30:31], 1, v[20:21]
	global_store_short v[42:43], v64, off
	s_or_b64 exec, exec, s[26:27]
	s_and_b64 s[30:31], s[10:11], s[18:19]
	s_and_saveexec_b64 s[26:27], s[30:31]
	s_cbranch_execz .LBB299_80
.LBB299_99:
	s_and_b64 vcc, exec, s[0:1]
	s_cbranch_vccnz .LBB299_101
; %bb.100:
	v_lshl_add_u64 v[42:43], v[32:33], 1, v[40:41]
	global_load_ushort v42, v[42:43], off
	s_waitcnt vmcnt(0)
	v_mul_f16_e32 v42, s33, v42
	s_branch .LBB299_102
.LBB299_101:
	v_mov_b32_e32 v42, 0
.LBB299_102:
	v_pk_max_f16 v43, v22, v22
	v_pk_max_f16 v64, v8, v8
	s_nop 0
	v_pk_min_f16 v43, v64, v43
	v_pk_max_f16 v64, v9, v9
	v_pk_add_f16 v43, v63, v43
	v_pk_max_f16 v63, v23, v23
	s_nop 0
	v_pk_min_f16 v63, v64, v63
	s_nop 0
	v_pk_add_f16 v43, v43, v63
	s_nop 0
	v_add_f16_sdwa v43, v43, v43 dst_sel:DWORD dst_unused:UNUSED_PAD src0_sel:DWORD src1_sel:WORD_1
	v_add_f16_e32 v63, v43, v42
	v_lshl_add_u64 v[42:43], v[32:33], 1, v[20:21]
	global_store_short v[42:43], v63, off
	s_or_b64 exec, exec, s[26:27]
	s_and_b64 s[30:31], s[12:13], s[18:19]
	s_and_saveexec_b64 s[26:27], s[30:31]
	s_cbranch_execz .LBB299_81
.LBB299_103:
	s_and_b64 vcc, exec, s[0:1]
	s_cbranch_vccnz .LBB299_105
; %bb.104:
	v_lshl_add_u64 v[42:43], v[34:35], 1, v[40:41]
	global_load_ushort v42, v[42:43], off
	s_waitcnt vmcnt(0)
	v_mul_f16_e32 v42, s33, v42
	s_branch .LBB299_106
.LBB299_105:
	v_mov_b32_e32 v42, 0
.LBB299_106:
	v_pk_max_f16 v43, v22, v22
	v_pk_max_f16 v63, v10, v10
	s_nop 0
	v_pk_min_f16 v43, v63, v43
	v_pk_max_f16 v63, v11, v11
	v_pk_add_f16 v43, v62, v43
	v_pk_max_f16 v62, v23, v23
	s_nop 0
	v_pk_min_f16 v62, v63, v62
	s_nop 0
	v_pk_add_f16 v43, v43, v62
	s_nop 0
	v_add_f16_sdwa v43, v43, v43 dst_sel:DWORD dst_unused:UNUSED_PAD src0_sel:DWORD src1_sel:WORD_1
	v_add_f16_e32 v62, v43, v42
	v_lshl_add_u64 v[42:43], v[34:35], 1, v[20:21]
	global_store_short v[42:43], v62, off
	s_or_b64 exec, exec, s[26:27]
	s_and_b64 s[30:31], s[14:15], s[18:19]
	s_and_saveexec_b64 s[26:27], s[30:31]
	s_cbranch_execz .LBB299_82
.LBB299_107:
	s_and_b64 vcc, exec, s[0:1]
	s_cbranch_vccnz .LBB299_109
; %bb.108:
	v_lshl_add_u64 v[42:43], v[36:37], 1, v[40:41]
	global_load_ushort v42, v[42:43], off
	s_waitcnt vmcnt(0)
	v_mul_f16_e32 v42, s33, v42
	s_branch .LBB299_110
.LBB299_109:
	v_mov_b32_e32 v42, 0
.LBB299_110:
	v_pk_max_f16 v43, v22, v22
	v_pk_max_f16 v62, v0, v0
	s_nop 0
	v_pk_min_f16 v43, v62, v43
	v_pk_max_f16 v62, v1, v1
	v_pk_add_f16 v43, v61, v43
	v_pk_max_f16 v61, v23, v23
	s_nop 0
	v_pk_min_f16 v61, v62, v61
	s_nop 0
	v_pk_add_f16 v43, v43, v61
	s_nop 0
	v_add_f16_sdwa v43, v43, v43 dst_sel:DWORD dst_unused:UNUSED_PAD src0_sel:DWORD src1_sel:WORD_1
	v_add_f16_e32 v61, v43, v42
	v_lshl_add_u64 v[42:43], v[36:37], 1, v[20:21]
	global_store_short v[42:43], v61, off
	s_or_b64 exec, exec, s[26:27]
	s_and_b64 s[26:27], s[16:17], s[18:19]
	s_and_saveexec_b64 s[18:19], s[26:27]
	s_cbranch_execz .LBB299_115
.LBB299_111:
	s_and_b64 vcc, exec, s[0:1]
	s_cbranch_vccnz .LBB299_113
; %bb.112:
	v_lshl_add_u64 v[40:41], v[38:39], 1, v[40:41]
	global_load_ushort v40, v[40:41], off
	s_waitcnt vmcnt(0)
	v_mul_f16_e32 v40, s33, v40
	s_branch .LBB299_114
.LBB299_113:
	v_mov_b32_e32 v40, 0
.LBB299_114:
	v_pk_max_f16 v22, v22, v22
	v_pk_max_f16 v41, v2, v2
	v_pk_max_f16 v23, v23, v23
	v_pk_min_f16 v22, v41, v22
	v_pk_max_f16 v41, v3, v3
	v_pk_add_f16 v22, v60, v22
	v_pk_min_f16 v23, v41, v23
	v_lshl_add_u64 v[20:21], v[38:39], 1, v[20:21]
	v_pk_add_f16 v22, v22, v23
	s_nop 0
	v_add_f16_sdwa v22, v22, v22 dst_sel:DWORD dst_unused:UNUSED_PAD src0_sel:DWORD src1_sel:WORD_1
	v_add_f16_e32 v22, v22, v40
	global_store_short v[20:21], v22, off
.LBB299_115:
	s_or_b64 exec, exec, s[18:19]
	v_add_u32_e32 v40, 64, v69
	v_mad_i64_i32 v[20:21], s[26:27], v40, s29, 0
	v_cmp_gt_i32_e64 s[18:19], s21, v40
	v_lshl_add_u64 v[22:23], v[20:21], 1, s[24:25]
	v_mad_i64_i32 v[20:21], s[26:27], v40, s28, 0
	v_lshl_add_u64 v[20:21], v[20:21], 1, s[22:23]
	s_and_b64 s[30:31], s[2:3], s[18:19]
	s_and_saveexec_b64 s[26:27], s[30:31]
	s_cbranch_execnz .LBB299_123
; %bb.116:
	s_or_b64 exec, exec, s[26:27]
	s_and_b64 s[30:31], s[4:5], s[18:19]
	s_and_saveexec_b64 s[26:27], s[30:31]
	s_cbranch_execnz .LBB299_127
.LBB299_117:
	s_or_b64 exec, exec, s[26:27]
	s_and_b64 s[30:31], s[6:7], s[18:19]
	s_and_saveexec_b64 s[26:27], s[30:31]
	s_cbranch_execnz .LBB299_131
.LBB299_118:
	s_or_b64 exec, exec, s[26:27]
	s_and_b64 s[30:31], s[8:9], s[18:19]
	s_and_saveexec_b64 s[26:27], s[30:31]
	s_cbranch_execnz .LBB299_135
.LBB299_119:
	s_or_b64 exec, exec, s[26:27]
	s_and_b64 s[30:31], s[10:11], s[18:19]
	s_and_saveexec_b64 s[26:27], s[30:31]
	s_cbranch_execnz .LBB299_139
.LBB299_120:
	s_or_b64 exec, exec, s[26:27]
	s_and_b64 s[30:31], s[12:13], s[18:19]
	s_and_saveexec_b64 s[26:27], s[30:31]
	s_cbranch_execnz .LBB299_143
.LBB299_121:
	s_or_b64 exec, exec, s[26:27]
	s_and_b64 s[30:31], s[14:15], s[18:19]
	s_and_saveexec_b64 s[26:27], s[30:31]
	s_cbranch_execnz .LBB299_147
.LBB299_122:
	s_or_b64 exec, exec, s[26:27]
	s_and_b64 s[26:27], s[16:17], s[18:19]
	s_and_saveexec_b64 s[18:19], s[26:27]
	s_cbranch_execnz .LBB299_151
	s_branch .LBB299_155
.LBB299_123:
	s_and_b64 vcc, exec, s[0:1]
	s_cbranch_vccnz .LBB299_125
; %bb.124:
	v_lshl_add_u64 v[40:41], v[24:25], 1, v[22:23]
	global_load_ushort v40, v[40:41], off
	s_waitcnt vmcnt(0)
	v_mul_f16_e32 v40, s33, v40
	s_branch .LBB299_126
.LBB299_125:
	v_mov_b32_e32 v40, 0
.LBB299_126:
	v_pk_max_f16 v41, v4, v4
	v_pk_max_f16 v42, v16, v16
	;; [unrolled: 1-line block ×3, first 2 shown]
	v_pk_min_f16 v41, v42, v41
	v_pk_max_f16 v42, v5, v5
	v_pk_add_f16 v41, v59, v41
	v_pk_min_f16 v42, v43, v42
	s_nop 0
	v_pk_add_f16 v41, v41, v42
	s_nop 0
	v_add_f16_sdwa v41, v41, v41 dst_sel:DWORD dst_unused:UNUSED_PAD src0_sel:DWORD src1_sel:WORD_1
	v_add_f16_e32 v42, v41, v40
	v_lshl_add_u64 v[40:41], v[24:25], 1, v[20:21]
	global_store_short v[40:41], v42, off
	s_or_b64 exec, exec, s[26:27]
	s_and_b64 s[30:31], s[4:5], s[18:19]
	s_and_saveexec_b64 s[26:27], s[30:31]
	s_cbranch_execz .LBB299_117
.LBB299_127:
	s_and_b64 vcc, exec, s[0:1]
	s_cbranch_vccnz .LBB299_129
; %bb.128:
	v_lshl_add_u64 v[40:41], v[26:27], 1, v[22:23]
	global_load_ushort v40, v[40:41], off
	s_waitcnt vmcnt(0)
	v_mul_f16_e32 v40, s33, v40
	s_branch .LBB299_130
.LBB299_129:
	v_mov_b32_e32 v40, 0
.LBB299_130:
	v_pk_max_f16 v41, v4, v4
	v_pk_max_f16 v42, v18, v18
	;; [unrolled: 1-line block ×3, first 2 shown]
	v_pk_min_f16 v41, v42, v41
	v_pk_max_f16 v42, v5, v5
	v_pk_add_f16 v41, v58, v41
	v_pk_min_f16 v42, v43, v42
	s_nop 0
	v_pk_add_f16 v41, v41, v42
	s_nop 0
	v_add_f16_sdwa v41, v41, v41 dst_sel:DWORD dst_unused:UNUSED_PAD src0_sel:DWORD src1_sel:WORD_1
	v_add_f16_e32 v42, v41, v40
	v_lshl_add_u64 v[40:41], v[26:27], 1, v[20:21]
	global_store_short v[40:41], v42, off
	s_or_b64 exec, exec, s[26:27]
	s_and_b64 s[30:31], s[6:7], s[18:19]
	s_and_saveexec_b64 s[26:27], s[30:31]
	s_cbranch_execz .LBB299_118
.LBB299_131:
	s_and_b64 vcc, exec, s[0:1]
	s_cbranch_vccnz .LBB299_133
; %bb.132:
	v_lshl_add_u64 v[40:41], v[28:29], 1, v[22:23]
	global_load_ushort v40, v[40:41], off
	s_waitcnt vmcnt(0)
	v_mul_f16_e32 v40, s33, v40
	s_branch .LBB299_134
.LBB299_133:
	v_mov_b32_e32 v40, 0
.LBB299_134:
	v_pk_max_f16 v41, v4, v4
	v_pk_max_f16 v42, v12, v12
	;; [unrolled: 1-line block ×3, first 2 shown]
	v_pk_min_f16 v41, v42, v41
	v_pk_max_f16 v42, v5, v5
	v_pk_add_f16 v41, v57, v41
	v_pk_min_f16 v42, v43, v42
	s_nop 0
	v_pk_add_f16 v41, v41, v42
	s_nop 0
	v_add_f16_sdwa v41, v41, v41 dst_sel:DWORD dst_unused:UNUSED_PAD src0_sel:DWORD src1_sel:WORD_1
	v_add_f16_e32 v42, v41, v40
	v_lshl_add_u64 v[40:41], v[28:29], 1, v[20:21]
	global_store_short v[40:41], v42, off
	s_or_b64 exec, exec, s[26:27]
	s_and_b64 s[30:31], s[8:9], s[18:19]
	s_and_saveexec_b64 s[26:27], s[30:31]
	s_cbranch_execz .LBB299_119
.LBB299_135:
	s_and_b64 vcc, exec, s[0:1]
	s_cbranch_vccnz .LBB299_137
; %bb.136:
	v_lshl_add_u64 v[40:41], v[30:31], 1, v[22:23]
	global_load_ushort v40, v[40:41], off
	s_waitcnt vmcnt(0)
	v_mul_f16_e32 v40, s33, v40
	s_branch .LBB299_138
.LBB299_137:
	v_mov_b32_e32 v40, 0
.LBB299_138:
	v_pk_max_f16 v41, v4, v4
	v_pk_max_f16 v42, v14, v14
	;; [unrolled: 1-line block ×3, first 2 shown]
	v_pk_min_f16 v41, v42, v41
	v_pk_max_f16 v42, v5, v5
	v_pk_add_f16 v41, v56, v41
	v_pk_min_f16 v42, v43, v42
	s_nop 0
	v_pk_add_f16 v41, v41, v42
	s_nop 0
	v_add_f16_sdwa v41, v41, v41 dst_sel:DWORD dst_unused:UNUSED_PAD src0_sel:DWORD src1_sel:WORD_1
	v_add_f16_e32 v42, v41, v40
	v_lshl_add_u64 v[40:41], v[30:31], 1, v[20:21]
	global_store_short v[40:41], v42, off
	s_or_b64 exec, exec, s[26:27]
	s_and_b64 s[30:31], s[10:11], s[18:19]
	s_and_saveexec_b64 s[26:27], s[30:31]
	s_cbranch_execz .LBB299_120
.LBB299_139:
	s_and_b64 vcc, exec, s[0:1]
	s_cbranch_vccnz .LBB299_141
; %bb.140:
	v_lshl_add_u64 v[40:41], v[32:33], 1, v[22:23]
	global_load_ushort v40, v[40:41], off
	s_waitcnt vmcnt(0)
	v_mul_f16_e32 v40, s33, v40
	s_branch .LBB299_142
.LBB299_141:
	v_mov_b32_e32 v40, 0
.LBB299_142:
	v_pk_max_f16 v41, v4, v4
	v_pk_max_f16 v42, v8, v8
	;; [unrolled: 1-line block ×3, first 2 shown]
	v_pk_min_f16 v41, v42, v41
	v_pk_max_f16 v42, v5, v5
	v_pk_add_f16 v41, v55, v41
	v_pk_min_f16 v42, v43, v42
	s_nop 0
	v_pk_add_f16 v41, v41, v42
	s_nop 0
	v_add_f16_sdwa v41, v41, v41 dst_sel:DWORD dst_unused:UNUSED_PAD src0_sel:DWORD src1_sel:WORD_1
	v_add_f16_e32 v42, v41, v40
	v_lshl_add_u64 v[40:41], v[32:33], 1, v[20:21]
	global_store_short v[40:41], v42, off
	s_or_b64 exec, exec, s[26:27]
	s_and_b64 s[30:31], s[12:13], s[18:19]
	s_and_saveexec_b64 s[26:27], s[30:31]
	s_cbranch_execz .LBB299_121
.LBB299_143:
	s_and_b64 vcc, exec, s[0:1]
	s_cbranch_vccnz .LBB299_145
; %bb.144:
	v_lshl_add_u64 v[40:41], v[34:35], 1, v[22:23]
	global_load_ushort v40, v[40:41], off
	s_waitcnt vmcnt(0)
	v_mul_f16_e32 v40, s33, v40
	s_branch .LBB299_146
.LBB299_145:
	v_mov_b32_e32 v40, 0
.LBB299_146:
	v_pk_max_f16 v41, v4, v4
	v_pk_max_f16 v42, v10, v10
	;; [unrolled: 1-line block ×3, first 2 shown]
	v_pk_min_f16 v41, v42, v41
	v_pk_max_f16 v42, v5, v5
	v_pk_add_f16 v41, v54, v41
	v_pk_min_f16 v42, v43, v42
	s_nop 0
	v_pk_add_f16 v41, v41, v42
	s_nop 0
	v_add_f16_sdwa v41, v41, v41 dst_sel:DWORD dst_unused:UNUSED_PAD src0_sel:DWORD src1_sel:WORD_1
	v_add_f16_e32 v42, v41, v40
	v_lshl_add_u64 v[40:41], v[34:35], 1, v[20:21]
	global_store_short v[40:41], v42, off
	s_or_b64 exec, exec, s[26:27]
	s_and_b64 s[30:31], s[14:15], s[18:19]
	s_and_saveexec_b64 s[26:27], s[30:31]
	s_cbranch_execz .LBB299_122
.LBB299_147:
	s_and_b64 vcc, exec, s[0:1]
	s_cbranch_vccnz .LBB299_149
; %bb.148:
	v_lshl_add_u64 v[40:41], v[36:37], 1, v[22:23]
	global_load_ushort v40, v[40:41], off
	s_waitcnt vmcnt(0)
	v_mul_f16_e32 v40, s33, v40
	s_branch .LBB299_150
.LBB299_149:
	v_mov_b32_e32 v40, 0
.LBB299_150:
	v_pk_max_f16 v41, v4, v4
	v_pk_max_f16 v42, v0, v0
	;; [unrolled: 1-line block ×3, first 2 shown]
	v_pk_min_f16 v41, v42, v41
	v_pk_max_f16 v42, v5, v5
	v_pk_add_f16 v41, v53, v41
	v_pk_min_f16 v42, v43, v42
	s_nop 0
	v_pk_add_f16 v41, v41, v42
	s_nop 0
	v_add_f16_sdwa v41, v41, v41 dst_sel:DWORD dst_unused:UNUSED_PAD src0_sel:DWORD src1_sel:WORD_1
	v_add_f16_e32 v42, v41, v40
	v_lshl_add_u64 v[40:41], v[36:37], 1, v[20:21]
	global_store_short v[40:41], v42, off
	s_or_b64 exec, exec, s[26:27]
	s_and_b64 s[26:27], s[16:17], s[18:19]
	s_and_saveexec_b64 s[18:19], s[26:27]
	s_cbranch_execz .LBB299_155
.LBB299_151:
	s_and_b64 vcc, exec, s[0:1]
	s_cbranch_vccnz .LBB299_153
; %bb.152:
	v_lshl_add_u64 v[22:23], v[38:39], 1, v[22:23]
	global_load_ushort v22, v[22:23], off
	s_waitcnt vmcnt(0)
	v_mul_f16_e32 v22, s33, v22
	s_branch .LBB299_154
.LBB299_153:
	v_mov_b32_e32 v22, 0
.LBB299_154:
	v_pk_max_f16 v4, v4, v4
	v_pk_max_f16 v23, v2, v2
	;; [unrolled: 1-line block ×3, first 2 shown]
	v_pk_min_f16 v4, v23, v4
	v_pk_max_f16 v23, v3, v3
	v_pk_add_f16 v4, v52, v4
	v_pk_min_f16 v5, v23, v5
	s_nop 0
	v_pk_add_f16 v4, v4, v5
	s_nop 0
	v_add_f16_sdwa v4, v4, v4 dst_sel:DWORD dst_unused:UNUSED_PAD src0_sel:DWORD src1_sel:WORD_1
	v_add_f16_e32 v22, v4, v22
	v_lshl_add_u64 v[4:5], v[38:39], 1, v[20:21]
	global_store_short v[4:5], v22, off
.LBB299_155:
	s_or_b64 exec, exec, s[18:19]
	v_add_u32_e32 v22, 0x60, v69
	v_cmp_gt_i32_e64 s[18:19], s21, v22
	v_mad_i64_i32 v[4:5], s[20:21], v22, s29, 0
	v_lshl_add_u64 v[20:21], v[4:5], 1, s[24:25]
	v_mad_i64_i32 v[4:5], s[20:21], v22, s28, 0
	v_lshl_add_u64 v[4:5], v[4:5], 1, s[22:23]
	s_and_b64 s[20:21], s[2:3], s[18:19]
	s_and_saveexec_b64 s[2:3], s[20:21]
	s_cbranch_execnz .LBB299_164
; %bb.156:
	s_or_b64 exec, exec, s[2:3]
	s_and_b64 s[4:5], s[4:5], s[18:19]
	s_and_saveexec_b64 s[2:3], s[4:5]
	s_cbranch_execnz .LBB299_168
.LBB299_157:
	s_or_b64 exec, exec, s[2:3]
	s_and_b64 s[4:5], s[6:7], s[18:19]
	s_and_saveexec_b64 s[2:3], s[4:5]
	s_cbranch_execnz .LBB299_172
.LBB299_158:
	s_or_b64 exec, exec, s[2:3]
	s_and_b64 s[4:5], s[8:9], s[18:19]
	s_and_saveexec_b64 s[2:3], s[4:5]
	s_cbranch_execnz .LBB299_176
.LBB299_159:
	s_or_b64 exec, exec, s[2:3]
	s_and_b64 s[4:5], s[10:11], s[18:19]
	s_and_saveexec_b64 s[2:3], s[4:5]
	s_cbranch_execnz .LBB299_180
.LBB299_160:
	s_or_b64 exec, exec, s[2:3]
	s_and_b64 s[4:5], s[12:13], s[18:19]
	s_and_saveexec_b64 s[2:3], s[4:5]
	s_cbranch_execnz .LBB299_184
.LBB299_161:
	s_or_b64 exec, exec, s[2:3]
	s_and_b64 s[4:5], s[14:15], s[18:19]
	s_and_saveexec_b64 s[2:3], s[4:5]
	s_cbranch_execnz .LBB299_188
.LBB299_162:
	s_or_b64 exec, exec, s[2:3]
	s_and_b64 s[2:3], s[16:17], s[18:19]
	s_and_saveexec_b64 s[4:5], s[2:3]
	s_cbranch_execnz .LBB299_192
.LBB299_163:
	s_endpgm
.LBB299_164:
	s_and_b64 vcc, exec, s[0:1]
	s_cbranch_vccnz .LBB299_166
; %bb.165:
	v_lshl_add_u64 v[22:23], v[24:25], 1, v[20:21]
	global_load_ushort v22, v[22:23], off
	s_waitcnt vmcnt(0)
	v_mul_f16_e32 v22, s33, v22
	s_branch .LBB299_167
.LBB299_166:
	v_mov_b32_e32 v22, 0
.LBB299_167:
	v_pk_max_f16 v23, v6, v6
	v_pk_max_f16 v16, v16, v16
	;; [unrolled: 1-line block ×3, first 2 shown]
	v_pk_min_f16 v16, v16, v23
	v_pk_max_f16 v23, v7, v7
	v_pk_add_f16 v16, v51, v16
	v_pk_min_f16 v17, v17, v23
	s_nop 0
	v_pk_add_f16 v16, v16, v17
	s_nop 0
	v_add_f16_sdwa v16, v16, v16 dst_sel:DWORD dst_unused:UNUSED_PAD src0_sel:DWORD src1_sel:WORD_1
	v_add_f16_e32 v22, v16, v22
	v_lshl_add_u64 v[16:17], v[24:25], 1, v[4:5]
	global_store_short v[16:17], v22, off
	s_or_b64 exec, exec, s[2:3]
	s_and_b64 s[4:5], s[4:5], s[18:19]
	s_and_saveexec_b64 s[2:3], s[4:5]
	s_cbranch_execz .LBB299_157
.LBB299_168:
	s_and_b64 vcc, exec, s[0:1]
	s_cbranch_vccnz .LBB299_170
; %bb.169:
	v_lshl_add_u64 v[16:17], v[26:27], 1, v[20:21]
	global_load_ushort v16, v[16:17], off
	s_waitcnt vmcnt(0)
	v_mul_f16_e32 v16, s33, v16
	s_branch .LBB299_171
.LBB299_170:
	v_mov_b32_e32 v16, 0
.LBB299_171:
	v_pk_max_f16 v17, v6, v6
	v_pk_max_f16 v18, v18, v18
	;; [unrolled: 1-line block ×3, first 2 shown]
	v_pk_min_f16 v17, v18, v17
	v_pk_max_f16 v18, v7, v7
	v_pk_add_f16 v17, v50, v17
	v_pk_min_f16 v18, v19, v18
	s_nop 0
	v_pk_add_f16 v17, v17, v18
	s_nop 0
	v_add_f16_sdwa v17, v17, v17 dst_sel:DWORD dst_unused:UNUSED_PAD src0_sel:DWORD src1_sel:WORD_1
	v_add_f16_e32 v18, v17, v16
	v_lshl_add_u64 v[16:17], v[26:27], 1, v[4:5]
	global_store_short v[16:17], v18, off
	s_or_b64 exec, exec, s[2:3]
	s_and_b64 s[4:5], s[6:7], s[18:19]
	s_and_saveexec_b64 s[2:3], s[4:5]
	s_cbranch_execz .LBB299_158
.LBB299_172:
	s_and_b64 vcc, exec, s[0:1]
	s_cbranch_vccnz .LBB299_174
; %bb.173:
	v_lshl_add_u64 v[16:17], v[28:29], 1, v[20:21]
	global_load_ushort v16, v[16:17], off
	s_waitcnt vmcnt(0)
	v_mul_f16_e32 v16, s33, v16
	s_branch .LBB299_175
.LBB299_174:
	v_mov_b32_e32 v16, 0
.LBB299_175:
	v_pk_max_f16 v17, v6, v6
	v_pk_max_f16 v12, v12, v12
	;; [unrolled: 1-line block ×3, first 2 shown]
	v_pk_min_f16 v12, v12, v17
	v_pk_max_f16 v17, v7, v7
	v_pk_add_f16 v12, v49, v12
	v_pk_min_f16 v13, v13, v17
	s_nop 0
	v_pk_add_f16 v12, v12, v13
	s_nop 0
	v_add_f16_sdwa v12, v12, v12 dst_sel:DWORD dst_unused:UNUSED_PAD src0_sel:DWORD src1_sel:WORD_1
	v_add_f16_e32 v16, v12, v16
	v_lshl_add_u64 v[12:13], v[28:29], 1, v[4:5]
	global_store_short v[12:13], v16, off
	s_or_b64 exec, exec, s[2:3]
	s_and_b64 s[4:5], s[8:9], s[18:19]
	s_and_saveexec_b64 s[2:3], s[4:5]
	s_cbranch_execz .LBB299_159
.LBB299_176:
	s_and_b64 vcc, exec, s[0:1]
	s_cbranch_vccnz .LBB299_178
; %bb.177:
	v_lshl_add_u64 v[12:13], v[30:31], 1, v[20:21]
	global_load_ushort v12, v[12:13], off
	s_waitcnt vmcnt(0)
	v_mul_f16_e32 v12, s33, v12
	s_branch .LBB299_179
.LBB299_178:
	v_mov_b32_e32 v12, 0
.LBB299_179:
	v_pk_max_f16 v13, v6, v6
	v_pk_max_f16 v14, v14, v14
	;; [unrolled: 1-line block ×3, first 2 shown]
	v_pk_min_f16 v13, v14, v13
	v_pk_max_f16 v14, v7, v7
	v_pk_add_f16 v13, v48, v13
	v_pk_min_f16 v14, v15, v14
	s_nop 0
	v_pk_add_f16 v13, v13, v14
	s_nop 0
	v_add_f16_sdwa v13, v13, v13 dst_sel:DWORD dst_unused:UNUSED_PAD src0_sel:DWORD src1_sel:WORD_1
	v_add_f16_e32 v14, v13, v12
	v_lshl_add_u64 v[12:13], v[30:31], 1, v[4:5]
	global_store_short v[12:13], v14, off
	s_or_b64 exec, exec, s[2:3]
	s_and_b64 s[4:5], s[10:11], s[18:19]
	s_and_saveexec_b64 s[2:3], s[4:5]
	s_cbranch_execz .LBB299_160
.LBB299_180:
	s_and_b64 vcc, exec, s[0:1]
	s_cbranch_vccnz .LBB299_182
; %bb.181:
	v_lshl_add_u64 v[12:13], v[32:33], 1, v[20:21]
	global_load_ushort v12, v[12:13], off
	s_waitcnt vmcnt(0)
	v_mul_f16_e32 v12, s33, v12
	s_branch .LBB299_183
.LBB299_182:
	v_mov_b32_e32 v12, 0
.LBB299_183:
	v_pk_max_f16 v13, v6, v6
	v_pk_max_f16 v8, v8, v8
	;; [unrolled: 1-line block ×3, first 2 shown]
	v_pk_min_f16 v8, v8, v13
	v_pk_max_f16 v13, v7, v7
	v_pk_add_f16 v8, v47, v8
	v_pk_min_f16 v9, v9, v13
	s_nop 0
	v_pk_add_f16 v8, v8, v9
	s_nop 0
	v_add_f16_sdwa v8, v8, v8 dst_sel:DWORD dst_unused:UNUSED_PAD src0_sel:DWORD src1_sel:WORD_1
	v_add_f16_e32 v12, v8, v12
	v_lshl_add_u64 v[8:9], v[32:33], 1, v[4:5]
	global_store_short v[8:9], v12, off
	s_or_b64 exec, exec, s[2:3]
	s_and_b64 s[4:5], s[12:13], s[18:19]
	s_and_saveexec_b64 s[2:3], s[4:5]
	s_cbranch_execz .LBB299_161
.LBB299_184:
	s_and_b64 vcc, exec, s[0:1]
	s_cbranch_vccnz .LBB299_186
; %bb.185:
	v_lshl_add_u64 v[8:9], v[34:35], 1, v[20:21]
	global_load_ushort v8, v[8:9], off
	s_waitcnt vmcnt(0)
	v_mul_f16_e32 v8, s33, v8
	s_branch .LBB299_187
.LBB299_186:
	v_mov_b32_e32 v8, 0
.LBB299_187:
	v_pk_max_f16 v9, v6, v6
	v_pk_max_f16 v10, v10, v10
	;; [unrolled: 1-line block ×3, first 2 shown]
	v_pk_min_f16 v9, v10, v9
	v_pk_max_f16 v10, v7, v7
	v_pk_add_f16 v9, v46, v9
	v_pk_min_f16 v10, v11, v10
	s_nop 0
	v_pk_add_f16 v9, v9, v10
	s_nop 0
	v_add_f16_sdwa v9, v9, v9 dst_sel:DWORD dst_unused:UNUSED_PAD src0_sel:DWORD src1_sel:WORD_1
	v_add_f16_e32 v10, v9, v8
	v_lshl_add_u64 v[8:9], v[34:35], 1, v[4:5]
	global_store_short v[8:9], v10, off
	s_or_b64 exec, exec, s[2:3]
	s_and_b64 s[4:5], s[14:15], s[18:19]
	s_and_saveexec_b64 s[2:3], s[4:5]
	s_cbranch_execz .LBB299_162
.LBB299_188:
	s_and_b64 vcc, exec, s[0:1]
	s_cbranch_vccnz .LBB299_190
; %bb.189:
	v_lshl_add_u64 v[8:9], v[36:37], 1, v[20:21]
	global_load_ushort v8, v[8:9], off
	s_waitcnt vmcnt(0)
	v_mul_f16_e32 v8, s33, v8
	s_branch .LBB299_191
.LBB299_190:
	v_mov_b32_e32 v8, 0
.LBB299_191:
	v_pk_max_f16 v9, v6, v6
	v_pk_max_f16 v0, v0, v0
	;; [unrolled: 1-line block ×3, first 2 shown]
	v_pk_min_f16 v0, v0, v9
	v_pk_max_f16 v9, v7, v7
	v_pk_add_f16 v0, v45, v0
	v_pk_min_f16 v1, v1, v9
	s_nop 0
	v_pk_add_f16 v0, v0, v1
	s_nop 0
	v_add_f16_sdwa v0, v0, v0 dst_sel:DWORD dst_unused:UNUSED_PAD src0_sel:DWORD src1_sel:WORD_1
	v_add_f16_e32 v8, v0, v8
	v_lshl_add_u64 v[0:1], v[36:37], 1, v[4:5]
	global_store_short v[0:1], v8, off
	s_or_b64 exec, exec, s[2:3]
	s_and_b64 s[2:3], s[16:17], s[18:19]
	s_and_saveexec_b64 s[4:5], s[2:3]
	s_cbranch_execz .LBB299_163
.LBB299_192:
	s_and_b64 vcc, exec, s[0:1]
	s_cbranch_vccnz .LBB299_194
; %bb.193:
	v_lshl_add_u64 v[0:1], v[38:39], 1, v[20:21]
	global_load_ushort v0, v[0:1], off
	s_waitcnt vmcnt(0)
	v_mul_f16_e32 v0, s33, v0
	s_branch .LBB299_195
.LBB299_194:
	v_mov_b32_e32 v0, 0
.LBB299_195:
	v_pk_max_f16 v1, v6, v6
	v_pk_max_f16 v2, v2, v2
	;; [unrolled: 1-line block ×3, first 2 shown]
	v_pk_min_f16 v1, v2, v1
	v_pk_max_f16 v2, v7, v7
	v_pk_add_f16 v1, v44, v1
	v_pk_min_f16 v2, v3, v2
	s_nop 0
	v_pk_add_f16 v1, v1, v2
	s_nop 0
	v_add_f16_sdwa v1, v1, v1 dst_sel:DWORD dst_unused:UNUSED_PAD src0_sel:DWORD src1_sel:WORD_1
	v_add_f16_e32 v2, v1, v0
	v_lshl_add_u64 v[0:1], v[38:39], 1, v[4:5]
	global_store_short v[0:1], v2, off
	s_endpgm
	.section	.rodata,"a",@progbits
	.p2align	6, 0x0
	.amdhsa_kernel _ZN12_GLOBAL__N_120geam_min_plus_kernelIDF16_Dv2_DF16_S1_Li8ELi32ELi64ELi128ELi4ELi64ELi4ELi64ELi4ELc78ELc84ELb0ELb1ELb0EDF16_KDF16_DF16_EEviiiT16_PT17_ilS5_ilS3_S5_ilPT18_ili26rocblas_geam_ex_operation_
		.amdhsa_group_segment_fixed_size 3072
		.amdhsa_private_segment_fixed_size 0
		.amdhsa_kernarg_size 128
		.amdhsa_user_sgpr_count 2
		.amdhsa_user_sgpr_dispatch_ptr 0
		.amdhsa_user_sgpr_queue_ptr 0
		.amdhsa_user_sgpr_kernarg_segment_ptr 1
		.amdhsa_user_sgpr_dispatch_id 0
		.amdhsa_user_sgpr_kernarg_preload_length 0
		.amdhsa_user_sgpr_kernarg_preload_offset 0
		.amdhsa_user_sgpr_private_segment_size 0
		.amdhsa_uses_dynamic_stack 0
		.amdhsa_enable_private_segment 0
		.amdhsa_system_sgpr_workgroup_id_x 1
		.amdhsa_system_sgpr_workgroup_id_y 0
		.amdhsa_system_sgpr_workgroup_id_z 1
		.amdhsa_system_sgpr_workgroup_info 0
		.amdhsa_system_vgpr_workitem_id 1
		.amdhsa_next_free_vgpr 121
		.amdhsa_next_free_sgpr 40
		.amdhsa_accum_offset 124
		.amdhsa_reserve_vcc 1
		.amdhsa_float_round_mode_32 0
		.amdhsa_float_round_mode_16_64 0
		.amdhsa_float_denorm_mode_32 3
		.amdhsa_float_denorm_mode_16_64 3
		.amdhsa_dx10_clamp 1
		.amdhsa_ieee_mode 1
		.amdhsa_fp16_overflow 0
		.amdhsa_tg_split 0
		.amdhsa_exception_fp_ieee_invalid_op 0
		.amdhsa_exception_fp_denorm_src 0
		.amdhsa_exception_fp_ieee_div_zero 0
		.amdhsa_exception_fp_ieee_overflow 0
		.amdhsa_exception_fp_ieee_underflow 0
		.amdhsa_exception_fp_ieee_inexact 0
		.amdhsa_exception_int_div_zero 0
	.end_amdhsa_kernel
	.section	.text._ZN12_GLOBAL__N_120geam_min_plus_kernelIDF16_Dv2_DF16_S1_Li8ELi32ELi64ELi128ELi4ELi64ELi4ELi64ELi4ELc78ELc84ELb0ELb1ELb0EDF16_KDF16_DF16_EEviiiT16_PT17_ilS5_ilS3_S5_ilPT18_ili26rocblas_geam_ex_operation_,"axG",@progbits,_ZN12_GLOBAL__N_120geam_min_plus_kernelIDF16_Dv2_DF16_S1_Li8ELi32ELi64ELi128ELi4ELi64ELi4ELi64ELi4ELc78ELc84ELb0ELb1ELb0EDF16_KDF16_DF16_EEviiiT16_PT17_ilS5_ilS3_S5_ilPT18_ili26rocblas_geam_ex_operation_,comdat
.Lfunc_end299:
	.size	_ZN12_GLOBAL__N_120geam_min_plus_kernelIDF16_Dv2_DF16_S1_Li8ELi32ELi64ELi128ELi4ELi64ELi4ELi64ELi4ELc78ELc84ELb0ELb1ELb0EDF16_KDF16_DF16_EEviiiT16_PT17_ilS5_ilS3_S5_ilPT18_ili26rocblas_geam_ex_operation_, .Lfunc_end299-_ZN12_GLOBAL__N_120geam_min_plus_kernelIDF16_Dv2_DF16_S1_Li8ELi32ELi64ELi128ELi4ELi64ELi4ELi64ELi4ELc78ELc84ELb0ELb1ELb0EDF16_KDF16_DF16_EEviiiT16_PT17_ilS5_ilS3_S5_ilPT18_ili26rocblas_geam_ex_operation_
                                        ; -- End function
	.set _ZN12_GLOBAL__N_120geam_min_plus_kernelIDF16_Dv2_DF16_S1_Li8ELi32ELi64ELi128ELi4ELi64ELi4ELi64ELi4ELc78ELc84ELb0ELb1ELb0EDF16_KDF16_DF16_EEviiiT16_PT17_ilS5_ilS3_S5_ilPT18_ili26rocblas_geam_ex_operation_.num_vgpr, 121
	.set _ZN12_GLOBAL__N_120geam_min_plus_kernelIDF16_Dv2_DF16_S1_Li8ELi32ELi64ELi128ELi4ELi64ELi4ELi64ELi4ELc78ELc84ELb0ELb1ELb0EDF16_KDF16_DF16_EEviiiT16_PT17_ilS5_ilS3_S5_ilPT18_ili26rocblas_geam_ex_operation_.num_agpr, 0
	.set _ZN12_GLOBAL__N_120geam_min_plus_kernelIDF16_Dv2_DF16_S1_Li8ELi32ELi64ELi128ELi4ELi64ELi4ELi64ELi4ELc78ELc84ELb0ELb1ELb0EDF16_KDF16_DF16_EEviiiT16_PT17_ilS5_ilS3_S5_ilPT18_ili26rocblas_geam_ex_operation_.numbered_sgpr, 40
	.set _ZN12_GLOBAL__N_120geam_min_plus_kernelIDF16_Dv2_DF16_S1_Li8ELi32ELi64ELi128ELi4ELi64ELi4ELi64ELi4ELc78ELc84ELb0ELb1ELb0EDF16_KDF16_DF16_EEviiiT16_PT17_ilS5_ilS3_S5_ilPT18_ili26rocblas_geam_ex_operation_.num_named_barrier, 0
	.set _ZN12_GLOBAL__N_120geam_min_plus_kernelIDF16_Dv2_DF16_S1_Li8ELi32ELi64ELi128ELi4ELi64ELi4ELi64ELi4ELc78ELc84ELb0ELb1ELb0EDF16_KDF16_DF16_EEviiiT16_PT17_ilS5_ilS3_S5_ilPT18_ili26rocblas_geam_ex_operation_.private_seg_size, 0
	.set _ZN12_GLOBAL__N_120geam_min_plus_kernelIDF16_Dv2_DF16_S1_Li8ELi32ELi64ELi128ELi4ELi64ELi4ELi64ELi4ELc78ELc84ELb0ELb1ELb0EDF16_KDF16_DF16_EEviiiT16_PT17_ilS5_ilS3_S5_ilPT18_ili26rocblas_geam_ex_operation_.uses_vcc, 1
	.set _ZN12_GLOBAL__N_120geam_min_plus_kernelIDF16_Dv2_DF16_S1_Li8ELi32ELi64ELi128ELi4ELi64ELi4ELi64ELi4ELc78ELc84ELb0ELb1ELb0EDF16_KDF16_DF16_EEviiiT16_PT17_ilS5_ilS3_S5_ilPT18_ili26rocblas_geam_ex_operation_.uses_flat_scratch, 0
	.set _ZN12_GLOBAL__N_120geam_min_plus_kernelIDF16_Dv2_DF16_S1_Li8ELi32ELi64ELi128ELi4ELi64ELi4ELi64ELi4ELc78ELc84ELb0ELb1ELb0EDF16_KDF16_DF16_EEviiiT16_PT17_ilS5_ilS3_S5_ilPT18_ili26rocblas_geam_ex_operation_.has_dyn_sized_stack, 0
	.set _ZN12_GLOBAL__N_120geam_min_plus_kernelIDF16_Dv2_DF16_S1_Li8ELi32ELi64ELi128ELi4ELi64ELi4ELi64ELi4ELc78ELc84ELb0ELb1ELb0EDF16_KDF16_DF16_EEviiiT16_PT17_ilS5_ilS3_S5_ilPT18_ili26rocblas_geam_ex_operation_.has_recursion, 0
	.set _ZN12_GLOBAL__N_120geam_min_plus_kernelIDF16_Dv2_DF16_S1_Li8ELi32ELi64ELi128ELi4ELi64ELi4ELi64ELi4ELc78ELc84ELb0ELb1ELb0EDF16_KDF16_DF16_EEviiiT16_PT17_ilS5_ilS3_S5_ilPT18_ili26rocblas_geam_ex_operation_.has_indirect_call, 0
	.section	.AMDGPU.csdata,"",@progbits
; Kernel info:
; codeLenInByte = 11260
; TotalNumSgprs: 46
; NumVgprs: 121
; NumAgprs: 0
; TotalNumVgprs: 121
; ScratchSize: 0
; MemoryBound: 0
; FloatMode: 240
; IeeeMode: 1
; LDSByteSize: 3072 bytes/workgroup (compile time only)
; SGPRBlocks: 5
; VGPRBlocks: 15
; NumSGPRsForWavesPerEU: 46
; NumVGPRsForWavesPerEU: 121
; AccumOffset: 124
; Occupancy: 4
; WaveLimiterHint : 0
; COMPUTE_PGM_RSRC2:SCRATCH_EN: 0
; COMPUTE_PGM_RSRC2:USER_SGPR: 2
; COMPUTE_PGM_RSRC2:TRAP_HANDLER: 0
; COMPUTE_PGM_RSRC2:TGID_X_EN: 1
; COMPUTE_PGM_RSRC2:TGID_Y_EN: 0
; COMPUTE_PGM_RSRC2:TGID_Z_EN: 1
; COMPUTE_PGM_RSRC2:TIDIG_COMP_CNT: 1
; COMPUTE_PGM_RSRC3_GFX90A:ACCUM_OFFSET: 30
; COMPUTE_PGM_RSRC3_GFX90A:TG_SPLIT: 0
	.section	.text._ZN12_GLOBAL__N_120geam_min_plus_kernelIDF16_Dv2_DF16_S1_Li8ELi32ELi64ELi128ELi4ELi4ELi64ELi64ELi4ELc84ELc84ELb0ELb0ELb0EPKDF16_S2_DF16_EEviiiT16_PT17_ilS6_ilS4_S6_ilPT18_ili26rocblas_geam_ex_operation_,"axG",@progbits,_ZN12_GLOBAL__N_120geam_min_plus_kernelIDF16_Dv2_DF16_S1_Li8ELi32ELi64ELi128ELi4ELi4ELi64ELi64ELi4ELc84ELc84ELb0ELb0ELb0EPKDF16_S2_DF16_EEviiiT16_PT17_ilS6_ilS4_S6_ilPT18_ili26rocblas_geam_ex_operation_,comdat
	.globl	_ZN12_GLOBAL__N_120geam_min_plus_kernelIDF16_Dv2_DF16_S1_Li8ELi32ELi64ELi128ELi4ELi4ELi64ELi64ELi4ELc84ELc84ELb0ELb0ELb0EPKDF16_S2_DF16_EEviiiT16_PT17_ilS6_ilS4_S6_ilPT18_ili26rocblas_geam_ex_operation_ ; -- Begin function _ZN12_GLOBAL__N_120geam_min_plus_kernelIDF16_Dv2_DF16_S1_Li8ELi32ELi64ELi128ELi4ELi4ELi64ELi64ELi4ELc84ELc84ELb0ELb0ELb0EPKDF16_S2_DF16_EEviiiT16_PT17_ilS6_ilS4_S6_ilPT18_ili26rocblas_geam_ex_operation_
	.p2align	8
	.type	_ZN12_GLOBAL__N_120geam_min_plus_kernelIDF16_Dv2_DF16_S1_Li8ELi32ELi64ELi128ELi4ELi4ELi64ELi64ELi4ELc84ELc84ELb0ELb0ELb0EPKDF16_S2_DF16_EEviiiT16_PT17_ilS6_ilS4_S6_ilPT18_ili26rocblas_geam_ex_operation_,@function
_ZN12_GLOBAL__N_120geam_min_plus_kernelIDF16_Dv2_DF16_S1_Li8ELi32ELi64ELi128ELi4ELi4ELi64ELi64ELi4ELc84ELc84ELb0ELb0ELb0EPKDF16_S2_DF16_EEviiiT16_PT17_ilS6_ilS4_S6_ilPT18_ili26rocblas_geam_ex_operation_: ; @_ZN12_GLOBAL__N_120geam_min_plus_kernelIDF16_Dv2_DF16_S1_Li8ELi32ELi64ELi128ELi4ELi4ELi64ELi64ELi4ELc84ELc84ELb0ELb0ELb0EPKDF16_S2_DF16_EEviiiT16_PT17_ilS6_ilS4_S6_ilPT18_ili26rocblas_geam_ex_operation_
; %bb.0:
	s_load_dwordx4 s[8:11], s[0:1], 0x10
	s_load_dwordx4 s[12:15], s[0:1], 0x28
	s_mov_b32 s20, s3
	s_mov_b32 s21, 0
	s_lshl_b64 s[4:5], s[20:21], 1
	s_waitcnt lgkmcnt(0)
	s_add_u32 s6, s8, s4
	s_addc_u32 s7, s9, s5
	v_mov_b32_e32 v1, 0
	global_load_ushort v33, v1, s[6:7]
	s_load_dwordx4 s[16:19], s[0:1], 0x40
	s_load_dwordx2 s[24:25], s[0:1], 0x50
	s_mov_b64 s[22:23], 0
	s_waitcnt lgkmcnt(0)
	s_add_u32 s4, s18, s4
	s_addc_u32 s5, s19, s5
	s_mov_b64 s[18:19], 0
	s_waitcnt vmcnt(0)
	v_cmp_eq_f16_e32 vcc, 0, v33
	s_and_b64 s[8:9], exec, vcc
	v_cmp_neq_f16_e64 s[6:7], 0, v33
	s_mov_b64 vcc, s[8:9]
	s_cbranch_vccnz .LBB300_2
; %bb.1:
	s_mul_i32 s3, s13, s20
	s_mul_hi_u32 s13, s12, s20
	s_add_i32 s13, s13, s3
	s_mul_i32 s12, s12, s20
	s_lshl_b64 s[12:13], s[12:13], 1
	s_add_u32 s18, s10, s12
	s_addc_u32 s19, s11, s13
.LBB300_2:
	global_load_ushort v52, v1, s[4:5]
	v_cndmask_b32_e64 v1, 0, 1, s[6:7]
	v_cmp_ne_u32_e64 s[4:5], 1, v1
	s_andn2_b64 vcc, exec, s[6:7]
	s_cbranch_vccnz .LBB300_4
; %bb.3:
	s_mul_i32 s3, s17, s20
	s_mul_hi_u32 s6, s16, s20
	s_add_i32 s7, s6, s3
	s_mul_i32 s6, s16, s20
	s_lshl_b64 s[6:7], s[6:7], 1
	s_add_u32 s22, s14, s6
	s_addc_u32 s23, s15, s7
.LBB300_4:
	s_load_dwordx4 s[12:15], s[0:1], 0x60
	s_waitcnt vmcnt(0)
	v_cmp_eq_f16_e32 vcc, 0, v52
	s_cbranch_vccnz .LBB300_6
; %bb.5:
	s_waitcnt lgkmcnt(0)
	s_mul_i32 s3, s13, s20
	s_mul_hi_u32 s6, s12, s20
	s_add_i32 s7, s6, s3
	s_mul_i32 s6, s12, s20
	s_lshl_b64 s[6:7], s[6:7], 1
	s_add_u32 s6, s24, s6
	s_addc_u32 s7, s25, s7
	s_branch .LBB300_7
.LBB300_6:
	s_mov_b64 s[6:7], 0
.LBB300_7:
	s_load_dword s11, s[0:1], 0x0
	s_load_dword s3, s[0:1], 0x20
	;; [unrolled: 1-line block ×3, first 2 shown]
	v_and_b32_e32 v32, 0x3ff, v0
	v_bfe_u32 v48, v0, 10, 10
	s_waitcnt lgkmcnt(0)
	s_add_i32 s11, s11, -1
	s_ashr_i32 s12, s11, 31
	s_lshr_b32 s12, s12, 26
	s_add_i32 s11, s11, s12
	s_ashr_i32 s12, s11, 6
	s_add_i32 s13, s12, 1
	v_cvt_f32_u32_e32 v1, s13
	s_not_b32 s12, s12
	s_ashr_i32 s11, s10, 31
	v_lshl_add_u32 v2, v48, 3, v32
	v_rcp_iflag_f32_e32 v1, v1
	v_and_b32_e32 v5, 63, v2
	v_and_b32_e32 v0, 3, v0
	v_lshrrev_b32_e32 v6, 2, v2
	v_mul_f32_e32 v1, 0x4f7ffffe, v1
	v_cvt_u32_f32_e32 v1, v1
	v_lshrrev_b32_e32 v4, 6, v2
	v_mov_b32_e32 v9, 0
	v_lshlrev_b32_e32 v0, 1, v0
	v_readfirstlane_b32 s16, v1
	s_mul_i32 s12, s12, s16
	s_mul_hi_u32 s12, s16, s12
	s_add_i32 s16, s16, s12
	s_mul_hi_u32 s12, s2, s16
	s_mul_i32 s16, s12, s13
	s_sub_i32 s16, s2, s16
	s_add_i32 s17, s12, 1
	s_sub_i32 s21, s16, s13
	s_cmp_ge_u32 s16, s13
	s_cselect_b32 s12, s17, s12
	s_cselect_b32 s16, s21, s16
	s_add_i32 s17, s12, 1
	s_cmp_ge_u32 s16, s13
	s_cselect_b32 s12, s17, s12
	s_mul_i32 s21, s12, s13
	s_sub_i32 s13, s2, s21
	s_lshl_b32 s16, s12, 7
	s_lshl_b32 s17, s13, 6
	v_or_b32_e32 v2, s16, v5
	s_and_b64 vcc, exec, s[4:5]
	v_add_u32_e32 v11, s17, v6
	v_ashrrev_i32_e32 v3, 31, v2
	s_cbranch_vccnz .LBB300_10
; %bb.8:
	v_mad_i64_i32 v[12:13], s[12:13], v11, s3, 0
	v_lshl_add_u64 v[12:13], v[12:13], 1, s[18:19]
	v_mov_b32_e32 v1, 0
	v_lshl_add_u64 v[12:13], v[12:13], 0, v[0:1]
	global_load_ushort v1, v[12:13], off
	v_mad_i64_i32 v[12:13], s[12:13], s10, v4, 0
	v_lshl_add_u64 v[12:13], v[12:13], 1, s[22:23]
	v_lshl_add_u64 v[12:13], v[2:3], 1, v[12:13]
	global_load_ushort v7, v[12:13], off
	global_load_ushort v8, v[12:13], off offset:128
	s_waitcnt vmcnt(2)
	v_mul_f16_e32 v10, v33, v1
	s_waitcnt vmcnt(1)
	v_mul_f16_e32 v1, v33, v7
	v_pack_b32_f16 v7, v1, 0
	s_waitcnt vmcnt(0)
	v_mul_f16_e32 v8, v33, v8
	s_and_b64 vcc, exec, s[4:5]
	s_cbranch_vccnz .LBB300_11
.LBB300_9:
	v_mad_i64_i32 v[12:13], s[4:5], v11, s3, 0
	v_lshl_add_u64 v[12:13], v[12:13], 1, s[18:19]
	v_mov_b32_e32 v1, 0
	v_lshl_add_u64 v[12:13], v[12:13], 0, v[0:1]
	v_add_u32_e32 v9, 4, v4
	global_load_ushort v1, v[12:13], off offset:8
	v_mad_i64_i32 v[12:13], s[4:5], s10, v9, 0
	v_lshl_add_u64 v[12:13], v[12:13], 1, s[22:23]
	v_lshl_add_u64 v[2:3], v[2:3], 1, v[12:13]
	global_load_ushort v11, v[2:3], off
	global_load_ushort v12, v[2:3], off offset:128
	s_waitcnt vmcnt(2)
	v_mul_f16_e32 v9, v33, v1
	s_waitcnt vmcnt(1)
	v_mul_f16_e32 v1, v33, v11
	v_pack_b32_f16 v1, v1, 0
	s_waitcnt vmcnt(0)
	v_mul_f16_e32 v2, v33, v12
	s_branch .LBB300_12
.LBB300_10:
	v_mov_b32_e32 v7, 0
	v_mov_b32_e32 v10, 0
	;; [unrolled: 1-line block ×3, first 2 shown]
	s_and_b64 vcc, exec, s[4:5]
	s_cbranch_vccz .LBB300_9
.LBB300_11:
	v_mov_b32_e32 v1, 0
	v_mov_b32_e32 v2, 0
.LBB300_12:
	v_lshlrev_b32_e32 v3, 3, v5
	v_lshlrev_b32_e32 v35, 3, v32
	v_lshl_or_b32 v0, v6, 3, v0
	v_lshl_add_u32 v36, v4, 1, v3
	v_lshlrev_b32_e32 v34, 3, v48
	v_add_u32_e32 v37, 0x800, v35
	ds_write_b16 v0, v10 offset:2048
	ds_write_b16 v36, v7
	ds_write_b16 v36, v8 offset:512
	s_waitcnt lgkmcnt(0)
	s_barrier
	ds_read2_b64 v[10:13], v34 offset1:32
	ds_read2_b64 v[14:17], v37 offset0:48 offset1:56
	ds_read2_b64 v[18:21], v34 offset0:64 offset1:96
	ds_read2_b64 v[22:25], v37 offset1:8
	ds_read2_b64 v[60:63], v37 offset0:32 offset1:40
	ds_read2_b64 v[26:29], v37 offset0:16 offset1:24
	s_waitcnt lgkmcnt(5)
	v_pk_max_f16 v3, v10, v10
	s_waitcnt lgkmcnt(4)
	v_pk_max_f16 v10, v16, v16
	v_pk_max_f16 v12, v12, v12
	s_waitcnt lgkmcnt(3)
	v_pk_max_f16 v16, v18, v18
	;; [unrolled: 3-line block ×3, first 2 shown]
	v_pk_max_f16 v18, v22, v22
	v_pk_min_f16 v60, v38, v3
	v_pk_min_f16 v64, v38, v12
	;; [unrolled: 1-line block ×4, first 2 shown]
	v_pk_max_f16 v38, v62, v62
	v_pk_max_f16 v24, v24, v24
	s_waitcnt lgkmcnt(0)
	v_pk_max_f16 v26, v26, v26
	v_pk_max_f16 v28, v28, v28
	;; [unrolled: 1-line block ×3, first 2 shown]
	v_pk_min_f16 v67, v38, v3
	v_pk_min_f16 v68, v38, v12
	;; [unrolled: 1-line block ×5, first 2 shown]
	v_pk_max_f16 v14, v14, v14
	v_pk_max_f16 v17, v17, v17
	v_pk_min_f16 v22, v18, v3
	v_pk_min_f16 v30, v18, v12
	v_pk_min_f16 v31, v18, v16
	v_pk_min_f16 v18, v18, v20
	v_pk_min_f16 v45, v24, v3
	v_pk_min_f16 v47, v24, v12
	v_pk_min_f16 v49, v24, v16
	v_pk_min_f16 v24, v24, v20
	v_pk_min_f16 v51, v26, v3
	v_pk_min_f16 v53, v26, v12
	v_pk_min_f16 v54, v26, v16
	v_pk_min_f16 v26, v26, v20
	v_pk_min_f16 v55, v28, v3
	v_pk_min_f16 v57, v28, v12
	v_pk_max_f16 v13, v13, v13
	v_pk_min_f16 v58, v28, v16
	v_pk_min_f16 v28, v28, v20
	;; [unrolled: 1-line block ×9, first 2 shown]
	v_pk_add_f16 v20, v38, 0
	v_pk_min_f16 v38, v17, v11
	v_pk_max_f16 v19, v19, v19
	v_pk_add_f16 v41, v20, v38
	v_pk_add_f16 v20, v39, 0
	v_pk_min_f16 v38, v17, v13
	v_pk_max_f16 v23, v23, v23
	v_pk_add_f16 v38, v20, v38
	;; [unrolled: 4-line block ×4, first 2 shown]
	v_pk_add_f16 v20, v30, 0
	v_pk_min_f16 v22, v23, v13
	v_pk_add_f16 v18, v18, 0
	v_pk_add_f16 v42, v20, v22
	;; [unrolled: 1-line block ×3, first 2 shown]
	v_pk_min_f16 v22, v23, v19
	v_pk_max_f16 v27, v27, v27
	v_pk_add_f16 v43, v20, v22
	v_pk_min_f16 v20, v23, v21
	v_pk_max_f16 v29, v29, v29
	v_pk_add_f16 v44, v18, v20
	v_pk_add_f16 v18, v45, 0
	v_pk_min_f16 v20, v25, v11
	v_pk_max_f16 v15, v15, v15
	v_pk_add_f16 v46, v18, v20
	v_pk_add_f16 v18, v47, 0
	v_pk_min_f16 v20, v25, v13
	s_load_dword s12, s[0:1], 0x8
	v_pk_add_f16 v50, v18, v20
	v_pk_add_f16 v18, v49, 0
	v_pk_min_f16 v20, v25, v19
	v_pk_add_f16 v3, v3, 0
	v_pk_add_f16 v45, v18, v20
	;; [unrolled: 1-line block ×3, first 2 shown]
	v_pk_min_f16 v20, v25, v21
	v_pk_max_f16 v24, v63, v63
	v_pk_add_f16 v49, v18, v20
	v_pk_add_f16 v18, v51, 0
	v_pk_min_f16 v20, v27, v11
	v_pk_min_f16 v25, v24, v11
	v_pk_add_f16 v47, v18, v20
	v_pk_add_f16 v18, v53, 0
	v_pk_min_f16 v20, v27, v13
	v_pk_add_f16 v12, v12, 0
	v_pk_add_f16 v51, v18, v20
	v_pk_add_f16 v18, v54, 0
	v_pk_min_f16 v20, v27, v19
	v_pk_add_f16 v16, v16, 0
	;; [unrolled: 4-line block ×5, first 2 shown]
	v_pk_add_f16 v59, v18, v20
	v_pk_add_f16 v18, v58, 0
	v_pk_min_f16 v20, v29, v19
	s_waitcnt lgkmcnt(0)
	s_cmp_lt_i32 s12, 9
	v_pk_add_f16 v55, v18, v20
	v_pk_add_f16 v18, v28, 0
	v_pk_min_f16 v20, v29, v21
	ds_write_b16 v0, v9 offset:2560
	ds_write_b16 v36, v1 offset:1024
	;; [unrolled: 1-line block ×3, first 2 shown]
	v_pk_add_f16 v57, v18, v20
	v_pk_max_f16 v20, v61, v61
	v_pk_add_f16 v18, v60, 0
	v_pk_min_f16 v22, v20, v11
	v_pk_min_f16 v11, v15, v11
	v_pk_add_f16 v58, v18, v22
	v_pk_add_f16 v18, v64, 0
	v_pk_min_f16 v22, v20, v13
	s_waitcnt lgkmcnt(0)
	v_pk_add_f16 v60, v18, v22
	v_pk_add_f16 v18, v65, 0
	v_pk_min_f16 v22, v20, v19
	v_pk_min_f16 v20, v20, v21
	v_pk_add_f16 v61, v18, v22
	v_pk_add_f16 v18, v66, 0
	;; [unrolled: 1-line block ×6, first 2 shown]
	v_pk_min_f16 v3, v15, v13
	v_pk_add_f16 v20, v68, 0
	v_pk_add_f16 v63, v18, v25
	v_pk_min_f16 v18, v24, v13
	v_pk_add_f16 v68, v12, v3
	v_pk_min_f16 v3, v15, v19
	v_pk_add_f16 v64, v20, v18
	v_pk_min_f16 v18, v24, v19
	v_pk_add_f16 v69, v16, v3
	v_pk_min_f16 v3, v15, v21
	v_pk_add_f16 v65, v22, v18
	v_pk_min_f16 v18, v24, v21
	v_pk_add_f16 v70, v14, v3
	v_pk_min_f16 v3, v17, v21
	v_pk_add_f16 v66, v23, v18
	v_pk_add_f16 v71, v10, v3
	s_barrier
	s_cbranch_scc1 .LBB300_23
; %bb.13:
	s_mov_b32 s13, 0x5040100
	v_perm_b32 v82, v2, v1, s13
	v_mov_b32_e32 v1, 0xa00
	v_lshl_add_u32 v75, v32, 3, v1
	v_mov_b32_e32 v1, 0x400
	v_lshl_add_u32 v76, v48, 3, v1
	v_lshl_add_u32 v1, s2, 6, v6
	s_lshl_b32 s2, s21, 6
	v_subrev_u32_e32 v1, s2, v1
	v_mad_i64_i32 v[2:3], s[2:3], s3, v1, 0
	v_and_b32_e32 v1, 3, v32
	v_add_u32_e32 v72, 0x800, v0
	v_add_u32_e32 v73, 0xa00, v0
	v_perm_b32 v0, v8, v7, s13
	v_lshlrev_b32_e32 v6, 1, v1
	v_mov_b32_e32 v7, 0
	v_lshl_add_u64 v[2:3], v[2:3], 1, v[6:7]
	v_lshl_add_u64 v[2:3], s[18:19], 0, v[2:3]
	v_add_u32_e32 v1, 12, v4
	v_lshl_add_u64 v[24:25], v[2:3], 0, 16
	v_mad_i64_i32 v[2:3], s[2:3], v1, s10, 0
	v_lshlrev_b64 v[26:27], 1, v[2:3]
	v_add_u32_e32 v2, s16, v5
	v_ashrrev_i32_e32 v3, 31, v2
	v_lshl_add_u64 v[2:3], v[2:3], 1, s[22:23]
	s_mov_b64 s[2:3], 0x80
	v_add_u32_e32 v1, 8, v4
	v_lshl_add_u64 v[28:29], v[2:3], 0, s[2:3]
	v_mad_i64_i32 v[2:3], s[4:5], v1, s10, 0
	v_or_b32_e32 v74, 0x400, v36
	s_add_i32 s12, s12, -8
	s_lshl_b64 s[2:3], s[10:11], 4
	v_lshlrev_b64 v[30:31], 1, v[2:3]
	s_mov_b32 s10, 0
	s_mov_b32 s11, 0xffff
	s_branch .LBB300_15
.LBB300_14:                             ;   in Loop: Header=BB300_15 Depth=1
	v_pk_max_f16 v2, v2, v2
	v_pk_max_f16 v20, v20, v20
	;; [unrolled: 1-line block ×10, first 2 shown]
	v_pk_min_f16 v88, v8, v20
	v_pk_max_f16 v21, v21, v21
	v_pk_max_f16 v23, v23, v23
	v_pk_min_f16 v89, v8, v22
	v_pk_min_f16 v90, v8, v16
	;; [unrolled: 1-line block ×3, first 2 shown]
	v_pk_max_f16 v17, v17, v17
	v_pk_max_f16 v19, v19, v19
	;; [unrolled: 1-line block ×9, first 2 shown]
	v_pk_min_f16 v94, v4, v20
	v_pk_max_f16 v0, v0, v0
	v_pk_max_f16 v3, v3, v3
	;; [unrolled: 1-line block ×3, first 2 shown]
	v_pk_min_f16 v95, v4, v22
	v_pk_min_f16 v96, v4, v16
	;; [unrolled: 1-line block ×59, first 2 shown]
	v_pk_add_f16 v3, v41, v100
	v_pk_add_f16 v8, v54, v8
	;; [unrolled: 1-line block ×26, first 2 shown]
	ds_read2_b64 v[2:5], v37 offset0:48 offset1:56
	ds_read2_b64 v[6:9], v34 offset1:32
	v_pk_add_f16 v39, v39, v82
	v_pk_add_f16 v54, v58, v94
	;; [unrolled: 1-line block ×3, first 2 shown]
	s_waitcnt lgkmcnt(1)
	v_pk_max_f16 v4, v4, v4
	s_waitcnt lgkmcnt(0)
	v_pk_max_f16 v6, v6, v6
	v_pk_add_f16 v22, v68, v22
	v_pk_add_f16 v16, v69, v16
	;; [unrolled: 1-line block ×8, first 2 shown]
	ds_read2_b64 v[10:13], v34 offset0:64 offset1:96
	v_pk_min_f16 v14, v4, v6
	v_pk_add_f16 v22, v22, v23
	v_pk_add_f16 v23, v16, v17
	;; [unrolled: 1-line block ×3, first 2 shown]
	ds_read2_b64 v[14:17], v37 offset1:8
	v_pk_add_f16 v38, v38, v101
	v_pk_max_f16 v8, v8, v8
	v_pk_add_f16 v40, v40, v102
	v_pk_add_f16 v38, v38, v121
	;; [unrolled: 1-line block ×3, first 2 shown]
	v_pk_min_f16 v19, v4, v8
	s_waitcnt lgkmcnt(1)
	v_pk_max_f16 v10, v10, v10
	v_pk_add_f16 v40, v40, v122
	v_pk_add_f16 v38, v38, v19
	v_pk_min_f16 v19, v4, v10
	s_waitcnt lgkmcnt(0)
	v_pk_max_f16 v14, v14, v14
	v_pk_add_f16 v40, v40, v19
	v_pk_min_f16 v19, v14, v6
	v_pk_add_f16 v0, v70, v0
	v_pk_add_f16 v70, v18, v19
	v_pk_min_f16 v18, v14, v8
	v_pk_max_f16 v16, v16, v16
	v_pk_add_f16 v71, v39, v18
	v_pk_min_f16 v18, v14, v10
	v_pk_add_f16 v43, v43, v105
	v_pk_add_f16 v1, v0, v1
	v_perm_b32 v0, v81, v80, s13
	v_pk_add_f16 v80, v41, v18
	v_pk_min_f16 v18, v16, v6
	v_pk_add_f16 v20, v67, v20
	v_pk_add_f16 v44, v44, v106
	;; [unrolled: 1-line block ×3, first 2 shown]
	v_pk_min_f16 v18, v16, v8
	v_pk_add_f16 v67, v20, v21
	v_pk_add_f16 v82, v44, v18
	ds_read2_b64 v[18:21], v37 offset0:16 offset1:24
	v_pk_add_f16 v45, v45, v87
	v_pk_min_f16 v39, v16, v10
	v_pk_add_f16 v45, v45, v107
	v_pk_add_f16 v46, v46, v108
	s_waitcnt lgkmcnt(0)
	v_pk_max_f16 v18, v18, v18
	v_pk_add_f16 v45, v45, v39
	v_pk_min_f16 v39, v18, v6
	v_pk_add_f16 v47, v47, v109
	v_pk_max_f16 v12, v12, v12
	v_pk_add_f16 v83, v46, v39
	v_pk_min_f16 v39, v18, v8
	v_pk_min_f16 v16, v16, v12
	v_pk_add_f16 v84, v47, v39
	v_pk_min_f16 v39, v18, v10
	v_pk_min_f16 v18, v18, v12
	v_pk_add_f16 v16, v62, v16
	v_pk_add_f16 v18, v63, v18
	ds_read2_b64 v[60:63], v37 offset0:32 offset1:40
	v_pk_add_f16 v49, v49, v110
	v_pk_max_f16 v20, v20, v20
	v_pk_add_f16 v50, v50, v111
	v_pk_add_f16 v85, v49, v39
	v_pk_min_f16 v39, v20, v6
	v_pk_add_f16 v51, v51, v112
	v_pk_add_f16 v86, v50, v39
	v_pk_min_f16 v39, v20, v8
	;; [unrolled: 3-line block ×3, first 2 shown]
	v_pk_add_f16 v54, v54, v114
	v_pk_add_f16 v88, v53, v39
	s_waitcnt lgkmcnt(0)
	v_pk_max_f16 v39, v60, v60
	v_pk_add_f16 v55, v55, v115
	v_pk_min_f16 v41, v39, v6
	v_pk_min_f16 v20, v20, v12
	v_pk_add_f16 v60, v54, v41
	v_pk_min_f16 v41, v39, v8
	v_pk_add_f16 v20, v64, v20
	v_pk_add_f16 v64, v55, v41
	v_pk_min_f16 v41, v39, v10
	v_pk_min_f16 v39, v39, v12
	v_pk_add_f16 v56, v56, v116
	v_pk_add_f16 v65, v65, v39
	v_pk_max_f16 v39, v62, v62
	v_pk_add_f16 v57, v57, v117
	v_pk_add_f16 v89, v56, v41
	v_pk_min_f16 v41, v39, v6
	v_pk_add_f16 v58, v58, v118
	v_pk_add_f16 v90, v57, v41
	v_pk_min_f16 v41, v39, v8
	v_pk_max_f16 v2, v2, v2
	v_pk_add_f16 v91, v58, v41
	v_pk_min_f16 v41, v39, v10
	v_pk_min_f16 v6, v2, v6
	;; [unrolled: 1-line block ×5, first 2 shown]
	v_pk_add_f16 v59, v59, v119
	v_pk_add_f16 v1, v1, v2
	v_pk_min_f16 v2, v4, v12
	v_pk_max_f16 v4, v5, v5
	v_pk_max_f16 v5, v7, v7
	v_pk_add_f16 v92, v59, v41
	v_pk_min_f16 v7, v4, v5
	v_pk_min_f16 v14, v14, v12
	v_pk_add_f16 v41, v69, v7
	v_pk_max_f16 v7, v9, v9
	v_pk_min_f16 v39, v39, v12
	v_pk_min_f16 v9, v4, v7
	v_pk_add_f16 v66, v66, v39
	v_pk_add_f16 v38, v38, v9
	v_pk_max_f16 v9, v11, v11
	v_pk_add_f16 v14, v42, v14
	v_pk_min_f16 v11, v4, v9
	v_pk_max_f16 v3, v3, v3
	v_pk_add_f16 v40, v40, v11
	v_pk_max_f16 v11, v15, v15
	v_pk_add_f16 v6, v67, v6
	v_pk_min_f16 v12, v11, v5
	v_pk_add_f16 v8, v22, v8
	v_pk_add_f16 v39, v70, v12
	v_pk_min_f16 v12, v11, v7
	v_pk_add_f16 v2, v68, v2
	v_pk_add_f16 v42, v71, v12
	v_pk_min_f16 v12, v11, v9
	v_pk_add_f16 v10, v23, v10
	v_pk_add_f16 v43, v80, v12
	v_pk_max_f16 v12, v13, v13
	s_add_i32 s10, s10, 8
	v_pk_min_f16 v11, v11, v12
	v_lshl_add_u64 v[24:25], v[24:25], 0, 16
	v_pk_add_f16 v44, v14, v11
	v_pk_max_f16 v11, v17, v17
	s_cmp_ge_i32 s10, s12
	v_pk_min_f16 v13, v11, v5
	v_lshl_add_u64 v[28:29], v[28:29], 0, s[2:3]
	v_pk_add_f16 v46, v81, v13
	v_pk_min_f16 v13, v11, v7
	ds_write_b16 v73, v78
	ds_write_b16 v74, v77
	ds_write_b16 v74, v79 offset:512
	v_pk_add_f16 v50, v82, v13
	v_pk_min_f16 v13, v11, v9
	v_pk_min_f16 v11, v11, v12
	v_pk_add_f16 v45, v45, v13
	v_pk_add_f16 v49, v16, v11
	v_pk_max_f16 v11, v19, v19
	v_perm_b32 v82, v79, v77, s13
	v_pk_min_f16 v13, v11, v5
	s_waitcnt lgkmcnt(0)
	v_pk_add_f16 v47, v83, v13
	v_pk_min_f16 v13, v11, v7
	s_barrier
	v_pk_add_f16 v51, v84, v13
	v_pk_min_f16 v13, v11, v9
	v_pk_min_f16 v11, v11, v12
	v_pk_add_f16 v53, v85, v13
	v_pk_add_f16 v54, v18, v11
	v_pk_max_f16 v11, v21, v21
	s_nop 0
	v_pk_min_f16 v13, v11, v5
	s_nop 0
	v_pk_add_f16 v56, v86, v13
	v_pk_min_f16 v13, v11, v7
	s_nop 0
	v_pk_add_f16 v59, v87, v13
	v_pk_min_f16 v13, v11, v9
	v_pk_min_f16 v11, v11, v12
	v_pk_add_f16 v55, v88, v13
	v_pk_add_f16 v57, v20, v11
	v_pk_max_f16 v11, v61, v61
	s_nop 0
	v_pk_min_f16 v13, v11, v5
	s_nop 0
	v_pk_add_f16 v58, v60, v13
	v_pk_min_f16 v13, v11, v7
	s_nop 0
	v_pk_add_f16 v60, v64, v13
	v_pk_min_f16 v13, v11, v9
	v_pk_min_f16 v11, v11, v12
	v_pk_add_f16 v61, v89, v13
	v_pk_add_f16 v62, v65, v11
	v_pk_max_f16 v11, v63, v63
	s_nop 0
	v_pk_min_f16 v13, v11, v5
	v_pk_min_f16 v5, v3, v5
	v_pk_add_f16 v63, v90, v13
	v_pk_add_f16 v67, v6, v5
	v_pk_min_f16 v5, v3, v7
	v_pk_min_f16 v13, v11, v7
	v_pk_add_f16 v68, v8, v5
	v_pk_min_f16 v5, v3, v9
	v_pk_min_f16 v3, v3, v12
	;; [unrolled: 3-line block ×3, first 2 shown]
	v_pk_add_f16 v70, v1, v3
	v_pk_min_f16 v1, v4, v12
	v_pk_add_f16 v65, v92, v13
	v_pk_add_f16 v66, v66, v11
	;; [unrolled: 1-line block ×4, first 2 shown]
	s_cbranch_scc1 .LBB300_23
.LBB300_15:                             ; =>This Inner Loop Header: Depth=1
	s_mov_b64 s[4:5], -1
	s_mov_b64 vcc, s[8:9]
                                        ; implicit-def: $vgpr80
	s_cbranch_vccz .LBB300_17
; %bb.16:                               ;   in Loop: Header=BB300_15 Depth=1
	v_and_b32_e32 v80, 0xffff0000, v0
	s_mov_b64 s[4:5], 0
.LBB300_17:                             ;   in Loop: Header=BB300_15 Depth=1
	v_mov_b32_e32 v77, 0
	s_andn2_b64 vcc, exec, s[4:5]
	v_mov_b32_e32 v81, 0
	s_cbranch_vccnz .LBB300_19
; %bb.18:                               ;   in Loop: Header=BB300_15 Depth=1
	global_load_ushort v1, v[24:25], off
	v_lshl_add_u64 v[2:3], v[28:29], 0, v[30:31]
	global_load_ushort v4, v[2:3], off offset:-128
	global_load_ushort v5, v[2:3], off
	s_waitcnt vmcnt(2)
	v_mul_f16_e32 v77, v33, v1
	s_waitcnt vmcnt(1)
	v_mul_f16_e32 v1, v33, v4
	v_bfi_b32 v80, s11, v1, v0
	s_waitcnt vmcnt(0)
	v_mul_f16_e32 v81, v33, v5
.LBB300_19:                             ;   in Loop: Header=BB300_15 Depth=1
	ds_read2_b64 v[0:3], v75 offset0:48 offset1:56
	ds_read2_b64 v[16:19], v76 offset0:64 offset1:96
	ds_read2_b64 v[20:23], v76 offset1:32
	ds_read2_b64 v[12:15], v75 offset1:8
	ds_read2_b64 v[8:11], v75 offset0:16 offset1:24
	ds_read2_b64 v[4:7], v75 offset0:32 offset1:40
	s_mov_b64 s[4:5], -1
	s_mov_b64 vcc, s[8:9]
	ds_write_b16 v72, v77
	ds_write_b16 v36, v80
	ds_write_b16 v36, v81 offset:512
	s_waitcnt lgkmcnt(0)
	s_barrier
                                        ; implicit-def: $vgpr77
	s_cbranch_vccz .LBB300_21
; %bb.20:                               ;   in Loop: Header=BB300_15 Depth=1
	v_and_b32_e32 v77, 0xffff0000, v82
	s_mov_b64 s[4:5], 0
.LBB300_21:                             ;   in Loop: Header=BB300_15 Depth=1
	v_mov_b32_e32 v78, 0
	s_andn2_b64 vcc, exec, s[4:5]
	v_mov_b32_e32 v79, 0
	s_cbranch_vccnz .LBB300_14
; %bb.22:                               ;   in Loop: Header=BB300_15 Depth=1
	global_load_ushort v77, v[24:25], off offset:8
	v_lshl_add_u64 v[78:79], v[28:29], 0, v[26:27]
	global_load_ushort v83, v[78:79], off offset:-128
	global_load_ushort v84, v[78:79], off
	s_waitcnt vmcnt(2)
	v_mul_f16_e32 v78, v33, v77
	s_waitcnt vmcnt(1)
	v_mul_f16_e32 v77, v33, v83
	v_bfi_b32 v77, s11, v77, v82
	s_waitcnt vmcnt(0)
	v_mul_f16_e32 v79, v33, v84
	s_branch .LBB300_14
.LBB300_23:
	s_load_dwordx2 s[2:3], s[0:1], 0x78
	s_load_dword s12, s[0:1], 0x58
	s_load_dword s13, s[0:1], 0x70
	v_add_u32_e32 v12, 0x800, v35
	ds_read2_b64 v[0:3], v34 offset0:128 offset1:160
	ds_read2_b64 v[4:7], v12 offset0:112 offset1:120
	;; [unrolled: 1-line block ×4, first 2 shown]
	s_waitcnt lgkmcnt(0)
	s_mul_i32 s1, s3, s20
	v_pk_max_f16 v2, v2, v2
	v_pk_max_f16 v6, v6, v6
	;; [unrolled: 1-line block ×4, first 2 shown]
	v_pk_min_f16 v15, v6, v8
	v_pk_max_f16 v10, v10, v10
	v_pk_add_f16 v28, v40, v15
	v_pk_max_f16 v15, v16, v16
	v_pk_max_f16 v4, v4, v4
	v_pk_min_f16 v20, v15, v2
	v_pk_min_f16 v16, v15, v0
	v_pk_add_f16 v29, v42, v20
	v_pk_min_f16 v20, v15, v8
	v_pk_min_f16 v15, v15, v10
	v_pk_add_f16 v30, v43, v20
	v_pk_add_f16 v31, v44, v15
	v_pk_max_f16 v15, v18, v18
	v_pk_min_f16 v13, v6, v0
	v_pk_min_f16 v20, v15, v2
	;; [unrolled: 1-line block ×3, first 2 shown]
	v_pk_add_f16 v50, v50, v20
	ds_read2_b64 v[20:23], v12 offset0:80 offset1:88
	v_pk_min_f16 v24, v15, v8
	v_pk_min_f16 v15, v15, v10
	v_pk_add_f16 v72, v45, v24
	v_pk_add_f16 v49, v49, v15
	s_waitcnt lgkmcnt(0)
	v_pk_max_f16 v15, v20, v20
	v_pk_add_f16 v13, v41, v13
	v_pk_min_f16 v24, v15, v2
	v_pk_min_f16 v20, v15, v0
	v_pk_add_f16 v51, v51, v24
	v_pk_min_f16 v24, v15, v8
	v_pk_min_f16 v15, v15, v10
	v_pk_add_f16 v73, v53, v24
	v_pk_add_f16 v54, v54, v15
	v_pk_max_f16 v15, v22, v22
	v_pk_min_f16 v14, v6, v2
	v_pk_min_f16 v22, v15, v0
	v_pk_min_f16 v24, v15, v2
	v_pk_add_f16 v22, v56, v22
	v_pk_add_f16 v56, v59, v24
	ds_read2_b64 v[24:27], v12 offset0:96 offset1:104
	v_pk_min_f16 v12, v15, v8
	v_pk_add_f16 v14, v38, v14
	v_pk_add_f16 v55, v55, v12
	v_pk_min_f16 v12, v15, v10
	s_mul_hi_u32 s3, s2, s20
	v_pk_add_f16 v57, v57, v12
	s_waitcnt lgkmcnt(0)
	v_pk_max_f16 v12, v24, v24
	s_mul_i32 s0, s2, s20
	v_pk_min_f16 v15, v12, v0
	s_add_i32 s1, s3, s1
	v_pk_add_f16 v24, v58, v15
	v_pk_min_f16 v15, v12, v2
	s_lshl_b64 s[0:1], s[0:1], 1
	v_pk_add_f16 v58, v60, v15
	v_pk_min_f16 v15, v12, v8
	v_pk_min_f16 v12, v12, v10
	v_pk_add_f16 v59, v61, v15
	v_pk_add_f16 v60, v62, v12
	v_pk_max_f16 v12, v26, v26
	v_pk_max_f16 v11, v11, v11
	v_pk_min_f16 v15, v12, v0
	v_pk_min_f16 v0, v4, v0
	v_pk_add_f16 v26, v63, v15
	v_pk_min_f16 v15, v12, v2
	v_pk_max_f16 v23, v23, v23
	v_pk_add_f16 v61, v64, v15
	v_pk_min_f16 v15, v12, v8
	v_pk_add_f16 v64, v67, v0
	v_pk_min_f16 v0, v4, v2
	;; [unrolled: 2-line block ×4, first 2 shown]
	v_pk_add_f16 v63, v66, v12
	v_pk_add_f16 v66, v69, v0
	v_pk_min_f16 v0, v4, v10
	v_pk_max_f16 v12, v19, v19
	v_pk_add_f16 v67, v70, v0
	v_pk_min_f16 v0, v6, v10
	v_pk_max_f16 v19, v21, v21
	v_pk_add_f16 v68, v71, v0
	v_pk_max_f16 v0, v1, v1
	v_pk_max_f16 v1, v7, v7
	;; [unrolled: 1-line block ×3, first 2 shown]
	v_pk_min_f16 v2, v1, v0
	v_pk_max_f16 v27, v27, v27
	v_pk_add_f16 v7, v13, v2
	v_pk_max_f16 v2, v3, v3
	v_pk_max_f16 v5, v5, v5
	v_pk_min_f16 v3, v1, v2
	v_add_u32_e32 v32, s17, v32
	v_pk_add_f16 v15, v14, v3
	v_pk_max_f16 v3, v9, v9
	s_add_u32 s8, s14, s0
	v_pk_min_f16 v4, v1, v3
	v_pk_add_f16 v16, v39, v16
	v_pk_add_f16 v9, v28, v4
	v_pk_max_f16 v4, v17, v17
	v_pk_add_f16 v18, v46, v18
	v_pk_add_f16 v20, v47, v20
	v_pk_min_f16 v6, v4, v0
	v_pk_min_f16 v8, v4, v2
	;; [unrolled: 1-line block ×29, first 2 shown]
	v_add_u32_e32 v34, 8, v32
	v_add_u32_e32 v36, 16, v32
	;; [unrolled: 1-line block ×7, first 2 shown]
	v_cmp_neq_f16_e64 s[4:5], 0, v52
	s_addc_u32 s9, s15, s1
	v_ashrrev_i32_e32 v33, 31, v32
	v_ashrrev_i32_e32 v35, 31, v34
	;; [unrolled: 1-line block ×8, first 2 shown]
	v_add_u32_e32 v53, s16, v48
	s_mov_b64 s[10:11], 15
	v_pk_add_f16 v0, v16, v6
	v_pk_add_f16 v8, v29, v8
	;; [unrolled: 1-line block ×29, first 2 shown]
	s_branch .LBB300_25
.LBB300_24:                             ;   in Loop: Header=BB300_25 Depth=1
	s_add_i32 s0, s10, -1
	s_cmp_eq_u32 s0, 1
	s_cselect_b64 vcc, -1, 0
	s_cmp_eq_u32 s0, 2
	v_cndmask_b32_e32 v48, v0, v54, vcc
	s_cselect_b64 vcc, -1, 0
	s_cmp_eq_u32 s0, 3
	v_cndmask_b32_e32 v48, v48, v1, vcc
	;; [unrolled: 3-line block ×62, first 2 shown]
	s_cselect_b64 vcc, -1, 0
	s_cmp_eq_u32 s10, 1
	s_cselect_b64 s[0:1], -1, 0
	s_cmp_eq_u32 s10, 2
	v_cndmask_b32_e64 v49, v0, v54, s[0:1]
	s_cselect_b64 s[0:1], -1, 0
	s_cmp_eq_u32 s10, 3
	v_cndmask_b32_e64 v49, v49, v1, s[0:1]
	;; [unrolled: 3-line block ×61, first 2 shown]
	v_cndmask_b32_e32 v48, v48, v85, vcc
	s_cselect_b64 vcc, -1, 0
	s_cmp_eq_u32 s10, 63
	v_cndmask_b32_e32 v49, v49, v31, vcc
	s_cselect_b64 vcc, -1, 0
	v_cndmask_b32_e32 v49, v49, v85, vcc
	s_add_u32 s10, s10, 16
	v_add_f16_e32 v48, v48, v49
	s_addc_u32 s11, s11, 0
	v_add_f16_e32 v54, v48, v86
	v_lshl_add_u64 v[48:49], v[46:47], 1, v[50:51]
	s_cmpk_lg_i32 s10, 0x4f
	v_add_u32_e32 v53, 32, v53
	global_store_short v[48:49], v54, off
	s_cbranch_scc0 .LBB300_41
.LBB300_25:                             ; =>This Inner Loop Header: Depth=1
	v_mad_i64_i32 v[48:49], s[0:1], v53, s12, 0
	v_cndmask_b32_e64 v50, 0, 1, s[4:5]
	v_lshl_add_u64 v[48:49], v[48:49], 1, s[6:7]
	v_mov_b32_e32 v86, 0
	v_cmp_ne_u32_e64 s[2:3], 1, v50
	s_andn2_b64 vcc, exec, s[4:5]
	v_mov_b32_e32 v50, 0
	s_cbranch_vccnz .LBB300_27
; %bb.26:                               ;   in Loop: Header=BB300_25 Depth=1
	v_lshl_add_u64 v[50:51], v[32:33], 1, v[48:49]
	global_load_ushort v50, v[50:51], off
	s_waitcnt vmcnt(0)
	v_mul_f16_e32 v50, v52, v50
.LBB300_27:                             ;   in Loop: Header=BB300_25 Depth=1
	s_add_i32 s0, s10, -15
	s_cmp_eq_u32 s0, 1
	v_lshrrev_b32_e32 v54, 16, v0
	s_cselect_b64 vcc, -1, 0
	s_cmp_eq_u32 s0, 2
	v_cndmask_b32_e32 v51, v0, v54, vcc
	s_cselect_b64 vcc, -1, 0
	s_cmp_eq_u32 s0, 3
	v_cndmask_b32_e32 v51, v51, v1, vcc
	v_lshrrev_b32_e32 v55, 16, v1
	s_cselect_b64 vcc, -1, 0
	s_cmp_eq_u32 s0, 4
	v_cndmask_b32_e32 v51, v51, v55, vcc
	s_cselect_b64 vcc, -1, 0
	s_cmp_eq_u32 s0, 5
	v_cndmask_b32_e32 v51, v51, v4, vcc
	;; [unrolled: 7-line block ×31, first 2 shown]
	s_cselect_b64 vcc, -1, 0
	s_add_i32 s0, s10, -14
	v_lshrrev_b32_e32 v85, 16, v31
	s_cmp_eq_u32 s0, 1
	v_cndmask_b32_e32 v51, v51, v85, vcc
	s_cselect_b64 vcc, -1, 0
	s_cmp_eq_u32 s0, 2
	v_cndmask_b32_e32 v87, v0, v54, vcc
	s_cselect_b64 vcc, -1, 0
	;; [unrolled: 3-line block ×63, first 2 shown]
	v_cndmask_b32_e32 v87, v87, v85, vcc
	v_add_f16_e32 v51, v51, v87
	v_add_f16_e32 v87, v51, v50
	v_mad_i64_i32 v[50:51], s[0:1], v53, s13, 0
	v_lshl_add_u64 v[50:51], v[50:51], 1, s[8:9]
	v_lshl_add_u64 v[88:89], v[32:33], 1, v[50:51]
	s_and_b64 vcc, exec, s[2:3]
	global_store_short v[88:89], v87, off
	s_cbranch_vccnz .LBB300_29
; %bb.28:                               ;   in Loop: Header=BB300_25 Depth=1
	v_lshl_add_u64 v[86:87], v[34:35], 1, v[48:49]
	global_load_ushort v86, v[86:87], off
	s_waitcnt vmcnt(0)
	v_mul_f16_e32 v86, v52, v86
.LBB300_29:                             ;   in Loop: Header=BB300_25 Depth=1
	s_add_i32 s0, s10, -13
	s_cmp_eq_u32 s0, 1
	s_cselect_b64 vcc, -1, 0
	s_cmp_eq_u32 s0, 2
	v_cndmask_b32_e32 v87, v0, v54, vcc
	s_cselect_b64 vcc, -1, 0
	s_cmp_eq_u32 s0, 3
	v_cndmask_b32_e32 v87, v87, v1, vcc
	;; [unrolled: 3-line block ×62, first 2 shown]
	s_cselect_b64 vcc, -1, 0
	s_add_i32 s0, s10, -12
	s_cmp_eq_u32 s0, 1
	v_cndmask_b32_e32 v87, v87, v85, vcc
	s_cselect_b64 vcc, -1, 0
	s_cmp_eq_u32 s0, 2
	v_cndmask_b32_e32 v88, v0, v54, vcc
	s_cselect_b64 vcc, -1, 0
	;; [unrolled: 3-line block ×63, first 2 shown]
	v_cndmask_b32_e32 v88, v88, v85, vcc
	v_add_f16_e32 v87, v87, v88
	v_add_f16_e32 v88, v87, v86
	v_lshl_add_u64 v[86:87], v[34:35], 1, v[50:51]
	global_store_short v[86:87], v88, off
	s_and_b64 vcc, exec, s[2:3]
	v_mov_b32_e32 v86, 0
	v_mov_b32_e32 v87, 0
	s_cbranch_vccnz .LBB300_31
; %bb.30:                               ;   in Loop: Header=BB300_25 Depth=1
	v_lshl_add_u64 v[88:89], v[36:37], 1, v[48:49]
	global_load_ushort v87, v[88:89], off
	s_waitcnt vmcnt(0)
	v_mul_f16_e32 v87, v52, v87
.LBB300_31:                             ;   in Loop: Header=BB300_25 Depth=1
	s_add_i32 s0, s10, -11
	s_cmp_eq_u32 s0, 1
	s_cselect_b64 vcc, -1, 0
	s_cmp_eq_u32 s0, 2
	v_cndmask_b32_e32 v88, v0, v54, vcc
	s_cselect_b64 vcc, -1, 0
	s_cmp_eq_u32 s0, 3
	v_cndmask_b32_e32 v88, v88, v1, vcc
	;; [unrolled: 3-line block ×62, first 2 shown]
	s_cselect_b64 vcc, -1, 0
	s_add_i32 s0, s10, -10
	s_cmp_eq_u32 s0, 1
	v_cndmask_b32_e32 v88, v88, v85, vcc
	s_cselect_b64 vcc, -1, 0
	s_cmp_eq_u32 s0, 2
	v_cndmask_b32_e32 v89, v0, v54, vcc
	s_cselect_b64 vcc, -1, 0
	;; [unrolled: 3-line block ×63, first 2 shown]
	v_cndmask_b32_e32 v89, v89, v85, vcc
	v_add_f16_e32 v88, v88, v89
	v_add_f16_e32 v87, v88, v87
	v_lshl_add_u64 v[88:89], v[36:37], 1, v[50:51]
	s_and_b64 vcc, exec, s[2:3]
	global_store_short v[88:89], v87, off
	s_cbranch_vccnz .LBB300_33
; %bb.32:                               ;   in Loop: Header=BB300_25 Depth=1
	v_lshl_add_u64 v[86:87], v[38:39], 1, v[48:49]
	global_load_ushort v86, v[86:87], off
	s_waitcnt vmcnt(0)
	v_mul_f16_e32 v86, v52, v86
.LBB300_33:                             ;   in Loop: Header=BB300_25 Depth=1
	s_add_i32 s0, s10, -9
	s_cmp_eq_u32 s0, 1
	s_cselect_b64 vcc, -1, 0
	s_cmp_eq_u32 s0, 2
	v_cndmask_b32_e32 v87, v0, v54, vcc
	s_cselect_b64 vcc, -1, 0
	s_cmp_eq_u32 s0, 3
	v_cndmask_b32_e32 v87, v87, v1, vcc
	s_cselect_b64 vcc, -1, 0
	s_cmp_eq_u32 s0, 4
	v_cndmask_b32_e32 v87, v87, v55, vcc
	s_cselect_b64 vcc, -1, 0
	s_cmp_eq_u32 s0, 5
	v_cndmask_b32_e32 v87, v87, v4, vcc
	s_cselect_b64 vcc, -1, 0
	s_cmp_eq_u32 s0, 6
	v_cndmask_b32_e32 v87, v87, v56, vcc
	s_cselect_b64 vcc, -1, 0
	s_cmp_eq_u32 s0, 7
	v_cndmask_b32_e32 v87, v87, v5, vcc
	s_cselect_b64 vcc, -1, 0
	s_cmp_eq_u32 s0, 8
	v_cndmask_b32_e32 v87, v87, v57, vcc
	s_cselect_b64 vcc, -1, 0
	s_cmp_eq_u32 s0, 9
	v_cndmask_b32_e32 v87, v87, v16, vcc
	s_cselect_b64 vcc, -1, 0
	s_cmp_eq_u32 s0, 10
	v_cndmask_b32_e32 v87, v87, v58, vcc
	s_cselect_b64 vcc, -1, 0
	s_cmp_eq_u32 s0, 11
	v_cndmask_b32_e32 v87, v87, v23, vcc
	s_cselect_b64 vcc, -1, 0
	s_cmp_eq_u32 s0, 12
	v_cndmask_b32_e32 v87, v87, v59, vcc
	s_cselect_b64 vcc, -1, 0
	s_cmp_eq_u32 s0, 13
	v_cndmask_b32_e32 v87, v87, v24, vcc
	s_cselect_b64 vcc, -1, 0
	s_cmp_eq_u32 s0, 14
	v_cndmask_b32_e32 v87, v87, v60, vcc
	s_cselect_b64 vcc, -1, 0
	s_cmp_eq_u32 s0, 15
	v_cndmask_b32_e32 v87, v87, v7, vcc
	s_cselect_b64 vcc, -1, 0
	s_cmp_eq_u32 s0, 16
	v_cndmask_b32_e32 v87, v87, v61, vcc
	s_cselect_b64 vcc, -1, 0
	s_cmp_eq_u32 s0, 17
	v_cndmask_b32_e32 v87, v87, v8, vcc
	s_cselect_b64 vcc, -1, 0
	s_cmp_eq_u32 s0, 18
	v_cndmask_b32_e32 v87, v87, v62, vcc
	s_cselect_b64 vcc, -1, 0
	s_cmp_eq_u32 s0, 19
	v_cndmask_b32_e32 v87, v87, v11, vcc
	s_cselect_b64 vcc, -1, 0
	s_cmp_eq_u32 s0, 20
	v_cndmask_b32_e32 v87, v87, v63, vcc
	s_cselect_b64 vcc, -1, 0
	s_cmp_eq_u32 s0, 21
	v_cndmask_b32_e32 v87, v87, v12, vcc
	s_cselect_b64 vcc, -1, 0
	s_cmp_eq_u32 s0, 22
	v_cndmask_b32_e32 v87, v87, v64, vcc
	s_cselect_b64 vcc, -1, 0
	s_cmp_eq_u32 s0, 23
	v_cndmask_b32_e32 v87, v87, v17, vcc
	s_cselect_b64 vcc, -1, 0
	s_cmp_eq_u32 s0, 24
	v_cndmask_b32_e32 v87, v87, v65, vcc
	s_cselect_b64 vcc, -1, 0
	s_cmp_eq_u32 s0, 25
	v_cndmask_b32_e32 v87, v87, v18, vcc
	s_cselect_b64 vcc, -1, 0
	s_cmp_eq_u32 s0, 26
	v_cndmask_b32_e32 v87, v87, v66, vcc
	s_cselect_b64 vcc, -1, 0
	s_cmp_eq_u32 s0, 27
	v_cndmask_b32_e32 v87, v87, v25, vcc
	s_cselect_b64 vcc, -1, 0
	s_cmp_eq_u32 s0, 28
	v_cndmask_b32_e32 v87, v87, v67, vcc
	s_cselect_b64 vcc, -1, 0
	s_cmp_eq_u32 s0, 29
	v_cndmask_b32_e32 v87, v87, v26, vcc
	s_cselect_b64 vcc, -1, 0
	s_cmp_eq_u32 s0, 30
	v_cndmask_b32_e32 v87, v87, v68, vcc
	s_cselect_b64 vcc, -1, 0
	s_cmp_eq_u32 s0, 31
	v_cndmask_b32_e32 v87, v87, v15, vcc
	s_cselect_b64 vcc, -1, 0
	s_cmp_eq_u32 s0, 32
	v_cndmask_b32_e32 v87, v87, v69, vcc
	s_cselect_b64 vcc, -1, 0
	s_cmp_eq_u32 s0, 33
	v_cndmask_b32_e32 v87, v87, v2, vcc
	s_cselect_b64 vcc, -1, 0
	s_cmp_eq_u32 s0, 34
	v_cndmask_b32_e32 v87, v87, v70, vcc
	s_cselect_b64 vcc, -1, 0
	s_cmp_eq_u32 s0, 35
	v_cndmask_b32_e32 v87, v87, v3, vcc
	s_cselect_b64 vcc, -1, 0
	s_cmp_eq_u32 s0, 36
	v_cndmask_b32_e32 v87, v87, v71, vcc
	s_cselect_b64 vcc, -1, 0
	s_cmp_eq_u32 s0, 37
	v_cndmask_b32_e32 v87, v87, v6, vcc
	s_cselect_b64 vcc, -1, 0
	s_cmp_eq_u32 s0, 38
	v_cndmask_b32_e32 v87, v87, v72, vcc
	s_cselect_b64 vcc, -1, 0
	s_cmp_eq_u32 s0, 39
	v_cndmask_b32_e32 v87, v87, v19, vcc
	s_cselect_b64 vcc, -1, 0
	s_cmp_eq_u32 s0, 40
	v_cndmask_b32_e32 v87, v87, v73, vcc
	s_cselect_b64 vcc, -1, 0
	s_cmp_eq_u32 s0, 41
	v_cndmask_b32_e32 v87, v87, v20, vcc
	s_cselect_b64 vcc, -1, 0
	s_cmp_eq_u32 s0, 42
	v_cndmask_b32_e32 v87, v87, v74, vcc
	s_cselect_b64 vcc, -1, 0
	s_cmp_eq_u32 s0, 43
	v_cndmask_b32_e32 v87, v87, v27, vcc
	s_cselect_b64 vcc, -1, 0
	s_cmp_eq_u32 s0, 44
	v_cndmask_b32_e32 v87, v87, v75, vcc
	s_cselect_b64 vcc, -1, 0
	s_cmp_eq_u32 s0, 45
	v_cndmask_b32_e32 v87, v87, v28, vcc
	s_cselect_b64 vcc, -1, 0
	s_cmp_eq_u32 s0, 46
	v_cndmask_b32_e32 v87, v87, v76, vcc
	s_cselect_b64 vcc, -1, 0
	s_cmp_eq_u32 s0, 47
	v_cndmask_b32_e32 v87, v87, v9, vcc
	s_cselect_b64 vcc, -1, 0
	s_cmp_eq_u32 s0, 48
	v_cndmask_b32_e32 v87, v87, v77, vcc
	s_cselect_b64 vcc, -1, 0
	s_cmp_eq_u32 s0, 49
	v_cndmask_b32_e32 v87, v87, v10, vcc
	s_cselect_b64 vcc, -1, 0
	s_cmp_eq_u32 s0, 50
	v_cndmask_b32_e32 v87, v87, v78, vcc
	s_cselect_b64 vcc, -1, 0
	s_cmp_eq_u32 s0, 51
	v_cndmask_b32_e32 v87, v87, v13, vcc
	s_cselect_b64 vcc, -1, 0
	s_cmp_eq_u32 s0, 52
	v_cndmask_b32_e32 v87, v87, v79, vcc
	s_cselect_b64 vcc, -1, 0
	s_cmp_eq_u32 s0, 53
	v_cndmask_b32_e32 v87, v87, v14, vcc
	s_cselect_b64 vcc, -1, 0
	s_cmp_eq_u32 s0, 54
	v_cndmask_b32_e32 v87, v87, v80, vcc
	s_cselect_b64 vcc, -1, 0
	s_cmp_eq_u32 s0, 55
	v_cndmask_b32_e32 v87, v87, v21, vcc
	s_cselect_b64 vcc, -1, 0
	s_cmp_eq_u32 s0, 56
	v_cndmask_b32_e32 v87, v87, v81, vcc
	s_cselect_b64 vcc, -1, 0
	s_cmp_eq_u32 s0, 57
	v_cndmask_b32_e32 v87, v87, v22, vcc
	s_cselect_b64 vcc, -1, 0
	s_cmp_eq_u32 s0, 58
	v_cndmask_b32_e32 v87, v87, v82, vcc
	s_cselect_b64 vcc, -1, 0
	s_cmp_eq_u32 s0, 59
	v_cndmask_b32_e32 v87, v87, v29, vcc
	s_cselect_b64 vcc, -1, 0
	s_cmp_eq_u32 s0, 60
	v_cndmask_b32_e32 v87, v87, v83, vcc
	s_cselect_b64 vcc, -1, 0
	s_cmp_eq_u32 s0, 61
	v_cndmask_b32_e32 v87, v87, v30, vcc
	s_cselect_b64 vcc, -1, 0
	s_cmp_eq_u32 s0, 62
	v_cndmask_b32_e32 v87, v87, v84, vcc
	s_cselect_b64 vcc, -1, 0
	s_cmp_eq_u32 s0, 63
	v_cndmask_b32_e32 v87, v87, v31, vcc
	s_cselect_b64 vcc, -1, 0
	s_add_i32 s0, s10, -8
	s_cmp_eq_u32 s0, 1
	v_cndmask_b32_e32 v87, v87, v85, vcc
	s_cselect_b64 vcc, -1, 0
	s_cmp_eq_u32 s0, 2
	v_cndmask_b32_e32 v88, v0, v54, vcc
	s_cselect_b64 vcc, -1, 0
	;; [unrolled: 3-line block ×63, first 2 shown]
	v_cndmask_b32_e32 v88, v88, v85, vcc
	v_add_f16_e32 v87, v87, v88
	v_add_f16_e32 v88, v87, v86
	v_lshl_add_u64 v[86:87], v[38:39], 1, v[50:51]
	global_store_short v[86:87], v88, off
	s_and_b64 vcc, exec, s[2:3]
	v_mov_b32_e32 v86, 0
	v_mov_b32_e32 v87, 0
	s_cbranch_vccnz .LBB300_35
; %bb.34:                               ;   in Loop: Header=BB300_25 Depth=1
	v_lshl_add_u64 v[88:89], v[40:41], 1, v[48:49]
	global_load_ushort v87, v[88:89], off
	s_waitcnt vmcnt(0)
	v_mul_f16_e32 v87, v52, v87
.LBB300_35:                             ;   in Loop: Header=BB300_25 Depth=1
	s_add_i32 s0, s10, -7
	s_cmp_eq_u32 s0, 1
	s_cselect_b64 vcc, -1, 0
	s_cmp_eq_u32 s0, 2
	v_cndmask_b32_e32 v88, v0, v54, vcc
	s_cselect_b64 vcc, -1, 0
	s_cmp_eq_u32 s0, 3
	v_cndmask_b32_e32 v88, v88, v1, vcc
	;; [unrolled: 3-line block ×62, first 2 shown]
	s_cselect_b64 vcc, -1, 0
	s_add_i32 s0, s10, -6
	s_cmp_eq_u32 s0, 1
	v_cndmask_b32_e32 v88, v88, v85, vcc
	s_cselect_b64 vcc, -1, 0
	s_cmp_eq_u32 s0, 2
	v_cndmask_b32_e32 v89, v0, v54, vcc
	s_cselect_b64 vcc, -1, 0
	;; [unrolled: 3-line block ×63, first 2 shown]
	v_cndmask_b32_e32 v89, v89, v85, vcc
	v_add_f16_e32 v88, v88, v89
	v_add_f16_e32 v87, v88, v87
	v_lshl_add_u64 v[88:89], v[40:41], 1, v[50:51]
	s_and_b64 vcc, exec, s[2:3]
	global_store_short v[88:89], v87, off
	s_cbranch_vccnz .LBB300_37
; %bb.36:                               ;   in Loop: Header=BB300_25 Depth=1
	v_lshl_add_u64 v[86:87], v[42:43], 1, v[48:49]
	global_load_ushort v86, v[86:87], off
	s_waitcnt vmcnt(0)
	v_mul_f16_e32 v86, v52, v86
.LBB300_37:                             ;   in Loop: Header=BB300_25 Depth=1
	s_add_i32 s0, s10, -5
	s_cmp_eq_u32 s0, 1
	s_cselect_b64 vcc, -1, 0
	s_cmp_eq_u32 s0, 2
	v_cndmask_b32_e32 v87, v0, v54, vcc
	s_cselect_b64 vcc, -1, 0
	s_cmp_eq_u32 s0, 3
	v_cndmask_b32_e32 v87, v87, v1, vcc
	;; [unrolled: 3-line block ×62, first 2 shown]
	s_cselect_b64 vcc, -1, 0
	s_add_i32 s0, s10, -4
	s_cmp_eq_u32 s0, 1
	v_cndmask_b32_e32 v87, v87, v85, vcc
	s_cselect_b64 vcc, -1, 0
	s_cmp_eq_u32 s0, 2
	v_cndmask_b32_e32 v88, v0, v54, vcc
	s_cselect_b64 vcc, -1, 0
	;; [unrolled: 3-line block ×63, first 2 shown]
	v_cndmask_b32_e32 v88, v88, v85, vcc
	v_add_f16_e32 v87, v87, v88
	v_add_f16_e32 v88, v87, v86
	v_lshl_add_u64 v[86:87], v[42:43], 1, v[50:51]
	global_store_short v[86:87], v88, off
	s_and_b64 vcc, exec, s[2:3]
	v_mov_b32_e32 v86, 0
	v_mov_b32_e32 v87, 0
	s_cbranch_vccnz .LBB300_39
; %bb.38:                               ;   in Loop: Header=BB300_25 Depth=1
	v_lshl_add_u64 v[88:89], v[44:45], 1, v[48:49]
	global_load_ushort v87, v[88:89], off
	s_waitcnt vmcnt(0)
	v_mul_f16_e32 v87, v52, v87
.LBB300_39:                             ;   in Loop: Header=BB300_25 Depth=1
	s_add_i32 s0, s10, -3
	s_cmp_eq_u32 s0, 1
	s_cselect_b64 vcc, -1, 0
	s_cmp_eq_u32 s0, 2
	v_cndmask_b32_e32 v88, v0, v54, vcc
	s_cselect_b64 vcc, -1, 0
	s_cmp_eq_u32 s0, 3
	v_cndmask_b32_e32 v88, v88, v1, vcc
	;; [unrolled: 3-line block ×62, first 2 shown]
	s_cselect_b64 vcc, -1, 0
	s_add_i32 s0, s10, -2
	s_cmp_eq_u32 s0, 1
	v_cndmask_b32_e32 v88, v88, v85, vcc
	s_cselect_b64 vcc, -1, 0
	s_cmp_eq_u32 s0, 2
	v_cndmask_b32_e32 v89, v0, v54, vcc
	s_cselect_b64 vcc, -1, 0
	;; [unrolled: 3-line block ×63, first 2 shown]
	v_cndmask_b32_e32 v89, v89, v85, vcc
	v_add_f16_e32 v88, v88, v89
	v_add_f16_e32 v87, v88, v87
	v_lshl_add_u64 v[88:89], v[44:45], 1, v[50:51]
	s_and_b64 vcc, exec, s[2:3]
	global_store_short v[88:89], v87, off
	s_cbranch_vccnz .LBB300_24
; %bb.40:                               ;   in Loop: Header=BB300_25 Depth=1
	v_lshl_add_u64 v[48:49], v[46:47], 1, v[48:49]
	global_load_ushort v48, v[48:49], off
	s_waitcnt vmcnt(0)
	v_mul_f16_e32 v86, v52, v48
	s_branch .LBB300_24
.LBB300_41:
	s_endpgm
	.section	.rodata,"a",@progbits
	.p2align	6, 0x0
	.amdhsa_kernel _ZN12_GLOBAL__N_120geam_min_plus_kernelIDF16_Dv2_DF16_S1_Li8ELi32ELi64ELi128ELi4ELi4ELi64ELi64ELi4ELc84ELc84ELb0ELb0ELb0EPKDF16_S2_DF16_EEviiiT16_PT17_ilS6_ilS4_S6_ilPT18_ili26rocblas_geam_ex_operation_
		.amdhsa_group_segment_fixed_size 3072
		.amdhsa_private_segment_fixed_size 0
		.amdhsa_kernarg_size 136
		.amdhsa_user_sgpr_count 2
		.amdhsa_user_sgpr_dispatch_ptr 0
		.amdhsa_user_sgpr_queue_ptr 0
		.amdhsa_user_sgpr_kernarg_segment_ptr 1
		.amdhsa_user_sgpr_dispatch_id 0
		.amdhsa_user_sgpr_kernarg_preload_length 0
		.amdhsa_user_sgpr_kernarg_preload_offset 0
		.amdhsa_user_sgpr_private_segment_size 0
		.amdhsa_uses_dynamic_stack 0
		.amdhsa_enable_private_segment 0
		.amdhsa_system_sgpr_workgroup_id_x 1
		.amdhsa_system_sgpr_workgroup_id_y 0
		.amdhsa_system_sgpr_workgroup_id_z 1
		.amdhsa_system_sgpr_workgroup_info 0
		.amdhsa_system_vgpr_workitem_id 1
		.amdhsa_next_free_vgpr 123
		.amdhsa_next_free_sgpr 26
		.amdhsa_accum_offset 124
		.amdhsa_reserve_vcc 1
		.amdhsa_float_round_mode_32 0
		.amdhsa_float_round_mode_16_64 0
		.amdhsa_float_denorm_mode_32 3
		.amdhsa_float_denorm_mode_16_64 3
		.amdhsa_dx10_clamp 1
		.amdhsa_ieee_mode 1
		.amdhsa_fp16_overflow 0
		.amdhsa_tg_split 0
		.amdhsa_exception_fp_ieee_invalid_op 0
		.amdhsa_exception_fp_denorm_src 0
		.amdhsa_exception_fp_ieee_div_zero 0
		.amdhsa_exception_fp_ieee_overflow 0
		.amdhsa_exception_fp_ieee_underflow 0
		.amdhsa_exception_fp_ieee_inexact 0
		.amdhsa_exception_int_div_zero 0
	.end_amdhsa_kernel
	.section	.text._ZN12_GLOBAL__N_120geam_min_plus_kernelIDF16_Dv2_DF16_S1_Li8ELi32ELi64ELi128ELi4ELi4ELi64ELi64ELi4ELc84ELc84ELb0ELb0ELb0EPKDF16_S2_DF16_EEviiiT16_PT17_ilS6_ilS4_S6_ilPT18_ili26rocblas_geam_ex_operation_,"axG",@progbits,_ZN12_GLOBAL__N_120geam_min_plus_kernelIDF16_Dv2_DF16_S1_Li8ELi32ELi64ELi128ELi4ELi4ELi64ELi64ELi4ELc84ELc84ELb0ELb0ELb0EPKDF16_S2_DF16_EEviiiT16_PT17_ilS6_ilS4_S6_ilPT18_ili26rocblas_geam_ex_operation_,comdat
.Lfunc_end300:
	.size	_ZN12_GLOBAL__N_120geam_min_plus_kernelIDF16_Dv2_DF16_S1_Li8ELi32ELi64ELi128ELi4ELi4ELi64ELi64ELi4ELc84ELc84ELb0ELb0ELb0EPKDF16_S2_DF16_EEviiiT16_PT17_ilS6_ilS4_S6_ilPT18_ili26rocblas_geam_ex_operation_, .Lfunc_end300-_ZN12_GLOBAL__N_120geam_min_plus_kernelIDF16_Dv2_DF16_S1_Li8ELi32ELi64ELi128ELi4ELi4ELi64ELi64ELi4ELc84ELc84ELb0ELb0ELb0EPKDF16_S2_DF16_EEviiiT16_PT17_ilS6_ilS4_S6_ilPT18_ili26rocblas_geam_ex_operation_
                                        ; -- End function
	.set _ZN12_GLOBAL__N_120geam_min_plus_kernelIDF16_Dv2_DF16_S1_Li8ELi32ELi64ELi128ELi4ELi4ELi64ELi64ELi4ELc84ELc84ELb0ELb0ELb0EPKDF16_S2_DF16_EEviiiT16_PT17_ilS6_ilS4_S6_ilPT18_ili26rocblas_geam_ex_operation_.num_vgpr, 123
	.set _ZN12_GLOBAL__N_120geam_min_plus_kernelIDF16_Dv2_DF16_S1_Li8ELi32ELi64ELi128ELi4ELi4ELi64ELi64ELi4ELc84ELc84ELb0ELb0ELb0EPKDF16_S2_DF16_EEviiiT16_PT17_ilS6_ilS4_S6_ilPT18_ili26rocblas_geam_ex_operation_.num_agpr, 0
	.set _ZN12_GLOBAL__N_120geam_min_plus_kernelIDF16_Dv2_DF16_S1_Li8ELi32ELi64ELi128ELi4ELi4ELi64ELi64ELi4ELc84ELc84ELb0ELb0ELb0EPKDF16_S2_DF16_EEviiiT16_PT17_ilS6_ilS4_S6_ilPT18_ili26rocblas_geam_ex_operation_.numbered_sgpr, 26
	.set _ZN12_GLOBAL__N_120geam_min_plus_kernelIDF16_Dv2_DF16_S1_Li8ELi32ELi64ELi128ELi4ELi4ELi64ELi64ELi4ELc84ELc84ELb0ELb0ELb0EPKDF16_S2_DF16_EEviiiT16_PT17_ilS6_ilS4_S6_ilPT18_ili26rocblas_geam_ex_operation_.num_named_barrier, 0
	.set _ZN12_GLOBAL__N_120geam_min_plus_kernelIDF16_Dv2_DF16_S1_Li8ELi32ELi64ELi128ELi4ELi4ELi64ELi64ELi4ELc84ELc84ELb0ELb0ELb0EPKDF16_S2_DF16_EEviiiT16_PT17_ilS6_ilS4_S6_ilPT18_ili26rocblas_geam_ex_operation_.private_seg_size, 0
	.set _ZN12_GLOBAL__N_120geam_min_plus_kernelIDF16_Dv2_DF16_S1_Li8ELi32ELi64ELi128ELi4ELi4ELi64ELi64ELi4ELc84ELc84ELb0ELb0ELb0EPKDF16_S2_DF16_EEviiiT16_PT17_ilS6_ilS4_S6_ilPT18_ili26rocblas_geam_ex_operation_.uses_vcc, 1
	.set _ZN12_GLOBAL__N_120geam_min_plus_kernelIDF16_Dv2_DF16_S1_Li8ELi32ELi64ELi128ELi4ELi4ELi64ELi64ELi4ELc84ELc84ELb0ELb0ELb0EPKDF16_S2_DF16_EEviiiT16_PT17_ilS6_ilS4_S6_ilPT18_ili26rocblas_geam_ex_operation_.uses_flat_scratch, 0
	.set _ZN12_GLOBAL__N_120geam_min_plus_kernelIDF16_Dv2_DF16_S1_Li8ELi32ELi64ELi128ELi4ELi4ELi64ELi64ELi4ELc84ELc84ELb0ELb0ELb0EPKDF16_S2_DF16_EEviiiT16_PT17_ilS6_ilS4_S6_ilPT18_ili26rocblas_geam_ex_operation_.has_dyn_sized_stack, 0
	.set _ZN12_GLOBAL__N_120geam_min_plus_kernelIDF16_Dv2_DF16_S1_Li8ELi32ELi64ELi128ELi4ELi4ELi64ELi64ELi4ELc84ELc84ELb0ELb0ELb0EPKDF16_S2_DF16_EEviiiT16_PT17_ilS6_ilS4_S6_ilPT18_ili26rocblas_geam_ex_operation_.has_recursion, 0
	.set _ZN12_GLOBAL__N_120geam_min_plus_kernelIDF16_Dv2_DF16_S1_Li8ELi32ELi64ELi128ELi4ELi4ELi64ELi64ELi4ELc84ELc84ELb0ELb0ELb0EPKDF16_S2_DF16_EEviiiT16_PT17_ilS6_ilS4_S6_ilPT18_ili26rocblas_geam_ex_operation_.has_indirect_call, 0
	.section	.AMDGPU.csdata,"",@progbits
; Kernel info:
; codeLenInByte = 19792
; TotalNumSgprs: 32
; NumVgprs: 123
; NumAgprs: 0
; TotalNumVgprs: 123
; ScratchSize: 0
; MemoryBound: 0
; FloatMode: 240
; IeeeMode: 1
; LDSByteSize: 3072 bytes/workgroup (compile time only)
; SGPRBlocks: 3
; VGPRBlocks: 15
; NumSGPRsForWavesPerEU: 32
; NumVGPRsForWavesPerEU: 123
; AccumOffset: 124
; Occupancy: 4
; WaveLimiterHint : 1
; COMPUTE_PGM_RSRC2:SCRATCH_EN: 0
; COMPUTE_PGM_RSRC2:USER_SGPR: 2
; COMPUTE_PGM_RSRC2:TRAP_HANDLER: 0
; COMPUTE_PGM_RSRC2:TGID_X_EN: 1
; COMPUTE_PGM_RSRC2:TGID_Y_EN: 0
; COMPUTE_PGM_RSRC2:TGID_Z_EN: 1
; COMPUTE_PGM_RSRC2:TIDIG_COMP_CNT: 1
; COMPUTE_PGM_RSRC3_GFX90A:ACCUM_OFFSET: 30
; COMPUTE_PGM_RSRC3_GFX90A:TG_SPLIT: 0
	.section	.text._ZN12_GLOBAL__N_120geam_min_plus_kernelIDF16_Dv2_DF16_S1_Li8ELi32ELi64ELi128ELi4ELi4ELi64ELi64ELi4ELc84ELc84ELb1ELb0ELb0EDF16_KDF16_DF16_EEviiiT16_PT17_ilS5_ilS3_S5_ilPT18_ili26rocblas_geam_ex_operation_,"axG",@progbits,_ZN12_GLOBAL__N_120geam_min_plus_kernelIDF16_Dv2_DF16_S1_Li8ELi32ELi64ELi128ELi4ELi4ELi64ELi64ELi4ELc84ELc84ELb1ELb0ELb0EDF16_KDF16_DF16_EEviiiT16_PT17_ilS5_ilS3_S5_ilPT18_ili26rocblas_geam_ex_operation_,comdat
	.globl	_ZN12_GLOBAL__N_120geam_min_plus_kernelIDF16_Dv2_DF16_S1_Li8ELi32ELi64ELi128ELi4ELi4ELi64ELi64ELi4ELc84ELc84ELb1ELb0ELb0EDF16_KDF16_DF16_EEviiiT16_PT17_ilS5_ilS3_S5_ilPT18_ili26rocblas_geam_ex_operation_ ; -- Begin function _ZN12_GLOBAL__N_120geam_min_plus_kernelIDF16_Dv2_DF16_S1_Li8ELi32ELi64ELi128ELi4ELi4ELi64ELi64ELi4ELc84ELc84ELb1ELb0ELb0EDF16_KDF16_DF16_EEviiiT16_PT17_ilS5_ilS3_S5_ilPT18_ili26rocblas_geam_ex_operation_
	.p2align	8
	.type	_ZN12_GLOBAL__N_120geam_min_plus_kernelIDF16_Dv2_DF16_S1_Li8ELi32ELi64ELi128ELi4ELi4ELi64ELi64ELi4ELc84ELc84ELb1ELb0ELb0EDF16_KDF16_DF16_EEviiiT16_PT17_ilS5_ilS3_S5_ilPT18_ili26rocblas_geam_ex_operation_,@function
_ZN12_GLOBAL__N_120geam_min_plus_kernelIDF16_Dv2_DF16_S1_Li8ELi32ELi64ELi128ELi4ELi4ELi64ELi64ELi4ELc84ELc84ELb1ELb0ELb0EDF16_KDF16_DF16_EEviiiT16_PT17_ilS5_ilS3_S5_ilPT18_ili26rocblas_geam_ex_operation_: ; @_ZN12_GLOBAL__N_120geam_min_plus_kernelIDF16_Dv2_DF16_S1_Li8ELi32ELi64ELi128ELi4ELi4ELi64ELi64ELi4ELc84ELc84ELb1ELb0ELb0EDF16_KDF16_DF16_EEviiiT16_PT17_ilS5_ilS3_S5_ilPT18_ili26rocblas_geam_ex_operation_
; %bb.0:
	s_load_dwordx2 s[10:11], s[0:1], 0x8
	s_load_dwordx4 s[4:7], s[0:1], 0x20
	s_waitcnt lgkmcnt(0)
	v_cmp_eq_f16_e64 s[8:9], s11, 0
	s_and_b64 vcc, exec, s[8:9]
	s_cbranch_vccnz .LBB301_29
; %bb.1:
	s_load_dwordx2 s[12:13], s[0:1], 0x10
	s_mul_i32 s5, s5, s3
	s_mul_hi_u32 s11, s4, s3
	s_add_i32 s5, s11, s5
	s_mul_i32 s4, s4, s3
	s_lshl_b64 s[4:5], s[4:5], 1
	s_waitcnt lgkmcnt(0)
	s_add_u32 s12, s12, s4
	s_addc_u32 s13, s13, s5
	s_andn2_b64 vcc, exec, s[8:9]
	s_mov_b64 s[4:5], -1
	s_cbranch_vccnz .LBB301_3
.LBB301_2:
	s_mov_b64 s[4:5], 0
.LBB301_3:
	s_mov_b64 s[8:9], 0
	s_andn2_b64 vcc, exec, s[4:5]
	s_mov_b64 s[14:15], 0
	s_cbranch_vccnz .LBB301_5
; %bb.4:
	s_load_dwordx2 s[4:5], s[0:1], 0x38
	s_waitcnt lgkmcnt(0)
	s_mul_i32 s5, s5, s3
	s_mul_hi_u32 s11, s4, s3
	s_add_i32 s5, s11, s5
	s_mul_i32 s4, s4, s3
	s_lshl_b64 s[4:5], s[4:5], 1
	s_add_u32 s14, s6, s4
	s_addc_u32 s15, s7, s5
.LBB301_5:
	s_load_dword s11, s[0:1], 0x40
	s_load_dwordx4 s[4:7], s[0:1], 0x58
	s_waitcnt lgkmcnt(0)
	v_cmp_eq_f16_e64 s[16:17], s11, 0
	s_and_b64 vcc, exec, s[16:17]
	s_cbranch_vccnz .LBB301_7
; %bb.6:
	s_load_dwordx2 s[8:9], s[0:1], 0x48
	s_mul_i32 s5, s5, s3
	s_mul_hi_u32 s16, s4, s3
	s_add_i32 s5, s16, s5
	s_mul_i32 s4, s4, s3
	s_lshl_b64 s[4:5], s[4:5], 1
	s_waitcnt lgkmcnt(0)
	s_add_u32 s8, s8, s4
	s_addc_u32 s9, s9, s5
.LBB301_7:
	s_load_dword s4, s[0:1], 0x0
	s_load_dword s5, s[0:1], 0x18
	;; [unrolled: 1-line block ×3, first 2 shown]
	v_bfe_u32 v12, v0, 10, 10
	v_and_b32_e32 v13, 0x3ff, v0
	s_waitcnt lgkmcnt(0)
	s_add_i32 s4, s4, -1
	s_ashr_i32 s17, s4, 31
	s_lshr_b32 s17, s17, 26
	s_add_i32 s4, s4, s17
	s_ashr_i32 s4, s4, 6
	s_add_i32 s17, s4, 1
	v_cvt_f32_u32_e32 v1, s17
	s_not_b32 s4, s4
	v_lshlrev_b32_e32 v14, 3, v12
	v_add_u32_e32 v2, v14, v13
	v_rcp_iflag_f32_e32 v1, v1
	v_lshrrev_b32_e32 v11, 2, v2
	v_and_b32_e32 v17, 63, v2
	v_lshlrev_b32_e32 v0, 1, v0
	v_mul_f32_e32 v1, 0x4f7ffffe, v1
	v_cvt_u32_f32_e32 v1, v1
	v_lshrrev_b32_e32 v10, 6, v2
	v_and_b32_e32 v8, 6, v0
	v_mov_b32_e32 v9, 0
	v_readfirstlane_b32 s18, v1
	s_mul_i32 s4, s4, s18
	s_mul_hi_u32 s4, s18, s4
	s_add_i32 s18, s18, s4
	s_mul_hi_u32 s4, s2, s18
	s_mul_i32 s18, s4, s17
	s_sub_i32 s18, s2, s18
	s_add_i32 s19, s4, 1
	s_sub_i32 s20, s18, s17
	s_cmp_ge_u32 s18, s17
	s_cselect_b32 s4, s19, s4
	s_cselect_b32 s18, s20, s18
	s_add_i32 s19, s4, 1
	s_cmp_ge_u32 s18, s17
	s_cselect_b32 s4, s19, s4
	s_mul_i32 s17, s4, s17
	s_sub_i32 s2, s2, s17
	s_lshl_b32 s19, s2, 6
	v_add_u32_e32 v1, s19, v11
	s_lshl_b32 s18, s4, 7
	v_mad_i64_i32 v[6:7], s[4:5], v1, s5, 0
	v_lshl_add_u64 v[2:3], v[6:7], 1, s[12:13]
	v_or_b32_e32 v4, s18, v17
	v_lshl_add_u64 v[0:1], v[2:3], 0, v[8:9]
	v_mad_i64_i32 v[2:3], s[4:5], s16, v10, 0
	v_ashrrev_i32_e32 v5, 31, v4
	v_lshl_add_u64 v[2:3], v[2:3], 1, s[14:15]
	v_lshlrev_b64 v[18:19], 1, v[4:5]
	v_lshl_add_u64 v[2:3], v[2:3], 0, v[18:19]
	global_load_ushort v20, v[2:3], off
	global_load_ushort v21, v[2:3], off offset:128
	global_load_ushort v22, v[0:1], off
	v_add_u32_e32 v2, 4, v10
	v_mad_i64_i32 v[2:3], s[4:5], s16, v2, 0
	v_lshl_add_u64 v[2:3], v[2:3], 1, s[14:15]
	v_lshl_or_b32 v8, v11, 3, v8
	v_lshlrev_b32_e32 v11, 3, v17
	v_lshl_add_u64 v[2:3], v[2:3], 0, v[18:19]
	v_lshl_add_u32 v17, v10, 1, v11
	global_load_ushort v11, v[2:3], off
	global_load_ushort v55, v[2:3], off offset:128
	global_load_ushort v56, v[0:1], off offset:8
	v_lshlrev_b32_e32 v15, 3, v13
	v_add_u32_e32 v16, 0x800, v15
	s_cmp_lt_i32 s10, 9
	s_waitcnt vmcnt(5)
	ds_write_b16 v17, v20
	s_waitcnt vmcnt(4)
	ds_write_b16 v17, v21 offset:512
	s_waitcnt vmcnt(3)
	ds_write_b16 v8, v22 offset:2048
	s_waitcnt lgkmcnt(0)
	s_barrier
	ds_read2_b64 v[0:3], v16 offset0:48 offset1:56
	ds_read2_b64 v[18:21], v14 offset1:32
	ds_read2_b64 v[22:25], v14 offset0:64 offset1:96
	ds_read2_b64 v[26:29], v16 offset1:8
	ds_read2_b64 v[30:33], v16 offset0:16 offset1:24
	ds_read2_b64 v[34:37], v16 offset0:32 offset1:40
	s_waitcnt lgkmcnt(4)
	v_pk_max_f16 v18, v18, v18
	v_pk_max_f16 v2, v2, v2
	;; [unrolled: 1-line block ×3, first 2 shown]
	s_waitcnt lgkmcnt(3)
	v_pk_max_f16 v22, v22, v22
	s_waitcnt lgkmcnt(2)
	v_pk_max_f16 v26, v26, v26
	v_pk_max_f16 v24, v24, v24
	;; [unrolled: 1-line block ×3, first 2 shown]
	s_waitcnt lgkmcnt(1)
	v_pk_max_f16 v30, v30, v30
	v_pk_max_f16 v32, v32, v32
	s_waitcnt lgkmcnt(0)
	v_pk_max_f16 v34, v34, v34
	v_pk_max_f16 v36, v36, v36
	;; [unrolled: 1-line block ×5, first 2 shown]
	v_pk_min_f16 v23, v2, v18
	v_pk_max_f16 v3, v3, v3
	v_pk_max_f16 v21, v21, v21
	;; [unrolled: 1-line block ×8, first 2 shown]
	v_pk_min_f16 v29, v26, v18
	v_pk_min_f16 v31, v26, v20
	;; [unrolled: 1-line block ×31, first 2 shown]
	v_pk_add_f16 v23, v23, 0
	v_pk_min_f16 v24, v3, v19
	v_pk_max_f16 v42, v33, v33
	v_pk_add_f16 v34, v23, v24
	v_pk_add_f16 v23, v27, 0
	v_pk_min_f16 v24, v3, v21
	v_pk_min_f16 v32, v42, v19
	v_pk_add_f16 v27, v23, v24
	v_pk_add_f16 v23, v30, 0
	v_pk_min_f16 v24, v3, v41
	v_pk_min_f16 v30, v25, v19
	v_pk_add_f16 v23, v23, v24
	v_pk_add_f16 v24, v29, 0
	v_pk_min_f16 v29, v38, v19
	v_pk_max_f16 v1, v1, v1
	v_pk_add_f16 v39, v24, v29
	v_pk_add_f16 v24, v31, 0
	v_pk_min_f16 v29, v38, v21
	v_pk_add_f16 v18, v18, 0
	v_pk_add_f16 v33, v24, v29
	;; [unrolled: 1-line block ×3, first 2 shown]
	v_pk_min_f16 v29, v38, v41
	v_pk_min_f16 v35, v42, v57
	v_pk_add_f16 v29, v24, v29
	v_pk_add_f16 v24, v26, 0
	v_pk_min_f16 v26, v38, v57
	v_pk_add_f16 v20, v20, 0
	v_pk_add_f16 v24, v24, v26
	;; [unrolled: 1-line block ×3, first 2 shown]
	v_pk_min_f16 v37, v43, v19
	v_pk_add_f16 v46, v26, v30
	v_pk_add_f16 v26, v44, 0
	v_pk_min_f16 v30, v25, v21
	v_pk_add_f16 v0, v0, 0
	v_pk_add_f16 v38, v26, v30
	;; [unrolled: 1-line block ×3, first 2 shown]
	v_pk_min_f16 v30, v25, v41
	v_pk_min_f16 v25, v25, v57
	v_pk_add_f16 v30, v26, v30
	v_pk_add_f16 v26, v28, 0
	v_pk_min_f16 v28, v40, v19
	v_pk_add_f16 v25, v26, v25
	v_pk_add_f16 v26, v47, 0
	;; [unrolled: 1-line block ×5, first 2 shown]
	v_pk_min_f16 v28, v40, v21
	v_pk_add_f16 v48, v64, 0
	v_pk_add_f16 v36, v26, v28
	v_pk_add_f16 v26, v49, 0
	v_pk_min_f16 v28, v40, v41
	v_pk_add_f16 v2, v2, 0
	v_pk_add_f16 v31, v26, v28
	v_pk_add_f16 v26, v51, 0
	;; [unrolled: 4-line block ×3, first 2 shown]
	v_pk_add_f16 v52, v65, 0
	v_pk_add_f16 v49, v28, v32
	;; [unrolled: 1-line block ×3, first 2 shown]
	v_pk_min_f16 v32, v42, v21
	s_waitcnt vmcnt(0)
	ds_write_b16 v8, v56 offset:2560
	ds_write_b16 v17, v11 offset:1024
	;; [unrolled: 1-line block ×3, first 2 shown]
	v_pk_add_f16 v45, v28, v32
	v_pk_add_f16 v28, v54, 0
	v_pk_min_f16 v32, v42, v41
	v_pk_add_f16 v54, v66, 0
	v_pk_add_f16 v32, v28, v32
	;; [unrolled: 1-line block ×3, first 2 shown]
	s_waitcnt lgkmcnt(0)
	v_pk_add_f16 v28, v28, v35
	v_pk_add_f16 v35, v59, 0
	s_barrier
	v_pk_add_f16 v47, v35, v37
	v_pk_add_f16 v35, v60, 0
	v_pk_min_f16 v37, v43, v21
	s_nop 0
	v_pk_add_f16 v42, v35, v37
	v_pk_add_f16 v35, v61, 0
	v_pk_min_f16 v37, v43, v41
	v_pk_min_f16 v43, v43, v57
	v_pk_add_f16 v35, v35, v37
	v_pk_add_f16 v37, v62, 0
	s_nop 0
	v_pk_add_f16 v37, v37, v43
	v_pk_min_f16 v43, v50, v19
	v_pk_min_f16 v19, v1, v19
	v_pk_add_f16 v53, v40, v43
	v_pk_min_f16 v40, v50, v21
	s_nop 0
	v_pk_add_f16 v51, v48, v40
	v_pk_min_f16 v40, v50, v41
	s_nop 0
	;; [unrolled: 3-line block ×3, first 2 shown]
	v_pk_add_f16 v40, v54, v40
	v_pk_add_f16 v54, v18, v19
	v_pk_min_f16 v18, v1, v21
	s_nop 0
	v_pk_add_f16 v52, v20, v18
	v_pk_min_f16 v18, v1, v41
	v_pk_min_f16 v1, v1, v57
	v_pk_add_f16 v50, v22, v18
	v_pk_add_f16 v43, v0, v1
	v_pk_min_f16 v0, v3, v57
	s_nop 0
	v_pk_add_f16 v41, v2, v0
	s_cbranch_scc1 .LBB301_10
; %bb.8:
	v_mov_b32_e32 v0, 0xa00
	v_lshl_add_u32 v21, v13, 3, v0
	v_and_b32_e32 v0, 3, v13
	v_add_u32_e32 v18, 0x800, v8
	v_add_u32_e32 v19, 0xa00, v8
	v_lshlrev_b32_e32 v8, 1, v0
	v_lshl_add_u64 v[0:1], v[6:7], 1, v[8:9]
	v_lshl_add_u64 v[0:1], s[12:13], 0, v[0:1]
	;; [unrolled: 1-line block ×3, first 2 shown]
	v_add_u32_e32 v0, 12, v10
	v_mad_i64_i32 v[0:1], s[4:5], v0, s16, 0
	v_lshlrev_b64 v[8:9], 1, v[0:1]
	v_add_u32_e32 v0, 8, v10
	s_ashr_i32 s17, s16, 31
	v_mad_i64_i32 v[0:1], s[12:13], v0, s16, 0
	v_or_b32_e32 v20, 0x400, v17
	s_add_i32 s2, s10, -8
	v_add_u32_e32 v22, 0x400, v14
	v_lshl_add_u64 v[4:5], v[4:5], 1, s[14:15]
	s_lshl_b64 s[4:5], s[16:17], 4
	v_lshlrev_b64 v[10:11], 1, v[0:1]
	s_mov_b32 s10, 0
.LBB301_9:                              ; =>This Inner Loop Header: Depth=1
	ds_read2_b64 v[56:59], v21 offset0:48 offset1:56
	ds_read2_b64 v[0:3], v22 offset0:64 offset1:96
	ds_read2_b64 v[60:63], v22 offset1:32
	ds_read2_b64 v[64:67], v21 offset1:8
	ds_read2_b64 v[68:71], v21 offset0:16 offset1:24
	ds_read2_b64 v[72:75], v21 offset0:32 offset1:40
	v_lshl_add_u64 v[76:77], v[4:5], 0, v[10:11]
	s_waitcnt lgkmcnt(3)
	v_pk_max_f16 v60, v60, v60
	global_load_ushort v55, v[76:77], off offset:128
	global_load_ushort v78, v[76:77], off
	s_waitcnt lgkmcnt(1)
	v_pk_max_f16 v70, v70, v70
	v_pk_max_f16 v64, v64, v64
	v_pk_min_f16 v80, v70, v60
	v_pk_max_f16 v66, v66, v66
	v_pk_add_f16 v49, v49, v80
	global_load_ushort v80, v[6:7], off
	v_pk_max_f16 v68, v68, v68
	s_waitcnt lgkmcnt(0)
	v_pk_max_f16 v72, v72, v72
	v_pk_max_f16 v74, v74, v74
	;; [unrolled: 1-line block ×19, first 2 shown]
	v_pk_min_f16 v76, v64, v60
	v_pk_min_f16 v77, v66, v60
	v_pk_min_f16 v79, v68, v60
	v_pk_min_f16 v81, v72, v60
	v_pk_min_f16 v82, v74, v60
	v_pk_min_f16 v83, v56, v60
	v_pk_min_f16 v60, v58, v60
	v_pk_min_f16 v84, v64, v62
	v_pk_min_f16 v85, v66, v62
	v_pk_min_f16 v86, v68, v62
	v_pk_min_f16 v87, v70, v62
	v_pk_min_f16 v88, v72, v62
	v_pk_min_f16 v89, v74, v62
	v_pk_min_f16 v90, v56, v62
	v_pk_min_f16 v62, v58, v62
	v_pk_min_f16 v91, v64, v0
	v_pk_min_f16 v92, v66, v0
	v_pk_min_f16 v93, v68, v0
	v_pk_min_f16 v94, v70, v0
	v_pk_min_f16 v95, v72, v0
	v_pk_min_f16 v96, v74, v0
	v_pk_min_f16 v97, v56, v0
	v_pk_min_f16 v0, v58, v0
	v_pk_min_f16 v64, v64, v2
	v_pk_min_f16 v66, v66, v2
	v_pk_min_f16 v68, v68, v2
	v_pk_min_f16 v70, v70, v2
	v_pk_min_f16 v72, v72, v2
	v_pk_min_f16 v74, v74, v2
	v_pk_min_f16 v56, v56, v2
	v_pk_min_f16 v2, v58, v2
	v_pk_min_f16 v58, v65, v61
	v_pk_min_f16 v98, v67, v61
	v_pk_min_f16 v99, v69, v61
	v_pk_min_f16 v100, v71, v61
	v_pk_min_f16 v101, v73, v61
	v_pk_min_f16 v102, v75, v61
	v_pk_min_f16 v103, v57, v61
	v_pk_min_f16 v61, v59, v61
	v_pk_min_f16 v104, v65, v63
	v_pk_min_f16 v105, v67, v63
	v_pk_min_f16 v106, v69, v63
	v_pk_min_f16 v107, v71, v63
	v_pk_min_f16 v108, v73, v63
	v_pk_min_f16 v109, v75, v63
	v_pk_min_f16 v110, v57, v63
	v_pk_min_f16 v63, v59, v63
	v_pk_min_f16 v111, v65, v1
	v_pk_min_f16 v112, v67, v1
	v_pk_min_f16 v113, v69, v1
	v_pk_min_f16 v114, v71, v1
	v_pk_min_f16 v115, v73, v1
	v_pk_min_f16 v116, v75, v1
	v_pk_min_f16 v117, v57, v1
	v_pk_min_f16 v118, v59, v1
	v_pk_min_f16 v65, v65, v3
	v_pk_min_f16 v67, v67, v3
	v_pk_min_f16 v69, v69, v3
	v_pk_min_f16 v71, v71, v3
	v_pk_min_f16 v73, v73, v3
	v_pk_min_f16 v75, v75, v3
	v_pk_min_f16 v57, v57, v3
	v_pk_min_f16 v3, v59, v3
	v_pk_add_f16 v39, v39, v76
	v_pk_add_f16 v46, v46, v77
	;; [unrolled: 1-line block ×22, first 2 shown]
	v_lshl_add_u64 v[0:1], v[4:5], 0, v[8:9]
	v_pk_add_f16 v66, v25, v66
	v_pk_add_f16 v68, v26, v68
	;; [unrolled: 1-line block ×37, first 2 shown]
	s_waitcnt vmcnt(0)
	ds_write_b16 v18, v80
	ds_write_b16 v17, v78
	ds_write_b16 v17, v55 offset:512
	s_waitcnt lgkmcnt(0)
	s_barrier
	global_load_ushort v55, v[0:1], off offset:128
	global_load_ushort v56, v[0:1], off
	ds_read2_b64 v[0:3], v16 offset0:48 offset1:56
	ds_read2_b64 v[58:61], v14 offset1:32
	ds_read2_b64 v[62:65], v14 offset0:64 offset1:96
	ds_read2_b64 v[66:69], v16 offset1:8
	ds_read2_b64 v[70:73], v16 offset0:16 offset1:24
	ds_read2_b64 v[74:77], v16 offset0:32 offset1:40
	s_waitcnt lgkmcnt(4)
	v_pk_max_f16 v57, v58, v58
	v_pk_max_f16 v58, v60, v60
	s_waitcnt lgkmcnt(3)
	v_pk_max_f16 v60, v62, v62
	s_waitcnt lgkmcnt(2)
	v_pk_max_f16 v62, v66, v66
	v_pk_max_f16 v66, v68, v68
	s_waitcnt lgkmcnt(1)
	v_pk_max_f16 v68, v70, v70
	;; [unrolled: 3-line block ×3, first 2 shown]
	v_pk_max_f16 v74, v76, v76
	v_pk_max_f16 v76, v77, v77
	v_pk_min_f16 v77, v62, v57
	v_pk_add_f16 v54, v54, v83
	v_pk_add_f16 v38, v38, v77
	global_load_ushort v77, v[6:7], off offset:8
	v_pk_max_f16 v2, v2, v2
	v_pk_max_f16 v64, v64, v64
	v_pk_max_f16 v0, v0, v0
	v_pk_add_f16 v23, v54, v103
	v_pk_add_f16 v40, v79, v115
	v_pk_add_f16 v54, v81, v118
	v_pk_max_f16 v59, v59, v59
	v_pk_max_f16 v3, v3, v3
	;; [unrolled: 1-line block ×11, first 2 shown]
	v_pk_min_f16 v78, v62, v58
	v_pk_min_f16 v79, v62, v60
	;; [unrolled: 1-line block ×63, first 2 shown]
	v_pk_add_f16 v46, v46, v95
	v_pk_add_f16 v51, v51, v96
	;; [unrolled: 1-line block ×22, first 2 shown]
	s_add_i32 s10, s10, 8
	v_pk_add_f16 v78, v24, v92
	v_pk_add_f16 v79, v26, v93
	;; [unrolled: 1-line block ×9, first 2 shown]
	v_lshl_add_u64 v[4:5], v[4:5], 0, s[4:5]
	s_cmp_ge_i32 s10, s2
	v_lshl_add_u64 v[6:7], v[6:7], 0, 16
	v_pk_add_f16 v34, v46, v115
	v_pk_add_f16 v27, v51, v116
	;; [unrolled: 1-line block ×32, first 2 shown]
	s_waitcnt vmcnt(0)
	ds_write_b16 v19, v77
	ds_write_b16 v20, v56
	ds_write_b16 v20, v55 offset:512
	s_waitcnt lgkmcnt(0)
	s_barrier
	s_cbranch_scc0 .LBB301_9
.LBB301_10:
	s_load_dwordx2 s[14:15], s[0:1], 0x70
	s_load_dword s10, s[0:1], 0x50
	s_load_dword s12, s[0:1], 0x68
	v_add_u32_e32 v22, 0x800, v15
	ds_read2_b64 v[0:3], v14 offset0:128 offset1:160
	ds_read2_b64 v[4:7], v22 offset0:112 offset1:120
	;; [unrolled: 1-line block ×3, first 2 shown]
	s_waitcnt lgkmcnt(0)
	s_mul_i32 s1, s15, s3
	s_mul_hi_u32 s2, s14, s3
	v_pk_max_f16 v0, v0, v0
	v_pk_max_f16 v6, v6, v6
	;; [unrolled: 1-line block ×3, first 2 shown]
	v_pk_min_f16 v14, v6, v0
	v_pk_min_f16 v18, v6, v2
	v_pk_add_f16 v55, v34, v14
	ds_read2_b64 v[14:17], v22 offset0:64 offset1:72
	v_pk_max_f16 v8, v8, v8
	v_pk_add_f16 v27, v27, v18
	v_pk_min_f16 v18, v6, v8
	v_pk_max_f16 v10, v10, v10
	s_waitcnt lgkmcnt(0)
	v_pk_max_f16 v14, v14, v14
	v_pk_add_f16 v56, v23, v18
	v_pk_min_f16 v18, v14, v0
	v_pk_max_f16 v16, v16, v16
	v_pk_add_f16 v57, v39, v18
	v_pk_min_f16 v18, v14, v2
	v_pk_min_f16 v23, v16, v8
	v_pk_add_f16 v58, v33, v18
	v_pk_min_f16 v18, v14, v8
	v_pk_add_f16 v30, v30, v23
	v_pk_add_f16 v29, v29, v18
	v_pk_min_f16 v18, v16, v0
	v_pk_min_f16 v14, v14, v10
	v_pk_add_f16 v59, v46, v18
	v_pk_min_f16 v18, v16, v2
	v_pk_min_f16 v16, v16, v10
	v_pk_add_f16 v60, v38, v18
	ds_read2_b64 v[18:21], v22 offset0:80 offset1:88
	v_pk_add_f16 v14, v24, v14
	v_pk_add_f16 v16, v25, v16
	v_pk_max_f16 v4, v4, v4
	v_pk_max_f16 v3, v3, v3
	s_waitcnt lgkmcnt(0)
	v_pk_max_f16 v18, v18, v18
	v_pk_max_f16 v20, v20, v20
	v_pk_min_f16 v23, v18, v0
	v_pk_min_f16 v33, v20, v8
	v_pk_add_f16 v61, v44, v23
	v_pk_min_f16 v23, v18, v2
	v_pk_add_f16 v63, v32, v33
	v_pk_add_f16 v62, v36, v23
	v_pk_min_f16 v23, v18, v8
	v_pk_min_f16 v18, v18, v10
	v_pk_add_f16 v31, v31, v23
	v_pk_min_f16 v23, v20, v0
	v_pk_add_f16 v18, v26, v18
	v_pk_add_f16 v26, v49, v23
	v_pk_min_f16 v23, v20, v2
	v_pk_min_f16 v20, v20, v10
	v_pk_add_f16 v49, v45, v23
	ds_read2_b64 v[22:25], v22 offset0:96 offset1:104
	v_pk_add_f16 v20, v28, v20
	s_mul_i32 s0, s14, s3
	s_add_i32 s1, s2, s1
	s_lshl_b64 s[0:1], s[0:1], 1
	s_waitcnt lgkmcnt(0)
	v_pk_max_f16 v22, v22, v22
	v_pk_max_f16 v24, v24, v24
	v_pk_min_f16 v32, v22, v2
	v_pk_min_f16 v28, v22, v0
	v_pk_add_f16 v64, v42, v32
	v_pk_min_f16 v32, v22, v8
	v_pk_min_f16 v22, v22, v10
	v_pk_add_f16 v65, v35, v32
	;; [unrolled: 3-line block ×3, first 2 shown]
	v_pk_add_f16 v54, v54, v0
	v_pk_min_f16 v0, v4, v2
	v_pk_min_f16 v32, v24, v2
	v_pk_add_f16 v66, v52, v0
	v_pk_min_f16 v0, v4, v8
	v_pk_add_f16 v51, v51, v32
	v_pk_add_f16 v50, v50, v0
	v_pk_min_f16 v0, v4, v10
	v_pk_min_f16 v32, v24, v8
	v_pk_add_f16 v67, v43, v0
	v_pk_min_f16 v0, v6, v10
	v_pk_max_f16 v6, v9, v9
	v_pk_add_f16 v68, v41, v0
	v_pk_max_f16 v0, v1, v1
	v_pk_max_f16 v1, v7, v7
	v_pk_max_f16 v7, v15, v15
	v_pk_max_f16 v9, v11, v11
	v_pk_min_f16 v24, v24, v10
	v_pk_min_f16 v10, v7, v0
	;; [unrolled: 1-line block ×5, first 2 shown]
	v_pk_max_f16 v7, v17, v17
	v_pk_add_f16 v48, v48, v32
	v_pk_min_f16 v17, v7, v0
	v_pk_min_f16 v71, v7, v3
	;; [unrolled: 1-line block ×4, first 2 shown]
	v_pk_max_f16 v7, v19, v19
	v_pk_max_f16 v5, v5, v5
	v_pk_min_f16 v19, v7, v0
	v_pk_min_f16 v74, v7, v3
	;; [unrolled: 1-line block ×4, first 2 shown]
	v_pk_max_f16 v7, v21, v21
	v_add_u32_e32 v32, s19, v13
	v_pk_min_f16 v21, v7, v0
	v_pk_min_f16 v77, v7, v3
	;; [unrolled: 1-line block ×4, first 2 shown]
	v_pk_max_f16 v7, v23, v23
	s_add_u32 s2, s6, s0
	v_pk_min_f16 v23, v7, v0
	v_pk_min_f16 v80, v7, v3
	;; [unrolled: 1-line block ×4, first 2 shown]
	v_pk_max_f16 v7, v25, v25
	v_pk_add_f16 v28, v47, v28
	v_pk_add_f16 v22, v37, v22
	;; [unrolled: 1-line block ×3, first 2 shown]
	v_pk_min_f16 v2, v1, v0
	v_pk_min_f16 v4, v1, v3
	;; [unrolled: 1-line block ×12, first 2 shown]
	v_add_u32_e32 v34, 8, v32
	v_add_u32_e32 v36, 16, v32
	;; [unrolled: 1-line block ×7, first 2 shown]
	v_cmp_neq_f16_e64 s[4:5], s11, 0
	s_addc_u32 s3, s7, s1
	v_ashrrev_i32_e32 v33, 31, v32
	v_ashrrev_i32_e32 v35, 31, v34
	;; [unrolled: 1-line block ×8, first 2 shown]
	v_add_u32_e32 v52, s18, v12
	s_mov_b64 s[6:7], 15
	v_pk_add_f16 v7, v55, v2
	v_pk_add_f16 v15, v27, v4
	;; [unrolled: 1-line block ×32, first 2 shown]
	s_branch .LBB301_12
.LBB301_11:                             ;   in Loop: Header=BB301_12 Depth=1
	s_add_i32 s0, s6, -1
	s_cmp_eq_u32 s0, 1
	s_cselect_b64 vcc, -1, 0
	s_cmp_eq_u32 s0, 2
	v_cndmask_b32_e32 v48, v0, v53, vcc
	s_cselect_b64 vcc, -1, 0
	s_cmp_eq_u32 s0, 3
	v_cndmask_b32_e32 v48, v48, v1, vcc
	;; [unrolled: 3-line block ×62, first 2 shown]
	s_cselect_b64 vcc, -1, 0
	s_cmp_eq_u32 s6, 1
	s_cselect_b64 s[0:1], -1, 0
	s_cmp_eq_u32 s6, 2
	v_cndmask_b32_e64 v49, v0, v53, s[0:1]
	s_cselect_b64 s[0:1], -1, 0
	s_cmp_eq_u32 s6, 3
	v_cndmask_b32_e64 v49, v49, v1, s[0:1]
	;; [unrolled: 3-line block ×61, first 2 shown]
	v_cndmask_b32_e32 v48, v48, v84, vcc
	s_cselect_b64 vcc, -1, 0
	s_cmp_eq_u32 s6, 63
	v_cndmask_b32_e32 v49, v49, v31, vcc
	s_cselect_b64 vcc, -1, 0
	v_cndmask_b32_e32 v49, v49, v84, vcc
	s_add_u32 s6, s6, 16
	v_add_f16_e32 v48, v48, v49
	s_addc_u32 s7, s7, 0
	v_add_f16_e32 v53, v48, v85
	v_lshl_add_u64 v[48:49], v[46:47], 1, v[50:51]
	s_cmpk_lg_i32 s6, 0x4f
	v_add_u32_e32 v52, 32, v52
	global_store_short v[48:49], v53, off
	s_cbranch_scc0 .LBB301_28
.LBB301_12:                             ; =>This Inner Loop Header: Depth=1
	v_mad_i64_i32 v[48:49], s[0:1], v52, s10, 0
	v_cndmask_b32_e64 v50, 0, 1, s[4:5]
	v_lshl_add_u64 v[48:49], v[48:49], 1, s[8:9]
	v_mov_b32_e32 v85, 0
	v_cmp_ne_u32_e64 s[0:1], 1, v50
	s_andn2_b64 vcc, exec, s[4:5]
	v_mov_b32_e32 v50, 0
	s_cbranch_vccnz .LBB301_14
; %bb.13:                               ;   in Loop: Header=BB301_12 Depth=1
	v_lshl_add_u64 v[50:51], v[32:33], 1, v[48:49]
	global_load_ushort v50, v[50:51], off
	s_waitcnt vmcnt(0)
	v_mul_f16_e32 v50, s11, v50
.LBB301_14:                             ;   in Loop: Header=BB301_12 Depth=1
	s_add_i32 s13, s6, -15
	s_cmp_eq_u32 s13, 1
	v_lshrrev_b32_e32 v53, 16, v0
	s_cselect_b64 vcc, -1, 0
	s_cmp_eq_u32 s13, 2
	v_cndmask_b32_e32 v51, v0, v53, vcc
	s_cselect_b64 vcc, -1, 0
	s_cmp_eq_u32 s13, 3
	v_cndmask_b32_e32 v51, v51, v1, vcc
	v_lshrrev_b32_e32 v54, 16, v1
	s_cselect_b64 vcc, -1, 0
	s_cmp_eq_u32 s13, 4
	v_cndmask_b32_e32 v51, v51, v54, vcc
	s_cselect_b64 vcc, -1, 0
	s_cmp_eq_u32 s13, 5
	v_cndmask_b32_e32 v51, v51, v4, vcc
	;; [unrolled: 7-line block ×31, first 2 shown]
	s_cselect_b64 vcc, -1, 0
	s_add_i32 s13, s6, -14
	v_lshrrev_b32_e32 v84, 16, v31
	s_cmp_eq_u32 s13, 1
	v_cndmask_b32_e32 v51, v51, v84, vcc
	s_cselect_b64 vcc, -1, 0
	s_cmp_eq_u32 s13, 2
	v_cndmask_b32_e32 v86, v0, v53, vcc
	s_cselect_b64 vcc, -1, 0
	;; [unrolled: 3-line block ×63, first 2 shown]
	v_cndmask_b32_e32 v86, v86, v84, vcc
	v_add_f16_e32 v51, v51, v86
	v_add_f16_e32 v88, v51, v50
	v_mad_i64_i32 v[50:51], s[14:15], v52, s12, 0
	v_lshl_add_u64 v[50:51], v[50:51], 1, s[2:3]
	v_lshl_add_u64 v[86:87], v[32:33], 1, v[50:51]
	s_and_b64 vcc, exec, s[0:1]
	global_store_short v[86:87], v88, off
	s_cbranch_vccnz .LBB301_16
; %bb.15:                               ;   in Loop: Header=BB301_12 Depth=1
	v_lshl_add_u64 v[86:87], v[34:35], 1, v[48:49]
	global_load_ushort v85, v[86:87], off
	s_waitcnt vmcnt(0)
	v_mul_f16_e32 v85, s11, v85
.LBB301_16:                             ;   in Loop: Header=BB301_12 Depth=1
	s_add_i32 s13, s6, -13
	s_cmp_eq_u32 s13, 1
	s_cselect_b64 vcc, -1, 0
	s_cmp_eq_u32 s13, 2
	v_cndmask_b32_e32 v86, v0, v53, vcc
	s_cselect_b64 vcc, -1, 0
	s_cmp_eq_u32 s13, 3
	v_cndmask_b32_e32 v86, v86, v1, vcc
	;; [unrolled: 3-line block ×62, first 2 shown]
	s_cselect_b64 vcc, -1, 0
	s_add_i32 s13, s6, -12
	s_cmp_eq_u32 s13, 1
	v_cndmask_b32_e32 v86, v86, v84, vcc
	s_cselect_b64 vcc, -1, 0
	s_cmp_eq_u32 s13, 2
	v_cndmask_b32_e32 v87, v0, v53, vcc
	s_cselect_b64 vcc, -1, 0
	;; [unrolled: 3-line block ×63, first 2 shown]
	v_cndmask_b32_e32 v87, v87, v84, vcc
	v_add_f16_e32 v86, v86, v87
	v_add_f16_e32 v85, v86, v85
	v_lshl_add_u64 v[86:87], v[34:35], 1, v[50:51]
	global_store_short v[86:87], v85, off
	s_and_b64 vcc, exec, s[0:1]
	v_mov_b32_e32 v85, 0
	v_mov_b32_e32 v86, 0
	s_cbranch_vccnz .LBB301_18
; %bb.17:                               ;   in Loop: Header=BB301_12 Depth=1
	v_lshl_add_u64 v[86:87], v[36:37], 1, v[48:49]
	global_load_ushort v86, v[86:87], off
	s_waitcnt vmcnt(0)
	v_mul_f16_e32 v86, s11, v86
.LBB301_18:                             ;   in Loop: Header=BB301_12 Depth=1
	s_add_i32 s13, s6, -11
	s_cmp_eq_u32 s13, 1
	s_cselect_b64 vcc, -1, 0
	s_cmp_eq_u32 s13, 2
	v_cndmask_b32_e32 v87, v0, v53, vcc
	s_cselect_b64 vcc, -1, 0
	s_cmp_eq_u32 s13, 3
	v_cndmask_b32_e32 v87, v87, v1, vcc
	;; [unrolled: 3-line block ×62, first 2 shown]
	s_cselect_b64 vcc, -1, 0
	s_add_i32 s13, s6, -10
	s_cmp_eq_u32 s13, 1
	v_cndmask_b32_e32 v87, v87, v84, vcc
	s_cselect_b64 vcc, -1, 0
	s_cmp_eq_u32 s13, 2
	v_cndmask_b32_e32 v88, v0, v53, vcc
	s_cselect_b64 vcc, -1, 0
	;; [unrolled: 3-line block ×63, first 2 shown]
	v_cndmask_b32_e32 v88, v88, v84, vcc
	v_add_f16_e32 v87, v87, v88
	v_add_f16_e32 v88, v87, v86
	v_lshl_add_u64 v[86:87], v[36:37], 1, v[50:51]
	s_and_b64 vcc, exec, s[0:1]
	global_store_short v[86:87], v88, off
	s_cbranch_vccnz .LBB301_20
; %bb.19:                               ;   in Loop: Header=BB301_12 Depth=1
	v_lshl_add_u64 v[86:87], v[38:39], 1, v[48:49]
	global_load_ushort v85, v[86:87], off
	s_waitcnt vmcnt(0)
	v_mul_f16_e32 v85, s11, v85
.LBB301_20:                             ;   in Loop: Header=BB301_12 Depth=1
	s_add_i32 s13, s6, -9
	s_cmp_eq_u32 s13, 1
	s_cselect_b64 vcc, -1, 0
	s_cmp_eq_u32 s13, 2
	v_cndmask_b32_e32 v86, v0, v53, vcc
	s_cselect_b64 vcc, -1, 0
	s_cmp_eq_u32 s13, 3
	v_cndmask_b32_e32 v86, v86, v1, vcc
	;; [unrolled: 3-line block ×62, first 2 shown]
	s_cselect_b64 vcc, -1, 0
	s_add_i32 s13, s6, -8
	s_cmp_eq_u32 s13, 1
	v_cndmask_b32_e32 v86, v86, v84, vcc
	s_cselect_b64 vcc, -1, 0
	s_cmp_eq_u32 s13, 2
	v_cndmask_b32_e32 v87, v0, v53, vcc
	s_cselect_b64 vcc, -1, 0
	;; [unrolled: 3-line block ×63, first 2 shown]
	v_cndmask_b32_e32 v87, v87, v84, vcc
	v_add_f16_e32 v86, v86, v87
	v_add_f16_e32 v85, v86, v85
	v_lshl_add_u64 v[86:87], v[38:39], 1, v[50:51]
	global_store_short v[86:87], v85, off
	s_and_b64 vcc, exec, s[0:1]
	v_mov_b32_e32 v85, 0
	v_mov_b32_e32 v86, 0
	s_cbranch_vccnz .LBB301_22
; %bb.21:                               ;   in Loop: Header=BB301_12 Depth=1
	v_lshl_add_u64 v[86:87], v[40:41], 1, v[48:49]
	global_load_ushort v86, v[86:87], off
	s_waitcnt vmcnt(0)
	v_mul_f16_e32 v86, s11, v86
.LBB301_22:                             ;   in Loop: Header=BB301_12 Depth=1
	s_add_i32 s13, s6, -7
	s_cmp_eq_u32 s13, 1
	s_cselect_b64 vcc, -1, 0
	s_cmp_eq_u32 s13, 2
	v_cndmask_b32_e32 v87, v0, v53, vcc
	s_cselect_b64 vcc, -1, 0
	s_cmp_eq_u32 s13, 3
	v_cndmask_b32_e32 v87, v87, v1, vcc
	;; [unrolled: 3-line block ×62, first 2 shown]
	s_cselect_b64 vcc, -1, 0
	s_add_i32 s13, s6, -6
	s_cmp_eq_u32 s13, 1
	v_cndmask_b32_e32 v87, v87, v84, vcc
	s_cselect_b64 vcc, -1, 0
	s_cmp_eq_u32 s13, 2
	v_cndmask_b32_e32 v88, v0, v53, vcc
	s_cselect_b64 vcc, -1, 0
	;; [unrolled: 3-line block ×63, first 2 shown]
	v_cndmask_b32_e32 v88, v88, v84, vcc
	v_add_f16_e32 v87, v87, v88
	v_add_f16_e32 v88, v87, v86
	v_lshl_add_u64 v[86:87], v[40:41], 1, v[50:51]
	s_and_b64 vcc, exec, s[0:1]
	global_store_short v[86:87], v88, off
	s_cbranch_vccnz .LBB301_24
; %bb.23:                               ;   in Loop: Header=BB301_12 Depth=1
	v_lshl_add_u64 v[86:87], v[42:43], 1, v[48:49]
	global_load_ushort v85, v[86:87], off
	s_waitcnt vmcnt(0)
	v_mul_f16_e32 v85, s11, v85
.LBB301_24:                             ;   in Loop: Header=BB301_12 Depth=1
	s_add_i32 s13, s6, -5
	s_cmp_eq_u32 s13, 1
	s_cselect_b64 vcc, -1, 0
	s_cmp_eq_u32 s13, 2
	v_cndmask_b32_e32 v86, v0, v53, vcc
	s_cselect_b64 vcc, -1, 0
	s_cmp_eq_u32 s13, 3
	v_cndmask_b32_e32 v86, v86, v1, vcc
	;; [unrolled: 3-line block ×62, first 2 shown]
	s_cselect_b64 vcc, -1, 0
	s_add_i32 s13, s6, -4
	s_cmp_eq_u32 s13, 1
	v_cndmask_b32_e32 v86, v86, v84, vcc
	s_cselect_b64 vcc, -1, 0
	s_cmp_eq_u32 s13, 2
	v_cndmask_b32_e32 v87, v0, v53, vcc
	s_cselect_b64 vcc, -1, 0
	;; [unrolled: 3-line block ×63, first 2 shown]
	v_cndmask_b32_e32 v87, v87, v84, vcc
	v_add_f16_e32 v86, v86, v87
	v_add_f16_e32 v85, v86, v85
	v_lshl_add_u64 v[86:87], v[42:43], 1, v[50:51]
	global_store_short v[86:87], v85, off
	s_and_b64 vcc, exec, s[0:1]
	v_mov_b32_e32 v85, 0
	v_mov_b32_e32 v86, 0
	s_cbranch_vccnz .LBB301_26
; %bb.25:                               ;   in Loop: Header=BB301_12 Depth=1
	v_lshl_add_u64 v[86:87], v[44:45], 1, v[48:49]
	global_load_ushort v86, v[86:87], off
	s_waitcnt vmcnt(0)
	v_mul_f16_e32 v86, s11, v86
.LBB301_26:                             ;   in Loop: Header=BB301_12 Depth=1
	s_add_i32 s13, s6, -3
	s_cmp_eq_u32 s13, 1
	s_cselect_b64 vcc, -1, 0
	s_cmp_eq_u32 s13, 2
	v_cndmask_b32_e32 v87, v0, v53, vcc
	s_cselect_b64 vcc, -1, 0
	s_cmp_eq_u32 s13, 3
	v_cndmask_b32_e32 v87, v87, v1, vcc
	;; [unrolled: 3-line block ×62, first 2 shown]
	s_cselect_b64 vcc, -1, 0
	s_add_i32 s13, s6, -2
	s_cmp_eq_u32 s13, 1
	v_cndmask_b32_e32 v87, v87, v84, vcc
	s_cselect_b64 vcc, -1, 0
	s_cmp_eq_u32 s13, 2
	v_cndmask_b32_e32 v88, v0, v53, vcc
	s_cselect_b64 vcc, -1, 0
	;; [unrolled: 3-line block ×63, first 2 shown]
	v_cndmask_b32_e32 v88, v88, v84, vcc
	v_add_f16_e32 v87, v87, v88
	v_add_f16_e32 v88, v87, v86
	v_lshl_add_u64 v[86:87], v[44:45], 1, v[50:51]
	s_and_b64 vcc, exec, s[0:1]
	global_store_short v[86:87], v88, off
	s_cbranch_vccnz .LBB301_11
; %bb.27:                               ;   in Loop: Header=BB301_12 Depth=1
	v_lshl_add_u64 v[48:49], v[46:47], 1, v[48:49]
	global_load_ushort v48, v[48:49], off
	s_waitcnt vmcnt(0)
	v_mul_f16_e32 v85, s11, v48
	s_branch .LBB301_11
.LBB301_28:
	s_endpgm
.LBB301_29:
	s_mov_b64 s[12:13], 0
	s_andn2_b64 vcc, exec, s[8:9]
	s_mov_b64 s[4:5], -1
	s_cbranch_vccz .LBB301_2
	s_branch .LBB301_3
	.section	.rodata,"a",@progbits
	.p2align	6, 0x0
	.amdhsa_kernel _ZN12_GLOBAL__N_120geam_min_plus_kernelIDF16_Dv2_DF16_S1_Li8ELi32ELi64ELi128ELi4ELi4ELi64ELi64ELi4ELc84ELc84ELb1ELb0ELb0EDF16_KDF16_DF16_EEviiiT16_PT17_ilS5_ilS3_S5_ilPT18_ili26rocblas_geam_ex_operation_
		.amdhsa_group_segment_fixed_size 3072
		.amdhsa_private_segment_fixed_size 0
		.amdhsa_kernarg_size 128
		.amdhsa_user_sgpr_count 2
		.amdhsa_user_sgpr_dispatch_ptr 0
		.amdhsa_user_sgpr_queue_ptr 0
		.amdhsa_user_sgpr_kernarg_segment_ptr 1
		.amdhsa_user_sgpr_dispatch_id 0
		.amdhsa_user_sgpr_kernarg_preload_length 0
		.amdhsa_user_sgpr_kernarg_preload_offset 0
		.amdhsa_user_sgpr_private_segment_size 0
		.amdhsa_uses_dynamic_stack 0
		.amdhsa_enable_private_segment 0
		.amdhsa_system_sgpr_workgroup_id_x 1
		.amdhsa_system_sgpr_workgroup_id_y 0
		.amdhsa_system_sgpr_workgroup_id_z 1
		.amdhsa_system_sgpr_workgroup_info 0
		.amdhsa_system_vgpr_workitem_id 1
		.amdhsa_next_free_vgpr 119
		.amdhsa_next_free_sgpr 21
		.amdhsa_accum_offset 120
		.amdhsa_reserve_vcc 1
		.amdhsa_float_round_mode_32 0
		.amdhsa_float_round_mode_16_64 0
		.amdhsa_float_denorm_mode_32 3
		.amdhsa_float_denorm_mode_16_64 3
		.amdhsa_dx10_clamp 1
		.amdhsa_ieee_mode 1
		.amdhsa_fp16_overflow 0
		.amdhsa_tg_split 0
		.amdhsa_exception_fp_ieee_invalid_op 0
		.amdhsa_exception_fp_denorm_src 0
		.amdhsa_exception_fp_ieee_div_zero 0
		.amdhsa_exception_fp_ieee_overflow 0
		.amdhsa_exception_fp_ieee_underflow 0
		.amdhsa_exception_fp_ieee_inexact 0
		.amdhsa_exception_int_div_zero 0
	.end_amdhsa_kernel
	.section	.text._ZN12_GLOBAL__N_120geam_min_plus_kernelIDF16_Dv2_DF16_S1_Li8ELi32ELi64ELi128ELi4ELi4ELi64ELi64ELi4ELc84ELc84ELb1ELb0ELb0EDF16_KDF16_DF16_EEviiiT16_PT17_ilS5_ilS3_S5_ilPT18_ili26rocblas_geam_ex_operation_,"axG",@progbits,_ZN12_GLOBAL__N_120geam_min_plus_kernelIDF16_Dv2_DF16_S1_Li8ELi32ELi64ELi128ELi4ELi4ELi64ELi64ELi4ELc84ELc84ELb1ELb0ELb0EDF16_KDF16_DF16_EEviiiT16_PT17_ilS5_ilS3_S5_ilPT18_ili26rocblas_geam_ex_operation_,comdat
.Lfunc_end301:
	.size	_ZN12_GLOBAL__N_120geam_min_plus_kernelIDF16_Dv2_DF16_S1_Li8ELi32ELi64ELi128ELi4ELi4ELi64ELi64ELi4ELc84ELc84ELb1ELb0ELb0EDF16_KDF16_DF16_EEviiiT16_PT17_ilS5_ilS3_S5_ilPT18_ili26rocblas_geam_ex_operation_, .Lfunc_end301-_ZN12_GLOBAL__N_120geam_min_plus_kernelIDF16_Dv2_DF16_S1_Li8ELi32ELi64ELi128ELi4ELi4ELi64ELi64ELi4ELc84ELc84ELb1ELb0ELb0EDF16_KDF16_DF16_EEviiiT16_PT17_ilS5_ilS3_S5_ilPT18_ili26rocblas_geam_ex_operation_
                                        ; -- End function
	.set _ZN12_GLOBAL__N_120geam_min_plus_kernelIDF16_Dv2_DF16_S1_Li8ELi32ELi64ELi128ELi4ELi4ELi64ELi64ELi4ELc84ELc84ELb1ELb0ELb0EDF16_KDF16_DF16_EEviiiT16_PT17_ilS5_ilS3_S5_ilPT18_ili26rocblas_geam_ex_operation_.num_vgpr, 119
	.set _ZN12_GLOBAL__N_120geam_min_plus_kernelIDF16_Dv2_DF16_S1_Li8ELi32ELi64ELi128ELi4ELi4ELi64ELi64ELi4ELc84ELc84ELb1ELb0ELb0EDF16_KDF16_DF16_EEviiiT16_PT17_ilS5_ilS3_S5_ilPT18_ili26rocblas_geam_ex_operation_.num_agpr, 0
	.set _ZN12_GLOBAL__N_120geam_min_plus_kernelIDF16_Dv2_DF16_S1_Li8ELi32ELi64ELi128ELi4ELi4ELi64ELi64ELi4ELc84ELc84ELb1ELb0ELb0EDF16_KDF16_DF16_EEviiiT16_PT17_ilS5_ilS3_S5_ilPT18_ili26rocblas_geam_ex_operation_.numbered_sgpr, 21
	.set _ZN12_GLOBAL__N_120geam_min_plus_kernelIDF16_Dv2_DF16_S1_Li8ELi32ELi64ELi128ELi4ELi4ELi64ELi64ELi4ELc84ELc84ELb1ELb0ELb0EDF16_KDF16_DF16_EEviiiT16_PT17_ilS5_ilS3_S5_ilPT18_ili26rocblas_geam_ex_operation_.num_named_barrier, 0
	.set _ZN12_GLOBAL__N_120geam_min_plus_kernelIDF16_Dv2_DF16_S1_Li8ELi32ELi64ELi128ELi4ELi4ELi64ELi64ELi4ELc84ELc84ELb1ELb0ELb0EDF16_KDF16_DF16_EEviiiT16_PT17_ilS5_ilS3_S5_ilPT18_ili26rocblas_geam_ex_operation_.private_seg_size, 0
	.set _ZN12_GLOBAL__N_120geam_min_plus_kernelIDF16_Dv2_DF16_S1_Li8ELi32ELi64ELi128ELi4ELi4ELi64ELi64ELi4ELc84ELc84ELb1ELb0ELb0EDF16_KDF16_DF16_EEviiiT16_PT17_ilS5_ilS3_S5_ilPT18_ili26rocblas_geam_ex_operation_.uses_vcc, 1
	.set _ZN12_GLOBAL__N_120geam_min_plus_kernelIDF16_Dv2_DF16_S1_Li8ELi32ELi64ELi128ELi4ELi4ELi64ELi64ELi4ELc84ELc84ELb1ELb0ELb0EDF16_KDF16_DF16_EEviiiT16_PT17_ilS5_ilS3_S5_ilPT18_ili26rocblas_geam_ex_operation_.uses_flat_scratch, 0
	.set _ZN12_GLOBAL__N_120geam_min_plus_kernelIDF16_Dv2_DF16_S1_Li8ELi32ELi64ELi128ELi4ELi4ELi64ELi64ELi4ELc84ELc84ELb1ELb0ELb0EDF16_KDF16_DF16_EEviiiT16_PT17_ilS5_ilS3_S5_ilPT18_ili26rocblas_geam_ex_operation_.has_dyn_sized_stack, 0
	.set _ZN12_GLOBAL__N_120geam_min_plus_kernelIDF16_Dv2_DF16_S1_Li8ELi32ELi64ELi128ELi4ELi4ELi64ELi64ELi4ELc84ELc84ELb1ELb0ELb0EDF16_KDF16_DF16_EEviiiT16_PT17_ilS5_ilS3_S5_ilPT18_ili26rocblas_geam_ex_operation_.has_recursion, 0
	.set _ZN12_GLOBAL__N_120geam_min_plus_kernelIDF16_Dv2_DF16_S1_Li8ELi32ELi64ELi128ELi4ELi4ELi64ELi64ELi4ELc84ELc84ELb1ELb0ELb0EDF16_KDF16_DF16_EEviiiT16_PT17_ilS5_ilS3_S5_ilPT18_ili26rocblas_geam_ex_operation_.has_indirect_call, 0
	.section	.AMDGPU.csdata,"",@progbits
; Kernel info:
; codeLenInByte = 19396
; TotalNumSgprs: 27
; NumVgprs: 119
; NumAgprs: 0
; TotalNumVgprs: 119
; ScratchSize: 0
; MemoryBound: 0
; FloatMode: 240
; IeeeMode: 1
; LDSByteSize: 3072 bytes/workgroup (compile time only)
; SGPRBlocks: 3
; VGPRBlocks: 14
; NumSGPRsForWavesPerEU: 27
; NumVGPRsForWavesPerEU: 119
; AccumOffset: 120
; Occupancy: 4
; WaveLimiterHint : 1
; COMPUTE_PGM_RSRC2:SCRATCH_EN: 0
; COMPUTE_PGM_RSRC2:USER_SGPR: 2
; COMPUTE_PGM_RSRC2:TRAP_HANDLER: 0
; COMPUTE_PGM_RSRC2:TGID_X_EN: 1
; COMPUTE_PGM_RSRC2:TGID_Y_EN: 0
; COMPUTE_PGM_RSRC2:TGID_Z_EN: 1
; COMPUTE_PGM_RSRC2:TIDIG_COMP_CNT: 1
; COMPUTE_PGM_RSRC3_GFX90A:ACCUM_OFFSET: 29
; COMPUTE_PGM_RSRC3_GFX90A:TG_SPLIT: 0
	.section	.text._ZN12_GLOBAL__N_120geam_min_plus_kernelIDF16_Dv2_DF16_S1_Li8ELi32ELi64ELi128ELi4ELi4ELi64ELi64ELi4ELc84ELc84ELb0ELb0ELb0EDF16_KDF16_DF16_EEviiiT16_PT17_ilS5_ilS3_S5_ilPT18_ili26rocblas_geam_ex_operation_,"axG",@progbits,_ZN12_GLOBAL__N_120geam_min_plus_kernelIDF16_Dv2_DF16_S1_Li8ELi32ELi64ELi128ELi4ELi4ELi64ELi64ELi4ELc84ELc84ELb0ELb0ELb0EDF16_KDF16_DF16_EEviiiT16_PT17_ilS5_ilS3_S5_ilPT18_ili26rocblas_geam_ex_operation_,comdat
	.globl	_ZN12_GLOBAL__N_120geam_min_plus_kernelIDF16_Dv2_DF16_S1_Li8ELi32ELi64ELi128ELi4ELi4ELi64ELi64ELi4ELc84ELc84ELb0ELb0ELb0EDF16_KDF16_DF16_EEviiiT16_PT17_ilS5_ilS3_S5_ilPT18_ili26rocblas_geam_ex_operation_ ; -- Begin function _ZN12_GLOBAL__N_120geam_min_plus_kernelIDF16_Dv2_DF16_S1_Li8ELi32ELi64ELi128ELi4ELi4ELi64ELi64ELi4ELc84ELc84ELb0ELb0ELb0EDF16_KDF16_DF16_EEviiiT16_PT17_ilS5_ilS3_S5_ilPT18_ili26rocblas_geam_ex_operation_
	.p2align	8
	.type	_ZN12_GLOBAL__N_120geam_min_plus_kernelIDF16_Dv2_DF16_S1_Li8ELi32ELi64ELi128ELi4ELi4ELi64ELi64ELi4ELc84ELc84ELb0ELb0ELb0EDF16_KDF16_DF16_EEviiiT16_PT17_ilS5_ilS3_S5_ilPT18_ili26rocblas_geam_ex_operation_,@function
_ZN12_GLOBAL__N_120geam_min_plus_kernelIDF16_Dv2_DF16_S1_Li8ELi32ELi64ELi128ELi4ELi4ELi64ELi64ELi4ELc84ELc84ELb0ELb0ELb0EDF16_KDF16_DF16_EEviiiT16_PT17_ilS5_ilS3_S5_ilPT18_ili26rocblas_geam_ex_operation_: ; @_ZN12_GLOBAL__N_120geam_min_plus_kernelIDF16_Dv2_DF16_S1_Li8ELi32ELi64ELi128ELi4ELi4ELi64ELi64ELi4ELc84ELc84ELb0ELb0ELb0EDF16_KDF16_DF16_EEviiiT16_PT17_ilS5_ilS3_S5_ilPT18_ili26rocblas_geam_ex_operation_
; %bb.0:
	s_load_dwordx2 s[14:15], s[0:1], 0x8
	s_load_dwordx4 s[8:11], s[0:1], 0x20
	s_waitcnt lgkmcnt(0)
	v_cmp_eq_f16_e64 s[4:5], s15, 0
	s_and_b64 s[6:7], exec, s[4:5]
	s_mov_b64 vcc, s[6:7]
	s_cbranch_vccnz .LBB302_10
; %bb.1:
	s_load_dwordx2 s[12:13], s[0:1], 0x10
	s_mul_i32 s9, s9, s3
	s_mul_hi_u32 s16, s8, s3
	s_add_i32 s9, s16, s9
	s_mul_i32 s8, s8, s3
	s_lshl_b64 s[8:9], s[8:9], 1
	s_waitcnt lgkmcnt(0)
	s_add_u32 s16, s12, s8
	s_addc_u32 s17, s13, s9
	s_andn2_b64 vcc, exec, s[4:5]
	s_mov_b64 s[4:5], -1
	s_cbranch_vccnz .LBB302_3
.LBB302_2:
	s_mov_b64 s[4:5], 0
.LBB302_3:
	s_mov_b64 s[12:13], 0
	s_andn2_b64 vcc, exec, s[4:5]
	s_mov_b64 s[18:19], 0
	s_cbranch_vccnz .LBB302_5
; %bb.4:
	s_load_dwordx2 s[4:5], s[0:1], 0x38
	s_waitcnt lgkmcnt(0)
	s_mul_i32 s5, s5, s3
	s_mul_hi_u32 s8, s4, s3
	s_add_i32 s5, s8, s5
	s_mul_i32 s4, s4, s3
	s_lshl_b64 s[4:5], s[4:5], 1
	s_add_u32 s18, s10, s4
	s_addc_u32 s19, s11, s5
.LBB302_5:
	s_load_dword s22, s[0:1], 0x40
	s_load_dwordx4 s[8:11], s[0:1], 0x58
	v_cmp_neq_f16_e64 s[20:21], s15, 0
	s_waitcnt lgkmcnt(0)
	v_cmp_eq_f16_e64 s[4:5], s22, 0
	s_and_b64 vcc, exec, s[4:5]
	s_cbranch_vccnz .LBB302_7
; %bb.6:
	s_load_dwordx2 s[4:5], s[0:1], 0x48
	s_mul_i32 s9, s9, s3
	s_mul_hi_u32 s12, s8, s3
	s_add_i32 s9, s12, s9
	s_mul_i32 s8, s8, s3
	s_lshl_b64 s[8:9], s[8:9], 1
	s_waitcnt lgkmcnt(0)
	s_add_u32 s12, s4, s8
	s_addc_u32 s13, s5, s9
.LBB302_7:
	s_load_dword s4, s[0:1], 0x0
	s_load_dword s25, s[0:1], 0x18
	;; [unrolled: 1-line block ×3, first 2 shown]
	v_and_b32_e32 v32, 0x3ff, v0
	v_bfe_u32 v48, v0, 10, 10
	s_waitcnt lgkmcnt(0)
	s_add_i32 s4, s4, -1
	s_ashr_i32 s5, s4, 31
	s_lshr_b32 s5, s5, 26
	s_add_i32 s4, s4, s5
	s_ashr_i32 s4, s4, 6
	s_add_i32 s5, s4, 1
	v_cvt_f32_u32_e32 v1, s5
	s_not_b32 s4, s4
	s_ashr_i32 s9, s8, 31
	v_lshl_add_u32 v2, v48, 3, v32
	v_rcp_iflag_f32_e32 v1, v1
	v_and_b32_e32 v5, 63, v2
	v_and_b32_e32 v0, 3, v0
	v_lshrrev_b32_e32 v6, 2, v2
	v_mul_f32_e32 v1, 0x4f7ffffe, v1
	v_cvt_u32_f32_e32 v1, v1
	v_lshrrev_b32_e32 v4, 6, v2
	v_mov_b32_e32 v9, 0
	v_lshlrev_b32_e32 v0, 1, v0
	v_readfirstlane_b32 s23, v1
	s_mul_i32 s4, s4, s23
	s_mul_hi_u32 s4, s23, s4
	s_add_i32 s23, s23, s4
	s_mul_hi_u32 s4, s2, s23
	s_mul_i32 s23, s4, s5
	s_sub_i32 s23, s2, s23
	s_add_i32 s24, s4, 1
	s_sub_i32 s26, s23, s5
	s_cmp_ge_u32 s23, s5
	s_cselect_b32 s4, s24, s4
	s_cselect_b32 s23, s26, s23
	s_add_i32 s24, s4, 1
	s_cmp_ge_u32 s23, s5
	s_cselect_b32 s4, s24, s4
	s_mul_i32 s26, s4, s5
	s_sub_i32 s5, s2, s26
	s_lshl_b32 s23, s4, 7
	s_lshl_b32 s24, s5, 6
	v_cndmask_b32_e64 v1, 0, 1, s[20:21]
	v_or_b32_e32 v2, s23, v5
	v_cmp_ne_u32_e64 s[4:5], 1, v1
	s_andn2_b64 vcc, exec, s[20:21]
	v_add_u32_e32 v11, s24, v6
	v_ashrrev_i32_e32 v3, 31, v2
	s_cbranch_vccnz .LBB302_11
; %bb.8:
	v_mad_i64_i32 v[12:13], s[20:21], v11, s25, 0
	v_lshl_add_u64 v[12:13], v[12:13], 1, s[16:17]
	v_mov_b32_e32 v1, 0
	v_lshl_add_u64 v[12:13], v[12:13], 0, v[0:1]
	global_load_ushort v1, v[12:13], off
	v_mad_i64_i32 v[12:13], s[20:21], s8, v4, 0
	v_lshl_add_u64 v[12:13], v[12:13], 1, s[18:19]
	v_lshl_add_u64 v[12:13], v[2:3], 1, v[12:13]
	global_load_ushort v7, v[12:13], off
	global_load_ushort v8, v[12:13], off offset:128
	s_waitcnt vmcnt(2)
	v_mul_f16_e32 v10, s15, v1
	s_waitcnt vmcnt(1)
	v_mul_f16_e32 v1, s15, v7
	v_pack_b32_f16 v7, v1, 0
	s_waitcnt vmcnt(0)
	v_mul_f16_e32 v8, s15, v8
	s_and_b64 vcc, exec, s[4:5]
	s_cbranch_vccnz .LBB302_12
.LBB302_9:
	v_mad_i64_i32 v[12:13], s[4:5], v11, s25, 0
	v_lshl_add_u64 v[12:13], v[12:13], 1, s[16:17]
	v_mov_b32_e32 v1, 0
	v_lshl_add_u64 v[12:13], v[12:13], 0, v[0:1]
	v_add_u32_e32 v9, 4, v4
	global_load_ushort v1, v[12:13], off offset:8
	v_mad_i64_i32 v[12:13], s[4:5], s8, v9, 0
	v_lshl_add_u64 v[12:13], v[12:13], 1, s[18:19]
	v_lshl_add_u64 v[2:3], v[2:3], 1, v[12:13]
	global_load_ushort v11, v[2:3], off
	global_load_ushort v12, v[2:3], off offset:128
	s_waitcnt vmcnt(2)
	v_mul_f16_e32 v9, s15, v1
	s_waitcnt vmcnt(1)
	v_mul_f16_e32 v1, s15, v11
	v_pack_b32_f16 v1, v1, 0
	s_waitcnt vmcnt(0)
	v_mul_f16_e32 v2, s15, v12
	s_branch .LBB302_13
.LBB302_10:
	s_mov_b64 s[16:17], 0
	s_andn2_b64 vcc, exec, s[4:5]
	s_mov_b64 s[4:5], -1
	s_cbranch_vccz .LBB302_2
	s_branch .LBB302_3
.LBB302_11:
	v_mov_b32_e32 v7, 0
	v_mov_b32_e32 v10, 0
	;; [unrolled: 1-line block ×3, first 2 shown]
	s_and_b64 vcc, exec, s[4:5]
	s_cbranch_vccz .LBB302_9
.LBB302_12:
	v_mov_b32_e32 v1, 0
	v_mov_b32_e32 v2, 0
.LBB302_13:
	v_lshlrev_b32_e32 v3, 3, v5
	v_lshlrev_b32_e32 v34, 3, v32
	v_lshl_or_b32 v0, v6, 3, v0
	v_lshl_add_u32 v35, v4, 1, v3
	v_lshlrev_b32_e32 v33, 3, v48
	v_add_u32_e32 v36, 0x800, v34
	ds_write_b16 v0, v10 offset:2048
	ds_write_b16 v35, v7
	ds_write_b16 v35, v8 offset:512
	s_waitcnt lgkmcnt(0)
	s_barrier
	ds_read2_b64 v[10:13], v33 offset1:32
	ds_read2_b64 v[14:17], v36 offset0:48 offset1:56
	ds_read2_b64 v[18:21], v33 offset0:64 offset1:96
	ds_read2_b64 v[22:25], v36 offset1:8
	ds_read2_b64 v[58:61], v36 offset0:32 offset1:40
	ds_read2_b64 v[26:29], v36 offset0:16 offset1:24
	s_waitcnt lgkmcnt(5)
	v_pk_max_f16 v3, v10, v10
	s_waitcnt lgkmcnt(4)
	v_pk_max_f16 v10, v16, v16
	v_pk_max_f16 v12, v12, v12
	s_waitcnt lgkmcnt(3)
	v_pk_max_f16 v16, v18, v18
	;; [unrolled: 3-line block ×3, first 2 shown]
	v_pk_max_f16 v18, v22, v22
	v_pk_min_f16 v58, v37, v3
	v_pk_min_f16 v62, v37, v12
	;; [unrolled: 1-line block ×4, first 2 shown]
	v_pk_max_f16 v37, v60, v60
	v_pk_max_f16 v24, v24, v24
	s_waitcnt lgkmcnt(0)
	v_pk_max_f16 v26, v26, v26
	v_pk_max_f16 v28, v28, v28
	;; [unrolled: 1-line block ×3, first 2 shown]
	v_pk_min_f16 v65, v37, v3
	v_pk_min_f16 v66, v37, v12
	;; [unrolled: 1-line block ×5, first 2 shown]
	v_pk_max_f16 v14, v14, v14
	v_pk_max_f16 v17, v17, v17
	v_pk_min_f16 v22, v18, v3
	v_pk_min_f16 v30, v18, v12
	;; [unrolled: 1-line block ×14, first 2 shown]
	v_pk_max_f16 v13, v13, v13
	v_pk_min_f16 v56, v28, v16
	v_pk_min_f16 v28, v28, v20
	v_pk_min_f16 v3, v14, v3
	v_pk_min_f16 v38, v10, v12
	v_pk_min_f16 v12, v14, v12
	v_pk_min_f16 v39, v10, v16
	v_pk_min_f16 v16, v14, v16
	v_pk_min_f16 v14, v14, v20
	v_pk_min_f16 v10, v10, v20
	v_pk_add_f16 v20, v37, 0
	v_pk_min_f16 v37, v17, v11
	v_pk_max_f16 v19, v19, v19
	v_pk_add_f16 v40, v20, v37
	v_pk_add_f16 v20, v38, 0
	v_pk_min_f16 v37, v17, v13
	v_pk_max_f16 v23, v23, v23
	v_pk_add_f16 v37, v20, v37
	;; [unrolled: 4-line block ×4, first 2 shown]
	v_pk_add_f16 v20, v30, 0
	v_pk_min_f16 v22, v23, v13
	v_pk_add_f16 v18, v18, 0
	v_pk_add_f16 v41, v20, v22
	;; [unrolled: 1-line block ×3, first 2 shown]
	v_pk_min_f16 v22, v23, v19
	v_pk_max_f16 v27, v27, v27
	v_pk_add_f16 v42, v20, v22
	v_pk_min_f16 v20, v23, v21
	v_pk_max_f16 v29, v29, v29
	v_pk_add_f16 v43, v18, v20
	v_pk_add_f16 v18, v44, 0
	v_pk_min_f16 v20, v25, v11
	v_pk_max_f16 v15, v15, v15
	v_pk_add_f16 v45, v18, v20
	v_pk_add_f16 v18, v46, 0
	v_pk_min_f16 v20, v25, v13
	v_pk_add_f16 v3, v3, 0
	v_pk_add_f16 v49, v18, v20
	;; [unrolled: 1-line block ×3, first 2 shown]
	v_pk_min_f16 v20, v25, v19
	v_pk_add_f16 v12, v12, 0
	v_pk_add_f16 v44, v18, v20
	v_pk_add_f16 v18, v24, 0
	v_pk_min_f16 v20, v25, v21
	v_pk_max_f16 v24, v61, v61
	v_pk_add_f16 v47, v18, v20
	v_pk_add_f16 v18, v50, 0
	v_pk_min_f16 v20, v27, v11
	v_pk_min_f16 v25, v24, v11
	v_pk_add_f16 v46, v18, v20
	v_pk_add_f16 v18, v51, 0
	v_pk_min_f16 v20, v27, v13
	v_pk_add_f16 v16, v16, 0
	v_pk_add_f16 v50, v18, v20
	v_pk_add_f16 v18, v52, 0
	v_pk_min_f16 v20, v27, v19
	v_pk_add_f16 v14, v14, 0
	;; [unrolled: 4-line block ×4, first 2 shown]
	v_pk_add_f16 v54, v18, v20
	v_pk_add_f16 v18, v55, 0
	v_pk_min_f16 v20, v29, v13
	s_cmp_lt_i32 s14, 9
	v_pk_add_f16 v57, v18, v20
	v_pk_add_f16 v18, v56, 0
	v_pk_min_f16 v20, v29, v19
	ds_write_b16 v0, v9 offset:2560
	ds_write_b16 v35, v1 offset:1024
	;; [unrolled: 1-line block ×3, first 2 shown]
	v_pk_add_f16 v53, v18, v20
	v_pk_add_f16 v18, v28, 0
	v_pk_min_f16 v20, v29, v21
	s_waitcnt lgkmcnt(0)
	v_pk_add_f16 v55, v18, v20
	v_pk_max_f16 v20, v59, v59
	v_pk_add_f16 v18, v58, 0
	v_pk_min_f16 v22, v20, v11
	v_pk_min_f16 v11, v15, v11
	v_pk_add_f16 v56, v18, v22
	v_pk_add_f16 v18, v62, 0
	v_pk_min_f16 v22, v20, v13
	s_barrier
	v_pk_add_f16 v58, v18, v22
	v_pk_add_f16 v18, v63, 0
	v_pk_min_f16 v22, v20, v19
	v_pk_min_f16 v20, v20, v21
	v_pk_add_f16 v59, v18, v22
	v_pk_add_f16 v18, v64, 0
	;; [unrolled: 1-line block ×6, first 2 shown]
	v_pk_min_f16 v3, v15, v13
	v_pk_add_f16 v20, v66, 0
	v_pk_add_f16 v61, v18, v25
	v_pk_min_f16 v18, v24, v13
	v_pk_add_f16 v66, v12, v3
	v_pk_min_f16 v3, v15, v19
	;; [unrolled: 2-line block ×6, first 2 shown]
	v_pk_add_f16 v64, v23, v18
	v_pk_add_f16 v69, v10, v3
	s_cbranch_scc1 .LBB302_24
; %bb.14:
	s_mov_b32 s20, 0x5040100
	v_perm_b32 v80, v2, v1, s20
	v_mov_b32_e32 v1, 0xa00
	v_lshl_add_u32 v73, v32, 3, v1
	v_mov_b32_e32 v1, 0x400
	v_lshl_add_u32 v74, v48, 3, v1
	v_lshl_add_u32 v1, s2, 6, v6
	s_lshl_b32 s2, s26, 6
	v_subrev_u32_e32 v1, s2, v1
	v_mad_i64_i32 v[2:3], s[4:5], s25, v1, 0
	v_and_b32_e32 v1, 3, v32
	v_add_u32_e32 v70, 0x800, v0
	v_add_u32_e32 v71, 0xa00, v0
	v_perm_b32 v0, v8, v7, s20
	v_lshlrev_b32_e32 v6, 1, v1
	v_mov_b32_e32 v7, 0
	v_lshl_add_u64 v[2:3], v[2:3], 1, v[6:7]
	v_lshl_add_u64 v[2:3], s[16:17], 0, v[2:3]
	v_add_u32_e32 v1, 12, v4
	v_lshl_add_u64 v[24:25], v[2:3], 0, 16
	v_mad_i64_i32 v[2:3], s[4:5], v1, s8, 0
	v_lshlrev_b64 v[26:27], 1, v[2:3]
	v_add_u32_e32 v2, s23, v5
	v_ashrrev_i32_e32 v3, 31, v2
	v_lshl_add_u64 v[2:3], v[2:3], 1, s[18:19]
	s_mov_b64 s[4:5], 0x80
	v_add_u32_e32 v1, 8, v4
	v_lshl_add_u64 v[28:29], v[2:3], 0, s[4:5]
	s_lshl_b64 s[4:5], s[8:9], 4
	v_mad_i64_i32 v[2:3], s[8:9], v1, s8, 0
	v_or_b32_e32 v72, 0x400, v35
	s_add_i32 s14, s14, -8
	v_lshlrev_b64 v[30:31], 1, v[2:3]
	s_mov_b32 s2, 0
	s_mov_b32 s16, 0xffff
	s_branch .LBB302_16
.LBB302_15:                             ;   in Loop: Header=BB302_16 Depth=1
	v_pk_max_f16 v2, v2, v2
	v_pk_max_f16 v20, v20, v20
	;; [unrolled: 1-line block ×10, first 2 shown]
	v_pk_min_f16 v86, v8, v20
	v_pk_max_f16 v21, v21, v21
	v_pk_max_f16 v23, v23, v23
	v_pk_min_f16 v87, v8, v22
	v_pk_min_f16 v88, v8, v16
	;; [unrolled: 1-line block ×3, first 2 shown]
	v_pk_max_f16 v17, v17, v17
	v_pk_max_f16 v19, v19, v19
	;; [unrolled: 1-line block ×9, first 2 shown]
	v_pk_min_f16 v92, v4, v20
	v_pk_max_f16 v0, v0, v0
	v_pk_max_f16 v3, v3, v3
	;; [unrolled: 1-line block ×3, first 2 shown]
	v_pk_min_f16 v93, v4, v22
	v_pk_min_f16 v94, v4, v16
	;; [unrolled: 1-line block ×59, first 2 shown]
	v_pk_add_f16 v3, v40, v98
	v_pk_add_f16 v8, v52, v8
	;; [unrolled: 1-line block ×26, first 2 shown]
	ds_read2_b64 v[2:5], v36 offset0:48 offset1:56
	ds_read2_b64 v[6:9], v33 offset1:32
	v_pk_add_f16 v38, v38, v80
	v_pk_add_f16 v52, v56, v92
	;; [unrolled: 1-line block ×3, first 2 shown]
	s_waitcnt lgkmcnt(1)
	v_pk_max_f16 v4, v4, v4
	s_waitcnt lgkmcnt(0)
	v_pk_max_f16 v6, v6, v6
	v_pk_add_f16 v22, v66, v22
	v_pk_add_f16 v16, v67, v16
	;; [unrolled: 1-line block ×8, first 2 shown]
	ds_read2_b64 v[10:13], v33 offset0:64 offset1:96
	v_pk_min_f16 v14, v4, v6
	v_pk_add_f16 v22, v22, v23
	v_pk_add_f16 v23, v16, v17
	v_pk_add_f16 v67, v59, v14
	ds_read2_b64 v[14:17], v36 offset1:8
	v_pk_add_f16 v37, v37, v99
	v_pk_max_f16 v8, v8, v8
	v_pk_add_f16 v39, v39, v100
	v_pk_add_f16 v37, v37, v119
	;; [unrolled: 1-line block ×3, first 2 shown]
	v_pk_min_f16 v19, v4, v8
	s_waitcnt lgkmcnt(1)
	v_pk_max_f16 v10, v10, v10
	v_pk_add_f16 v39, v39, v120
	v_pk_add_f16 v37, v37, v19
	v_pk_min_f16 v19, v4, v10
	s_waitcnt lgkmcnt(0)
	v_pk_max_f16 v14, v14, v14
	v_pk_add_f16 v39, v39, v19
	v_pk_min_f16 v19, v14, v6
	v_pk_add_f16 v0, v68, v0
	v_pk_add_f16 v68, v18, v19
	v_pk_min_f16 v18, v14, v8
	v_pk_max_f16 v16, v16, v16
	v_pk_add_f16 v69, v38, v18
	v_pk_min_f16 v18, v14, v10
	v_pk_add_f16 v42, v42, v103
	v_pk_add_f16 v1, v0, v1
	v_perm_b32 v0, v79, v78, s20
	v_pk_add_f16 v78, v40, v18
	v_pk_min_f16 v18, v16, v6
	v_pk_add_f16 v20, v65, v20
	v_pk_add_f16 v43, v43, v104
	;; [unrolled: 1-line block ×3, first 2 shown]
	v_pk_min_f16 v18, v16, v8
	v_pk_add_f16 v65, v20, v21
	v_pk_add_f16 v80, v43, v18
	ds_read2_b64 v[18:21], v36 offset0:16 offset1:24
	v_pk_add_f16 v44, v44, v85
	v_pk_min_f16 v38, v16, v10
	v_pk_add_f16 v44, v44, v105
	v_pk_add_f16 v45, v45, v106
	s_waitcnt lgkmcnt(0)
	v_pk_max_f16 v18, v18, v18
	v_pk_add_f16 v44, v44, v38
	v_pk_min_f16 v38, v18, v6
	v_pk_add_f16 v46, v46, v107
	v_pk_max_f16 v12, v12, v12
	v_pk_add_f16 v81, v45, v38
	v_pk_min_f16 v38, v18, v8
	v_pk_min_f16 v16, v16, v12
	v_pk_add_f16 v82, v46, v38
	v_pk_min_f16 v38, v18, v10
	v_pk_min_f16 v18, v18, v12
	v_pk_add_f16 v16, v60, v16
	v_pk_add_f16 v18, v61, v18
	ds_read2_b64 v[58:61], v36 offset0:32 offset1:40
	v_pk_add_f16 v47, v47, v108
	v_pk_max_f16 v20, v20, v20
	v_pk_add_f16 v49, v49, v109
	v_pk_add_f16 v83, v47, v38
	v_pk_min_f16 v38, v20, v6
	v_pk_add_f16 v50, v50, v110
	v_pk_add_f16 v84, v49, v38
	v_pk_min_f16 v38, v20, v8
	;; [unrolled: 3-line block ×3, first 2 shown]
	v_pk_add_f16 v52, v52, v112
	v_pk_add_f16 v86, v51, v38
	s_waitcnt lgkmcnt(0)
	v_pk_max_f16 v38, v58, v58
	v_pk_add_f16 v53, v53, v113
	v_pk_min_f16 v40, v38, v6
	v_pk_min_f16 v20, v20, v12
	v_pk_add_f16 v58, v52, v40
	v_pk_min_f16 v40, v38, v8
	v_pk_add_f16 v20, v62, v20
	v_pk_add_f16 v62, v53, v40
	v_pk_min_f16 v40, v38, v10
	v_pk_min_f16 v38, v38, v12
	v_pk_add_f16 v54, v54, v114
	v_pk_add_f16 v63, v63, v38
	v_pk_max_f16 v38, v60, v60
	v_pk_add_f16 v55, v55, v115
	v_pk_add_f16 v87, v54, v40
	v_pk_min_f16 v40, v38, v6
	v_pk_add_f16 v56, v56, v116
	v_pk_add_f16 v88, v55, v40
	v_pk_min_f16 v40, v38, v8
	v_pk_max_f16 v2, v2, v2
	v_pk_add_f16 v89, v56, v40
	v_pk_min_f16 v40, v38, v10
	v_pk_min_f16 v6, v2, v6
	;; [unrolled: 1-line block ×5, first 2 shown]
	v_pk_add_f16 v57, v57, v117
	v_pk_add_f16 v1, v1, v2
	v_pk_min_f16 v2, v4, v12
	v_pk_max_f16 v4, v5, v5
	v_pk_max_f16 v5, v7, v7
	v_pk_add_f16 v90, v57, v40
	v_pk_min_f16 v7, v4, v5
	v_pk_min_f16 v14, v14, v12
	v_pk_add_f16 v40, v67, v7
	v_pk_max_f16 v7, v9, v9
	v_pk_min_f16 v38, v38, v12
	v_pk_min_f16 v9, v4, v7
	v_pk_add_f16 v64, v64, v38
	v_pk_add_f16 v37, v37, v9
	v_pk_max_f16 v9, v11, v11
	v_pk_add_f16 v14, v41, v14
	v_pk_min_f16 v11, v4, v9
	v_pk_max_f16 v3, v3, v3
	v_pk_add_f16 v39, v39, v11
	v_pk_max_f16 v11, v15, v15
	v_pk_add_f16 v6, v65, v6
	v_pk_min_f16 v12, v11, v5
	v_pk_add_f16 v8, v22, v8
	v_pk_add_f16 v38, v68, v12
	v_pk_min_f16 v12, v11, v7
	v_pk_add_f16 v2, v66, v2
	v_pk_add_f16 v41, v69, v12
	v_pk_min_f16 v12, v11, v9
	v_pk_add_f16 v10, v23, v10
	v_pk_add_f16 v42, v78, v12
	v_pk_max_f16 v12, v13, v13
	s_add_i32 s2, s2, 8
	v_pk_min_f16 v11, v11, v12
	v_lshl_add_u64 v[24:25], v[24:25], 0, 16
	v_pk_add_f16 v43, v14, v11
	v_pk_max_f16 v11, v17, v17
	s_cmp_ge_i32 s2, s14
	v_pk_min_f16 v13, v11, v5
	v_lshl_add_u64 v[28:29], v[28:29], 0, s[4:5]
	v_pk_add_f16 v45, v79, v13
	v_pk_min_f16 v13, v11, v7
	ds_write_b16 v71, v76
	ds_write_b16 v72, v75
	ds_write_b16 v72, v77 offset:512
	v_pk_add_f16 v49, v80, v13
	v_pk_min_f16 v13, v11, v9
	v_pk_min_f16 v11, v11, v12
	v_pk_add_f16 v44, v44, v13
	v_pk_add_f16 v47, v16, v11
	v_pk_max_f16 v11, v19, v19
	v_perm_b32 v80, v77, v75, s20
	v_pk_min_f16 v13, v11, v5
	s_waitcnt lgkmcnt(0)
	v_pk_add_f16 v46, v81, v13
	v_pk_min_f16 v13, v11, v7
	s_barrier
	v_pk_add_f16 v50, v82, v13
	v_pk_min_f16 v13, v11, v9
	v_pk_min_f16 v11, v11, v12
	v_pk_add_f16 v51, v83, v13
	v_pk_add_f16 v52, v18, v11
	v_pk_max_f16 v11, v21, v21
	s_nop 0
	v_pk_min_f16 v13, v11, v5
	s_nop 0
	v_pk_add_f16 v54, v84, v13
	v_pk_min_f16 v13, v11, v7
	s_nop 0
	v_pk_add_f16 v57, v85, v13
	v_pk_min_f16 v13, v11, v9
	v_pk_min_f16 v11, v11, v12
	v_pk_add_f16 v53, v86, v13
	v_pk_add_f16 v55, v20, v11
	v_pk_max_f16 v11, v59, v59
	s_nop 0
	v_pk_min_f16 v13, v11, v5
	s_nop 0
	v_pk_add_f16 v56, v58, v13
	v_pk_min_f16 v13, v11, v7
	s_nop 0
	v_pk_add_f16 v58, v62, v13
	v_pk_min_f16 v13, v11, v9
	v_pk_min_f16 v11, v11, v12
	v_pk_add_f16 v59, v87, v13
	v_pk_add_f16 v60, v63, v11
	v_pk_max_f16 v11, v61, v61
	s_nop 0
	v_pk_min_f16 v13, v11, v5
	v_pk_min_f16 v5, v3, v5
	v_pk_add_f16 v61, v88, v13
	v_pk_add_f16 v65, v6, v5
	v_pk_min_f16 v5, v3, v7
	v_pk_min_f16 v13, v11, v7
	v_pk_add_f16 v66, v8, v5
	v_pk_min_f16 v5, v3, v9
	v_pk_min_f16 v3, v3, v12
	;; [unrolled: 3-line block ×3, first 2 shown]
	v_pk_add_f16 v68, v1, v3
	v_pk_min_f16 v1, v4, v12
	v_pk_add_f16 v63, v90, v13
	v_pk_add_f16 v64, v64, v11
	;; [unrolled: 1-line block ×4, first 2 shown]
	s_cbranch_scc1 .LBB302_24
.LBB302_16:                             ; =>This Inner Loop Header: Depth=1
	s_mov_b64 s[8:9], -1
	s_mov_b64 vcc, s[6:7]
                                        ; implicit-def: $vgpr78
	s_cbranch_vccz .LBB302_18
; %bb.17:                               ;   in Loop: Header=BB302_16 Depth=1
	v_and_b32_e32 v78, 0xffff0000, v0
	s_mov_b64 s[8:9], 0
.LBB302_18:                             ;   in Loop: Header=BB302_16 Depth=1
	v_mov_b32_e32 v75, 0
	s_andn2_b64 vcc, exec, s[8:9]
	v_mov_b32_e32 v79, 0
	s_cbranch_vccnz .LBB302_20
; %bb.19:                               ;   in Loop: Header=BB302_16 Depth=1
	global_load_ushort v1, v[24:25], off
	v_lshl_add_u64 v[2:3], v[28:29], 0, v[30:31]
	global_load_ushort v4, v[2:3], off offset:-128
	global_load_ushort v5, v[2:3], off
	s_waitcnt vmcnt(2)
	v_mul_f16_e32 v75, s15, v1
	s_waitcnt vmcnt(1)
	v_mul_f16_e32 v1, s15, v4
	v_bfi_b32 v78, s16, v1, v0
	s_waitcnt vmcnt(0)
	v_mul_f16_e32 v79, s15, v5
.LBB302_20:                             ;   in Loop: Header=BB302_16 Depth=1
	ds_read2_b64 v[0:3], v73 offset0:48 offset1:56
	ds_read2_b64 v[16:19], v74 offset0:64 offset1:96
	ds_read2_b64 v[20:23], v74 offset1:32
	ds_read2_b64 v[12:15], v73 offset1:8
	ds_read2_b64 v[8:11], v73 offset0:16 offset1:24
	ds_read2_b64 v[4:7], v73 offset0:32 offset1:40
	s_mov_b64 s[8:9], -1
	s_mov_b64 vcc, s[6:7]
	ds_write_b16 v70, v75
	ds_write_b16 v35, v78
	ds_write_b16 v35, v79 offset:512
	s_waitcnt lgkmcnt(0)
	s_barrier
                                        ; implicit-def: $vgpr75
	s_cbranch_vccz .LBB302_22
; %bb.21:                               ;   in Loop: Header=BB302_16 Depth=1
	v_and_b32_e32 v75, 0xffff0000, v80
	s_mov_b64 s[8:9], 0
.LBB302_22:                             ;   in Loop: Header=BB302_16 Depth=1
	v_mov_b32_e32 v76, 0
	s_andn2_b64 vcc, exec, s[8:9]
	v_mov_b32_e32 v77, 0
	s_cbranch_vccnz .LBB302_15
; %bb.23:                               ;   in Loop: Header=BB302_16 Depth=1
	global_load_ushort v75, v[24:25], off offset:8
	v_lshl_add_u64 v[76:77], v[28:29], 0, v[26:27]
	global_load_ushort v81, v[76:77], off offset:-128
	global_load_ushort v82, v[76:77], off
	s_waitcnt vmcnt(2)
	v_mul_f16_e32 v76, s15, v75
	s_waitcnt vmcnt(1)
	v_mul_f16_e32 v75, s15, v81
	v_bfi_b32 v75, s16, v75, v80
	s_waitcnt vmcnt(0)
	v_mul_f16_e32 v77, s15, v82
	s_branch .LBB302_15
.LBB302_24:
	s_load_dwordx2 s[6:7], s[0:1], 0x70
	s_load_dword s8, s[0:1], 0x50
	s_load_dword s9, s[0:1], 0x68
	v_add_u32_e32 v12, 0x800, v34
	ds_read2_b64 v[0:3], v33 offset0:128 offset1:160
	ds_read2_b64 v[4:7], v12 offset0:112 offset1:120
	;; [unrolled: 1-line block ×4, first 2 shown]
	s_waitcnt lgkmcnt(0)
	s_mul_i32 s1, s7, s3
	v_pk_max_f16 v2, v2, v2
	v_pk_max_f16 v6, v6, v6
	v_pk_max_f16 v8, v8, v8
	v_pk_max_f16 v0, v0, v0
	v_pk_min_f16 v15, v6, v8
	v_pk_max_f16 v10, v10, v10
	v_pk_add_f16 v28, v39, v15
	v_pk_max_f16 v15, v16, v16
	v_pk_max_f16 v4, v4, v4
	v_pk_min_f16 v20, v15, v2
	v_pk_min_f16 v16, v15, v0
	v_pk_add_f16 v29, v41, v20
	v_pk_min_f16 v20, v15, v8
	v_pk_min_f16 v15, v15, v10
	v_pk_add_f16 v30, v42, v20
	v_pk_add_f16 v31, v43, v15
	v_pk_max_f16 v15, v18, v18
	v_pk_min_f16 v13, v6, v0
	v_pk_min_f16 v20, v15, v2
	;; [unrolled: 1-line block ×3, first 2 shown]
	v_pk_add_f16 v49, v49, v20
	ds_read2_b64 v[20:23], v12 offset0:80 offset1:88
	v_pk_min_f16 v24, v15, v8
	v_pk_min_f16 v15, v15, v10
	v_pk_add_f16 v70, v44, v24
	v_pk_add_f16 v71, v47, v15
	s_waitcnt lgkmcnt(0)
	v_pk_max_f16 v15, v20, v20
	v_pk_add_f16 v13, v40, v13
	v_pk_min_f16 v24, v15, v2
	v_pk_min_f16 v20, v15, v0
	v_pk_add_f16 v50, v50, v24
	v_pk_min_f16 v24, v15, v8
	v_pk_min_f16 v15, v15, v10
	v_pk_add_f16 v51, v51, v24
	v_pk_add_f16 v72, v52, v15
	v_pk_max_f16 v15, v22, v22
	v_pk_min_f16 v14, v6, v2
	v_pk_min_f16 v22, v15, v0
	;; [unrolled: 1-line block ×3, first 2 shown]
	v_pk_add_f16 v22, v54, v22
	v_pk_add_f16 v54, v57, v24
	ds_read2_b64 v[24:27], v12 offset0:96 offset1:104
	v_pk_min_f16 v12, v15, v8
	v_pk_add_f16 v14, v37, v14
	v_pk_add_f16 v53, v53, v12
	v_pk_min_f16 v12, v15, v10
	s_mul_hi_u32 s2, s6, s3
	v_pk_add_f16 v55, v55, v12
	s_waitcnt lgkmcnt(0)
	v_pk_max_f16 v12, v24, v24
	s_mul_i32 s0, s6, s3
	v_pk_min_f16 v15, v12, v0
	s_add_i32 s1, s2, s1
	v_pk_add_f16 v24, v56, v15
	v_pk_min_f16 v15, v12, v2
	s_lshl_b64 s[0:1], s[0:1], 1
	v_pk_add_f16 v56, v58, v15
	v_pk_min_f16 v15, v12, v8
	v_pk_min_f16 v12, v12, v10
	v_pk_add_f16 v57, v59, v15
	v_pk_add_f16 v58, v60, v12
	v_pk_max_f16 v12, v26, v26
	v_pk_max_f16 v11, v11, v11
	v_pk_min_f16 v15, v12, v0
	v_pk_min_f16 v0, v4, v0
	v_pk_add_f16 v26, v61, v15
	v_pk_min_f16 v15, v12, v2
	v_pk_max_f16 v23, v23, v23
	v_pk_add_f16 v59, v62, v15
	v_pk_min_f16 v15, v12, v8
	v_pk_add_f16 v62, v65, v0
	v_pk_min_f16 v0, v4, v2
	;; [unrolled: 2-line block ×4, first 2 shown]
	v_pk_add_f16 v61, v64, v12
	v_pk_add_f16 v64, v67, v0
	v_pk_min_f16 v0, v4, v10
	v_pk_max_f16 v12, v19, v19
	v_pk_add_f16 v65, v68, v0
	v_pk_min_f16 v0, v6, v10
	v_pk_max_f16 v19, v21, v21
	v_pk_add_f16 v66, v69, v0
	v_pk_max_f16 v0, v1, v1
	v_pk_max_f16 v1, v7, v7
	;; [unrolled: 1-line block ×3, first 2 shown]
	v_pk_min_f16 v2, v1, v0
	v_pk_max_f16 v27, v27, v27
	v_pk_add_f16 v7, v13, v2
	v_pk_max_f16 v2, v3, v3
	v_pk_max_f16 v5, v5, v5
	v_pk_min_f16 v3, v1, v2
	v_add_u32_e32 v32, s24, v32
	v_pk_add_f16 v15, v14, v3
	v_pk_max_f16 v3, v9, v9
	s_add_u32 s2, s10, s0
	v_pk_min_f16 v4, v1, v3
	v_pk_add_f16 v16, v38, v16
	v_pk_add_f16 v9, v28, v4
	v_pk_max_f16 v4, v17, v17
	v_pk_add_f16 v18, v45, v18
	v_pk_add_f16 v20, v46, v20
	v_pk_min_f16 v6, v4, v0
	v_pk_min_f16 v8, v4, v2
	;; [unrolled: 1-line block ×29, first 2 shown]
	v_add_u32_e32 v34, 8, v32
	v_add_u32_e32 v36, 16, v32
	;; [unrolled: 1-line block ×7, first 2 shown]
	v_cmp_neq_f16_e64 s[4:5], s22, 0
	s_addc_u32 s3, s11, s1
	v_ashrrev_i32_e32 v33, 31, v32
	v_ashrrev_i32_e32 v35, 31, v34
	;; [unrolled: 1-line block ×8, first 2 shown]
	v_add_u32_e32 v52, s23, v48
	s_mov_b64 s[6:7], 15
	v_pk_add_f16 v0, v16, v6
	v_pk_add_f16 v8, v29, v8
	;; [unrolled: 1-line block ×29, first 2 shown]
	s_branch .LBB302_26
.LBB302_25:                             ;   in Loop: Header=BB302_26 Depth=1
	s_add_i32 s0, s6, -1
	s_cmp_eq_u32 s0, 1
	s_cselect_b64 vcc, -1, 0
	s_cmp_eq_u32 s0, 2
	v_cndmask_b32_e32 v48, v0, v53, vcc
	s_cselect_b64 vcc, -1, 0
	s_cmp_eq_u32 s0, 3
	v_cndmask_b32_e32 v48, v48, v1, vcc
	;; [unrolled: 3-line block ×62, first 2 shown]
	s_cselect_b64 vcc, -1, 0
	s_cmp_eq_u32 s6, 1
	s_cselect_b64 s[0:1], -1, 0
	s_cmp_eq_u32 s6, 2
	v_cndmask_b32_e64 v49, v0, v53, s[0:1]
	s_cselect_b64 s[0:1], -1, 0
	s_cmp_eq_u32 s6, 3
	v_cndmask_b32_e64 v49, v49, v1, s[0:1]
	;; [unrolled: 3-line block ×61, first 2 shown]
	v_cndmask_b32_e32 v48, v48, v84, vcc
	s_cselect_b64 vcc, -1, 0
	s_cmp_eq_u32 s6, 63
	v_cndmask_b32_e32 v49, v49, v31, vcc
	s_cselect_b64 vcc, -1, 0
	v_cndmask_b32_e32 v49, v49, v84, vcc
	s_add_u32 s6, s6, 16
	v_add_f16_e32 v48, v48, v49
	s_addc_u32 s7, s7, 0
	v_add_f16_e32 v53, v48, v85
	v_lshl_add_u64 v[48:49], v[46:47], 1, v[50:51]
	s_cmpk_lg_i32 s6, 0x4f
	v_add_u32_e32 v52, 32, v52
	global_store_short v[48:49], v53, off
	s_cbranch_scc0 .LBB302_42
.LBB302_26:                             ; =>This Inner Loop Header: Depth=1
	v_mad_i64_i32 v[48:49], s[0:1], v52, s8, 0
	v_cndmask_b32_e64 v50, 0, 1, s[4:5]
	v_lshl_add_u64 v[48:49], v[48:49], 1, s[12:13]
	v_mov_b32_e32 v85, 0
	v_cmp_ne_u32_e64 s[0:1], 1, v50
	s_andn2_b64 vcc, exec, s[4:5]
	v_mov_b32_e32 v50, 0
	s_cbranch_vccnz .LBB302_28
; %bb.27:                               ;   in Loop: Header=BB302_26 Depth=1
	v_lshl_add_u64 v[50:51], v[32:33], 1, v[48:49]
	global_load_ushort v50, v[50:51], off
	s_waitcnt vmcnt(0)
	v_mul_f16_e32 v50, s22, v50
.LBB302_28:                             ;   in Loop: Header=BB302_26 Depth=1
	s_add_i32 s10, s6, -15
	s_cmp_eq_u32 s10, 1
	v_lshrrev_b32_e32 v53, 16, v0
	s_cselect_b64 vcc, -1, 0
	s_cmp_eq_u32 s10, 2
	v_cndmask_b32_e32 v51, v0, v53, vcc
	s_cselect_b64 vcc, -1, 0
	s_cmp_eq_u32 s10, 3
	v_cndmask_b32_e32 v51, v51, v1, vcc
	v_lshrrev_b32_e32 v54, 16, v1
	s_cselect_b64 vcc, -1, 0
	s_cmp_eq_u32 s10, 4
	v_cndmask_b32_e32 v51, v51, v54, vcc
	s_cselect_b64 vcc, -1, 0
	s_cmp_eq_u32 s10, 5
	v_cndmask_b32_e32 v51, v51, v4, vcc
	;; [unrolled: 7-line block ×31, first 2 shown]
	s_cselect_b64 vcc, -1, 0
	s_add_i32 s10, s6, -14
	v_lshrrev_b32_e32 v84, 16, v31
	s_cmp_eq_u32 s10, 1
	v_cndmask_b32_e32 v51, v51, v84, vcc
	s_cselect_b64 vcc, -1, 0
	s_cmp_eq_u32 s10, 2
	v_cndmask_b32_e32 v86, v0, v53, vcc
	s_cselect_b64 vcc, -1, 0
	;; [unrolled: 3-line block ×63, first 2 shown]
	v_cndmask_b32_e32 v86, v86, v84, vcc
	v_add_f16_e32 v51, v51, v86
	v_add_f16_e32 v88, v51, v50
	v_mad_i64_i32 v[50:51], s[10:11], v52, s9, 0
	v_lshl_add_u64 v[50:51], v[50:51], 1, s[2:3]
	v_lshl_add_u64 v[86:87], v[32:33], 1, v[50:51]
	s_and_b64 vcc, exec, s[0:1]
	global_store_short v[86:87], v88, off
	s_cbranch_vccnz .LBB302_30
; %bb.29:                               ;   in Loop: Header=BB302_26 Depth=1
	v_lshl_add_u64 v[86:87], v[34:35], 1, v[48:49]
	global_load_ushort v85, v[86:87], off
	s_waitcnt vmcnt(0)
	v_mul_f16_e32 v85, s22, v85
.LBB302_30:                             ;   in Loop: Header=BB302_26 Depth=1
	s_add_i32 s10, s6, -13
	s_cmp_eq_u32 s10, 1
	s_cselect_b64 vcc, -1, 0
	s_cmp_eq_u32 s10, 2
	v_cndmask_b32_e32 v86, v0, v53, vcc
	s_cselect_b64 vcc, -1, 0
	s_cmp_eq_u32 s10, 3
	v_cndmask_b32_e32 v86, v86, v1, vcc
	;; [unrolled: 3-line block ×62, first 2 shown]
	s_cselect_b64 vcc, -1, 0
	s_add_i32 s10, s6, -12
	s_cmp_eq_u32 s10, 1
	v_cndmask_b32_e32 v86, v86, v84, vcc
	s_cselect_b64 vcc, -1, 0
	s_cmp_eq_u32 s10, 2
	v_cndmask_b32_e32 v87, v0, v53, vcc
	s_cselect_b64 vcc, -1, 0
	s_cmp_eq_u32 s10, 3
	v_cndmask_b32_e32 v87, v87, v1, vcc
	s_cselect_b64 vcc, -1, 0
	s_cmp_eq_u32 s10, 4
	v_cndmask_b32_e32 v87, v87, v54, vcc
	s_cselect_b64 vcc, -1, 0
	s_cmp_eq_u32 s10, 5
	v_cndmask_b32_e32 v87, v87, v4, vcc
	s_cselect_b64 vcc, -1, 0
	s_cmp_eq_u32 s10, 6
	v_cndmask_b32_e32 v87, v87, v55, vcc
	s_cselect_b64 vcc, -1, 0
	s_cmp_eq_u32 s10, 7
	v_cndmask_b32_e32 v87, v87, v5, vcc
	s_cselect_b64 vcc, -1, 0
	s_cmp_eq_u32 s10, 8
	v_cndmask_b32_e32 v87, v87, v56, vcc
	s_cselect_b64 vcc, -1, 0
	s_cmp_eq_u32 s10, 9
	v_cndmask_b32_e32 v87, v87, v16, vcc
	s_cselect_b64 vcc, -1, 0
	s_cmp_eq_u32 s10, 10
	v_cndmask_b32_e32 v87, v87, v57, vcc
	s_cselect_b64 vcc, -1, 0
	s_cmp_eq_u32 s10, 11
	v_cndmask_b32_e32 v87, v87, v23, vcc
	s_cselect_b64 vcc, -1, 0
	s_cmp_eq_u32 s10, 12
	v_cndmask_b32_e32 v87, v87, v58, vcc
	s_cselect_b64 vcc, -1, 0
	s_cmp_eq_u32 s10, 13
	v_cndmask_b32_e32 v87, v87, v24, vcc
	s_cselect_b64 vcc, -1, 0
	s_cmp_eq_u32 s10, 14
	v_cndmask_b32_e32 v87, v87, v59, vcc
	s_cselect_b64 vcc, -1, 0
	s_cmp_eq_u32 s10, 15
	v_cndmask_b32_e32 v87, v87, v7, vcc
	s_cselect_b64 vcc, -1, 0
	s_cmp_eq_u32 s10, 16
	v_cndmask_b32_e32 v87, v87, v60, vcc
	s_cselect_b64 vcc, -1, 0
	s_cmp_eq_u32 s10, 17
	v_cndmask_b32_e32 v87, v87, v8, vcc
	s_cselect_b64 vcc, -1, 0
	s_cmp_eq_u32 s10, 18
	v_cndmask_b32_e32 v87, v87, v61, vcc
	s_cselect_b64 vcc, -1, 0
	s_cmp_eq_u32 s10, 19
	v_cndmask_b32_e32 v87, v87, v11, vcc
	s_cselect_b64 vcc, -1, 0
	s_cmp_eq_u32 s10, 20
	v_cndmask_b32_e32 v87, v87, v62, vcc
	s_cselect_b64 vcc, -1, 0
	s_cmp_eq_u32 s10, 21
	v_cndmask_b32_e32 v87, v87, v12, vcc
	s_cselect_b64 vcc, -1, 0
	s_cmp_eq_u32 s10, 22
	v_cndmask_b32_e32 v87, v87, v63, vcc
	s_cselect_b64 vcc, -1, 0
	s_cmp_eq_u32 s10, 23
	v_cndmask_b32_e32 v87, v87, v17, vcc
	s_cselect_b64 vcc, -1, 0
	s_cmp_eq_u32 s10, 24
	v_cndmask_b32_e32 v87, v87, v64, vcc
	s_cselect_b64 vcc, -1, 0
	s_cmp_eq_u32 s10, 25
	v_cndmask_b32_e32 v87, v87, v18, vcc
	s_cselect_b64 vcc, -1, 0
	s_cmp_eq_u32 s10, 26
	v_cndmask_b32_e32 v87, v87, v65, vcc
	s_cselect_b64 vcc, -1, 0
	s_cmp_eq_u32 s10, 27
	v_cndmask_b32_e32 v87, v87, v25, vcc
	s_cselect_b64 vcc, -1, 0
	s_cmp_eq_u32 s10, 28
	v_cndmask_b32_e32 v87, v87, v66, vcc
	s_cselect_b64 vcc, -1, 0
	s_cmp_eq_u32 s10, 29
	v_cndmask_b32_e32 v87, v87, v26, vcc
	s_cselect_b64 vcc, -1, 0
	s_cmp_eq_u32 s10, 30
	v_cndmask_b32_e32 v87, v87, v67, vcc
	s_cselect_b64 vcc, -1, 0
	s_cmp_eq_u32 s10, 31
	v_cndmask_b32_e32 v87, v87, v15, vcc
	s_cselect_b64 vcc, -1, 0
	s_cmp_eq_u32 s10, 32
	v_cndmask_b32_e32 v87, v87, v68, vcc
	s_cselect_b64 vcc, -1, 0
	s_cmp_eq_u32 s10, 33
	v_cndmask_b32_e32 v87, v87, v2, vcc
	s_cselect_b64 vcc, -1, 0
	s_cmp_eq_u32 s10, 34
	v_cndmask_b32_e32 v87, v87, v69, vcc
	s_cselect_b64 vcc, -1, 0
	s_cmp_eq_u32 s10, 35
	v_cndmask_b32_e32 v87, v87, v3, vcc
	s_cselect_b64 vcc, -1, 0
	s_cmp_eq_u32 s10, 36
	v_cndmask_b32_e32 v87, v87, v70, vcc
	s_cselect_b64 vcc, -1, 0
	s_cmp_eq_u32 s10, 37
	v_cndmask_b32_e32 v87, v87, v6, vcc
	s_cselect_b64 vcc, -1, 0
	s_cmp_eq_u32 s10, 38
	v_cndmask_b32_e32 v87, v87, v71, vcc
	s_cselect_b64 vcc, -1, 0
	s_cmp_eq_u32 s10, 39
	v_cndmask_b32_e32 v87, v87, v19, vcc
	s_cselect_b64 vcc, -1, 0
	s_cmp_eq_u32 s10, 40
	v_cndmask_b32_e32 v87, v87, v72, vcc
	s_cselect_b64 vcc, -1, 0
	s_cmp_eq_u32 s10, 41
	v_cndmask_b32_e32 v87, v87, v20, vcc
	s_cselect_b64 vcc, -1, 0
	s_cmp_eq_u32 s10, 42
	v_cndmask_b32_e32 v87, v87, v73, vcc
	s_cselect_b64 vcc, -1, 0
	s_cmp_eq_u32 s10, 43
	v_cndmask_b32_e32 v87, v87, v27, vcc
	s_cselect_b64 vcc, -1, 0
	s_cmp_eq_u32 s10, 44
	v_cndmask_b32_e32 v87, v87, v74, vcc
	s_cselect_b64 vcc, -1, 0
	s_cmp_eq_u32 s10, 45
	v_cndmask_b32_e32 v87, v87, v28, vcc
	s_cselect_b64 vcc, -1, 0
	s_cmp_eq_u32 s10, 46
	v_cndmask_b32_e32 v87, v87, v75, vcc
	s_cselect_b64 vcc, -1, 0
	s_cmp_eq_u32 s10, 47
	v_cndmask_b32_e32 v87, v87, v9, vcc
	s_cselect_b64 vcc, -1, 0
	s_cmp_eq_u32 s10, 48
	v_cndmask_b32_e32 v87, v87, v76, vcc
	s_cselect_b64 vcc, -1, 0
	s_cmp_eq_u32 s10, 49
	v_cndmask_b32_e32 v87, v87, v10, vcc
	s_cselect_b64 vcc, -1, 0
	s_cmp_eq_u32 s10, 50
	v_cndmask_b32_e32 v87, v87, v77, vcc
	s_cselect_b64 vcc, -1, 0
	s_cmp_eq_u32 s10, 51
	v_cndmask_b32_e32 v87, v87, v13, vcc
	s_cselect_b64 vcc, -1, 0
	s_cmp_eq_u32 s10, 52
	v_cndmask_b32_e32 v87, v87, v78, vcc
	s_cselect_b64 vcc, -1, 0
	s_cmp_eq_u32 s10, 53
	v_cndmask_b32_e32 v87, v87, v14, vcc
	s_cselect_b64 vcc, -1, 0
	s_cmp_eq_u32 s10, 54
	v_cndmask_b32_e32 v87, v87, v79, vcc
	s_cselect_b64 vcc, -1, 0
	s_cmp_eq_u32 s10, 55
	v_cndmask_b32_e32 v87, v87, v21, vcc
	s_cselect_b64 vcc, -1, 0
	s_cmp_eq_u32 s10, 56
	v_cndmask_b32_e32 v87, v87, v80, vcc
	s_cselect_b64 vcc, -1, 0
	s_cmp_eq_u32 s10, 57
	v_cndmask_b32_e32 v87, v87, v22, vcc
	s_cselect_b64 vcc, -1, 0
	s_cmp_eq_u32 s10, 58
	v_cndmask_b32_e32 v87, v87, v81, vcc
	s_cselect_b64 vcc, -1, 0
	s_cmp_eq_u32 s10, 59
	v_cndmask_b32_e32 v87, v87, v29, vcc
	s_cselect_b64 vcc, -1, 0
	s_cmp_eq_u32 s10, 60
	v_cndmask_b32_e32 v87, v87, v82, vcc
	s_cselect_b64 vcc, -1, 0
	s_cmp_eq_u32 s10, 61
	v_cndmask_b32_e32 v87, v87, v30, vcc
	s_cselect_b64 vcc, -1, 0
	s_cmp_eq_u32 s10, 62
	v_cndmask_b32_e32 v87, v87, v83, vcc
	s_cselect_b64 vcc, -1, 0
	s_cmp_eq_u32 s10, 63
	v_cndmask_b32_e32 v87, v87, v31, vcc
	s_cselect_b64 vcc, -1, 0
	v_cndmask_b32_e32 v87, v87, v84, vcc
	v_add_f16_e32 v86, v86, v87
	v_add_f16_e32 v85, v86, v85
	v_lshl_add_u64 v[86:87], v[34:35], 1, v[50:51]
	global_store_short v[86:87], v85, off
	s_and_b64 vcc, exec, s[0:1]
	v_mov_b32_e32 v85, 0
	v_mov_b32_e32 v86, 0
	s_cbranch_vccnz .LBB302_32
; %bb.31:                               ;   in Loop: Header=BB302_26 Depth=1
	v_lshl_add_u64 v[86:87], v[36:37], 1, v[48:49]
	global_load_ushort v86, v[86:87], off
	s_waitcnt vmcnt(0)
	v_mul_f16_e32 v86, s22, v86
.LBB302_32:                             ;   in Loop: Header=BB302_26 Depth=1
	s_add_i32 s10, s6, -11
	s_cmp_eq_u32 s10, 1
	s_cselect_b64 vcc, -1, 0
	s_cmp_eq_u32 s10, 2
	v_cndmask_b32_e32 v87, v0, v53, vcc
	s_cselect_b64 vcc, -1, 0
	s_cmp_eq_u32 s10, 3
	v_cndmask_b32_e32 v87, v87, v1, vcc
	;; [unrolled: 3-line block ×62, first 2 shown]
	s_cselect_b64 vcc, -1, 0
	s_add_i32 s10, s6, -10
	s_cmp_eq_u32 s10, 1
	v_cndmask_b32_e32 v87, v87, v84, vcc
	s_cselect_b64 vcc, -1, 0
	s_cmp_eq_u32 s10, 2
	v_cndmask_b32_e32 v88, v0, v53, vcc
	s_cselect_b64 vcc, -1, 0
	;; [unrolled: 3-line block ×63, first 2 shown]
	v_cndmask_b32_e32 v88, v88, v84, vcc
	v_add_f16_e32 v87, v87, v88
	v_add_f16_e32 v88, v87, v86
	v_lshl_add_u64 v[86:87], v[36:37], 1, v[50:51]
	s_and_b64 vcc, exec, s[0:1]
	global_store_short v[86:87], v88, off
	s_cbranch_vccnz .LBB302_34
; %bb.33:                               ;   in Loop: Header=BB302_26 Depth=1
	v_lshl_add_u64 v[86:87], v[38:39], 1, v[48:49]
	global_load_ushort v85, v[86:87], off
	s_waitcnt vmcnt(0)
	v_mul_f16_e32 v85, s22, v85
.LBB302_34:                             ;   in Loop: Header=BB302_26 Depth=1
	s_add_i32 s10, s6, -9
	s_cmp_eq_u32 s10, 1
	s_cselect_b64 vcc, -1, 0
	s_cmp_eq_u32 s10, 2
	v_cndmask_b32_e32 v86, v0, v53, vcc
	s_cselect_b64 vcc, -1, 0
	s_cmp_eq_u32 s10, 3
	v_cndmask_b32_e32 v86, v86, v1, vcc
	;; [unrolled: 3-line block ×62, first 2 shown]
	s_cselect_b64 vcc, -1, 0
	s_add_i32 s10, s6, -8
	s_cmp_eq_u32 s10, 1
	v_cndmask_b32_e32 v86, v86, v84, vcc
	s_cselect_b64 vcc, -1, 0
	s_cmp_eq_u32 s10, 2
	v_cndmask_b32_e32 v87, v0, v53, vcc
	s_cselect_b64 vcc, -1, 0
	;; [unrolled: 3-line block ×63, first 2 shown]
	v_cndmask_b32_e32 v87, v87, v84, vcc
	v_add_f16_e32 v86, v86, v87
	v_add_f16_e32 v85, v86, v85
	v_lshl_add_u64 v[86:87], v[38:39], 1, v[50:51]
	global_store_short v[86:87], v85, off
	s_and_b64 vcc, exec, s[0:1]
	v_mov_b32_e32 v85, 0
	v_mov_b32_e32 v86, 0
	s_cbranch_vccnz .LBB302_36
; %bb.35:                               ;   in Loop: Header=BB302_26 Depth=1
	v_lshl_add_u64 v[86:87], v[40:41], 1, v[48:49]
	global_load_ushort v86, v[86:87], off
	s_waitcnt vmcnt(0)
	v_mul_f16_e32 v86, s22, v86
.LBB302_36:                             ;   in Loop: Header=BB302_26 Depth=1
	s_add_i32 s10, s6, -7
	s_cmp_eq_u32 s10, 1
	s_cselect_b64 vcc, -1, 0
	s_cmp_eq_u32 s10, 2
	v_cndmask_b32_e32 v87, v0, v53, vcc
	s_cselect_b64 vcc, -1, 0
	s_cmp_eq_u32 s10, 3
	v_cndmask_b32_e32 v87, v87, v1, vcc
	;; [unrolled: 3-line block ×62, first 2 shown]
	s_cselect_b64 vcc, -1, 0
	s_add_i32 s10, s6, -6
	s_cmp_eq_u32 s10, 1
	v_cndmask_b32_e32 v87, v87, v84, vcc
	s_cselect_b64 vcc, -1, 0
	s_cmp_eq_u32 s10, 2
	v_cndmask_b32_e32 v88, v0, v53, vcc
	s_cselect_b64 vcc, -1, 0
	;; [unrolled: 3-line block ×63, first 2 shown]
	v_cndmask_b32_e32 v88, v88, v84, vcc
	v_add_f16_e32 v87, v87, v88
	v_add_f16_e32 v88, v87, v86
	v_lshl_add_u64 v[86:87], v[40:41], 1, v[50:51]
	s_and_b64 vcc, exec, s[0:1]
	global_store_short v[86:87], v88, off
	s_cbranch_vccnz .LBB302_38
; %bb.37:                               ;   in Loop: Header=BB302_26 Depth=1
	v_lshl_add_u64 v[86:87], v[42:43], 1, v[48:49]
	global_load_ushort v85, v[86:87], off
	s_waitcnt vmcnt(0)
	v_mul_f16_e32 v85, s22, v85
.LBB302_38:                             ;   in Loop: Header=BB302_26 Depth=1
	s_add_i32 s10, s6, -5
	s_cmp_eq_u32 s10, 1
	s_cselect_b64 vcc, -1, 0
	s_cmp_eq_u32 s10, 2
	v_cndmask_b32_e32 v86, v0, v53, vcc
	s_cselect_b64 vcc, -1, 0
	s_cmp_eq_u32 s10, 3
	v_cndmask_b32_e32 v86, v86, v1, vcc
	;; [unrolled: 3-line block ×62, first 2 shown]
	s_cselect_b64 vcc, -1, 0
	s_add_i32 s10, s6, -4
	s_cmp_eq_u32 s10, 1
	v_cndmask_b32_e32 v86, v86, v84, vcc
	s_cselect_b64 vcc, -1, 0
	s_cmp_eq_u32 s10, 2
	v_cndmask_b32_e32 v87, v0, v53, vcc
	s_cselect_b64 vcc, -1, 0
	;; [unrolled: 3-line block ×63, first 2 shown]
	v_cndmask_b32_e32 v87, v87, v84, vcc
	v_add_f16_e32 v86, v86, v87
	v_add_f16_e32 v85, v86, v85
	v_lshl_add_u64 v[86:87], v[42:43], 1, v[50:51]
	global_store_short v[86:87], v85, off
	s_and_b64 vcc, exec, s[0:1]
	v_mov_b32_e32 v85, 0
	v_mov_b32_e32 v86, 0
	s_cbranch_vccnz .LBB302_40
; %bb.39:                               ;   in Loop: Header=BB302_26 Depth=1
	v_lshl_add_u64 v[86:87], v[44:45], 1, v[48:49]
	global_load_ushort v86, v[86:87], off
	s_waitcnt vmcnt(0)
	v_mul_f16_e32 v86, s22, v86
.LBB302_40:                             ;   in Loop: Header=BB302_26 Depth=1
	s_add_i32 s10, s6, -3
	s_cmp_eq_u32 s10, 1
	s_cselect_b64 vcc, -1, 0
	s_cmp_eq_u32 s10, 2
	v_cndmask_b32_e32 v87, v0, v53, vcc
	s_cselect_b64 vcc, -1, 0
	s_cmp_eq_u32 s10, 3
	v_cndmask_b32_e32 v87, v87, v1, vcc
	;; [unrolled: 3-line block ×62, first 2 shown]
	s_cselect_b64 vcc, -1, 0
	s_add_i32 s10, s6, -2
	s_cmp_eq_u32 s10, 1
	v_cndmask_b32_e32 v87, v87, v84, vcc
	s_cselect_b64 vcc, -1, 0
	s_cmp_eq_u32 s10, 2
	v_cndmask_b32_e32 v88, v0, v53, vcc
	s_cselect_b64 vcc, -1, 0
	;; [unrolled: 3-line block ×63, first 2 shown]
	v_cndmask_b32_e32 v88, v88, v84, vcc
	v_add_f16_e32 v87, v87, v88
	v_add_f16_e32 v88, v87, v86
	v_lshl_add_u64 v[86:87], v[44:45], 1, v[50:51]
	s_and_b64 vcc, exec, s[0:1]
	global_store_short v[86:87], v88, off
	s_cbranch_vccnz .LBB302_25
; %bb.41:                               ;   in Loop: Header=BB302_26 Depth=1
	v_lshl_add_u64 v[48:49], v[46:47], 1, v[48:49]
	global_load_ushort v48, v[48:49], off
	s_waitcnt vmcnt(0)
	v_mul_f16_e32 v85, s22, v48
	s_branch .LBB302_25
.LBB302_42:
	s_endpgm
	.section	.rodata,"a",@progbits
	.p2align	6, 0x0
	.amdhsa_kernel _ZN12_GLOBAL__N_120geam_min_plus_kernelIDF16_Dv2_DF16_S1_Li8ELi32ELi64ELi128ELi4ELi4ELi64ELi64ELi4ELc84ELc84ELb0ELb0ELb0EDF16_KDF16_DF16_EEviiiT16_PT17_ilS5_ilS3_S5_ilPT18_ili26rocblas_geam_ex_operation_
		.amdhsa_group_segment_fixed_size 3072
		.amdhsa_private_segment_fixed_size 0
		.amdhsa_kernarg_size 128
		.amdhsa_user_sgpr_count 2
		.amdhsa_user_sgpr_dispatch_ptr 0
		.amdhsa_user_sgpr_queue_ptr 0
		.amdhsa_user_sgpr_kernarg_segment_ptr 1
		.amdhsa_user_sgpr_dispatch_id 0
		.amdhsa_user_sgpr_kernarg_preload_length 0
		.amdhsa_user_sgpr_kernarg_preload_offset 0
		.amdhsa_user_sgpr_private_segment_size 0
		.amdhsa_uses_dynamic_stack 0
		.amdhsa_enable_private_segment 0
		.amdhsa_system_sgpr_workgroup_id_x 1
		.amdhsa_system_sgpr_workgroup_id_y 0
		.amdhsa_system_sgpr_workgroup_id_z 1
		.amdhsa_system_sgpr_workgroup_info 0
		.amdhsa_system_vgpr_workitem_id 1
		.amdhsa_next_free_vgpr 121
		.amdhsa_next_free_sgpr 27
		.amdhsa_accum_offset 124
		.amdhsa_reserve_vcc 1
		.amdhsa_float_round_mode_32 0
		.amdhsa_float_round_mode_16_64 0
		.amdhsa_float_denorm_mode_32 3
		.amdhsa_float_denorm_mode_16_64 3
		.amdhsa_dx10_clamp 1
		.amdhsa_ieee_mode 1
		.amdhsa_fp16_overflow 0
		.amdhsa_tg_split 0
		.amdhsa_exception_fp_ieee_invalid_op 0
		.amdhsa_exception_fp_denorm_src 0
		.amdhsa_exception_fp_ieee_div_zero 0
		.amdhsa_exception_fp_ieee_overflow 0
		.amdhsa_exception_fp_ieee_underflow 0
		.amdhsa_exception_fp_ieee_inexact 0
		.amdhsa_exception_int_div_zero 0
	.end_amdhsa_kernel
	.section	.text._ZN12_GLOBAL__N_120geam_min_plus_kernelIDF16_Dv2_DF16_S1_Li8ELi32ELi64ELi128ELi4ELi4ELi64ELi64ELi4ELc84ELc84ELb0ELb0ELb0EDF16_KDF16_DF16_EEviiiT16_PT17_ilS5_ilS3_S5_ilPT18_ili26rocblas_geam_ex_operation_,"axG",@progbits,_ZN12_GLOBAL__N_120geam_min_plus_kernelIDF16_Dv2_DF16_S1_Li8ELi32ELi64ELi128ELi4ELi4ELi64ELi64ELi4ELc84ELc84ELb0ELb0ELb0EDF16_KDF16_DF16_EEviiiT16_PT17_ilS5_ilS3_S5_ilPT18_ili26rocblas_geam_ex_operation_,comdat
.Lfunc_end302:
	.size	_ZN12_GLOBAL__N_120geam_min_plus_kernelIDF16_Dv2_DF16_S1_Li8ELi32ELi64ELi128ELi4ELi4ELi64ELi64ELi4ELc84ELc84ELb0ELb0ELb0EDF16_KDF16_DF16_EEviiiT16_PT17_ilS5_ilS3_S5_ilPT18_ili26rocblas_geam_ex_operation_, .Lfunc_end302-_ZN12_GLOBAL__N_120geam_min_plus_kernelIDF16_Dv2_DF16_S1_Li8ELi32ELi64ELi128ELi4ELi4ELi64ELi64ELi4ELc84ELc84ELb0ELb0ELb0EDF16_KDF16_DF16_EEviiiT16_PT17_ilS5_ilS3_S5_ilPT18_ili26rocblas_geam_ex_operation_
                                        ; -- End function
	.set _ZN12_GLOBAL__N_120geam_min_plus_kernelIDF16_Dv2_DF16_S1_Li8ELi32ELi64ELi128ELi4ELi4ELi64ELi64ELi4ELc84ELc84ELb0ELb0ELb0EDF16_KDF16_DF16_EEviiiT16_PT17_ilS5_ilS3_S5_ilPT18_ili26rocblas_geam_ex_operation_.num_vgpr, 121
	.set _ZN12_GLOBAL__N_120geam_min_plus_kernelIDF16_Dv2_DF16_S1_Li8ELi32ELi64ELi128ELi4ELi4ELi64ELi64ELi4ELc84ELc84ELb0ELb0ELb0EDF16_KDF16_DF16_EEviiiT16_PT17_ilS5_ilS3_S5_ilPT18_ili26rocblas_geam_ex_operation_.num_agpr, 0
	.set _ZN12_GLOBAL__N_120geam_min_plus_kernelIDF16_Dv2_DF16_S1_Li8ELi32ELi64ELi128ELi4ELi4ELi64ELi64ELi4ELc84ELc84ELb0ELb0ELb0EDF16_KDF16_DF16_EEviiiT16_PT17_ilS5_ilS3_S5_ilPT18_ili26rocblas_geam_ex_operation_.numbered_sgpr, 27
	.set _ZN12_GLOBAL__N_120geam_min_plus_kernelIDF16_Dv2_DF16_S1_Li8ELi32ELi64ELi128ELi4ELi4ELi64ELi64ELi4ELc84ELc84ELb0ELb0ELb0EDF16_KDF16_DF16_EEviiiT16_PT17_ilS5_ilS3_S5_ilPT18_ili26rocblas_geam_ex_operation_.num_named_barrier, 0
	.set _ZN12_GLOBAL__N_120geam_min_plus_kernelIDF16_Dv2_DF16_S1_Li8ELi32ELi64ELi128ELi4ELi4ELi64ELi64ELi4ELc84ELc84ELb0ELb0ELb0EDF16_KDF16_DF16_EEviiiT16_PT17_ilS5_ilS3_S5_ilPT18_ili26rocblas_geam_ex_operation_.private_seg_size, 0
	.set _ZN12_GLOBAL__N_120geam_min_plus_kernelIDF16_Dv2_DF16_S1_Li8ELi32ELi64ELi128ELi4ELi4ELi64ELi64ELi4ELc84ELc84ELb0ELb0ELb0EDF16_KDF16_DF16_EEviiiT16_PT17_ilS5_ilS3_S5_ilPT18_ili26rocblas_geam_ex_operation_.uses_vcc, 1
	.set _ZN12_GLOBAL__N_120geam_min_plus_kernelIDF16_Dv2_DF16_S1_Li8ELi32ELi64ELi128ELi4ELi4ELi64ELi64ELi4ELc84ELc84ELb0ELb0ELb0EDF16_KDF16_DF16_EEviiiT16_PT17_ilS5_ilS3_S5_ilPT18_ili26rocblas_geam_ex_operation_.uses_flat_scratch, 0
	.set _ZN12_GLOBAL__N_120geam_min_plus_kernelIDF16_Dv2_DF16_S1_Li8ELi32ELi64ELi128ELi4ELi4ELi64ELi64ELi4ELc84ELc84ELb0ELb0ELb0EDF16_KDF16_DF16_EEviiiT16_PT17_ilS5_ilS3_S5_ilPT18_ili26rocblas_geam_ex_operation_.has_dyn_sized_stack, 0
	.set _ZN12_GLOBAL__N_120geam_min_plus_kernelIDF16_Dv2_DF16_S1_Li8ELi32ELi64ELi128ELi4ELi4ELi64ELi64ELi4ELc84ELc84ELb0ELb0ELb0EDF16_KDF16_DF16_EEviiiT16_PT17_ilS5_ilS3_S5_ilPT18_ili26rocblas_geam_ex_operation_.has_recursion, 0
	.set _ZN12_GLOBAL__N_120geam_min_plus_kernelIDF16_Dv2_DF16_S1_Li8ELi32ELi64ELi128ELi4ELi4ELi64ELi64ELi4ELc84ELc84ELb0ELb0ELb0EDF16_KDF16_DF16_EEviiiT16_PT17_ilS5_ilS3_S5_ilPT18_ili26rocblas_geam_ex_operation_.has_indirect_call, 0
	.section	.AMDGPU.csdata,"",@progbits
; Kernel info:
; codeLenInByte = 19788
; TotalNumSgprs: 33
; NumVgprs: 121
; NumAgprs: 0
; TotalNumVgprs: 121
; ScratchSize: 0
; MemoryBound: 0
; FloatMode: 240
; IeeeMode: 1
; LDSByteSize: 3072 bytes/workgroup (compile time only)
; SGPRBlocks: 4
; VGPRBlocks: 15
; NumSGPRsForWavesPerEU: 33
; NumVGPRsForWavesPerEU: 121
; AccumOffset: 124
; Occupancy: 4
; WaveLimiterHint : 1
; COMPUTE_PGM_RSRC2:SCRATCH_EN: 0
; COMPUTE_PGM_RSRC2:USER_SGPR: 2
; COMPUTE_PGM_RSRC2:TRAP_HANDLER: 0
; COMPUTE_PGM_RSRC2:TGID_X_EN: 1
; COMPUTE_PGM_RSRC2:TGID_Y_EN: 0
; COMPUTE_PGM_RSRC2:TGID_Z_EN: 1
; COMPUTE_PGM_RSRC2:TIDIG_COMP_CNT: 1
; COMPUTE_PGM_RSRC3_GFX90A:ACCUM_OFFSET: 30
; COMPUTE_PGM_RSRC3_GFX90A:TG_SPLIT: 0
	.section	.text._ZN12_GLOBAL__N_120geam_min_plus_kernelIDF16_Dv2_DF16_S1_Li8ELi32ELi64ELi128ELi4ELi4ELi64ELi64ELi4ELc84ELc84ELb0ELb1ELb0EPKDF16_S2_DF16_EEviiiT16_PT17_ilS6_ilS4_S6_ilPT18_ili26rocblas_geam_ex_operation_,"axG",@progbits,_ZN12_GLOBAL__N_120geam_min_plus_kernelIDF16_Dv2_DF16_S1_Li8ELi32ELi64ELi128ELi4ELi4ELi64ELi64ELi4ELc84ELc84ELb0ELb1ELb0EPKDF16_S2_DF16_EEviiiT16_PT17_ilS6_ilS4_S6_ilPT18_ili26rocblas_geam_ex_operation_,comdat
	.globl	_ZN12_GLOBAL__N_120geam_min_plus_kernelIDF16_Dv2_DF16_S1_Li8ELi32ELi64ELi128ELi4ELi4ELi64ELi64ELi4ELc84ELc84ELb0ELb1ELb0EPKDF16_S2_DF16_EEviiiT16_PT17_ilS6_ilS4_S6_ilPT18_ili26rocblas_geam_ex_operation_ ; -- Begin function _ZN12_GLOBAL__N_120geam_min_plus_kernelIDF16_Dv2_DF16_S1_Li8ELi32ELi64ELi128ELi4ELi4ELi64ELi64ELi4ELc84ELc84ELb0ELb1ELb0EPKDF16_S2_DF16_EEviiiT16_PT17_ilS6_ilS4_S6_ilPT18_ili26rocblas_geam_ex_operation_
	.p2align	8
	.type	_ZN12_GLOBAL__N_120geam_min_plus_kernelIDF16_Dv2_DF16_S1_Li8ELi32ELi64ELi128ELi4ELi4ELi64ELi64ELi4ELc84ELc84ELb0ELb1ELb0EPKDF16_S2_DF16_EEviiiT16_PT17_ilS6_ilS4_S6_ilPT18_ili26rocblas_geam_ex_operation_,@function
_ZN12_GLOBAL__N_120geam_min_plus_kernelIDF16_Dv2_DF16_S1_Li8ELi32ELi64ELi128ELi4ELi4ELi64ELi64ELi4ELc84ELc84ELb0ELb1ELb0EPKDF16_S2_DF16_EEviiiT16_PT17_ilS6_ilS4_S6_ilPT18_ili26rocblas_geam_ex_operation_: ; @_ZN12_GLOBAL__N_120geam_min_plus_kernelIDF16_Dv2_DF16_S1_Li8ELi32ELi64ELi128ELi4ELi4ELi64ELi64ELi4ELc84ELc84ELb0ELb1ELb0EPKDF16_S2_DF16_EEviiiT16_PT17_ilS6_ilS4_S6_ilPT18_ili26rocblas_geam_ex_operation_
; %bb.0:
	s_load_dwordx4 s[4:7], s[0:1], 0x10
	s_load_dwordx4 s[8:11], s[0:1], 0x28
	;; [unrolled: 1-line block ×3, first 2 shown]
	s_mov_b32 s26, s3
	s_mov_b32 s27, 0
	s_lshl_b64 s[16:17], s[26:27], 1
	s_waitcnt lgkmcnt(0)
	s_add_u32 s4, s4, s16
	s_addc_u32 s5, s5, s17
	v_mov_b32_e32 v1, 0
	global_load_ushort v32, v1, s[4:5]
	s_add_u32 s4, s14, s16
	s_addc_u32 s5, s15, s17
	global_load_ushort v44, v1, s[4:5]
	s_load_dwordx2 s[20:21], s[0:1], 0x50
	s_mov_b64 s[14:15], 0
	s_mov_b64 s[28:29], 0
	s_waitcnt vmcnt(1)
	v_cmp_eq_f16_e32 vcc, 0, v32
	v_cmp_neq_f16_e64 s[4:5], 0, v32
	s_cbranch_vccnz .LBB303_2
; %bb.1:
	s_mul_i32 s3, s9, s26
	s_mul_hi_u32 s9, s8, s26
	s_add_i32 s9, s9, s3
	s_mul_i32 s8, s8, s26
	s_lshl_b64 s[8:9], s[8:9], 1
	s_add_u32 s28, s6, s8
	s_addc_u32 s29, s7, s9
.LBB303_2:
	s_andn2_b64 vcc, exec, s[4:5]
	s_cbranch_vccnz .LBB303_4
; %bb.3:
	s_mul_i32 s3, s13, s26
	s_mul_hi_u32 s6, s12, s26
	s_add_i32 s7, s6, s3
	s_mul_i32 s6, s12, s26
	s_lshl_b64 s[6:7], s[6:7], 1
	s_add_u32 s14, s10, s6
	s_addc_u32 s15, s11, s7
.LBB303_4:
	s_load_dwordx4 s[16:19], s[0:1], 0x60
	s_waitcnt vmcnt(0)
	v_cmp_eq_f16_e32 vcc, 0, v44
	v_cmp_neq_f16_e64 s[12:13], 0, v44
	s_cbranch_vccnz .LBB303_6
; %bb.5:
	s_waitcnt lgkmcnt(0)
	s_mul_i32 s3, s17, s26
	s_mul_hi_u32 s6, s16, s26
	s_add_i32 s7, s6, s3
	s_mul_i32 s6, s16, s26
	s_lshl_b64 s[6:7], s[6:7], 1
	s_add_u32 s24, s20, s6
	s_addc_u32 s25, s21, s7
	s_branch .LBB303_7
.LBB303_6:
	s_mov_b64 s[24:25], 0
.LBB303_7:
	s_waitcnt lgkmcnt(0)
	s_load_dwordx4 s[20:23], s[0:1], 0x0
	s_load_dword s35, s[0:1], 0x20
	v_and_b32_e32 v30, 0x3ff, v0
	v_bfe_u32 v31, v0, 10, 10
	v_lshl_add_u32 v2, v31, 3, v30
	s_waitcnt lgkmcnt(0)
	s_add_i32 s3, s20, -1
	s_ashr_i32 s6, s3, 31
	s_lshr_b32 s6, s6, 26
	s_add_i32 s3, s3, s6
	s_ashr_i32 s3, s3, 6
	s_add_i32 s9, s3, 1
	v_cvt_f32_u32_e32 v1, s9
	s_not_b32 s3, s3
	v_lshrrev_b32_e32 v8, 2, v2
	v_and_b32_e32 v33, 3, v0
	v_rcp_iflag_f32_e32 v1, v1
	v_cmp_gt_i32_e64 s[6:7], s22, v33
	v_mov_b32_e32 v7, 0
	v_lshlrev_b32_e32 v0, 1, v33
	v_mul_f32_e32 v1, 0x4f7ffffe, v1
	v_cvt_u32_f32_e32 v1, v1
	v_mov_b32_e32 v9, 0
	v_readfirstlane_b32 s8, v1
	s_mul_i32 s3, s3, s8
	s_mul_hi_u32 s3, s8, s3
	s_add_i32 s8, s8, s3
	s_mul_hi_u32 s3, s2, s8
	s_mul_i32 s8, s3, s9
	s_sub_i32 s8, s2, s8
	s_add_i32 s10, s3, 1
	s_sub_i32 s11, s8, s9
	s_cmp_ge_u32 s8, s9
	s_cselect_b32 s3, s10, s3
	s_cselect_b32 s8, s11, s8
	s_add_i32 s10, s3, 1
	s_cmp_ge_u32 s8, s9
	s_cselect_b32 s8, s10, s3
	s_mul_i32 s3, s8, s9
	s_sub_i32 s2, s2, s3
	s_lshl_b32 s27, s2, 6
	v_add_u32_e32 v4, s27, v8
	v_cmp_gt_i32_e32 vcc, s20, v4
	s_and_b64 s[2:3], s[6:7], vcc
	s_and_b64 s[6:7], s[4:5], s[2:3]
	s_and_saveexec_b64 s[2:3], s[6:7]
	s_cbranch_execz .LBB303_9
; %bb.8:
	v_mad_i64_i32 v[10:11], s[6:7], v4, s35, 0
	v_lshl_add_u64 v[10:11], v[10:11], 1, s[28:29]
	v_mov_b32_e32 v1, 0
	v_lshl_add_u64 v[10:11], v[10:11], 0, v[0:1]
	global_load_ushort v1, v[10:11], off
	s_waitcnt vmcnt(0)
	v_mul_f16_e32 v9, v32, v1
.LBB303_9:
	s_or_b64 exec, exec, s[2:3]
	s_load_dword s23, s[0:1], 0x38
	v_and_b32_e32 v10, 63, v2
	v_lshrrev_b32_e32 v34, 6, v2
	s_lshl_b32 s30, s8, 7
	s_add_i32 s31, s22, -1
	v_or_b32_e32 v24, s30, v10
	v_min_i32_e32 v1, s31, v34
	v_cmp_le_i32_e64 s[10:11], s22, v34
	s_waitcnt lgkmcnt(0)
	v_mad_i64_i32 v[2:3], s[2:3], s23, v1, 0
	v_cmp_le_i32_e64 s[6:7], s21, v24
	s_or_b64 s[2:3], s[6:7], s[10:11]
	s_xor_b64 s[16:17], s[4:5], -1
	v_lshl_add_u64 v[2:3], v[2:3], 1, s[14:15]
	s_nor_b64 s[8:9], s[2:3], s[16:17]
	v_ashrrev_i32_e32 v25, 31, v24
	s_and_saveexec_b64 s[2:3], s[8:9]
	s_cbranch_execz .LBB303_11
; %bb.10:
	v_lshl_add_u64 v[6:7], v[24:25], 1, v[2:3]
	global_load_ushort v1, v[6:7], off
	s_waitcnt vmcnt(0)
	v_mul_f16_e32 v7, v32, v1
.LBB303_11:
	s_or_b64 exec, exec, s[2:3]
	v_or_b32_e32 v1, 64, v24
	v_cmp_le_i32_e64 s[8:9], s21, v1
	s_or_b64 s[2:3], s[8:9], s[10:11]
	s_nor_b64 s[10:11], s[2:3], s[16:17]
	v_mov_b32_e32 v1, 0
	v_mov_b32_e32 v11, 0
	s_and_saveexec_b64 s[2:3], s[10:11]
	s_cbranch_execz .LBB303_13
; %bb.12:
	v_lshl_add_u64 v[2:3], v[24:25], 1, v[2:3]
	global_load_ushort v2, v[2:3], off offset:128
	s_waitcnt vmcnt(0)
	v_mul_f16_e32 v11, v32, v2
.LBB303_13:
	s_or_b64 exec, exec, s[2:3]
	v_or_b32_e32 v2, 4, v33
	v_cmp_gt_i32_e64 s[2:3], s22, v2
	s_and_b64 s[2:3], s[2:3], vcc
	s_and_b64 s[10:11], s[4:5], s[2:3]
	s_and_saveexec_b64 s[2:3], s[10:11]
	s_cbranch_execz .LBB303_15
; %bb.14:
	v_mad_i64_i32 v[2:3], s[10:11], v4, s35, 0
	v_lshl_add_u64 v[2:3], v[2:3], 1, s[28:29]
	v_mov_b32_e32 v1, 0
	v_lshl_add_u64 v[2:3], v[2:3], 0, v[0:1]
	global_load_ushort v1, v[2:3], off offset:8
	s_waitcnt vmcnt(0)
	v_mul_f16_e32 v1, v32, v1
.LBB303_15:
	s_or_b64 exec, exec, s[2:3]
	v_add_u32_e32 v2, 4, v34
	v_cmp_le_i32_e64 s[10:11], s22, v2
	v_min_i32_e32 v2, s31, v2
	v_mad_i64_i32 v[2:3], s[2:3], s23, v2, 0
	s_or_b64 s[2:3], s[6:7], s[10:11]
	v_lshl_add_u64 v[2:3], v[2:3], 1, s[14:15]
	s_nor_b64 s[36:37], s[2:3], s[16:17]
	v_mov_b32_e32 v5, 0
	v_mov_b32_e32 v6, 0
	s_and_saveexec_b64 s[2:3], s[36:37]
	s_cbranch_execz .LBB303_17
; %bb.16:
	v_lshl_add_u64 v[12:13], v[24:25], 1, v[2:3]
	global_load_ushort v6, v[12:13], off
	s_waitcnt vmcnt(0)
	v_mul_f16_e32 v6, v32, v6
.LBB303_17:
	s_or_b64 exec, exec, s[2:3]
	s_or_b64 s[2:3], s[8:9], s[10:11]
	s_nor_b64 s[10:11], s[2:3], s[16:17]
	s_and_saveexec_b64 s[2:3], s[10:11]
	s_cbranch_execz .LBB303_19
; %bb.18:
	v_lshl_add_u64 v[2:3], v[24:25], 1, v[2:3]
	global_load_ushort v2, v[2:3], off offset:128
	s_waitcnt vmcnt(0)
	v_mul_f16_e32 v5, v32, v2
.LBB303_19:
	s_or_b64 exec, exec, s[2:3]
	v_lshlrev_b32_e32 v2, 3, v10
	v_lshl_or_b32 v0, v8, 3, v0
	v_lshl_add_u32 v37, v34, 1, v2
	v_lshlrev_b32_e32 v36, 3, v30
	v_lshlrev_b32_e32 v35, 3, v31
	ds_write_b16 v0, v9 offset:2048
	ds_write_b16 v37, v7
	ds_write_b16 v37, v11 offset:512
	s_waitcnt lgkmcnt(0)
	s_barrier
	ds_read2_b64 v[8:11], v35 offset1:32
	v_add_u32_e32 v38, 0x800, v36
	ds_read2_b64 v[12:15], v38 offset0:48 offset1:56
	ds_read2_b64 v[16:19], v35 offset0:64 offset1:96
	ds_read2_b64 v[20:23], v38 offset1:8
	ds_read2_b64 v[26:29], v38 offset0:16 offset1:24
	ds_read2_b64 v[40:43], v38 offset0:32 offset1:40
	s_waitcnt lgkmcnt(5)
	v_pk_max_f16 v2, v8, v8
	s_waitcnt lgkmcnt(4)
	v_pk_max_f16 v3, v14, v14
	v_pk_max_f16 v8, v10, v10
	v_pk_min_f16 v7, v3, v2
	s_waitcnt lgkmcnt(3)
	v_pk_max_f16 v10, v16, v16
	s_waitcnt lgkmcnt(2)
	v_pk_max_f16 v14, v20, v20
	v_pk_max_f16 v18, v18, v18
	;; [unrolled: 1-line block ×3, first 2 shown]
	s_waitcnt lgkmcnt(1)
	v_pk_max_f16 v26, v26, v26
	v_pk_max_f16 v28, v28, v28
	s_waitcnt lgkmcnt(0)
	v_pk_max_f16 v40, v40, v40
	v_pk_max_f16 v9, v9, v9
	;; [unrolled: 1-line block ×5, first 2 shown]
	v_pk_min_f16 v16, v14, v2
	v_pk_min_f16 v20, v14, v8
	;; [unrolled: 1-line block ×17, first 2 shown]
	v_pk_max_f16 v11, v11, v11
	v_pk_min_f16 v62, v40, v8
	v_pk_min_f16 v63, v40, v10
	;; [unrolled: 1-line block ×14, first 2 shown]
	v_pk_add_f16 v7, v7, 0
	v_pk_min_f16 v18, v15, v9
	v_pk_max_f16 v17, v17, v17
	v_pk_add_f16 v69, v7, v18
	v_pk_add_f16 v7, v51, 0
	v_pk_min_f16 v18, v15, v11
	v_pk_max_f16 v21, v21, v21
	v_pk_add_f16 v61, v7, v18
	;; [unrolled: 4-line block ×5, first 2 shown]
	v_pk_add_f16 v7, v39, 0
	v_pk_min_f16 v16, v21, v17
	v_pk_add_f16 v18, v28, 0
	v_pk_add_f16 v60, v7, v16
	v_pk_add_f16 v7, v14, 0
	v_pk_min_f16 v14, v21, v19
	v_pk_add_f16 v20, v57, 0
	v_pk_add_f16 v52, v7, v14
	v_pk_add_f16 v7, v45, 0
	v_pk_min_f16 v14, v23, v9
	v_pk_add_f16 v21, v62, 0
	v_pk_add_f16 v75, v7, v14
	v_pk_add_f16 v7, v46, 0
	v_pk_min_f16 v14, v23, v11
	v_pk_add_f16 v39, v42, 0
	v_pk_add_f16 v67, v7, v14
	v_pk_add_f16 v7, v47, 0
	v_pk_min_f16 v14, v23, v17
	v_pk_add_f16 v2, v2, 0
	v_pk_add_f16 v59, v7, v14
	v_pk_add_f16 v7, v22, 0
	v_pk_min_f16 v14, v23, v19
	v_pk_add_f16 v23, v40, 0
	v_pk_add_f16 v51, v7, v14
	v_pk_max_f16 v14, v27, v27
	v_pk_add_f16 v7, v48, 0
	v_pk_min_f16 v16, v14, v9
	v_pk_min_f16 v40, v29, v9
	v_pk_add_f16 v74, v7, v16
	v_pk_add_f16 v7, v49, 0
	v_pk_min_f16 v16, v14, v11
	v_pk_add_f16 v27, v65, 0
	v_pk_add_f16 v66, v7, v16
	;; [unrolled: 1-line block ×3, first 2 shown]
	v_pk_min_f16 v16, v14, v17
	v_pk_min_f16 v14, v14, v19
	v_pk_add_f16 v58, v7, v16
	v_pk_add_f16 v7, v26, 0
	;; [unrolled: 1-line block ×7, first 2 shown]
	v_pk_min_f16 v7, v29, v11
	v_pk_add_f16 v26, v64, 0
	v_pk_add_f16 v65, v14, v7
	v_pk_min_f16 v7, v29, v17
	v_pk_add_f16 v22, v63, 0
	v_pk_add_f16 v57, v16, v7
	;; [unrolled: 3-line block ×3, first 2 shown]
	v_pk_max_f16 v7, v41, v41
	v_pk_add_f16 v10, v10, 0
	v_pk_min_f16 v14, v7, v9
	v_pk_add_f16 v12, v12, 0
	v_pk_add_f16 v72, v20, v14
	v_pk_min_f16 v14, v7, v11
	v_pk_add_f16 v28, v70, 0
	v_pk_add_f16 v64, v21, v14
	v_pk_min_f16 v14, v7, v17
	v_pk_min_f16 v7, v7, v19
	v_pk_add_f16 v56, v22, v14
	v_pk_add_f16 v48, v23, v7
	v_pk_max_f16 v7, v43, v43
	v_pk_add_f16 v3, v3, 0
	v_pk_min_f16 v14, v7, v9
	s_mov_b32 s33, 0
	v_pk_add_f16 v71, v26, v14
	v_pk_min_f16 v14, v7, v11
	s_cmp_lt_i32 s22, 9
	v_pk_add_f16 v63, v27, v14
	v_pk_min_f16 v14, v7, v17
	v_pk_min_f16 v7, v7, v19
	v_pk_add_f16 v55, v28, v14
	v_pk_add_f16 v47, v39, v7
	v_pk_max_f16 v7, v13, v13
	ds_write_b16 v0, v1 offset:2560
	ds_write_b16 v37, v6 offset:1024
	;; [unrolled: 1-line block ×3, first 2 shown]
	v_pk_min_f16 v9, v7, v9
	s_waitcnt lgkmcnt(0)
	v_pk_add_f16 v39, v2, v9
	v_pk_min_f16 v2, v7, v11
	s_barrier
	v_pk_add_f16 v62, v8, v2
	v_pk_min_f16 v2, v7, v17
	s_nop 0
	v_pk_add_f16 v54, v10, v2
	v_pk_min_f16 v2, v7, v19
	s_nop 0
	;; [unrolled: 3-line block ×3, first 2 shown]
	v_pk_add_f16 v45, v3, v2
	s_cbranch_scc1 .LBB303_34
; %bb.20:
	v_add_u32_e32 v40, 0x800, v0
	v_add_u32_e32 v41, 0xa00, v0
	v_mov_b32_e32 v0, 0xa00
	v_lshl_add_u32 v43, v30, 3, v0
	v_mov_b32_e32 v0, 0x400
	v_and_b32_e32 v2, 3, v30
	v_lshl_add_u32 v70, v31, 3, v0
	v_mad_i64_i32 v[0:1], s[2:3], s35, v4, 0
	v_lshlrev_b32_e32 v2, 1, v2
	v_mov_b32_e32 v3, 0
	v_lshl_add_u64 v[0:1], v[0:1], 1, v[2:3]
	v_lshl_add_u64 v[0:1], s[28:29], 0, v[0:1]
	v_add_u32_e32 v42, 0x400, v37
	s_add_i32 s34, s22, -8
	v_lshl_add_u64 v[26:27], v[0:1], 0, 16
	s_branch .LBB303_22
.LBB303_21:                             ;   in Loop: Header=BB303_22 Depth=1
	s_or_b64 exec, exec, s[2:3]
	v_pk_max_f16 v2, v2, v2
	v_pk_max_f16 v20, v20, v20
	;; [unrolled: 1-line block ×7, first 2 shown]
	v_pk_min_f16 v28, v2, v20
	v_pk_min_f16 v29, v2, v22
	v_pk_max_f16 v12, v12, v12
	v_pk_max_f16 v14, v14, v14
	;; [unrolled: 1-line block ×10, first 2 shown]
	v_pk_min_f16 v92, v4, v20
	v_pk_max_f16 v9, v9, v9
	v_pk_max_f16 v11, v11, v11
	v_pk_min_f16 v93, v4, v22
	v_pk_max_f16 v5, v5, v5
	v_pk_max_f16 v7, v7, v7
	v_pk_min_f16 v94, v4, v16
	v_pk_min_f16 v4, v4, v18
	v_pk_max_f16 v0, v0, v0
	v_pk_max_f16 v3, v3, v3
	;; [unrolled: 1-line block ×3, first 2 shown]
	v_pk_min_f16 v95, v6, v20
	v_pk_min_f16 v96, v6, v22
	;; [unrolled: 1-line block ×58, first 2 shown]
	v_pk_add_f16 v1, v69, v28
	v_pk_add_f16 v3, v61, v29
	;; [unrolled: 1-line block ×13, first 2 shown]
	ds_read2_b64 v[0:3], v38 offset0:48 offset1:56
	ds_read2_b64 v[4:7], v35 offset1:32
	v_pk_add_f16 v12, v52, v12
	v_pk_add_f16 v66, v66, v87
	;; [unrolled: 1-line block ×4, first 2 shown]
	s_waitcnt lgkmcnt(1)
	v_pk_max_f16 v2, v2, v2
	s_waitcnt lgkmcnt(0)
	v_pk_max_f16 v4, v4, v4
	v_pk_add_f16 v29, v76, v80
	v_pk_add_f16 v60, v60, v82
	;; [unrolled: 1-line block ×10, first 2 shown]
	ds_read2_b64 v[8:11], v35 offset0:64 offset1:96
	v_pk_min_f16 v12, v2, v4
	v_pk_add_f16 v18, v29, v18
	v_pk_add_f16 v29, v53, v99
	;; [unrolled: 1-line block ×6, first 2 shown]
	ds_read2_b64 v[12:15], v38 offset1:8
	v_pk_max_f16 v6, v6, v6
	v_pk_add_f16 v50, v73, v89
	v_pk_add_f16 v73, v16, v17
	v_pk_min_f16 v16, v2, v6
	s_waitcnt lgkmcnt(1)
	v_pk_max_f16 v8, v8, v8
	v_pk_add_f16 v28, v28, v118
	v_pk_add_f16 v47, v47, v16
	v_pk_min_f16 v16, v2, v8
	s_waitcnt lgkmcnt(0)
	v_pk_max_f16 v12, v12, v12
	v_pk_add_f16 v28, v28, v16
	v_pk_min_f16 v16, v12, v4
	v_pk_add_f16 v51, v74, v86
	v_pk_add_f16 v74, v18, v16
	v_pk_min_f16 v16, v12, v6
	v_pk_add_f16 v52, v75, v83
	v_pk_add_f16 v29, v29, v16
	v_pk_min_f16 v16, v12, v8
	v_pk_max_f16 v10, v10, v10
	v_pk_max_f16 v14, v14, v14
	v_pk_add_f16 v52, v52, v101
	v_pk_add_f16 v75, v53, v16
	v_pk_min_f16 v12, v12, v10
	v_pk_min_f16 v16, v14, v4
	v_pk_add_f16 v12, v54, v12
	v_pk_add_f16 v54, v52, v16
	v_pk_min_f16 v16, v14, v6
	v_pk_add_f16 v45, v45, v19
	v_pk_add_f16 v80, v60, v16
	ds_read2_b64 v[16:19], v38 offset0:16 offset1:24
	v_pk_add_f16 v59, v59, v85
	v_pk_add_f16 v48, v71, v95
	;; [unrolled: 1-line block ×4, first 2 shown]
	v_pk_min_f16 v20, v14, v8
	s_waitcnt lgkmcnt(0)
	v_pk_max_f16 v16, v16, v16
	v_pk_add_f16 v51, v51, v104
	v_pk_add_f16 v59, v59, v20
	v_pk_min_f16 v20, v16, v4
	v_pk_add_f16 v58, v58, v88
	v_pk_add_f16 v81, v51, v20
	v_pk_min_f16 v20, v16, v6
	;; [unrolled: 3-line block ×3, first 2 shown]
	v_pk_max_f16 v18, v18, v18
	v_pk_add_f16 v65, v65, v90
	v_pk_add_f16 v50, v50, v107
	;; [unrolled: 1-line block ×3, first 2 shown]
	v_pk_min_f16 v20, v18, v4
	v_pk_add_f16 v65, v65, v108
	v_pk_add_f16 v82, v50, v20
	v_pk_min_f16 v20, v18, v6
	v_pk_add_f16 v49, v72, v92
	v_pk_add_f16 v72, v22, v23
	;; [unrolled: 1-line block ×3, first 2 shown]
	ds_read2_b64 v[20:23], v38 offset0:32 offset1:40
	v_pk_add_f16 v57, v57, v91
	v_pk_min_f16 v50, v18, v8
	v_pk_add_f16 v57, v57, v109
	v_pk_add_f16 v64, v64, v93
	s_waitcnt lgkmcnt(0)
	v_pk_max_f16 v20, v20, v20
	v_pk_add_f16 v49, v49, v110
	v_pk_add_f16 v57, v57, v50
	v_pk_min_f16 v50, v20, v4
	v_pk_add_f16 v56, v56, v94
	v_pk_add_f16 v64, v64, v111
	;; [unrolled: 1-line block ×3, first 2 shown]
	v_pk_min_f16 v49, v20, v6
	v_pk_add_f16 v56, v56, v112
	v_pk_add_f16 v64, v64, v49
	v_pk_min_f16 v49, v20, v8
	v_pk_max_f16 v22, v22, v22
	v_pk_add_f16 v63, v63, v96
	v_pk_add_f16 v48, v48, v113
	;; [unrolled: 1-line block ×3, first 2 shown]
	v_pk_min_f16 v49, v22, v4
	v_pk_add_f16 v63, v63, v114
	v_pk_add_f16 v84, v48, v49
	v_pk_min_f16 v48, v22, v6
	v_pk_max_f16 v0, v0, v0
	v_pk_max_f16 v3, v3, v3
	;; [unrolled: 1-line block ×3, first 2 shown]
	v_pk_min_f16 v14, v14, v10
	v_pk_min_f16 v16, v16, v10
	;; [unrolled: 1-line block ×4, first 2 shown]
	v_pk_add_f16 v63, v63, v48
	v_pk_min_f16 v48, v22, v8
	v_pk_min_f16 v22, v22, v10
	v_pk_min_f16 v4, v0, v4
	v_pk_min_f16 v6, v0, v6
	v_pk_min_f16 v8, v0, v8
	v_pk_min_f16 v0, v0, v10
	v_pk_min_f16 v2, v2, v10
	v_pk_min_f16 v10, v3, v5
	v_pk_max_f16 v7, v7, v7
	v_pk_add_f16 v22, v69, v22
	v_pk_add_f16 v69, v46, v10
	v_pk_min_f16 v10, v3, v7
	v_pk_max_f16 v9, v9, v9
	v_pk_add_f16 v14, v61, v14
	v_pk_add_f16 v61, v47, v10
	v_pk_min_f16 v10, v3, v9
	v_pk_max_f16 v11, v11, v11
	v_pk_add_f16 v53, v28, v10
	v_pk_max_f16 v10, v13, v13
	v_pk_add_f16 v20, v68, v20
	v_pk_min_f16 v13, v10, v5
	v_pk_add_f16 v18, v67, v18
	v_pk_add_f16 v76, v74, v13
	v_pk_min_f16 v13, v10, v7
	v_pk_add_f16 v16, v66, v16
	v_pk_add_f16 v68, v29, v13
	v_pk_min_f16 v13, v10, v9
	v_pk_min_f16 v10, v10, v11
	v_pk_add_f16 v60, v75, v13
	v_pk_add_f16 v52, v12, v10
	v_pk_max_f16 v10, v15, v15
	v_pk_add_f16 v8, v73, v8
	v_pk_min_f16 v12, v10, v5
	v_pk_add_f16 v55, v55, v97
	v_pk_add_f16 v75, v54, v12
	v_pk_min_f16 v12, v10, v7
	v_pk_add_f16 v6, v72, v6
	v_pk_add_f16 v67, v80, v12
	v_pk_min_f16 v12, v10, v9
	v_pk_min_f16 v10, v10, v11
	v_pk_add_f16 v59, v59, v12
	v_pk_add_f16 v51, v14, v10
	v_pk_max_f16 v10, v17, v17
	v_pk_add_f16 v55, v55, v115
	v_pk_min_f16 v12, v10, v5
	v_pk_add_f16 v55, v55, v48
	v_pk_add_f16 v74, v81, v12
	v_pk_min_f16 v12, v10, v7
	v_pk_max_f16 v1, v1, v1
	v_pk_add_f16 v66, v62, v12
	v_pk_min_f16 v12, v10, v9
	v_pk_min_f16 v10, v10, v11
	v_pk_add_f16 v58, v58, v12
	v_pk_add_f16 v50, v16, v10
	v_pk_max_f16 v10, v19, v19
	v_pk_add_f16 v39, v39, v119
	v_pk_min_f16 v12, v10, v5
	v_pk_add_f16 v4, v71, v4
	v_pk_add_f16 v73, v82, v12
	v_pk_min_f16 v12, v10, v7
	v_pk_add_f16 v0, v39, v0
	v_pk_add_f16 v65, v65, v12
	v_pk_min_f16 v12, v10, v9
	v_pk_min_f16 v10, v10, v11
	v_pk_add_f16 v57, v57, v12
	v_pk_add_f16 v49, v18, v10
	v_pk_max_f16 v10, v21, v21
	v_pk_add_f16 v2, v45, v2
	v_pk_min_f16 v12, v10, v5
	s_add_i32 s33, s33, 8
	v_pk_add_f16 v72, v83, v12
	v_pk_min_f16 v12, v10, v7
	s_cmp_ge_i32 s33, s34
	v_pk_add_f16 v64, v64, v12
	v_pk_min_f16 v12, v10, v9
	v_pk_min_f16 v10, v10, v11
	v_pk_add_f16 v56, v56, v12
	v_pk_add_f16 v48, v20, v10
	v_pk_max_f16 v10, v23, v23
	v_lshl_add_u64 v[26:27], v[26:27], 0, 16
	v_pk_min_f16 v12, v10, v5
	v_pk_min_f16 v5, v1, v5
	v_pk_add_f16 v71, v84, v12
	v_pk_add_f16 v39, v4, v5
	v_pk_min_f16 v4, v1, v7
	v_pk_min_f16 v12, v10, v7
	v_pk_add_f16 v62, v6, v4
	v_pk_min_f16 v4, v1, v9
	v_pk_min_f16 v1, v1, v11
	;; [unrolled: 3-line block ×3, first 2 shown]
	v_pk_add_f16 v46, v0, v1
	v_pk_min_f16 v0, v3, v11
	v_pk_add_f16 v55, v55, v12
	v_pk_add_f16 v47, v22, v10
	;; [unrolled: 1-line block ×4, first 2 shown]
	ds_write_b16 v41, v78
	ds_write_b16 v42, v77
	ds_write_b16 v42, v79 offset:512
	s_waitcnt lgkmcnt(0)
	s_barrier
	s_cbranch_scc1 .LBB303_34
.LBB303_22:                             ; =>This Inner Loop Header: Depth=1
	v_add_u32_e32 v29, s33, v33
	v_add_u32_e32 v0, 8, v29
	v_cmp_gt_i32_e64 s[2:3], s22, v0
	s_and_b64 s[2:3], s[2:3], vcc
	s_and_b64 s[10:11], s[4:5], s[2:3]
	v_mov_b32_e32 v77, 0
	s_and_saveexec_b64 s[2:3], s[10:11]
	s_cbranch_execz .LBB303_24
; %bb.23:                               ;   in Loop: Header=BB303_22 Depth=1
	global_load_ushort v0, v[26:27], off
	s_waitcnt vmcnt(0)
	v_mul_f16_e32 v77, v32, v0
.LBB303_24:                             ;   in Loop: Header=BB303_22 Depth=1
	s_or_b64 exec, exec, s[2:3]
	v_add_u32_e32 v28, s33, v34
	v_add_u32_e32 v0, 8, v28
	v_cmp_le_i32_e64 s[10:11], s22, v0
	v_min_i32_e32 v0, s31, v0
	v_mad_i64_i32 v[0:1], s[2:3], v0, s23, 0
	v_lshl_add_u64 v[0:1], v[0:1], 1, s[14:15]
	s_or_b64 s[2:3], s[6:7], s[10:11]
	s_nor_b64 s[28:29], s[2:3], s[16:17]
	v_mov_b32_e32 v78, 0
	v_lshl_add_u64 v[0:1], v[24:25], 1, v[0:1]
	v_mov_b32_e32 v79, 0
	s_and_saveexec_b64 s[2:3], s[28:29]
	s_cbranch_execz .LBB303_26
; %bb.25:                               ;   in Loop: Header=BB303_22 Depth=1
	global_load_ushort v2, v[0:1], off
	s_waitcnt vmcnt(0)
	v_mul_f16_e32 v79, v32, v2
.LBB303_26:                             ;   in Loop: Header=BB303_22 Depth=1
	s_or_b64 exec, exec, s[2:3]
	s_or_b64 s[2:3], s[8:9], s[10:11]
	s_nor_b64 s[10:11], s[2:3], s[16:17]
	s_and_saveexec_b64 s[2:3], s[10:11]
	s_cbranch_execz .LBB303_28
; %bb.27:                               ;   in Loop: Header=BB303_22 Depth=1
	global_load_ushort v0, v[0:1], off offset:128
	s_waitcnt vmcnt(0)
	v_mul_f16_e32 v78, v32, v0
.LBB303_28:                             ;   in Loop: Header=BB303_22 Depth=1
	s_or_b64 exec, exec, s[2:3]
	ds_read2_b64 v[0:3], v43 offset0:48 offset1:56
	ds_read2_b64 v[16:19], v70 offset0:64 offset1:96
	ds_read2_b64 v[20:23], v70 offset1:32
	ds_read2_b64 v[12:15], v43 offset1:8
	ds_read2_b64 v[8:11], v43 offset0:16 offset1:24
	ds_read2_b64 v[4:7], v43 offset0:32 offset1:40
	v_add_u32_e32 v29, 12, v29
	v_cmp_gt_i32_e64 s[2:3], s22, v29
	s_and_b64 s[2:3], s[2:3], vcc
	ds_write_b16 v40, v77
	ds_write_b16 v37, v79
	ds_write_b16 v37, v78 offset:512
	s_and_b64 s[2:3], s[4:5], s[2:3]
	v_mov_b32_e32 v77, 0
	v_mov_b32_e32 v78, 0
	s_waitcnt lgkmcnt(0)
	s_barrier
	s_and_saveexec_b64 s[10:11], s[2:3]
	s_xor_b64 s[2:3], exec, s[10:11]
	s_cbranch_execz .LBB303_30
; %bb.29:                               ;   in Loop: Header=BB303_22 Depth=1
	global_load_ushort v29, v[26:27], off offset:8
	s_waitcnt vmcnt(0)
	v_mul_f16_e32 v78, v32, v29
.LBB303_30:                             ;   in Loop: Header=BB303_22 Depth=1
	s_or_b64 exec, exec, s[2:3]
	v_add_u32_e32 v28, 12, v28
	v_cmp_le_i32_e64 s[10:11], s22, v28
	v_min_i32_e32 v28, s31, v28
	v_mad_i64_i32 v[28:29], s[2:3], v28, s23, 0
	v_lshl_add_u64 v[28:29], v[28:29], 1, s[14:15]
	s_or_b64 s[2:3], s[6:7], s[10:11]
	s_nor_b64 s[28:29], s[2:3], s[16:17]
	v_lshl_add_u64 v[28:29], v[24:25], 1, v[28:29]
	s_and_saveexec_b64 s[2:3], s[28:29]
	s_cbranch_execz .LBB303_32
; %bb.31:                               ;   in Loop: Header=BB303_22 Depth=1
	global_load_ushort v77, v[28:29], off
	s_waitcnt vmcnt(0)
	v_mul_f16_e32 v77, v32, v77
.LBB303_32:                             ;   in Loop: Header=BB303_22 Depth=1
	s_or_b64 exec, exec, s[2:3]
	s_or_b64 s[2:3], s[8:9], s[10:11]
	s_nor_b64 s[10:11], s[2:3], s[16:17]
	v_mov_b32_e32 v79, 0
	s_and_saveexec_b64 s[2:3], s[10:11]
	s_cbranch_execz .LBB303_21
; %bb.33:                               ;   in Loop: Header=BB303_22 Depth=1
	global_load_ushort v28, v[28:29], off offset:128
	s_waitcnt vmcnt(0)
	v_mul_f16_e32 v79, v32, v28
	s_branch .LBB303_21
.LBB303_34:
	s_load_dwordx2 s[2:3], s[0:1], 0x78
	s_load_dword s29, s[0:1], 0x58
	s_load_dword s28, s[0:1], 0x70
	v_add_u32_e32 v8, 0x800, v36
	ds_read2_b64 v[0:3], v8 offset0:112 offset1:120
	ds_read2_b64 v[4:7], v35 offset0:192 offset1:224
	;; [unrolled: 1-line block ×6, first 2 shown]
	s_waitcnt lgkmcnt(0)
	s_mul_i32 s1, s3, s26
	s_mul_hi_u32 s3, s2, s26
	s_mul_i32 s0, s2, s26
	s_add_i32 s1, s3, s1
	s_lshl_b64 s[0:1], s[0:1], 1
	s_add_u32 s22, s18, s0
	v_add_u32_e32 v70, s30, v31
	s_addc_u32 s23, s19, s1
	v_mad_i64_i32 v[26:27], s[0:1], v70, s29, 0
	v_add_u32_e32 v24, s27, v30
	v_lshl_add_u64 v[42:43], v[26:27], 1, s[24:25]
	v_mad_i64_i32 v[26:27], s[0:1], v70, s28, 0
	v_cmp_gt_i32_e64 s[18:19], s21, v70
	v_lshl_add_u64 v[40:41], v[26:27], 1, s[22:23]
	v_cmp_gt_i32_e64 s[4:5], s20, v24
	v_cndmask_b32_e64 v26, 0, 1, s[12:13]
	s_and_b64 s[2:3], s[4:5], s[18:19]
	v_ashrrev_i32_e32 v25, 31, v24
	v_cmp_ne_u32_e64 s[0:1], 1, v26
	s_and_saveexec_b64 s[6:7], s[2:3]
	s_xor_b64 s[2:3], exec, s[6:7]
	s_cbranch_execz .LBB303_39
; %bb.35:
	s_and_b64 vcc, exec, s[0:1]
	s_cbranch_vccnz .LBB303_37
; %bb.36:
	v_lshl_add_u64 v[26:27], v[24:25], 1, v[42:43]
	global_load_ushort v26, v[26:27], off
	s_waitcnt vmcnt(0)
	v_mul_f16_e32 v26, v44, v26
	s_branch .LBB303_38
.LBB303_37:
	v_mov_b32_e32 v26, 0
.LBB303_38:
	v_pk_max_f16 v27, v20, v20
	v_pk_max_f16 v28, v16, v16
	v_pk_max_f16 v29, v17, v17
	v_pk_min_f16 v27, v28, v27
	v_pk_max_f16 v28, v21, v21
	v_pk_add_f16 v27, v76, v27
	v_pk_min_f16 v28, v29, v28
	s_nop 0
	v_pk_add_f16 v27, v27, v28
	s_nop 0
	v_add_f16_sdwa v27, v27, v27 dst_sel:DWORD dst_unused:UNUSED_PAD src0_sel:DWORD src1_sel:WORD_1
	v_add_f16_e32 v28, v27, v26
	v_lshl_add_u64 v[26:27], v[24:25], 1, v[40:41]
	global_store_short v[26:27], v28, off
.LBB303_39:
	s_or_b64 exec, exec, s[2:3]
	v_add_u32_e32 v26, 8, v24
	v_cmp_gt_i32_e64 s[2:3], s20, v26
	s_and_b64 s[8:9], s[2:3], s[18:19]
	v_ashrrev_i32_e32 v27, 31, v26
	s_and_saveexec_b64 s[6:7], s[8:9]
	s_cbranch_execz .LBB303_44
; %bb.40:
	s_and_b64 vcc, exec, s[0:1]
	s_cbranch_vccnz .LBB303_42
; %bb.41:
	v_lshl_add_u64 v[28:29], v[26:27], 1, v[42:43]
	global_load_ushort v28, v[28:29], off
	s_waitcnt vmcnt(0)
	v_mul_f16_e32 v28, v44, v28
	s_branch .LBB303_43
.LBB303_42:
	v_mov_b32_e32 v28, 0
.LBB303_43:
	v_pk_max_f16 v29, v20, v20
	v_pk_max_f16 v30, v18, v18
	v_pk_max_f16 v31, v19, v19
	v_pk_min_f16 v29, v30, v29
	v_pk_max_f16 v30, v21, v21
	v_pk_add_f16 v29, v75, v29
	v_pk_min_f16 v30, v31, v30
	s_nop 0
	v_pk_add_f16 v29, v29, v30
	s_nop 0
	v_add_f16_sdwa v29, v29, v29 dst_sel:DWORD dst_unused:UNUSED_PAD src0_sel:DWORD src1_sel:WORD_1
	v_add_f16_e32 v30, v29, v28
	v_lshl_add_u64 v[28:29], v[26:27], 1, v[40:41]
	global_store_short v[28:29], v30, off
.LBB303_44:
	s_or_b64 exec, exec, s[6:7]
	v_add_u32_e32 v28, 16, v24
	v_cmp_gt_i32_e64 s[6:7], s20, v28
	s_and_b64 s[10:11], s[6:7], s[18:19]
	v_ashrrev_i32_e32 v29, 31, v28
	s_and_saveexec_b64 s[8:9], s[10:11]
	;; [unrolled: 34-line block ×5, first 2 shown]
	s_cbranch_execz .LBB303_64
; %bb.60:
	s_and_b64 vcc, exec, s[0:1]
	s_cbranch_vccnz .LBB303_62
; %bb.61:
	v_lshl_add_u64 v[36:37], v[34:35], 1, v[42:43]
	global_load_ushort v36, v[36:37], off
	s_waitcnt vmcnt(0)
	v_mul_f16_e32 v36, v44, v36
	s_branch .LBB303_63
.LBB303_62:
	v_mov_b32_e32 v36, 0
.LBB303_63:
	v_pk_max_f16 v37, v20, v20
	v_pk_max_f16 v38, v10, v10
	s_nop 0
	v_pk_min_f16 v37, v38, v37
	v_pk_max_f16 v38, v21, v21
	v_pk_add_f16 v37, v71, v37
	v_pk_max_f16 v71, v11, v11
	s_nop 0
	v_pk_min_f16 v38, v71, v38
	s_nop 0
	v_pk_add_f16 v37, v37, v38
	s_nop 0
	v_add_f16_sdwa v37, v37, v37 dst_sel:DWORD dst_unused:UNUSED_PAD src0_sel:DWORD src1_sel:WORD_1
	v_add_f16_e32 v38, v37, v36
	v_lshl_add_u64 v[36:37], v[34:35], 1, v[40:41]
	global_store_short v[36:37], v38, off
.LBB303_64:
	s_or_b64 exec, exec, s[14:15]
	v_add_u32_e32 v36, 48, v24
	v_cmp_gt_i32_e64 s[14:15], s20, v36
	s_and_b64 s[26:27], s[14:15], s[18:19]
	v_ashrrev_i32_e32 v37, 31, v36
	s_and_saveexec_b64 s[16:17], s[26:27]
	s_cbranch_execz .LBB303_69
; %bb.65:
	s_and_b64 vcc, exec, s[0:1]
	s_cbranch_vccnz .LBB303_67
; %bb.66:
	v_lshl_add_u64 v[72:73], v[36:37], 1, v[42:43]
	global_load_ushort v38, v[72:73], off
	s_waitcnt vmcnt(0)
	v_mul_f16_e32 v38, v44, v38
	s_branch .LBB303_68
.LBB303_67:
	v_mov_b32_e32 v38, 0
.LBB303_68:
	v_pk_max_f16 v71, v20, v20
	v_pk_max_f16 v72, v0, v0
	s_nop 0
	v_pk_min_f16 v71, v72, v71
	v_pk_max_f16 v72, v1, v1
	v_pk_add_f16 v39, v39, v71
	v_pk_max_f16 v71, v21, v21
	s_nop 0
	v_pk_min_f16 v71, v72, v71
	s_nop 0
	v_pk_add_f16 v39, v39, v71
	s_nop 0
	v_add_f16_sdwa v39, v39, v39 dst_sel:DWORD dst_unused:UNUSED_PAD src0_sel:DWORD src1_sel:WORD_1
	v_add_f16_e32 v71, v39, v38
	v_lshl_add_u64 v[38:39], v[36:37], 1, v[40:41]
	global_store_short v[38:39], v71, off
.LBB303_69:
	s_or_b64 exec, exec, s[16:17]
	v_add_u32_e32 v38, 56, v24
	v_cmp_gt_i32_e64 s[16:17], s20, v38
	s_and_b64 s[26:27], s[16:17], s[18:19]
	v_ashrrev_i32_e32 v39, 31, v38
	s_and_saveexec_b64 s[18:19], s[26:27]
	s_cbranch_execz .LBB303_74
; %bb.70:
	s_and_b64 vcc, exec, s[0:1]
	s_cbranch_vccnz .LBB303_72
; %bb.71:
	v_lshl_add_u64 v[42:43], v[38:39], 1, v[42:43]
	global_load_ushort v42, v[42:43], off
	s_waitcnt vmcnt(0)
	v_mul_f16_e32 v42, v44, v42
	s_branch .LBB303_73
.LBB303_72:
	v_mov_b32_e32 v42, 0
.LBB303_73:
	v_pk_max_f16 v20, v20, v20
	v_pk_max_f16 v43, v2, v2
	v_pk_max_f16 v21, v21, v21
	v_pk_min_f16 v20, v43, v20
	v_pk_max_f16 v43, v3, v3
	v_pk_add_f16 v20, v69, v20
	v_pk_min_f16 v21, v43, v21
	s_nop 0
	v_pk_add_f16 v20, v20, v21
	s_nop 0
	v_add_f16_sdwa v20, v20, v20 dst_sel:DWORD dst_unused:UNUSED_PAD src0_sel:DWORD src1_sel:WORD_1
	v_add_f16_e32 v42, v20, v42
	v_lshl_add_u64 v[20:21], v[38:39], 1, v[40:41]
	global_store_short v[20:21], v42, off
.LBB303_74:
	s_or_b64 exec, exec, s[18:19]
	v_add_u32_e32 v42, 32, v70
	v_mad_i64_i32 v[20:21], s[26:27], v42, s29, 0
	v_cmp_gt_i32_e64 s[18:19], s21, v42
	v_lshl_add_u64 v[40:41], v[20:21], 1, s[24:25]
	v_mad_i64_i32 v[20:21], s[26:27], v42, s28, 0
	v_lshl_add_u64 v[20:21], v[20:21], 1, s[22:23]
	s_and_b64 s[30:31], s[4:5], s[18:19]
	s_and_saveexec_b64 s[26:27], s[30:31]
	s_cbranch_execnz .LBB303_82
; %bb.75:
	s_or_b64 exec, exec, s[26:27]
	s_and_b64 s[30:31], s[2:3], s[18:19]
	s_and_saveexec_b64 s[26:27], s[30:31]
	s_cbranch_execnz .LBB303_86
.LBB303_76:
	s_or_b64 exec, exec, s[26:27]
	s_and_b64 s[30:31], s[6:7], s[18:19]
	s_and_saveexec_b64 s[26:27], s[30:31]
	s_cbranch_execnz .LBB303_90
.LBB303_77:
	s_or_b64 exec, exec, s[26:27]
	s_and_b64 s[30:31], s[8:9], s[18:19]
	s_and_saveexec_b64 s[26:27], s[30:31]
	s_cbranch_execnz .LBB303_94
.LBB303_78:
	s_or_b64 exec, exec, s[26:27]
	s_and_b64 s[30:31], s[10:11], s[18:19]
	s_and_saveexec_b64 s[26:27], s[30:31]
	s_cbranch_execnz .LBB303_98
.LBB303_79:
	s_or_b64 exec, exec, s[26:27]
	s_and_b64 s[30:31], s[12:13], s[18:19]
	s_and_saveexec_b64 s[26:27], s[30:31]
	s_cbranch_execnz .LBB303_102
.LBB303_80:
	s_or_b64 exec, exec, s[26:27]
	s_and_b64 s[30:31], s[14:15], s[18:19]
	s_and_saveexec_b64 s[26:27], s[30:31]
	s_cbranch_execnz .LBB303_106
.LBB303_81:
	s_or_b64 exec, exec, s[26:27]
	s_and_b64 s[26:27], s[16:17], s[18:19]
	s_and_saveexec_b64 s[18:19], s[26:27]
	s_cbranch_execnz .LBB303_110
	s_branch .LBB303_114
.LBB303_82:
	s_and_b64 vcc, exec, s[0:1]
	s_cbranch_vccnz .LBB303_84
; %bb.83:
	v_lshl_add_u64 v[42:43], v[24:25], 1, v[40:41]
	global_load_ushort v42, v[42:43], off
	s_waitcnt vmcnt(0)
	v_mul_f16_e32 v42, v44, v42
	s_branch .LBB303_85
.LBB303_84:
	v_mov_b32_e32 v42, 0
.LBB303_85:
	v_pk_max_f16 v43, v22, v22
	v_pk_max_f16 v69, v16, v16
	s_nop 0
	v_pk_min_f16 v43, v69, v43
	v_pk_max_f16 v69, v17, v17
	v_pk_add_f16 v43, v68, v43
	v_pk_max_f16 v68, v23, v23
	s_nop 0
	v_pk_min_f16 v68, v69, v68
	s_nop 0
	v_pk_add_f16 v43, v43, v68
	s_nop 0
	v_add_f16_sdwa v43, v43, v43 dst_sel:DWORD dst_unused:UNUSED_PAD src0_sel:DWORD src1_sel:WORD_1
	v_add_f16_e32 v68, v43, v42
	v_lshl_add_u64 v[42:43], v[24:25], 1, v[20:21]
	global_store_short v[42:43], v68, off
	s_or_b64 exec, exec, s[26:27]
	s_and_b64 s[30:31], s[2:3], s[18:19]
	s_and_saveexec_b64 s[26:27], s[30:31]
	s_cbranch_execz .LBB303_76
.LBB303_86:
	s_and_b64 vcc, exec, s[0:1]
	s_cbranch_vccnz .LBB303_88
; %bb.87:
	v_lshl_add_u64 v[42:43], v[26:27], 1, v[40:41]
	global_load_ushort v42, v[42:43], off
	s_waitcnt vmcnt(0)
	v_mul_f16_e32 v42, v44, v42
	s_branch .LBB303_89
.LBB303_88:
	v_mov_b32_e32 v42, 0
.LBB303_89:
	v_pk_max_f16 v43, v22, v22
	v_pk_max_f16 v68, v18, v18
	s_nop 0
	v_pk_min_f16 v43, v68, v43
	v_pk_max_f16 v68, v19, v19
	v_pk_add_f16 v43, v67, v43
	v_pk_max_f16 v67, v23, v23
	s_nop 0
	v_pk_min_f16 v67, v68, v67
	s_nop 0
	v_pk_add_f16 v43, v43, v67
	s_nop 0
	v_add_f16_sdwa v43, v43, v43 dst_sel:DWORD dst_unused:UNUSED_PAD src0_sel:DWORD src1_sel:WORD_1
	v_add_f16_e32 v67, v43, v42
	v_lshl_add_u64 v[42:43], v[26:27], 1, v[20:21]
	global_store_short v[42:43], v67, off
	s_or_b64 exec, exec, s[26:27]
	s_and_b64 s[30:31], s[6:7], s[18:19]
	s_and_saveexec_b64 s[26:27], s[30:31]
	s_cbranch_execz .LBB303_77
.LBB303_90:
	s_and_b64 vcc, exec, s[0:1]
	s_cbranch_vccnz .LBB303_92
; %bb.91:
	v_lshl_add_u64 v[42:43], v[28:29], 1, v[40:41]
	global_load_ushort v42, v[42:43], off
	s_waitcnt vmcnt(0)
	v_mul_f16_e32 v42, v44, v42
	s_branch .LBB303_93
.LBB303_92:
	v_mov_b32_e32 v42, 0
.LBB303_93:
	v_pk_max_f16 v43, v22, v22
	v_pk_max_f16 v67, v12, v12
	s_nop 0
	v_pk_min_f16 v43, v67, v43
	v_pk_max_f16 v67, v13, v13
	v_pk_add_f16 v43, v66, v43
	v_pk_max_f16 v66, v23, v23
	s_nop 0
	v_pk_min_f16 v66, v67, v66
	s_nop 0
	v_pk_add_f16 v43, v43, v66
	s_nop 0
	v_add_f16_sdwa v43, v43, v43 dst_sel:DWORD dst_unused:UNUSED_PAD src0_sel:DWORD src1_sel:WORD_1
	v_add_f16_e32 v66, v43, v42
	v_lshl_add_u64 v[42:43], v[28:29], 1, v[20:21]
	global_store_short v[42:43], v66, off
	s_or_b64 exec, exec, s[26:27]
	s_and_b64 s[30:31], s[8:9], s[18:19]
	s_and_saveexec_b64 s[26:27], s[30:31]
	s_cbranch_execz .LBB303_78
.LBB303_94:
	s_and_b64 vcc, exec, s[0:1]
	s_cbranch_vccnz .LBB303_96
; %bb.95:
	v_lshl_add_u64 v[42:43], v[30:31], 1, v[40:41]
	global_load_ushort v42, v[42:43], off
	s_waitcnt vmcnt(0)
	v_mul_f16_e32 v42, v44, v42
	s_branch .LBB303_97
.LBB303_96:
	v_mov_b32_e32 v42, 0
.LBB303_97:
	v_pk_max_f16 v43, v22, v22
	v_pk_max_f16 v66, v14, v14
	s_nop 0
	v_pk_min_f16 v43, v66, v43
	v_pk_max_f16 v66, v15, v15
	v_pk_add_f16 v43, v65, v43
	v_pk_max_f16 v65, v23, v23
	s_nop 0
	v_pk_min_f16 v65, v66, v65
	s_nop 0
	v_pk_add_f16 v43, v43, v65
	s_nop 0
	v_add_f16_sdwa v43, v43, v43 dst_sel:DWORD dst_unused:UNUSED_PAD src0_sel:DWORD src1_sel:WORD_1
	v_add_f16_e32 v65, v43, v42
	v_lshl_add_u64 v[42:43], v[30:31], 1, v[20:21]
	global_store_short v[42:43], v65, off
	s_or_b64 exec, exec, s[26:27]
	s_and_b64 s[30:31], s[10:11], s[18:19]
	s_and_saveexec_b64 s[26:27], s[30:31]
	s_cbranch_execz .LBB303_79
.LBB303_98:
	s_and_b64 vcc, exec, s[0:1]
	s_cbranch_vccnz .LBB303_100
; %bb.99:
	v_lshl_add_u64 v[42:43], v[32:33], 1, v[40:41]
	global_load_ushort v42, v[42:43], off
	s_waitcnt vmcnt(0)
	v_mul_f16_e32 v42, v44, v42
	s_branch .LBB303_101
.LBB303_100:
	v_mov_b32_e32 v42, 0
.LBB303_101:
	v_pk_max_f16 v43, v22, v22
	v_pk_max_f16 v65, v8, v8
	s_nop 0
	v_pk_min_f16 v43, v65, v43
	v_pk_max_f16 v65, v9, v9
	v_pk_add_f16 v43, v64, v43
	v_pk_max_f16 v64, v23, v23
	s_nop 0
	v_pk_min_f16 v64, v65, v64
	s_nop 0
	v_pk_add_f16 v43, v43, v64
	s_nop 0
	v_add_f16_sdwa v43, v43, v43 dst_sel:DWORD dst_unused:UNUSED_PAD src0_sel:DWORD src1_sel:WORD_1
	v_add_f16_e32 v64, v43, v42
	v_lshl_add_u64 v[42:43], v[32:33], 1, v[20:21]
	global_store_short v[42:43], v64, off
	s_or_b64 exec, exec, s[26:27]
	s_and_b64 s[30:31], s[12:13], s[18:19]
	s_and_saveexec_b64 s[26:27], s[30:31]
	s_cbranch_execz .LBB303_80
.LBB303_102:
	s_and_b64 vcc, exec, s[0:1]
	s_cbranch_vccnz .LBB303_104
; %bb.103:
	v_lshl_add_u64 v[42:43], v[34:35], 1, v[40:41]
	global_load_ushort v42, v[42:43], off
	s_waitcnt vmcnt(0)
	v_mul_f16_e32 v42, v44, v42
	s_branch .LBB303_105
.LBB303_104:
	v_mov_b32_e32 v42, 0
.LBB303_105:
	v_pk_max_f16 v43, v22, v22
	v_pk_max_f16 v64, v10, v10
	s_nop 0
	v_pk_min_f16 v43, v64, v43
	v_pk_max_f16 v64, v11, v11
	v_pk_add_f16 v43, v63, v43
	v_pk_max_f16 v63, v23, v23
	s_nop 0
	v_pk_min_f16 v63, v64, v63
	s_nop 0
	v_pk_add_f16 v43, v43, v63
	s_nop 0
	v_add_f16_sdwa v43, v43, v43 dst_sel:DWORD dst_unused:UNUSED_PAD src0_sel:DWORD src1_sel:WORD_1
	v_add_f16_e32 v63, v43, v42
	v_lshl_add_u64 v[42:43], v[34:35], 1, v[20:21]
	global_store_short v[42:43], v63, off
	s_or_b64 exec, exec, s[26:27]
	s_and_b64 s[30:31], s[14:15], s[18:19]
	s_and_saveexec_b64 s[26:27], s[30:31]
	s_cbranch_execz .LBB303_81
.LBB303_106:
	s_and_b64 vcc, exec, s[0:1]
	s_cbranch_vccnz .LBB303_108
; %bb.107:
	v_lshl_add_u64 v[42:43], v[36:37], 1, v[40:41]
	global_load_ushort v42, v[42:43], off
	s_waitcnt vmcnt(0)
	v_mul_f16_e32 v42, v44, v42
	s_branch .LBB303_109
.LBB303_108:
	v_mov_b32_e32 v42, 0
.LBB303_109:
	v_pk_max_f16 v43, v22, v22
	v_pk_max_f16 v63, v0, v0
	s_nop 0
	v_pk_min_f16 v43, v63, v43
	v_pk_max_f16 v63, v1, v1
	v_pk_add_f16 v43, v62, v43
	v_pk_max_f16 v62, v23, v23
	s_nop 0
	v_pk_min_f16 v62, v63, v62
	s_nop 0
	v_pk_add_f16 v43, v43, v62
	s_nop 0
	v_add_f16_sdwa v43, v43, v43 dst_sel:DWORD dst_unused:UNUSED_PAD src0_sel:DWORD src1_sel:WORD_1
	v_add_f16_e32 v62, v43, v42
	v_lshl_add_u64 v[42:43], v[36:37], 1, v[20:21]
	global_store_short v[42:43], v62, off
	s_or_b64 exec, exec, s[26:27]
	s_and_b64 s[26:27], s[16:17], s[18:19]
	s_and_saveexec_b64 s[18:19], s[26:27]
	s_cbranch_execz .LBB303_114
.LBB303_110:
	s_and_b64 vcc, exec, s[0:1]
	s_cbranch_vccnz .LBB303_112
; %bb.111:
	v_lshl_add_u64 v[40:41], v[38:39], 1, v[40:41]
	global_load_ushort v40, v[40:41], off
	s_waitcnt vmcnt(0)
	v_mul_f16_e32 v40, v44, v40
	s_branch .LBB303_113
.LBB303_112:
	v_mov_b32_e32 v40, 0
.LBB303_113:
	v_pk_max_f16 v22, v22, v22
	v_pk_max_f16 v41, v2, v2
	;; [unrolled: 1-line block ×3, first 2 shown]
	v_pk_min_f16 v22, v41, v22
	v_pk_max_f16 v41, v3, v3
	v_pk_add_f16 v22, v61, v22
	v_pk_min_f16 v23, v41, v23
	v_lshl_add_u64 v[20:21], v[38:39], 1, v[20:21]
	v_pk_add_f16 v22, v22, v23
	s_nop 0
	v_add_f16_sdwa v22, v22, v22 dst_sel:DWORD dst_unused:UNUSED_PAD src0_sel:DWORD src1_sel:WORD_1
	v_add_f16_e32 v22, v22, v40
	global_store_short v[20:21], v22, off
.LBB303_114:
	s_or_b64 exec, exec, s[18:19]
	v_add_u32_e32 v40, 64, v70
	v_mad_i64_i32 v[20:21], s[26:27], v40, s29, 0
	v_cmp_gt_i32_e64 s[18:19], s21, v40
	v_lshl_add_u64 v[22:23], v[20:21], 1, s[24:25]
	v_mad_i64_i32 v[20:21], s[26:27], v40, s28, 0
	v_lshl_add_u64 v[20:21], v[20:21], 1, s[22:23]
	s_and_b64 s[30:31], s[4:5], s[18:19]
	s_and_saveexec_b64 s[26:27], s[30:31]
	s_cbranch_execnz .LBB303_122
; %bb.115:
	s_or_b64 exec, exec, s[26:27]
	s_and_b64 s[30:31], s[2:3], s[18:19]
	s_and_saveexec_b64 s[26:27], s[30:31]
	s_cbranch_execnz .LBB303_126
.LBB303_116:
	s_or_b64 exec, exec, s[26:27]
	s_and_b64 s[30:31], s[6:7], s[18:19]
	s_and_saveexec_b64 s[26:27], s[30:31]
	s_cbranch_execnz .LBB303_130
.LBB303_117:
	s_or_b64 exec, exec, s[26:27]
	s_and_b64 s[30:31], s[8:9], s[18:19]
	s_and_saveexec_b64 s[26:27], s[30:31]
	s_cbranch_execnz .LBB303_134
.LBB303_118:
	s_or_b64 exec, exec, s[26:27]
	s_and_b64 s[30:31], s[10:11], s[18:19]
	s_and_saveexec_b64 s[26:27], s[30:31]
	s_cbranch_execnz .LBB303_138
.LBB303_119:
	s_or_b64 exec, exec, s[26:27]
	s_and_b64 s[30:31], s[12:13], s[18:19]
	s_and_saveexec_b64 s[26:27], s[30:31]
	s_cbranch_execnz .LBB303_142
.LBB303_120:
	s_or_b64 exec, exec, s[26:27]
	s_and_b64 s[30:31], s[14:15], s[18:19]
	s_and_saveexec_b64 s[26:27], s[30:31]
	s_cbranch_execnz .LBB303_146
.LBB303_121:
	s_or_b64 exec, exec, s[26:27]
	s_and_b64 s[26:27], s[16:17], s[18:19]
	s_and_saveexec_b64 s[18:19], s[26:27]
	s_cbranch_execnz .LBB303_150
	s_branch .LBB303_154
.LBB303_122:
	s_and_b64 vcc, exec, s[0:1]
	s_cbranch_vccnz .LBB303_124
; %bb.123:
	v_lshl_add_u64 v[40:41], v[24:25], 1, v[22:23]
	global_load_ushort v40, v[40:41], off
	s_waitcnt vmcnt(0)
	v_mul_f16_e32 v40, v44, v40
	s_branch .LBB303_125
.LBB303_124:
	v_mov_b32_e32 v40, 0
.LBB303_125:
	v_pk_max_f16 v41, v4, v4
	v_pk_max_f16 v42, v16, v16
	;; [unrolled: 1-line block ×3, first 2 shown]
	v_pk_min_f16 v41, v42, v41
	v_pk_max_f16 v42, v5, v5
	v_pk_add_f16 v41, v60, v41
	v_pk_min_f16 v42, v43, v42
	s_nop 0
	v_pk_add_f16 v41, v41, v42
	s_nop 0
	v_add_f16_sdwa v41, v41, v41 dst_sel:DWORD dst_unused:UNUSED_PAD src0_sel:DWORD src1_sel:WORD_1
	v_add_f16_e32 v42, v41, v40
	v_lshl_add_u64 v[40:41], v[24:25], 1, v[20:21]
	global_store_short v[40:41], v42, off
	s_or_b64 exec, exec, s[26:27]
	s_and_b64 s[30:31], s[2:3], s[18:19]
	s_and_saveexec_b64 s[26:27], s[30:31]
	s_cbranch_execz .LBB303_116
.LBB303_126:
	s_and_b64 vcc, exec, s[0:1]
	s_cbranch_vccnz .LBB303_128
; %bb.127:
	v_lshl_add_u64 v[40:41], v[26:27], 1, v[22:23]
	global_load_ushort v40, v[40:41], off
	s_waitcnt vmcnt(0)
	v_mul_f16_e32 v40, v44, v40
	s_branch .LBB303_129
.LBB303_128:
	v_mov_b32_e32 v40, 0
.LBB303_129:
	v_pk_max_f16 v41, v4, v4
	v_pk_max_f16 v42, v18, v18
	;; [unrolled: 1-line block ×3, first 2 shown]
	v_pk_min_f16 v41, v42, v41
	v_pk_max_f16 v42, v5, v5
	v_pk_add_f16 v41, v59, v41
	v_pk_min_f16 v42, v43, v42
	s_nop 0
	v_pk_add_f16 v41, v41, v42
	s_nop 0
	v_add_f16_sdwa v41, v41, v41 dst_sel:DWORD dst_unused:UNUSED_PAD src0_sel:DWORD src1_sel:WORD_1
	v_add_f16_e32 v42, v41, v40
	v_lshl_add_u64 v[40:41], v[26:27], 1, v[20:21]
	global_store_short v[40:41], v42, off
	s_or_b64 exec, exec, s[26:27]
	s_and_b64 s[30:31], s[6:7], s[18:19]
	s_and_saveexec_b64 s[26:27], s[30:31]
	s_cbranch_execz .LBB303_117
.LBB303_130:
	s_and_b64 vcc, exec, s[0:1]
	s_cbranch_vccnz .LBB303_132
; %bb.131:
	v_lshl_add_u64 v[40:41], v[28:29], 1, v[22:23]
	global_load_ushort v40, v[40:41], off
	s_waitcnt vmcnt(0)
	v_mul_f16_e32 v40, v44, v40
	s_branch .LBB303_133
.LBB303_132:
	v_mov_b32_e32 v40, 0
.LBB303_133:
	v_pk_max_f16 v41, v4, v4
	v_pk_max_f16 v42, v12, v12
	;; [unrolled: 1-line block ×3, first 2 shown]
	v_pk_min_f16 v41, v42, v41
	v_pk_max_f16 v42, v5, v5
	v_pk_add_f16 v41, v58, v41
	v_pk_min_f16 v42, v43, v42
	s_nop 0
	v_pk_add_f16 v41, v41, v42
	s_nop 0
	v_add_f16_sdwa v41, v41, v41 dst_sel:DWORD dst_unused:UNUSED_PAD src0_sel:DWORD src1_sel:WORD_1
	v_add_f16_e32 v42, v41, v40
	v_lshl_add_u64 v[40:41], v[28:29], 1, v[20:21]
	global_store_short v[40:41], v42, off
	s_or_b64 exec, exec, s[26:27]
	s_and_b64 s[30:31], s[8:9], s[18:19]
	s_and_saveexec_b64 s[26:27], s[30:31]
	s_cbranch_execz .LBB303_118
.LBB303_134:
	s_and_b64 vcc, exec, s[0:1]
	s_cbranch_vccnz .LBB303_136
; %bb.135:
	v_lshl_add_u64 v[40:41], v[30:31], 1, v[22:23]
	global_load_ushort v40, v[40:41], off
	s_waitcnt vmcnt(0)
	v_mul_f16_e32 v40, v44, v40
	s_branch .LBB303_137
.LBB303_136:
	v_mov_b32_e32 v40, 0
.LBB303_137:
	v_pk_max_f16 v41, v4, v4
	v_pk_max_f16 v42, v14, v14
	;; [unrolled: 1-line block ×3, first 2 shown]
	v_pk_min_f16 v41, v42, v41
	v_pk_max_f16 v42, v5, v5
	v_pk_add_f16 v41, v57, v41
	v_pk_min_f16 v42, v43, v42
	s_nop 0
	v_pk_add_f16 v41, v41, v42
	s_nop 0
	v_add_f16_sdwa v41, v41, v41 dst_sel:DWORD dst_unused:UNUSED_PAD src0_sel:DWORD src1_sel:WORD_1
	v_add_f16_e32 v42, v41, v40
	v_lshl_add_u64 v[40:41], v[30:31], 1, v[20:21]
	global_store_short v[40:41], v42, off
	s_or_b64 exec, exec, s[26:27]
	s_and_b64 s[30:31], s[10:11], s[18:19]
	s_and_saveexec_b64 s[26:27], s[30:31]
	s_cbranch_execz .LBB303_119
.LBB303_138:
	s_and_b64 vcc, exec, s[0:1]
	s_cbranch_vccnz .LBB303_140
; %bb.139:
	v_lshl_add_u64 v[40:41], v[32:33], 1, v[22:23]
	global_load_ushort v40, v[40:41], off
	s_waitcnt vmcnt(0)
	v_mul_f16_e32 v40, v44, v40
	s_branch .LBB303_141
.LBB303_140:
	v_mov_b32_e32 v40, 0
.LBB303_141:
	v_pk_max_f16 v41, v4, v4
	v_pk_max_f16 v42, v8, v8
	;; [unrolled: 1-line block ×3, first 2 shown]
	v_pk_min_f16 v41, v42, v41
	v_pk_max_f16 v42, v5, v5
	v_pk_add_f16 v41, v56, v41
	v_pk_min_f16 v42, v43, v42
	s_nop 0
	v_pk_add_f16 v41, v41, v42
	s_nop 0
	v_add_f16_sdwa v41, v41, v41 dst_sel:DWORD dst_unused:UNUSED_PAD src0_sel:DWORD src1_sel:WORD_1
	v_add_f16_e32 v42, v41, v40
	v_lshl_add_u64 v[40:41], v[32:33], 1, v[20:21]
	global_store_short v[40:41], v42, off
	s_or_b64 exec, exec, s[26:27]
	s_and_b64 s[30:31], s[12:13], s[18:19]
	s_and_saveexec_b64 s[26:27], s[30:31]
	s_cbranch_execz .LBB303_120
.LBB303_142:
	s_and_b64 vcc, exec, s[0:1]
	s_cbranch_vccnz .LBB303_144
; %bb.143:
	v_lshl_add_u64 v[40:41], v[34:35], 1, v[22:23]
	global_load_ushort v40, v[40:41], off
	s_waitcnt vmcnt(0)
	v_mul_f16_e32 v40, v44, v40
	s_branch .LBB303_145
.LBB303_144:
	v_mov_b32_e32 v40, 0
.LBB303_145:
	v_pk_max_f16 v41, v4, v4
	v_pk_max_f16 v42, v10, v10
	;; [unrolled: 1-line block ×3, first 2 shown]
	v_pk_min_f16 v41, v42, v41
	v_pk_max_f16 v42, v5, v5
	v_pk_add_f16 v41, v55, v41
	v_pk_min_f16 v42, v43, v42
	s_nop 0
	v_pk_add_f16 v41, v41, v42
	s_nop 0
	v_add_f16_sdwa v41, v41, v41 dst_sel:DWORD dst_unused:UNUSED_PAD src0_sel:DWORD src1_sel:WORD_1
	v_add_f16_e32 v42, v41, v40
	v_lshl_add_u64 v[40:41], v[34:35], 1, v[20:21]
	global_store_short v[40:41], v42, off
	s_or_b64 exec, exec, s[26:27]
	s_and_b64 s[30:31], s[14:15], s[18:19]
	s_and_saveexec_b64 s[26:27], s[30:31]
	s_cbranch_execz .LBB303_121
.LBB303_146:
	s_and_b64 vcc, exec, s[0:1]
	s_cbranch_vccnz .LBB303_148
; %bb.147:
	v_lshl_add_u64 v[40:41], v[36:37], 1, v[22:23]
	global_load_ushort v40, v[40:41], off
	s_waitcnt vmcnt(0)
	v_mul_f16_e32 v40, v44, v40
	s_branch .LBB303_149
.LBB303_148:
	v_mov_b32_e32 v40, 0
.LBB303_149:
	v_pk_max_f16 v41, v4, v4
	v_pk_max_f16 v42, v0, v0
	;; [unrolled: 1-line block ×3, first 2 shown]
	v_pk_min_f16 v41, v42, v41
	v_pk_max_f16 v42, v5, v5
	v_pk_add_f16 v41, v54, v41
	v_pk_min_f16 v42, v43, v42
	s_nop 0
	v_pk_add_f16 v41, v41, v42
	s_nop 0
	v_add_f16_sdwa v41, v41, v41 dst_sel:DWORD dst_unused:UNUSED_PAD src0_sel:DWORD src1_sel:WORD_1
	v_add_f16_e32 v42, v41, v40
	v_lshl_add_u64 v[40:41], v[36:37], 1, v[20:21]
	global_store_short v[40:41], v42, off
	s_or_b64 exec, exec, s[26:27]
	s_and_b64 s[26:27], s[16:17], s[18:19]
	s_and_saveexec_b64 s[18:19], s[26:27]
	s_cbranch_execz .LBB303_154
.LBB303_150:
	s_and_b64 vcc, exec, s[0:1]
	s_cbranch_vccnz .LBB303_152
; %bb.151:
	v_lshl_add_u64 v[22:23], v[38:39], 1, v[22:23]
	global_load_ushort v22, v[22:23], off
	s_waitcnt vmcnt(0)
	v_mul_f16_e32 v22, v44, v22
	s_branch .LBB303_153
.LBB303_152:
	v_mov_b32_e32 v22, 0
.LBB303_153:
	v_pk_max_f16 v4, v4, v4
	v_pk_max_f16 v23, v2, v2
	;; [unrolled: 1-line block ×3, first 2 shown]
	v_pk_min_f16 v4, v23, v4
	v_pk_max_f16 v23, v3, v3
	v_pk_add_f16 v4, v53, v4
	v_pk_min_f16 v5, v23, v5
	s_nop 0
	v_pk_add_f16 v4, v4, v5
	s_nop 0
	v_add_f16_sdwa v4, v4, v4 dst_sel:DWORD dst_unused:UNUSED_PAD src0_sel:DWORD src1_sel:WORD_1
	v_add_f16_e32 v22, v4, v22
	v_lshl_add_u64 v[4:5], v[38:39], 1, v[20:21]
	global_store_short v[4:5], v22, off
.LBB303_154:
	s_or_b64 exec, exec, s[18:19]
	v_add_u32_e32 v22, 0x60, v70
	v_cmp_gt_i32_e64 s[18:19], s21, v22
	v_mad_i64_i32 v[4:5], s[20:21], v22, s29, 0
	v_lshl_add_u64 v[20:21], v[4:5], 1, s[24:25]
	v_mad_i64_i32 v[4:5], s[20:21], v22, s28, 0
	v_lshl_add_u64 v[4:5], v[4:5], 1, s[22:23]
	s_and_b64 s[20:21], s[4:5], s[18:19]
	s_and_saveexec_b64 s[4:5], s[20:21]
	s_cbranch_execnz .LBB303_163
; %bb.155:
	s_or_b64 exec, exec, s[4:5]
	s_and_b64 s[4:5], s[2:3], s[18:19]
	s_and_saveexec_b64 s[2:3], s[4:5]
	s_cbranch_execnz .LBB303_167
.LBB303_156:
	s_or_b64 exec, exec, s[2:3]
	s_and_b64 s[4:5], s[6:7], s[18:19]
	s_and_saveexec_b64 s[2:3], s[4:5]
	s_cbranch_execnz .LBB303_171
.LBB303_157:
	s_or_b64 exec, exec, s[2:3]
	s_and_b64 s[4:5], s[8:9], s[18:19]
	s_and_saveexec_b64 s[2:3], s[4:5]
	s_cbranch_execnz .LBB303_175
.LBB303_158:
	s_or_b64 exec, exec, s[2:3]
	s_and_b64 s[4:5], s[10:11], s[18:19]
	s_and_saveexec_b64 s[2:3], s[4:5]
	s_cbranch_execnz .LBB303_179
.LBB303_159:
	s_or_b64 exec, exec, s[2:3]
	s_and_b64 s[4:5], s[12:13], s[18:19]
	s_and_saveexec_b64 s[2:3], s[4:5]
	s_cbranch_execnz .LBB303_183
.LBB303_160:
	s_or_b64 exec, exec, s[2:3]
	s_and_b64 s[4:5], s[14:15], s[18:19]
	s_and_saveexec_b64 s[2:3], s[4:5]
	s_cbranch_execnz .LBB303_187
.LBB303_161:
	s_or_b64 exec, exec, s[2:3]
	s_and_b64 s[2:3], s[16:17], s[18:19]
	s_and_saveexec_b64 s[4:5], s[2:3]
	s_cbranch_execnz .LBB303_191
.LBB303_162:
	s_endpgm
.LBB303_163:
	s_and_b64 vcc, exec, s[0:1]
	s_cbranch_vccnz .LBB303_165
; %bb.164:
	v_lshl_add_u64 v[22:23], v[24:25], 1, v[20:21]
	global_load_ushort v22, v[22:23], off
	s_waitcnt vmcnt(0)
	v_mul_f16_e32 v22, v44, v22
	s_branch .LBB303_166
.LBB303_165:
	v_mov_b32_e32 v22, 0
.LBB303_166:
	v_pk_max_f16 v23, v6, v6
	v_pk_max_f16 v16, v16, v16
	v_pk_max_f16 v17, v17, v17
	v_pk_min_f16 v16, v16, v23
	v_pk_max_f16 v23, v7, v7
	v_pk_add_f16 v16, v52, v16
	v_pk_min_f16 v17, v17, v23
	s_nop 0
	v_pk_add_f16 v16, v16, v17
	s_nop 0
	v_add_f16_sdwa v16, v16, v16 dst_sel:DWORD dst_unused:UNUSED_PAD src0_sel:DWORD src1_sel:WORD_1
	v_add_f16_e32 v22, v16, v22
	v_lshl_add_u64 v[16:17], v[24:25], 1, v[4:5]
	global_store_short v[16:17], v22, off
	s_or_b64 exec, exec, s[4:5]
	s_and_b64 s[4:5], s[2:3], s[18:19]
	s_and_saveexec_b64 s[2:3], s[4:5]
	s_cbranch_execz .LBB303_156
.LBB303_167:
	s_and_b64 vcc, exec, s[0:1]
	s_cbranch_vccnz .LBB303_169
; %bb.168:
	v_lshl_add_u64 v[16:17], v[26:27], 1, v[20:21]
	global_load_ushort v16, v[16:17], off
	s_waitcnt vmcnt(0)
	v_mul_f16_e32 v16, v44, v16
	s_branch .LBB303_170
.LBB303_169:
	v_mov_b32_e32 v16, 0
.LBB303_170:
	v_pk_max_f16 v17, v6, v6
	v_pk_max_f16 v18, v18, v18
	;; [unrolled: 1-line block ×3, first 2 shown]
	v_pk_min_f16 v17, v18, v17
	v_pk_max_f16 v18, v7, v7
	v_pk_add_f16 v17, v51, v17
	v_pk_min_f16 v18, v19, v18
	s_nop 0
	v_pk_add_f16 v17, v17, v18
	s_nop 0
	v_add_f16_sdwa v17, v17, v17 dst_sel:DWORD dst_unused:UNUSED_PAD src0_sel:DWORD src1_sel:WORD_1
	v_add_f16_e32 v18, v17, v16
	v_lshl_add_u64 v[16:17], v[26:27], 1, v[4:5]
	global_store_short v[16:17], v18, off
	s_or_b64 exec, exec, s[2:3]
	s_and_b64 s[4:5], s[6:7], s[18:19]
	s_and_saveexec_b64 s[2:3], s[4:5]
	s_cbranch_execz .LBB303_157
.LBB303_171:
	s_and_b64 vcc, exec, s[0:1]
	s_cbranch_vccnz .LBB303_173
; %bb.172:
	v_lshl_add_u64 v[16:17], v[28:29], 1, v[20:21]
	global_load_ushort v16, v[16:17], off
	s_waitcnt vmcnt(0)
	v_mul_f16_e32 v16, v44, v16
	s_branch .LBB303_174
.LBB303_173:
	v_mov_b32_e32 v16, 0
.LBB303_174:
	v_pk_max_f16 v17, v6, v6
	v_pk_max_f16 v12, v12, v12
	;; [unrolled: 1-line block ×3, first 2 shown]
	v_pk_min_f16 v12, v12, v17
	v_pk_max_f16 v17, v7, v7
	v_pk_add_f16 v12, v50, v12
	v_pk_min_f16 v13, v13, v17
	s_nop 0
	v_pk_add_f16 v12, v12, v13
	s_nop 0
	v_add_f16_sdwa v12, v12, v12 dst_sel:DWORD dst_unused:UNUSED_PAD src0_sel:DWORD src1_sel:WORD_1
	v_add_f16_e32 v16, v12, v16
	v_lshl_add_u64 v[12:13], v[28:29], 1, v[4:5]
	global_store_short v[12:13], v16, off
	s_or_b64 exec, exec, s[2:3]
	s_and_b64 s[4:5], s[8:9], s[18:19]
	s_and_saveexec_b64 s[2:3], s[4:5]
	s_cbranch_execz .LBB303_158
.LBB303_175:
	s_and_b64 vcc, exec, s[0:1]
	s_cbranch_vccnz .LBB303_177
; %bb.176:
	v_lshl_add_u64 v[12:13], v[30:31], 1, v[20:21]
	global_load_ushort v12, v[12:13], off
	s_waitcnt vmcnt(0)
	v_mul_f16_e32 v12, v44, v12
	s_branch .LBB303_178
.LBB303_177:
	v_mov_b32_e32 v12, 0
.LBB303_178:
	v_pk_max_f16 v13, v6, v6
	v_pk_max_f16 v14, v14, v14
	;; [unrolled: 1-line block ×3, first 2 shown]
	v_pk_min_f16 v13, v14, v13
	v_pk_max_f16 v14, v7, v7
	v_pk_add_f16 v13, v49, v13
	v_pk_min_f16 v14, v15, v14
	s_nop 0
	v_pk_add_f16 v13, v13, v14
	s_nop 0
	v_add_f16_sdwa v13, v13, v13 dst_sel:DWORD dst_unused:UNUSED_PAD src0_sel:DWORD src1_sel:WORD_1
	v_add_f16_e32 v14, v13, v12
	v_lshl_add_u64 v[12:13], v[30:31], 1, v[4:5]
	global_store_short v[12:13], v14, off
	s_or_b64 exec, exec, s[2:3]
	s_and_b64 s[4:5], s[10:11], s[18:19]
	s_and_saveexec_b64 s[2:3], s[4:5]
	s_cbranch_execz .LBB303_159
.LBB303_179:
	s_and_b64 vcc, exec, s[0:1]
	s_cbranch_vccnz .LBB303_181
; %bb.180:
	v_lshl_add_u64 v[12:13], v[32:33], 1, v[20:21]
	global_load_ushort v12, v[12:13], off
	s_waitcnt vmcnt(0)
	v_mul_f16_e32 v12, v44, v12
	s_branch .LBB303_182
.LBB303_181:
	v_mov_b32_e32 v12, 0
.LBB303_182:
	v_pk_max_f16 v13, v6, v6
	v_pk_max_f16 v8, v8, v8
	;; [unrolled: 1-line block ×3, first 2 shown]
	v_pk_min_f16 v8, v8, v13
	v_pk_max_f16 v13, v7, v7
	v_pk_add_f16 v8, v48, v8
	v_pk_min_f16 v9, v9, v13
	s_nop 0
	v_pk_add_f16 v8, v8, v9
	s_nop 0
	v_add_f16_sdwa v8, v8, v8 dst_sel:DWORD dst_unused:UNUSED_PAD src0_sel:DWORD src1_sel:WORD_1
	v_add_f16_e32 v12, v8, v12
	v_lshl_add_u64 v[8:9], v[32:33], 1, v[4:5]
	global_store_short v[8:9], v12, off
	s_or_b64 exec, exec, s[2:3]
	s_and_b64 s[4:5], s[12:13], s[18:19]
	s_and_saveexec_b64 s[2:3], s[4:5]
	s_cbranch_execz .LBB303_160
.LBB303_183:
	s_and_b64 vcc, exec, s[0:1]
	s_cbranch_vccnz .LBB303_185
; %bb.184:
	v_lshl_add_u64 v[8:9], v[34:35], 1, v[20:21]
	global_load_ushort v8, v[8:9], off
	s_waitcnt vmcnt(0)
	v_mul_f16_e32 v8, v44, v8
	s_branch .LBB303_186
.LBB303_185:
	v_mov_b32_e32 v8, 0
.LBB303_186:
	v_pk_max_f16 v9, v6, v6
	v_pk_max_f16 v10, v10, v10
	;; [unrolled: 1-line block ×3, first 2 shown]
	v_pk_min_f16 v9, v10, v9
	v_pk_max_f16 v10, v7, v7
	v_pk_add_f16 v9, v47, v9
	v_pk_min_f16 v10, v11, v10
	s_nop 0
	v_pk_add_f16 v9, v9, v10
	s_nop 0
	v_add_f16_sdwa v9, v9, v9 dst_sel:DWORD dst_unused:UNUSED_PAD src0_sel:DWORD src1_sel:WORD_1
	v_add_f16_e32 v10, v9, v8
	v_lshl_add_u64 v[8:9], v[34:35], 1, v[4:5]
	global_store_short v[8:9], v10, off
	s_or_b64 exec, exec, s[2:3]
	s_and_b64 s[4:5], s[14:15], s[18:19]
	s_and_saveexec_b64 s[2:3], s[4:5]
	s_cbranch_execz .LBB303_161
.LBB303_187:
	s_and_b64 vcc, exec, s[0:1]
	s_cbranch_vccnz .LBB303_189
; %bb.188:
	v_lshl_add_u64 v[8:9], v[36:37], 1, v[20:21]
	global_load_ushort v8, v[8:9], off
	s_waitcnt vmcnt(0)
	v_mul_f16_e32 v8, v44, v8
	s_branch .LBB303_190
.LBB303_189:
	v_mov_b32_e32 v8, 0
.LBB303_190:
	v_pk_max_f16 v9, v6, v6
	v_pk_max_f16 v0, v0, v0
	;; [unrolled: 1-line block ×3, first 2 shown]
	v_pk_min_f16 v0, v0, v9
	v_pk_max_f16 v9, v7, v7
	v_pk_add_f16 v0, v46, v0
	v_pk_min_f16 v1, v1, v9
	s_nop 0
	v_pk_add_f16 v0, v0, v1
	s_nop 0
	v_add_f16_sdwa v0, v0, v0 dst_sel:DWORD dst_unused:UNUSED_PAD src0_sel:DWORD src1_sel:WORD_1
	v_add_f16_e32 v8, v0, v8
	v_lshl_add_u64 v[0:1], v[36:37], 1, v[4:5]
	global_store_short v[0:1], v8, off
	s_or_b64 exec, exec, s[2:3]
	s_and_b64 s[2:3], s[16:17], s[18:19]
	s_and_saveexec_b64 s[4:5], s[2:3]
	s_cbranch_execz .LBB303_162
.LBB303_191:
	s_and_b64 vcc, exec, s[0:1]
	s_cbranch_vccnz .LBB303_193
; %bb.192:
	v_lshl_add_u64 v[0:1], v[38:39], 1, v[20:21]
	global_load_ushort v0, v[0:1], off
	s_waitcnt vmcnt(0)
	v_mul_f16_e32 v0, v44, v0
	s_branch .LBB303_194
.LBB303_193:
	v_mov_b32_e32 v0, 0
.LBB303_194:
	v_pk_max_f16 v1, v6, v6
	v_pk_max_f16 v2, v2, v2
	;; [unrolled: 1-line block ×3, first 2 shown]
	v_pk_min_f16 v1, v2, v1
	v_pk_max_f16 v2, v7, v7
	v_pk_add_f16 v1, v45, v1
	v_pk_min_f16 v2, v3, v2
	s_nop 0
	v_pk_add_f16 v1, v1, v2
	s_nop 0
	v_add_f16_sdwa v1, v1, v1 dst_sel:DWORD dst_unused:UNUSED_PAD src0_sel:DWORD src1_sel:WORD_1
	v_add_f16_e32 v2, v1, v0
	v_lshl_add_u64 v[0:1], v[38:39], 1, v[4:5]
	global_store_short v[0:1], v2, off
	s_endpgm
	.section	.rodata,"a",@progbits
	.p2align	6, 0x0
	.amdhsa_kernel _ZN12_GLOBAL__N_120geam_min_plus_kernelIDF16_Dv2_DF16_S1_Li8ELi32ELi64ELi128ELi4ELi4ELi64ELi64ELi4ELc84ELc84ELb0ELb1ELb0EPKDF16_S2_DF16_EEviiiT16_PT17_ilS6_ilS4_S6_ilPT18_ili26rocblas_geam_ex_operation_
		.amdhsa_group_segment_fixed_size 3072
		.amdhsa_private_segment_fixed_size 0
		.amdhsa_kernarg_size 136
		.amdhsa_user_sgpr_count 2
		.amdhsa_user_sgpr_dispatch_ptr 0
		.amdhsa_user_sgpr_queue_ptr 0
		.amdhsa_user_sgpr_kernarg_segment_ptr 1
		.amdhsa_user_sgpr_dispatch_id 0
		.amdhsa_user_sgpr_kernarg_preload_length 0
		.amdhsa_user_sgpr_kernarg_preload_offset 0
		.amdhsa_user_sgpr_private_segment_size 0
		.amdhsa_uses_dynamic_stack 0
		.amdhsa_enable_private_segment 0
		.amdhsa_system_sgpr_workgroup_id_x 1
		.amdhsa_system_sgpr_workgroup_id_y 0
		.amdhsa_system_sgpr_workgroup_id_z 1
		.amdhsa_system_sgpr_workgroup_info 0
		.amdhsa_system_vgpr_workitem_id 1
		.amdhsa_next_free_vgpr 120
		.amdhsa_next_free_sgpr 38
		.amdhsa_accum_offset 120
		.amdhsa_reserve_vcc 1
		.amdhsa_float_round_mode_32 0
		.amdhsa_float_round_mode_16_64 0
		.amdhsa_float_denorm_mode_32 3
		.amdhsa_float_denorm_mode_16_64 3
		.amdhsa_dx10_clamp 1
		.amdhsa_ieee_mode 1
		.amdhsa_fp16_overflow 0
		.amdhsa_tg_split 0
		.amdhsa_exception_fp_ieee_invalid_op 0
		.amdhsa_exception_fp_denorm_src 0
		.amdhsa_exception_fp_ieee_div_zero 0
		.amdhsa_exception_fp_ieee_overflow 0
		.amdhsa_exception_fp_ieee_underflow 0
		.amdhsa_exception_fp_ieee_inexact 0
		.amdhsa_exception_int_div_zero 0
	.end_amdhsa_kernel
	.section	.text._ZN12_GLOBAL__N_120geam_min_plus_kernelIDF16_Dv2_DF16_S1_Li8ELi32ELi64ELi128ELi4ELi4ELi64ELi64ELi4ELc84ELc84ELb0ELb1ELb0EPKDF16_S2_DF16_EEviiiT16_PT17_ilS6_ilS4_S6_ilPT18_ili26rocblas_geam_ex_operation_,"axG",@progbits,_ZN12_GLOBAL__N_120geam_min_plus_kernelIDF16_Dv2_DF16_S1_Li8ELi32ELi64ELi128ELi4ELi4ELi64ELi64ELi4ELc84ELc84ELb0ELb1ELb0EPKDF16_S2_DF16_EEviiiT16_PT17_ilS6_ilS4_S6_ilPT18_ili26rocblas_geam_ex_operation_,comdat
.Lfunc_end303:
	.size	_ZN12_GLOBAL__N_120geam_min_plus_kernelIDF16_Dv2_DF16_S1_Li8ELi32ELi64ELi128ELi4ELi4ELi64ELi64ELi4ELc84ELc84ELb0ELb1ELb0EPKDF16_S2_DF16_EEviiiT16_PT17_ilS6_ilS4_S6_ilPT18_ili26rocblas_geam_ex_operation_, .Lfunc_end303-_ZN12_GLOBAL__N_120geam_min_plus_kernelIDF16_Dv2_DF16_S1_Li8ELi32ELi64ELi128ELi4ELi4ELi64ELi64ELi4ELc84ELc84ELb0ELb1ELb0EPKDF16_S2_DF16_EEviiiT16_PT17_ilS6_ilS4_S6_ilPT18_ili26rocblas_geam_ex_operation_
                                        ; -- End function
	.set _ZN12_GLOBAL__N_120geam_min_plus_kernelIDF16_Dv2_DF16_S1_Li8ELi32ELi64ELi128ELi4ELi4ELi64ELi64ELi4ELc84ELc84ELb0ELb1ELb0EPKDF16_S2_DF16_EEviiiT16_PT17_ilS6_ilS4_S6_ilPT18_ili26rocblas_geam_ex_operation_.num_vgpr, 120
	.set _ZN12_GLOBAL__N_120geam_min_plus_kernelIDF16_Dv2_DF16_S1_Li8ELi32ELi64ELi128ELi4ELi4ELi64ELi64ELi4ELc84ELc84ELb0ELb1ELb0EPKDF16_S2_DF16_EEviiiT16_PT17_ilS6_ilS4_S6_ilPT18_ili26rocblas_geam_ex_operation_.num_agpr, 0
	.set _ZN12_GLOBAL__N_120geam_min_plus_kernelIDF16_Dv2_DF16_S1_Li8ELi32ELi64ELi128ELi4ELi4ELi64ELi64ELi4ELc84ELc84ELb0ELb1ELb0EPKDF16_S2_DF16_EEviiiT16_PT17_ilS6_ilS4_S6_ilPT18_ili26rocblas_geam_ex_operation_.numbered_sgpr, 38
	.set _ZN12_GLOBAL__N_120geam_min_plus_kernelIDF16_Dv2_DF16_S1_Li8ELi32ELi64ELi128ELi4ELi4ELi64ELi64ELi4ELc84ELc84ELb0ELb1ELb0EPKDF16_S2_DF16_EEviiiT16_PT17_ilS6_ilS4_S6_ilPT18_ili26rocblas_geam_ex_operation_.num_named_barrier, 0
	.set _ZN12_GLOBAL__N_120geam_min_plus_kernelIDF16_Dv2_DF16_S1_Li8ELi32ELi64ELi128ELi4ELi4ELi64ELi64ELi4ELc84ELc84ELb0ELb1ELb0EPKDF16_S2_DF16_EEviiiT16_PT17_ilS6_ilS4_S6_ilPT18_ili26rocblas_geam_ex_operation_.private_seg_size, 0
	.set _ZN12_GLOBAL__N_120geam_min_plus_kernelIDF16_Dv2_DF16_S1_Li8ELi32ELi64ELi128ELi4ELi4ELi64ELi64ELi4ELc84ELc84ELb0ELb1ELb0EPKDF16_S2_DF16_EEviiiT16_PT17_ilS6_ilS4_S6_ilPT18_ili26rocblas_geam_ex_operation_.uses_vcc, 1
	.set _ZN12_GLOBAL__N_120geam_min_plus_kernelIDF16_Dv2_DF16_S1_Li8ELi32ELi64ELi128ELi4ELi4ELi64ELi64ELi4ELc84ELc84ELb0ELb1ELb0EPKDF16_S2_DF16_EEviiiT16_PT17_ilS6_ilS4_S6_ilPT18_ili26rocblas_geam_ex_operation_.uses_flat_scratch, 0
	.set _ZN12_GLOBAL__N_120geam_min_plus_kernelIDF16_Dv2_DF16_S1_Li8ELi32ELi64ELi128ELi4ELi4ELi64ELi64ELi4ELc84ELc84ELb0ELb1ELb0EPKDF16_S2_DF16_EEviiiT16_PT17_ilS6_ilS4_S6_ilPT18_ili26rocblas_geam_ex_operation_.has_dyn_sized_stack, 0
	.set _ZN12_GLOBAL__N_120geam_min_plus_kernelIDF16_Dv2_DF16_S1_Li8ELi32ELi64ELi128ELi4ELi4ELi64ELi64ELi4ELc84ELc84ELb0ELb1ELb0EPKDF16_S2_DF16_EEviiiT16_PT17_ilS6_ilS4_S6_ilPT18_ili26rocblas_geam_ex_operation_.has_recursion, 0
	.set _ZN12_GLOBAL__N_120geam_min_plus_kernelIDF16_Dv2_DF16_S1_Li8ELi32ELi64ELi128ELi4ELi4ELi64ELi64ELi4ELc84ELc84ELb0ELb1ELb0EPKDF16_S2_DF16_EEviiiT16_PT17_ilS6_ilS4_S6_ilPT18_ili26rocblas_geam_ex_operation_.has_indirect_call, 0
	.section	.AMDGPU.csdata,"",@progbits
; Kernel info:
; codeLenInByte = 11264
; TotalNumSgprs: 44
; NumVgprs: 120
; NumAgprs: 0
; TotalNumVgprs: 120
; ScratchSize: 0
; MemoryBound: 0
; FloatMode: 240
; IeeeMode: 1
; LDSByteSize: 3072 bytes/workgroup (compile time only)
; SGPRBlocks: 5
; VGPRBlocks: 14
; NumSGPRsForWavesPerEU: 44
; NumVGPRsForWavesPerEU: 120
; AccumOffset: 120
; Occupancy: 4
; WaveLimiterHint : 0
; COMPUTE_PGM_RSRC2:SCRATCH_EN: 0
; COMPUTE_PGM_RSRC2:USER_SGPR: 2
; COMPUTE_PGM_RSRC2:TRAP_HANDLER: 0
; COMPUTE_PGM_RSRC2:TGID_X_EN: 1
; COMPUTE_PGM_RSRC2:TGID_Y_EN: 0
; COMPUTE_PGM_RSRC2:TGID_Z_EN: 1
; COMPUTE_PGM_RSRC2:TIDIG_COMP_CNT: 1
; COMPUTE_PGM_RSRC3_GFX90A:ACCUM_OFFSET: 29
; COMPUTE_PGM_RSRC3_GFX90A:TG_SPLIT: 0
	.section	.text._ZN12_GLOBAL__N_120geam_min_plus_kernelIDF16_Dv2_DF16_S1_Li8ELi32ELi64ELi128ELi4ELi4ELi64ELi64ELi4ELc84ELc84ELb1ELb1ELb0EDF16_KDF16_DF16_EEviiiT16_PT17_ilS5_ilS3_S5_ilPT18_ili26rocblas_geam_ex_operation_,"axG",@progbits,_ZN12_GLOBAL__N_120geam_min_plus_kernelIDF16_Dv2_DF16_S1_Li8ELi32ELi64ELi128ELi4ELi4ELi64ELi64ELi4ELc84ELc84ELb1ELb1ELb0EDF16_KDF16_DF16_EEviiiT16_PT17_ilS5_ilS3_S5_ilPT18_ili26rocblas_geam_ex_operation_,comdat
	.globl	_ZN12_GLOBAL__N_120geam_min_plus_kernelIDF16_Dv2_DF16_S1_Li8ELi32ELi64ELi128ELi4ELi4ELi64ELi64ELi4ELc84ELc84ELb1ELb1ELb0EDF16_KDF16_DF16_EEviiiT16_PT17_ilS5_ilS3_S5_ilPT18_ili26rocblas_geam_ex_operation_ ; -- Begin function _ZN12_GLOBAL__N_120geam_min_plus_kernelIDF16_Dv2_DF16_S1_Li8ELi32ELi64ELi128ELi4ELi4ELi64ELi64ELi4ELc84ELc84ELb1ELb1ELb0EDF16_KDF16_DF16_EEviiiT16_PT17_ilS5_ilS3_S5_ilPT18_ili26rocblas_geam_ex_operation_
	.p2align	8
	.type	_ZN12_GLOBAL__N_120geam_min_plus_kernelIDF16_Dv2_DF16_S1_Li8ELi32ELi64ELi128ELi4ELi4ELi64ELi64ELi4ELc84ELc84ELb1ELb1ELb0EDF16_KDF16_DF16_EEviiiT16_PT17_ilS5_ilS3_S5_ilPT18_ili26rocblas_geam_ex_operation_,@function
_ZN12_GLOBAL__N_120geam_min_plus_kernelIDF16_Dv2_DF16_S1_Li8ELi32ELi64ELi128ELi4ELi4ELi64ELi64ELi4ELc84ELc84ELb1ELb1ELb0EDF16_KDF16_DF16_EEviiiT16_PT17_ilS5_ilS3_S5_ilPT18_ili26rocblas_geam_ex_operation_: ; @_ZN12_GLOBAL__N_120geam_min_plus_kernelIDF16_Dv2_DF16_S1_Li8ELi32ELi64ELi128ELi4ELi4ELi64ELi64ELi4ELc84ELc84ELb1ELb1ELb0EDF16_KDF16_DF16_EEviiiT16_PT17_ilS5_ilS3_S5_ilPT18_ili26rocblas_geam_ex_operation_
; %bb.0:
	s_load_dwordx4 s[20:23], s[0:1], 0x0
	s_load_dwordx4 s[4:7], s[0:1], 0x20
	s_waitcnt lgkmcnt(0)
	v_cmp_eq_f16_e64 s[8:9], s23, 0
	s_and_b64 vcc, exec, s[8:9]
	s_cbranch_vccnz .LBB304_37
; %bb.1:
	s_load_dwordx2 s[10:11], s[0:1], 0x10
	s_mul_i32 s5, s5, s3
	s_mul_hi_u32 s12, s4, s3
	s_add_i32 s5, s12, s5
	s_mul_i32 s4, s4, s3
	s_lshl_b64 s[4:5], s[4:5], 1
	s_waitcnt lgkmcnt(0)
	s_add_u32 s16, s10, s4
	s_addc_u32 s17, s11, s5
	s_andn2_b64 vcc, exec, s[8:9]
	s_mov_b64 s[4:5], -1
	s_cbranch_vccnz .LBB304_3
.LBB304_2:
	s_mov_b64 s[4:5], 0
.LBB304_3:
	s_mov_b64 s[24:25], 0
	s_andn2_b64 vcc, exec, s[4:5]
	s_mov_b64 s[18:19], 0
	s_cbranch_vccnz .LBB304_5
; %bb.4:
	s_load_dwordx2 s[4:5], s[0:1], 0x38
	s_waitcnt lgkmcnt(0)
	s_mul_i32 s5, s5, s3
	s_mul_hi_u32 s8, s4, s3
	s_add_i32 s5, s8, s5
	s_mul_i32 s4, s4, s3
	s_lshl_b64 s[4:5], s[4:5], 1
	s_add_u32 s18, s6, s4
	s_addc_u32 s19, s7, s5
.LBB304_5:
	s_load_dword s28, s[0:1], 0x40
	s_load_dwordx4 s[8:11], s[0:1], 0x58
	s_waitcnt lgkmcnt(0)
	v_cmp_eq_f16_e64 s[4:5], s28, 0
	v_cmp_neq_f16_e64 s[12:13], s28, 0
	s_and_b64 vcc, exec, s[4:5]
	s_cbranch_vccnz .LBB304_7
; %bb.6:
	s_load_dwordx2 s[4:5], s[0:1], 0x48
	s_mul_i32 s6, s9, s3
	s_mul_hi_u32 s7, s8, s3
	s_add_i32 s7, s7, s6
	s_mul_i32 s6, s8, s3
	s_lshl_b64 s[6:7], s[6:7], 1
	s_waitcnt lgkmcnt(0)
	s_add_u32 s24, s4, s6
	s_addc_u32 s25, s5, s7
.LBB304_7:
	s_add_i32 s4, s20, -1
	s_ashr_i32 s5, s4, 31
	s_lshr_b32 s5, s5, 26
	s_add_i32 s4, s4, s5
	s_ashr_i32 s4, s4, 6
	s_add_i32 s5, s4, 1
	v_cvt_f32_u32_e32 v1, s5
	v_and_b32_e32 v34, 0x3ff, v0
	v_bfe_u32 v35, v0, 10, 10
	v_and_b32_e32 v36, 3, v0
	v_rcp_iflag_f32_e32 v1, v1
	s_not_b32 s4, s4
	s_load_dword s31, s[0:1], 0x18
	v_cmp_gt_i32_e32 vcc, s22, v36
	v_mul_f32_e32 v0, 0x4f7ffffe, v1
	v_cvt_u32_f32_e32 v1, v0
	v_lshl_add_u32 v0, v35, 3, v34
	v_lshrrev_b32_e32 v7, 2, v0
	v_mov_b32_e32 v11, 0
	v_readfirstlane_b32 s6, v1
	s_mul_i32 s4, s4, s6
	s_mul_hi_u32 s4, s6, s4
	s_add_i32 s6, s6, s4
	s_mul_hi_u32 s4, s2, s6
	s_mul_i32 s6, s4, s5
	s_sub_i32 s6, s2, s6
	s_add_i32 s7, s4, 1
	s_sub_i32 s8, s6, s5
	s_cmp_ge_u32 s6, s5
	s_cselect_b32 s4, s7, s4
	s_cselect_b32 s6, s8, s6
	s_add_i32 s7, s4, 1
	s_cmp_ge_u32 s6, s5
	s_cselect_b32 s8, s7, s4
	s_mul_i32 s4, s8, s5
	s_sub_i32 s2, s2, s4
	s_lshl_b32 s2, s2, 6
	v_add_u32_e32 v6, s2, v7
	v_cmp_gt_i32_e64 s[6:7], s20, v6
	v_cmp_le_i32_e64 s[4:5], s20, v6
	s_and_b64 s[14:15], vcc, s[6:7]
	v_lshlrev_b32_e32 v2, 1, v36
	v_mov_b32_e32 v12, 0
	s_and_saveexec_b64 s[6:7], s[14:15]
	s_cbranch_execz .LBB304_9
; %bb.8:
	s_waitcnt lgkmcnt(0)
	v_mad_i64_i32 v[4:5], s[14:15], v6, s31, 0
	v_lshl_add_u64 v[4:5], v[4:5], 1, s[16:17]
	v_mov_b32_e32 v3, 0
	v_lshl_add_u64 v[4:5], v[4:5], 0, v[2:3]
	global_load_ushort v12, v[4:5], off
.LBB304_9:
	s_or_b64 exec, exec, s[6:7]
	s_load_dword s26, s[0:1], 0x30
	v_and_b32_e32 v8, 63, v0
	s_lshl_b32 s29, s8, 7
	v_lshrrev_b32_e32 v38, 6, v0
	v_or_b32_e32 v0, s29, v8
	v_cmp_le_i32_e64 s[6:7], s22, v38
	s_waitcnt lgkmcnt(0)
	v_mad_i64_i32 v[4:5], s[8:9], s26, v38, 0
	v_cmp_le_i32_e32 vcc, s21, v0
	s_ashr_i32 s27, s26, 31
	v_lshl_add_u64 v[4:5], v[4:5], 1, s[18:19]
	s_nor_b64 s[14:15], vcc, s[6:7]
	v_ashrrev_i32_e32 v1, 31, v0
	s_and_saveexec_b64 s[8:9], s[14:15]
	s_cbranch_execz .LBB304_11
; %bb.10:
	v_lshl_add_u64 v[10:11], v[0:1], 1, v[4:5]
	global_load_ushort v11, v[10:11], off
.LBB304_11:
	s_or_b64 exec, exec, s[8:9]
	v_or_b32_e32 v3, 64, v0
	v_cmp_le_i32_e64 s[8:9], s21, v3
	s_nor_b64 s[14:15], s[8:9], s[6:7]
	v_mov_b32_e32 v3, 0
	v_mov_b32_e32 v13, 0
	s_and_saveexec_b64 s[6:7], s[14:15]
	s_cbranch_execz .LBB304_13
; %bb.12:
	v_lshl_add_u64 v[4:5], v[0:1], 1, v[4:5]
	global_load_ushort v13, v[4:5], off offset:128
.LBB304_13:
	s_or_b64 exec, exec, s[6:7]
	v_or_b32_e32 v4, 4, v36
	v_cmp_gt_i32_e64 s[6:7], s22, v4
	s_xor_b64 s[14:15], s[4:5], -1
	s_and_b64 s[6:7], s[6:7], s[14:15]
	s_and_saveexec_b64 s[4:5], s[6:7]
	s_cbranch_execz .LBB304_15
; %bb.14:
	v_mad_i64_i32 v[4:5], s[6:7], v6, s31, 0
	v_lshl_add_u64 v[4:5], v[4:5], 1, s[16:17]
	v_mov_b32_e32 v3, 0
	v_lshl_add_u64 v[4:5], v[4:5], 0, v[2:3]
	global_load_ushort v3, v[4:5], off offset:8
.LBB304_15:
	s_or_b64 exec, exec, s[4:5]
	v_add_u32_e32 v9, 4, v38
	v_mad_u64_u32 v[4:5], s[6:7], s26, v9, 0
	v_mov_b32_e32 v10, v5
	s_waitcnt vmcnt(0)
	v_mad_u64_u32 v[14:15], s[6:7], s27, v9, v[10:11]
	v_cmp_le_i32_e64 s[4:5], s22, v9
	v_mov_b32_e32 v5, v14
	v_lshl_add_u64 v[4:5], v[4:5], 1, s[18:19]
	s_nor_b64 s[34:35], vcc, s[4:5]
	v_mov_b32_e32 v9, 0
	v_mov_b32_e32 v10, 0
	s_and_saveexec_b64 s[6:7], s[34:35]
	s_cbranch_execz .LBB304_17
; %bb.16:
	v_lshl_add_u64 v[14:15], v[0:1], 1, v[4:5]
	global_load_ushort v10, v[14:15], off
.LBB304_17:
	s_or_b64 exec, exec, s[6:7]
	s_nor_b64 s[6:7], s[8:9], s[4:5]
	s_and_saveexec_b64 s[4:5], s[6:7]
	s_cbranch_execz .LBB304_19
; %bb.18:
	v_lshl_add_u64 v[4:5], v[0:1], 1, v[4:5]
	global_load_ushort v9, v[4:5], off offset:128
.LBB304_19:
	s_or_b64 exec, exec, s[4:5]
	v_lshlrev_b32_e32 v4, 3, v8
	v_lshlrev_b32_e32 v39, 3, v34
	v_lshl_or_b32 v2, v7, 3, v2
	v_lshl_add_u32 v40, v38, 1, v4
	v_lshlrev_b32_e32 v37, 3, v35
	v_add_u32_e32 v41, 0x800, v39
	ds_write_b16 v2, v12 offset:2048
	ds_write_b16 v40, v11
	ds_write_b16 v40, v13 offset:512
	s_waitcnt lgkmcnt(0)
	s_barrier
	ds_read2_b64 v[12:15], v37 offset1:32
	ds_read2_b64 v[16:19], v41 offset0:48 offset1:56
	ds_read2_b64 v[20:23], v37 offset0:64 offset1:96
	ds_read2_b64 v[24:27], v41 offset1:8
	s_mov_b32 s23, 0
	s_waitcnt lgkmcnt(3)
	v_pk_max_f16 v4, v12, v12
	s_waitcnt lgkmcnt(2)
	v_pk_max_f16 v5, v18, v18
	;; [unrolled: 2-line block ×4, first 2 shown]
	v_pk_max_f16 v26, v26, v26
	v_pk_min_f16 v28, v18, v12
	v_pk_max_f16 v8, v14, v14
	v_pk_add_f16 v32, v28, 0
	v_pk_min_f16 v28, v26, v4
	v_pk_min_f16 v42, v26, v12
	v_pk_add_f16 v33, v28, 0
	v_pk_min_f16 v28, v26, v8
	v_pk_add_f16 v47, v42, 0
	v_pk_add_f16 v46, v28, 0
	ds_read2_b64 v[28:31], v41 offset0:16 offset1:24
	v_pk_min_f16 v7, v5, v4
	v_pk_max_f16 v22, v22, v22
	v_pk_max_f16 v13, v13, v13
	;; [unrolled: 1-line block ×3, first 2 shown]
	s_waitcnt lgkmcnt(0)
	v_pk_max_f16 v28, v28, v28
	v_pk_max_f16 v30, v30, v30
	v_pk_min_f16 v42, v28, v4
	v_pk_min_f16 v50, v30, v12
	v_pk_add_f16 v48, v42, 0
	v_pk_min_f16 v42, v28, v8
	v_pk_add_f16 v56, v50, 0
	v_pk_add_f16 v49, v42, 0
	v_pk_min_f16 v42, v28, v12
	v_pk_max_f16 v19, v19, v19
	v_pk_add_f16 v53, v42, 0
	v_pk_min_f16 v42, v30, v4
	v_pk_add_f16 v7, v7, 0
	v_pk_add_f16 v54, v42, 0
	v_pk_min_f16 v42, v30, v8
	v_pk_min_f16 v11, v5, v8
	v_pk_add_f16 v55, v42, 0
	ds_read2_b64 v[42:45], v41 offset0:32 offset1:40
	v_pk_min_f16 v14, v5, v12
	v_pk_min_f16 v20, v18, v4
	;; [unrolled: 1-line block ×4, first 2 shown]
	s_waitcnt lgkmcnt(0)
	v_pk_max_f16 v42, v42, v42
	v_pk_max_f16 v44, v44, v44
	v_pk_min_f16 v50, v42, v4
	v_pk_min_f16 v26, v26, v22
	v_pk_add_f16 v61, v50, 0
	v_pk_min_f16 v50, v42, v8
	v_pk_min_f16 v28, v28, v22
	v_pk_add_f16 v62, v50, 0
	;; [unrolled: 3-line block ×3, first 2 shown]
	v_pk_min_f16 v50, v44, v4
	v_pk_max_f16 v15, v15, v15
	v_pk_add_f16 v70, v50, 0
	v_pk_min_f16 v50, v44, v8
	v_pk_min_f16 v42, v42, v22
	v_pk_add_f16 v77, v50, 0
	v_pk_min_f16 v50, v44, v12
	v_pk_min_f16 v44, v44, v22
	;; [unrolled: 1-line block ×8, first 2 shown]
	v_pk_add_f16 v11, v11, 0
	v_pk_max_f16 v21, v21, v21
	v_pk_add_f16 v68, v7, v22
	v_pk_min_f16 v7, v19, v15
	v_pk_add_f16 v14, v14, 0
	v_pk_max_f16 v25, v25, v25
	v_pk_add_f16 v60, v11, v7
	v_pk_min_f16 v7, v19, v21
	v_pk_add_f16 v20, v20, 0
	v_pk_add_f16 v52, v14, v7
	v_pk_min_f16 v7, v25, v13
	v_pk_add_f16 v24, v24, 0
	v_pk_add_f16 v76, v20, v7
	v_pk_min_f16 v7, v25, v15
	v_pk_max_f16 v23, v23, v23
	v_pk_add_f16 v67, v24, v7
	v_pk_min_f16 v7, v25, v21
	v_pk_add_f16 v18, v18, 0
	v_pk_max_f16 v27, v27, v27
	v_pk_add_f16 v59, v32, v7
	v_pk_min_f16 v7, v25, v23
	v_pk_add_f16 v26, v26, 0
	v_pk_add_f16 v51, v18, v7
	v_pk_min_f16 v7, v27, v13
	v_pk_add_f16 v78, v50, 0
	;; [unrolled: 3-line block ×5, first 2 shown]
	v_pk_add_f16 v50, v26, v7
	v_pk_max_f16 v7, v29, v29
	v_pk_add_f16 v44, v44, 0
	v_pk_min_f16 v11, v7, v13
	v_pk_add_f16 v4, v4, 0
	v_pk_add_f16 v74, v48, v11
	v_pk_min_f16 v11, v7, v15
	v_pk_add_f16 v8, v8, 0
	v_pk_add_f16 v65, v49, v11
	v_pk_min_f16 v11, v7, v21
	v_pk_min_f16 v7, v7, v23
	v_pk_add_f16 v57, v53, v11
	v_pk_add_f16 v49, v28, v7
	v_pk_max_f16 v7, v31, v31
	v_pk_add_f16 v12, v12, 0
	v_pk_min_f16 v11, v7, v13
	v_pk_add_f16 v16, v16, 0
	v_pk_add_f16 v73, v54, v11
	v_pk_min_f16 v11, v7, v15
	v_pk_add_f16 v5, v5, 0
	v_pk_add_f16 v64, v55, v11
	v_pk_min_f16 v11, v7, v21
	v_pk_min_f16 v7, v7, v23
	v_pk_add_f16 v56, v56, v11
	v_pk_add_f16 v48, v30, v7
	v_pk_max_f16 v7, v43, v43
	s_cmp_lt_i32 s22, 9
	v_pk_min_f16 v11, v7, v13
	ds_write_b16 v2, v3 offset:2560
	s_waitcnt vmcnt(0)
	ds_write_b16 v40, v10 offset:1024
	ds_write_b16 v40, v9 offset:1536
	v_pk_add_f16 v72, v61, v11
	v_pk_min_f16 v11, v7, v15
	s_waitcnt lgkmcnt(0)
	v_pk_add_f16 v63, v62, v11
	v_pk_min_f16 v11, v7, v21
	v_pk_min_f16 v7, v7, v23
	v_pk_add_f16 v55, v69, v11
	v_pk_add_f16 v47, v42, v7
	v_pk_max_f16 v7, v45, v45
	s_barrier
	v_pk_min_f16 v11, v7, v13
	s_nop 0
	v_pk_add_f16 v71, v70, v11
	v_pk_min_f16 v11, v7, v15
	s_nop 0
	v_pk_add_f16 v62, v77, v11
	v_pk_min_f16 v11, v7, v21
	v_pk_min_f16 v7, v7, v23
	v_pk_add_f16 v54, v78, v11
	v_pk_add_f16 v46, v44, v7
	v_pk_max_f16 v7, v17, v17
	s_nop 0
	v_pk_min_f16 v11, v7, v13
	s_nop 0
	v_pk_add_f16 v70, v4, v11
	v_pk_min_f16 v4, v7, v15
	s_nop 0
	v_pk_add_f16 v61, v8, v4
	;; [unrolled: 3-line block ×5, first 2 shown]
	s_cbranch_scc1 .LBB304_34
; %bb.20:
	v_add_u32_e32 v42, 0x800, v2
	v_add_u32_e32 v43, 0xa00, v2
	v_mov_b32_e32 v2, 0xa00
	v_lshl_add_u32 v77, v34, 3, v2
	v_mov_b32_e32 v2, 0x400
	v_lshl_add_u32 v78, v35, 3, v2
	v_add_u32_e32 v2, 8, v38
	v_mad_i64_i32 v[2:3], s[4:5], v2, s26, 0
	v_lshl_add_u64 v[26:27], v[0:1], 1, s[18:19]
	v_add_u32_e32 v0, 12, v38
	v_lshlrev_b64 v[24:25], 1, v[2:3]
	v_mad_i64_i32 v[0:1], s[4:5], v0, s26, 0
	v_and_b32_e32 v2, 3, v34
	v_lshlrev_b64 v[28:29], 1, v[0:1]
	v_mad_i64_i32 v[0:1], s[4:5], s31, v6, 0
	v_lshlrev_b32_e32 v2, 1, v2
	v_mov_b32_e32 v3, 0
	v_lshl_add_u64 v[0:1], v[0:1], 1, v[2:3]
	v_lshl_add_u64 v[0:1], s[16:17], 0, v[0:1]
	v_add_u32_e32 v69, 0x400, v40
	s_add_i32 s30, s22, -8
	s_lshl_b64 s[6:7], s[26:27], 4
	v_lshl_add_u64 v[30:31], v[0:1], 0, 16
	s_branch .LBB304_22
.LBB304_21:                             ;   in Loop: Header=BB304_22 Depth=1
	s_or_b64 exec, exec, s[4:5]
	v_pk_max_f16 v2, v2, v2
	v_pk_max_f16 v20, v20, v20
	;; [unrolled: 1-line block ×7, first 2 shown]
	v_pk_min_f16 v32, v2, v20
	v_pk_min_f16 v33, v2, v22
	v_pk_max_f16 v12, v12, v12
	v_pk_max_f16 v14, v14, v14
	v_pk_max_f16 v8, v8, v8
	v_pk_max_f16 v21, v21, v21
	v_pk_max_f16 v23, v23, v23
	v_pk_max_f16 v10, v10, v10
	v_pk_max_f16 v17, v17, v17
	v_pk_max_f16 v19, v19, v19
	v_pk_max_f16 v13, v13, v13
	v_pk_max_f16 v15, v15, v15
	v_pk_min_f16 v95, v4, v20
	v_pk_max_f16 v9, v9, v9
	v_pk_max_f16 v11, v11, v11
	v_pk_min_f16 v96, v4, v22
	v_pk_max_f16 v5, v5, v5
	v_pk_max_f16 v7, v7, v7
	v_pk_min_f16 v97, v4, v16
	v_pk_min_f16 v4, v4, v18
	v_pk_max_f16 v0, v0, v0
	v_pk_max_f16 v3, v3, v3
	;; [unrolled: 1-line block ×3, first 2 shown]
	v_pk_min_f16 v98, v6, v20
	v_pk_min_f16 v99, v6, v22
	;; [unrolled: 1-line block ×58, first 2 shown]
	v_pk_add_f16 v1, v68, v32
	v_pk_add_f16 v3, v60, v33
	;; [unrolled: 1-line block ×12, first 2 shown]
	ds_read2_b64 v[0:3], v41 offset0:48 offset1:56
	ds_read2_b64 v[4:7], v37 offset1:32
	v_pk_add_f16 v32, v52, v82
	v_pk_add_f16 v33, v76, v83
	v_pk_add_f16 v52, v67, v84
	v_pk_add_f16 v59, v59, v85
	v_pk_add_f16 v12, v51, v12
	v_pk_add_f16 v8, v49, v8
	v_pk_add_f16 v10, v48, v10
	s_waitcnt lgkmcnt(1)
	v_pk_max_f16 v2, v2, v2
	s_waitcnt lgkmcnt(0)
	v_pk_max_f16 v4, v4, v4
	v_pk_add_f16 v60, v66, v87
	v_pk_add_f16 v14, v50, v14
	;; [unrolled: 1-line block ×8, first 2 shown]
	ds_read2_b64 v[8:11], v37 offset0:64 offset1:96
	v_pk_min_f16 v12, v2, v4
	v_pk_add_f16 v22, v61, v22
	v_pk_add_f16 v61, v14, v15
	;; [unrolled: 1-line block ×3, first 2 shown]
	ds_read2_b64 v[12:15], v41 offset1:8
	v_pk_max_f16 v6, v6, v6
	v_pk_add_f16 v49, v73, v92
	v_pk_add_f16 v73, v16, v17
	v_pk_min_f16 v16, v2, v6
	s_waitcnt lgkmcnt(1)
	v_pk_max_f16 v8, v8, v8
	v_pk_add_f16 v32, v32, v120
	v_pk_add_f16 v53, v53, v16
	v_pk_min_f16 v16, v2, v8
	s_waitcnt lgkmcnt(0)
	v_pk_max_f16 v12, v12, v12
	v_pk_add_f16 v32, v32, v16
	v_pk_min_f16 v16, v12, v4
	v_pk_add_f16 v50, v74, v89
	v_pk_add_f16 v74, v18, v16
	v_pk_min_f16 v16, v12, v6
	v_pk_add_f16 v51, v75, v86
	v_pk_add_f16 v33, v33, v16
	v_pk_min_f16 v16, v12, v8
	v_pk_max_f16 v14, v14, v14
	v_pk_add_f16 v51, v51, v103
	v_pk_add_f16 v75, v52, v16
	v_pk_min_f16 v16, v14, v4
	v_pk_add_f16 v60, v60, v104
	v_pk_add_f16 v82, v51, v16
	v_pk_min_f16 v16, v14, v6
	v_pk_add_f16 v44, v44, v19
	v_pk_add_f16 v83, v60, v16
	ds_read2_b64 v[16:19], v41 offset0:16 offset1:24
	v_pk_add_f16 v58, v58, v88
	v_pk_add_f16 v47, v71, v98
	;; [unrolled: 1-line block ×4, first 2 shown]
	v_pk_max_f16 v10, v10, v10
	v_pk_min_f16 v20, v14, v8
	s_waitcnt lgkmcnt(0)
	v_pk_max_f16 v16, v16, v16
	v_pk_add_f16 v65, v65, v90
	v_pk_add_f16 v50, v50, v106
	;; [unrolled: 1-line block ×3, first 2 shown]
	v_pk_min_f16 v14, v14, v10
	v_pk_min_f16 v20, v16, v4
	v_pk_add_f16 v57, v57, v91
	v_pk_add_f16 v65, v65, v107
	;; [unrolled: 1-line block ×4, first 2 shown]
	v_pk_min_f16 v20, v16, v6
	v_pk_add_f16 v57, v57, v108
	v_pk_add_f16 v65, v65, v20
	v_pk_min_f16 v20, v16, v8
	v_pk_max_f16 v18, v18, v18
	v_pk_add_f16 v64, v64, v93
	v_pk_add_f16 v49, v49, v109
	;; [unrolled: 1-line block ×3, first 2 shown]
	v_pk_min_f16 v20, v18, v4
	v_pk_add_f16 v64, v64, v110
	v_pk_add_f16 v84, v49, v20
	v_pk_min_f16 v20, v18, v6
	v_pk_add_f16 v48, v72, v95
	v_pk_add_f16 v72, v22, v23
	;; [unrolled: 1-line block ×3, first 2 shown]
	ds_read2_b64 v[20:23], v41 offset0:32 offset1:40
	v_pk_add_f16 v56, v56, v94
	v_pk_min_f16 v49, v18, v8
	v_pk_add_f16 v56, v56, v111
	v_pk_add_f16 v63, v63, v96
	s_waitcnt lgkmcnt(0)
	v_pk_max_f16 v20, v20, v20
	v_pk_add_f16 v48, v48, v112
	v_pk_add_f16 v56, v56, v49
	v_pk_min_f16 v49, v20, v4
	v_pk_add_f16 v55, v55, v97
	v_pk_add_f16 v63, v63, v113
	v_pk_add_f16 v85, v48, v49
	v_pk_min_f16 v48, v20, v6
	v_pk_add_f16 v55, v55, v114
	v_pk_add_f16 v63, v63, v48
	v_pk_min_f16 v48, v20, v8
	v_pk_max_f16 v22, v22, v22
	v_pk_add_f16 v62, v62, v99
	v_pk_add_f16 v47, v47, v115
	;; [unrolled: 1-line block ×3, first 2 shown]
	v_pk_min_f16 v48, v22, v4
	v_pk_add_f16 v62, v62, v116
	v_pk_add_f16 v86, v47, v48
	v_pk_min_f16 v47, v22, v6
	v_pk_max_f16 v0, v0, v0
	v_pk_max_f16 v3, v3, v3
	;; [unrolled: 1-line block ×3, first 2 shown]
	v_pk_min_f16 v12, v12, v10
	v_pk_min_f16 v16, v16, v10
	;; [unrolled: 1-line block ×4, first 2 shown]
	v_pk_add_f16 v62, v62, v47
	v_pk_min_f16 v47, v22, v8
	v_pk_min_f16 v22, v22, v10
	;; [unrolled: 1-line block ×8, first 2 shown]
	v_pk_max_f16 v7, v7, v7
	v_pk_add_f16 v20, v68, v20
	v_pk_add_f16 v68, v46, v10
	v_pk_min_f16 v10, v3, v7
	v_pk_max_f16 v9, v9, v9
	v_pk_add_f16 v60, v53, v10
	v_pk_min_f16 v10, v3, v9
	v_pk_max_f16 v11, v11, v11
	v_pk_add_f16 v52, v32, v10
	v_pk_max_f16 v10, v13, v13
	v_pk_add_f16 v12, v59, v12
	v_pk_min_f16 v13, v10, v5
	v_pk_add_f16 v18, v67, v18
	v_pk_add_f16 v76, v74, v13
	v_pk_min_f16 v13, v10, v7
	v_pk_add_f16 v16, v66, v16
	v_pk_add_f16 v67, v33, v13
	v_pk_min_f16 v13, v10, v9
	v_pk_min_f16 v10, v10, v11
	v_pk_add_f16 v59, v75, v13
	v_pk_add_f16 v51, v12, v10
	v_pk_max_f16 v10, v15, v15
	v_pk_add_f16 v8, v73, v8
	v_pk_min_f16 v12, v10, v5
	v_pk_add_f16 v54, v54, v100
	v_pk_add_f16 v75, v82, v12
	v_pk_min_f16 v12, v10, v7
	v_pk_add_f16 v6, v72, v6
	v_pk_add_f16 v66, v83, v12
	v_pk_min_f16 v12, v10, v9
	v_pk_min_f16 v10, v10, v11
	v_pk_add_f16 v58, v58, v12
	v_pk_add_f16 v50, v14, v10
	v_pk_max_f16 v10, v17, v17
	v_pk_add_f16 v54, v54, v117
	v_pk_min_f16 v12, v10, v5
	v_pk_add_f16 v54, v54, v47
	v_pk_add_f16 v74, v61, v12
	v_pk_min_f16 v12, v10, v7
	v_pk_max_f16 v1, v1, v1
	v_pk_add_f16 v65, v65, v12
	v_pk_min_f16 v12, v10, v9
	v_pk_min_f16 v10, v10, v11
	v_pk_add_f16 v57, v57, v12
	v_pk_add_f16 v49, v16, v10
	v_pk_max_f16 v10, v19, v19
	v_pk_add_f16 v4, v71, v4
	v_pk_min_f16 v12, v10, v5
	v_pk_add_f16 v45, v45, v121
	v_pk_add_f16 v73, v84, v12
	v_pk_min_f16 v12, v10, v7
	v_pk_add_f16 v22, v70, v22
	v_pk_add_f16 v64, v64, v12
	v_pk_min_f16 v12, v10, v9
	v_pk_min_f16 v10, v10, v11
	v_pk_add_f16 v56, v56, v12
	v_pk_add_f16 v48, v18, v10
	v_pk_max_f16 v10, v21, v21
	v_pk_add_f16 v0, v45, v0
	v_pk_min_f16 v12, v10, v5
	v_pk_add_f16 v2, v44, v2
	v_pk_add_f16 v72, v85, v12
	v_pk_min_f16 v12, v10, v7
	s_add_i32 s23, s23, 8
	v_pk_add_f16 v63, v63, v12
	v_pk_min_f16 v12, v10, v9
	v_pk_min_f16 v10, v10, v11
	v_pk_add_f16 v55, v55, v12
	v_pk_add_f16 v47, v20, v10
	v_pk_max_f16 v10, v23, v23
	v_lshl_add_u64 v[26:27], v[26:27], 0, s[6:7]
	v_pk_min_f16 v12, v10, v5
	v_pk_min_f16 v5, v1, v5
	v_pk_add_f16 v71, v86, v12
	v_pk_add_f16 v70, v4, v5
	v_pk_min_f16 v4, v1, v7
	v_pk_min_f16 v12, v10, v7
	v_pk_add_f16 v61, v6, v4
	v_pk_min_f16 v4, v1, v9
	v_pk_min_f16 v1, v1, v11
	;; [unrolled: 3-line block ×3, first 2 shown]
	v_pk_add_f16 v45, v0, v1
	v_pk_min_f16 v0, v3, v11
	v_pk_add_f16 v54, v54, v12
	v_pk_add_f16 v46, v22, v10
	;; [unrolled: 1-line block ×4, first 2 shown]
	s_cmp_ge_i32 s23, s30
	v_lshl_add_u64 v[30:31], v[30:31], 0, 16
	s_waitcnt vmcnt(0)
	ds_write_b16 v43, v80
	ds_write_b16 v69, v79
	ds_write_b16 v69, v81 offset:512
	s_waitcnt lgkmcnt(0)
	s_barrier
	s_cbranch_scc1 .LBB304_34
.LBB304_22:                             ; =>This Inner Loop Header: Depth=1
	v_add_u32_e32 v33, s23, v36
	v_add_u32_e32 v0, 8, v33
	v_cmp_gt_i32_e64 s[4:5], s22, v0
	s_and_b64 s[16:17], s[4:5], s[14:15]
	v_mov_b32_e32 v79, 0
	s_and_saveexec_b64 s[4:5], s[16:17]
	s_cbranch_execz .LBB304_24
; %bb.23:                               ;   in Loop: Header=BB304_22 Depth=1
	global_load_ushort v79, v[30:31], off
.LBB304_24:                             ;   in Loop: Header=BB304_22 Depth=1
	s_or_b64 exec, exec, s[4:5]
	v_add_u32_e32 v32, s23, v38
	v_add_u32_e32 v0, 8, v32
	v_cmp_le_i32_e64 s[4:5], s22, v0
	s_nor_b64 s[18:19], vcc, s[4:5]
	v_mov_b32_e32 v80, 0
	v_lshl_add_u64 v[0:1], v[26:27], 0, v[24:25]
	v_mov_b32_e32 v81, 0
	s_and_saveexec_b64 s[16:17], s[18:19]
	s_cbranch_execz .LBB304_26
; %bb.25:                               ;   in Loop: Header=BB304_22 Depth=1
	global_load_ushort v81, v[0:1], off
.LBB304_26:                             ;   in Loop: Header=BB304_22 Depth=1
	s_or_b64 exec, exec, s[16:17]
	s_nor_b64 s[16:17], s[8:9], s[4:5]
	s_and_saveexec_b64 s[4:5], s[16:17]
	s_cbranch_execz .LBB304_28
; %bb.27:                               ;   in Loop: Header=BB304_22 Depth=1
	global_load_ushort v80, v[0:1], off offset:128
.LBB304_28:                             ;   in Loop: Header=BB304_22 Depth=1
	s_or_b64 exec, exec, s[4:5]
	ds_read2_b64 v[0:3], v77 offset0:48 offset1:56
	ds_read2_b64 v[16:19], v78 offset0:64 offset1:96
	ds_read2_b64 v[20:23], v78 offset1:32
	ds_read2_b64 v[12:15], v77 offset1:8
	ds_read2_b64 v[8:11], v77 offset0:16 offset1:24
	ds_read2_b64 v[4:7], v77 offset0:32 offset1:40
	v_add_u32_e32 v33, 12, v33
	v_cmp_gt_i32_e64 s[4:5], s22, v33
	s_waitcnt vmcnt(0)
	ds_write_b16 v42, v79
	ds_write_b16 v40, v81
	ds_write_b16 v40, v80 offset:512
	s_and_b64 s[4:5], s[4:5], s[14:15]
	v_mov_b32_e32 v79, 0
	v_mov_b32_e32 v80, 0
	s_waitcnt lgkmcnt(0)
	s_barrier
	s_and_saveexec_b64 s[16:17], s[4:5]
	s_xor_b64 s[4:5], exec, s[16:17]
	s_cbranch_execz .LBB304_30
; %bb.29:                               ;   in Loop: Header=BB304_22 Depth=1
	global_load_ushort v80, v[30:31], off offset:8
.LBB304_30:                             ;   in Loop: Header=BB304_22 Depth=1
	s_or_b64 exec, exec, s[4:5]
	v_add_u32_e32 v32, 12, v32
	v_cmp_le_i32_e64 s[4:5], s22, v32
	s_nor_b64 s[18:19], vcc, s[4:5]
	v_lshl_add_u64 v[32:33], v[26:27], 0, v[28:29]
	s_and_saveexec_b64 s[16:17], s[18:19]
	s_cbranch_execz .LBB304_32
; %bb.31:                               ;   in Loop: Header=BB304_22 Depth=1
	global_load_ushort v79, v[32:33], off
.LBB304_32:                             ;   in Loop: Header=BB304_22 Depth=1
	s_or_b64 exec, exec, s[16:17]
	s_nor_b64 s[16:17], s[8:9], s[4:5]
	v_mov_b32_e32 v81, 0
	s_and_saveexec_b64 s[4:5], s[16:17]
	s_cbranch_execz .LBB304_21
; %bb.33:                               ;   in Loop: Header=BB304_22 Depth=1
	global_load_ushort v81, v[32:33], off offset:128
	s_branch .LBB304_21
.LBB304_34:
	s_load_dwordx2 s[4:5], s[0:1], 0x70
	s_load_dword s31, s[0:1], 0x50
	s_load_dword s30, s[0:1], 0x68
	v_add_u32_e32 v8, 0x800, v39
	ds_read2_b64 v[0:3], v8 offset0:112 offset1:120
	ds_read2_b64 v[4:7], v37 offset0:192 offset1:224
	;; [unrolled: 1-line block ×6, first 2 shown]
	s_waitcnt lgkmcnt(0)
	s_mul_i32 s1, s5, s3
	s_mul_hi_u32 s5, s4, s3
	s_mul_i32 s0, s4, s3
	s_add_i32 s1, s5, s1
	s_lshl_b64 s[0:1], s[0:1], 1
	s_add_u32 s22, s10, s0
	v_add_u32_e32 v69, s29, v35
	s_addc_u32 s23, s11, s1
	v_mad_i64_i32 v[26:27], s[0:1], v69, s31, 0
	v_add_u32_e32 v24, s2, v34
	v_lshl_add_u64 v[42:43], v[26:27], 1, s[24:25]
	v_mad_i64_i32 v[26:27], s[0:1], v69, s30, 0
	v_cmp_gt_i32_e64 s[18:19], s21, v69
	v_lshl_add_u64 v[40:41], v[26:27], 1, s[22:23]
	v_cmp_gt_i32_e64 s[2:3], s20, v24
	v_cndmask_b32_e64 v26, 0, 1, s[12:13]
	s_and_b64 s[4:5], s[2:3], s[18:19]
	v_ashrrev_i32_e32 v25, 31, v24
	v_cmp_ne_u32_e64 s[0:1], 1, v26
	s_and_saveexec_b64 s[6:7], s[4:5]
	s_xor_b64 s[4:5], exec, s[6:7]
	s_cbranch_execz .LBB304_40
; %bb.35:
	s_and_b64 vcc, exec, s[0:1]
	s_cbranch_vccnz .LBB304_38
; %bb.36:
	v_lshl_add_u64 v[26:27], v[24:25], 1, v[42:43]
	global_load_ushort v26, v[26:27], off
	s_waitcnt vmcnt(0)
	v_mul_f16_e32 v26, s28, v26
	s_branch .LBB304_39
.LBB304_37:
	s_mov_b64 s[16:17], 0
	s_andn2_b64 vcc, exec, s[8:9]
	s_mov_b64 s[4:5], -1
	s_cbranch_vccz .LBB304_2
	s_branch .LBB304_3
.LBB304_38:
	v_mov_b32_e32 v26, 0
.LBB304_39:
	v_pk_max_f16 v27, v20, v20
	v_pk_max_f16 v28, v16, v16
	;; [unrolled: 1-line block ×3, first 2 shown]
	v_pk_min_f16 v27, v28, v27
	v_pk_max_f16 v28, v21, v21
	v_pk_add_f16 v27, v76, v27
	v_pk_min_f16 v28, v29, v28
	s_nop 0
	v_pk_add_f16 v27, v27, v28
	s_nop 0
	v_add_f16_sdwa v27, v27, v27 dst_sel:DWORD dst_unused:UNUSED_PAD src0_sel:DWORD src1_sel:WORD_1
	v_add_f16_e32 v28, v27, v26
	v_lshl_add_u64 v[26:27], v[24:25], 1, v[40:41]
	global_store_short v[26:27], v28, off
.LBB304_40:
	s_or_b64 exec, exec, s[4:5]
	v_add_u32_e32 v26, 8, v24
	v_cmp_gt_i32_e64 s[4:5], s20, v26
	s_and_b64 s[8:9], s[4:5], s[18:19]
	v_ashrrev_i32_e32 v27, 31, v26
	s_and_saveexec_b64 s[6:7], s[8:9]
	s_cbranch_execz .LBB304_45
; %bb.41:
	s_and_b64 vcc, exec, s[0:1]
	s_cbranch_vccnz .LBB304_43
; %bb.42:
	v_lshl_add_u64 v[28:29], v[26:27], 1, v[42:43]
	global_load_ushort v28, v[28:29], off
	s_waitcnt vmcnt(0)
	v_mul_f16_e32 v28, s28, v28
	s_branch .LBB304_44
.LBB304_43:
	v_mov_b32_e32 v28, 0
.LBB304_44:
	v_pk_max_f16 v29, v20, v20
	v_pk_max_f16 v30, v18, v18
	v_pk_max_f16 v31, v19, v19
	v_pk_min_f16 v29, v30, v29
	v_pk_max_f16 v30, v21, v21
	v_pk_add_f16 v29, v75, v29
	v_pk_min_f16 v30, v31, v30
	s_nop 0
	v_pk_add_f16 v29, v29, v30
	s_nop 0
	v_add_f16_sdwa v29, v29, v29 dst_sel:DWORD dst_unused:UNUSED_PAD src0_sel:DWORD src1_sel:WORD_1
	v_add_f16_e32 v30, v29, v28
	v_lshl_add_u64 v[28:29], v[26:27], 1, v[40:41]
	global_store_short v[28:29], v30, off
.LBB304_45:
	s_or_b64 exec, exec, s[6:7]
	v_add_u32_e32 v28, 16, v24
	v_cmp_gt_i32_e64 s[6:7], s20, v28
	s_and_b64 s[10:11], s[6:7], s[18:19]
	v_ashrrev_i32_e32 v29, 31, v28
	s_and_saveexec_b64 s[8:9], s[10:11]
	s_cbranch_execz .LBB304_50
; %bb.46:
	s_and_b64 vcc, exec, s[0:1]
	s_cbranch_vccnz .LBB304_48
; %bb.47:
	v_lshl_add_u64 v[30:31], v[28:29], 1, v[42:43]
	global_load_ushort v30, v[30:31], off
	s_waitcnt vmcnt(0)
	v_mul_f16_e32 v30, s28, v30
	s_branch .LBB304_49
.LBB304_48:
	v_mov_b32_e32 v30, 0
.LBB304_49:
	v_pk_max_f16 v31, v20, v20
	v_pk_max_f16 v32, v12, v12
	v_pk_max_f16 v33, v13, v13
	v_pk_min_f16 v31, v32, v31
	v_pk_max_f16 v32, v21, v21
	v_pk_add_f16 v31, v74, v31
	v_pk_min_f16 v32, v33, v32
	s_nop 0
	v_pk_add_f16 v31, v31, v32
	s_nop 0
	v_add_f16_sdwa v31, v31, v31 dst_sel:DWORD dst_unused:UNUSED_PAD src0_sel:DWORD src1_sel:WORD_1
	v_add_f16_e32 v32, v31, v30
	v_lshl_add_u64 v[30:31], v[28:29], 1, v[40:41]
	global_store_short v[30:31], v32, off
.LBB304_50:
	;; [unrolled: 34-line block ×5, first 2 shown]
	s_or_b64 exec, exec, s[14:15]
	v_add_u32_e32 v36, 48, v24
	v_cmp_gt_i32_e64 s[14:15], s20, v36
	s_and_b64 s[26:27], s[14:15], s[18:19]
	v_ashrrev_i32_e32 v37, 31, v36
	s_and_saveexec_b64 s[16:17], s[26:27]
	s_cbranch_execz .LBB304_70
; %bb.66:
	s_and_b64 vcc, exec, s[0:1]
	s_cbranch_vccnz .LBB304_68
; %bb.67:
	v_lshl_add_u64 v[38:39], v[36:37], 1, v[42:43]
	global_load_ushort v38, v[38:39], off
	s_waitcnt vmcnt(0)
	v_mul_f16_e32 v38, s28, v38
	s_branch .LBB304_69
.LBB304_68:
	v_mov_b32_e32 v38, 0
.LBB304_69:
	v_pk_max_f16 v39, v20, v20
	v_pk_max_f16 v71, v0, v0
	s_nop 0
	v_pk_min_f16 v39, v71, v39
	v_pk_max_f16 v71, v1, v1
	v_pk_add_f16 v39, v70, v39
	v_pk_max_f16 v70, v21, v21
	s_nop 0
	v_pk_min_f16 v70, v71, v70
	s_nop 0
	v_pk_add_f16 v39, v39, v70
	s_nop 0
	v_add_f16_sdwa v39, v39, v39 dst_sel:DWORD dst_unused:UNUSED_PAD src0_sel:DWORD src1_sel:WORD_1
	v_add_f16_e32 v70, v39, v38
	v_lshl_add_u64 v[38:39], v[36:37], 1, v[40:41]
	global_store_short v[38:39], v70, off
.LBB304_70:
	s_or_b64 exec, exec, s[16:17]
	v_add_u32_e32 v38, 56, v24
	v_cmp_gt_i32_e64 s[16:17], s20, v38
	s_and_b64 s[26:27], s[16:17], s[18:19]
	v_ashrrev_i32_e32 v39, 31, v38
	s_and_saveexec_b64 s[18:19], s[26:27]
	s_cbranch_execz .LBB304_75
; %bb.71:
	s_and_b64 vcc, exec, s[0:1]
	s_cbranch_vccnz .LBB304_73
; %bb.72:
	v_lshl_add_u64 v[42:43], v[38:39], 1, v[42:43]
	global_load_ushort v42, v[42:43], off
	s_waitcnt vmcnt(0)
	v_mul_f16_e32 v42, s28, v42
	s_branch .LBB304_74
.LBB304_73:
	v_mov_b32_e32 v42, 0
.LBB304_74:
	v_pk_max_f16 v20, v20, v20
	v_pk_max_f16 v43, v2, v2
	;; [unrolled: 1-line block ×3, first 2 shown]
	v_pk_min_f16 v20, v43, v20
	v_pk_max_f16 v43, v3, v3
	v_pk_add_f16 v20, v68, v20
	v_pk_min_f16 v21, v43, v21
	s_nop 0
	v_pk_add_f16 v20, v20, v21
	s_nop 0
	v_add_f16_sdwa v20, v20, v20 dst_sel:DWORD dst_unused:UNUSED_PAD src0_sel:DWORD src1_sel:WORD_1
	v_add_f16_e32 v42, v20, v42
	v_lshl_add_u64 v[20:21], v[38:39], 1, v[40:41]
	global_store_short v[20:21], v42, off
.LBB304_75:
	s_or_b64 exec, exec, s[18:19]
	v_add_u32_e32 v42, 32, v69
	v_mad_i64_i32 v[20:21], s[26:27], v42, s31, 0
	v_cmp_gt_i32_e64 s[18:19], s21, v42
	v_lshl_add_u64 v[40:41], v[20:21], 1, s[24:25]
	v_mad_i64_i32 v[20:21], s[26:27], v42, s30, 0
	v_lshl_add_u64 v[20:21], v[20:21], 1, s[22:23]
	s_and_b64 s[34:35], s[2:3], s[18:19]
	s_and_saveexec_b64 s[26:27], s[34:35]
	s_cbranch_execnz .LBB304_83
; %bb.76:
	s_or_b64 exec, exec, s[26:27]
	s_and_b64 s[34:35], s[4:5], s[18:19]
	s_and_saveexec_b64 s[26:27], s[34:35]
	s_cbranch_execnz .LBB304_87
.LBB304_77:
	s_or_b64 exec, exec, s[26:27]
	s_and_b64 s[34:35], s[6:7], s[18:19]
	s_and_saveexec_b64 s[26:27], s[34:35]
	s_cbranch_execnz .LBB304_91
.LBB304_78:
	s_or_b64 exec, exec, s[26:27]
	s_and_b64 s[34:35], s[8:9], s[18:19]
	s_and_saveexec_b64 s[26:27], s[34:35]
	s_cbranch_execnz .LBB304_95
.LBB304_79:
	s_or_b64 exec, exec, s[26:27]
	s_and_b64 s[34:35], s[10:11], s[18:19]
	s_and_saveexec_b64 s[26:27], s[34:35]
	s_cbranch_execnz .LBB304_99
.LBB304_80:
	s_or_b64 exec, exec, s[26:27]
	s_and_b64 s[34:35], s[12:13], s[18:19]
	s_and_saveexec_b64 s[26:27], s[34:35]
	s_cbranch_execnz .LBB304_103
.LBB304_81:
	s_or_b64 exec, exec, s[26:27]
	s_and_b64 s[34:35], s[14:15], s[18:19]
	s_and_saveexec_b64 s[26:27], s[34:35]
	s_cbranch_execnz .LBB304_107
.LBB304_82:
	s_or_b64 exec, exec, s[26:27]
	s_and_b64 s[26:27], s[16:17], s[18:19]
	s_and_saveexec_b64 s[18:19], s[26:27]
	s_cbranch_execnz .LBB304_111
	s_branch .LBB304_115
.LBB304_83:
	s_and_b64 vcc, exec, s[0:1]
	s_cbranch_vccnz .LBB304_85
; %bb.84:
	v_lshl_add_u64 v[42:43], v[24:25], 1, v[40:41]
	global_load_ushort v42, v[42:43], off
	s_waitcnt vmcnt(0)
	v_mul_f16_e32 v42, s28, v42
	s_branch .LBB304_86
.LBB304_85:
	v_mov_b32_e32 v42, 0
.LBB304_86:
	v_pk_max_f16 v43, v22, v22
	v_pk_max_f16 v68, v16, v16
	s_nop 0
	v_pk_min_f16 v43, v68, v43
	v_pk_max_f16 v68, v17, v17
	v_pk_add_f16 v43, v67, v43
	v_pk_max_f16 v67, v23, v23
	s_nop 0
	v_pk_min_f16 v67, v68, v67
	s_nop 0
	v_pk_add_f16 v43, v43, v67
	s_nop 0
	v_add_f16_sdwa v43, v43, v43 dst_sel:DWORD dst_unused:UNUSED_PAD src0_sel:DWORD src1_sel:WORD_1
	v_add_f16_e32 v67, v43, v42
	v_lshl_add_u64 v[42:43], v[24:25], 1, v[20:21]
	global_store_short v[42:43], v67, off
	s_or_b64 exec, exec, s[26:27]
	s_and_b64 s[34:35], s[4:5], s[18:19]
	s_and_saveexec_b64 s[26:27], s[34:35]
	s_cbranch_execz .LBB304_77
.LBB304_87:
	s_and_b64 vcc, exec, s[0:1]
	s_cbranch_vccnz .LBB304_89
; %bb.88:
	v_lshl_add_u64 v[42:43], v[26:27], 1, v[40:41]
	global_load_ushort v42, v[42:43], off
	s_waitcnt vmcnt(0)
	v_mul_f16_e32 v42, s28, v42
	s_branch .LBB304_90
.LBB304_89:
	v_mov_b32_e32 v42, 0
.LBB304_90:
	v_pk_max_f16 v43, v22, v22
	v_pk_max_f16 v67, v18, v18
	s_nop 0
	v_pk_min_f16 v43, v67, v43
	v_pk_max_f16 v67, v19, v19
	v_pk_add_f16 v43, v66, v43
	v_pk_max_f16 v66, v23, v23
	s_nop 0
	v_pk_min_f16 v66, v67, v66
	s_nop 0
	v_pk_add_f16 v43, v43, v66
	s_nop 0
	v_add_f16_sdwa v43, v43, v43 dst_sel:DWORD dst_unused:UNUSED_PAD src0_sel:DWORD src1_sel:WORD_1
	v_add_f16_e32 v66, v43, v42
	v_lshl_add_u64 v[42:43], v[26:27], 1, v[20:21]
	global_store_short v[42:43], v66, off
	s_or_b64 exec, exec, s[26:27]
	s_and_b64 s[34:35], s[6:7], s[18:19]
	s_and_saveexec_b64 s[26:27], s[34:35]
	s_cbranch_execz .LBB304_78
.LBB304_91:
	s_and_b64 vcc, exec, s[0:1]
	s_cbranch_vccnz .LBB304_93
; %bb.92:
	v_lshl_add_u64 v[42:43], v[28:29], 1, v[40:41]
	global_load_ushort v42, v[42:43], off
	s_waitcnt vmcnt(0)
	v_mul_f16_e32 v42, s28, v42
	s_branch .LBB304_94
.LBB304_93:
	v_mov_b32_e32 v42, 0
.LBB304_94:
	v_pk_max_f16 v43, v22, v22
	v_pk_max_f16 v66, v12, v12
	s_nop 0
	v_pk_min_f16 v43, v66, v43
	v_pk_max_f16 v66, v13, v13
	v_pk_add_f16 v43, v65, v43
	v_pk_max_f16 v65, v23, v23
	s_nop 0
	v_pk_min_f16 v65, v66, v65
	s_nop 0
	v_pk_add_f16 v43, v43, v65
	s_nop 0
	v_add_f16_sdwa v43, v43, v43 dst_sel:DWORD dst_unused:UNUSED_PAD src0_sel:DWORD src1_sel:WORD_1
	v_add_f16_e32 v65, v43, v42
	v_lshl_add_u64 v[42:43], v[28:29], 1, v[20:21]
	global_store_short v[42:43], v65, off
	s_or_b64 exec, exec, s[26:27]
	s_and_b64 s[34:35], s[8:9], s[18:19]
	s_and_saveexec_b64 s[26:27], s[34:35]
	s_cbranch_execz .LBB304_79
.LBB304_95:
	s_and_b64 vcc, exec, s[0:1]
	s_cbranch_vccnz .LBB304_97
; %bb.96:
	v_lshl_add_u64 v[42:43], v[30:31], 1, v[40:41]
	global_load_ushort v42, v[42:43], off
	s_waitcnt vmcnt(0)
	v_mul_f16_e32 v42, s28, v42
	s_branch .LBB304_98
.LBB304_97:
	v_mov_b32_e32 v42, 0
.LBB304_98:
	v_pk_max_f16 v43, v22, v22
	v_pk_max_f16 v65, v14, v14
	s_nop 0
	v_pk_min_f16 v43, v65, v43
	v_pk_max_f16 v65, v15, v15
	v_pk_add_f16 v43, v64, v43
	v_pk_max_f16 v64, v23, v23
	s_nop 0
	v_pk_min_f16 v64, v65, v64
	s_nop 0
	v_pk_add_f16 v43, v43, v64
	s_nop 0
	v_add_f16_sdwa v43, v43, v43 dst_sel:DWORD dst_unused:UNUSED_PAD src0_sel:DWORD src1_sel:WORD_1
	v_add_f16_e32 v64, v43, v42
	v_lshl_add_u64 v[42:43], v[30:31], 1, v[20:21]
	global_store_short v[42:43], v64, off
	s_or_b64 exec, exec, s[26:27]
	s_and_b64 s[34:35], s[10:11], s[18:19]
	s_and_saveexec_b64 s[26:27], s[34:35]
	s_cbranch_execz .LBB304_80
.LBB304_99:
	s_and_b64 vcc, exec, s[0:1]
	s_cbranch_vccnz .LBB304_101
; %bb.100:
	v_lshl_add_u64 v[42:43], v[32:33], 1, v[40:41]
	global_load_ushort v42, v[42:43], off
	s_waitcnt vmcnt(0)
	v_mul_f16_e32 v42, s28, v42
	s_branch .LBB304_102
.LBB304_101:
	v_mov_b32_e32 v42, 0
.LBB304_102:
	v_pk_max_f16 v43, v22, v22
	v_pk_max_f16 v64, v8, v8
	s_nop 0
	v_pk_min_f16 v43, v64, v43
	v_pk_max_f16 v64, v9, v9
	v_pk_add_f16 v43, v63, v43
	v_pk_max_f16 v63, v23, v23
	s_nop 0
	v_pk_min_f16 v63, v64, v63
	s_nop 0
	v_pk_add_f16 v43, v43, v63
	s_nop 0
	v_add_f16_sdwa v43, v43, v43 dst_sel:DWORD dst_unused:UNUSED_PAD src0_sel:DWORD src1_sel:WORD_1
	v_add_f16_e32 v63, v43, v42
	v_lshl_add_u64 v[42:43], v[32:33], 1, v[20:21]
	global_store_short v[42:43], v63, off
	s_or_b64 exec, exec, s[26:27]
	s_and_b64 s[34:35], s[12:13], s[18:19]
	s_and_saveexec_b64 s[26:27], s[34:35]
	s_cbranch_execz .LBB304_81
.LBB304_103:
	s_and_b64 vcc, exec, s[0:1]
	s_cbranch_vccnz .LBB304_105
; %bb.104:
	v_lshl_add_u64 v[42:43], v[34:35], 1, v[40:41]
	global_load_ushort v42, v[42:43], off
	s_waitcnt vmcnt(0)
	v_mul_f16_e32 v42, s28, v42
	s_branch .LBB304_106
.LBB304_105:
	v_mov_b32_e32 v42, 0
.LBB304_106:
	v_pk_max_f16 v43, v22, v22
	v_pk_max_f16 v63, v10, v10
	s_nop 0
	v_pk_min_f16 v43, v63, v43
	v_pk_max_f16 v63, v11, v11
	v_pk_add_f16 v43, v62, v43
	v_pk_max_f16 v62, v23, v23
	s_nop 0
	v_pk_min_f16 v62, v63, v62
	s_nop 0
	v_pk_add_f16 v43, v43, v62
	s_nop 0
	v_add_f16_sdwa v43, v43, v43 dst_sel:DWORD dst_unused:UNUSED_PAD src0_sel:DWORD src1_sel:WORD_1
	v_add_f16_e32 v62, v43, v42
	v_lshl_add_u64 v[42:43], v[34:35], 1, v[20:21]
	global_store_short v[42:43], v62, off
	s_or_b64 exec, exec, s[26:27]
	s_and_b64 s[34:35], s[14:15], s[18:19]
	s_and_saveexec_b64 s[26:27], s[34:35]
	s_cbranch_execz .LBB304_82
.LBB304_107:
	s_and_b64 vcc, exec, s[0:1]
	s_cbranch_vccnz .LBB304_109
; %bb.108:
	v_lshl_add_u64 v[42:43], v[36:37], 1, v[40:41]
	global_load_ushort v42, v[42:43], off
	s_waitcnt vmcnt(0)
	v_mul_f16_e32 v42, s28, v42
	s_branch .LBB304_110
.LBB304_109:
	v_mov_b32_e32 v42, 0
.LBB304_110:
	v_pk_max_f16 v43, v22, v22
	v_pk_max_f16 v62, v0, v0
	s_nop 0
	v_pk_min_f16 v43, v62, v43
	v_pk_max_f16 v62, v1, v1
	v_pk_add_f16 v43, v61, v43
	v_pk_max_f16 v61, v23, v23
	s_nop 0
	v_pk_min_f16 v61, v62, v61
	s_nop 0
	v_pk_add_f16 v43, v43, v61
	s_nop 0
	v_add_f16_sdwa v43, v43, v43 dst_sel:DWORD dst_unused:UNUSED_PAD src0_sel:DWORD src1_sel:WORD_1
	v_add_f16_e32 v61, v43, v42
	v_lshl_add_u64 v[42:43], v[36:37], 1, v[20:21]
	global_store_short v[42:43], v61, off
	s_or_b64 exec, exec, s[26:27]
	s_and_b64 s[26:27], s[16:17], s[18:19]
	s_and_saveexec_b64 s[18:19], s[26:27]
	s_cbranch_execz .LBB304_115
.LBB304_111:
	s_and_b64 vcc, exec, s[0:1]
	s_cbranch_vccnz .LBB304_113
; %bb.112:
	v_lshl_add_u64 v[40:41], v[38:39], 1, v[40:41]
	global_load_ushort v40, v[40:41], off
	s_waitcnt vmcnt(0)
	v_mul_f16_e32 v40, s28, v40
	s_branch .LBB304_114
.LBB304_113:
	v_mov_b32_e32 v40, 0
.LBB304_114:
	v_pk_max_f16 v22, v22, v22
	v_pk_max_f16 v41, v2, v2
	;; [unrolled: 1-line block ×3, first 2 shown]
	v_pk_min_f16 v22, v41, v22
	v_pk_max_f16 v41, v3, v3
	v_pk_add_f16 v22, v60, v22
	v_pk_min_f16 v23, v41, v23
	v_lshl_add_u64 v[20:21], v[38:39], 1, v[20:21]
	v_pk_add_f16 v22, v22, v23
	s_nop 0
	v_add_f16_sdwa v22, v22, v22 dst_sel:DWORD dst_unused:UNUSED_PAD src0_sel:DWORD src1_sel:WORD_1
	v_add_f16_e32 v22, v22, v40
	global_store_short v[20:21], v22, off
.LBB304_115:
	s_or_b64 exec, exec, s[18:19]
	v_add_u32_e32 v40, 64, v69
	v_mad_i64_i32 v[20:21], s[26:27], v40, s31, 0
	v_cmp_gt_i32_e64 s[18:19], s21, v40
	v_lshl_add_u64 v[22:23], v[20:21], 1, s[24:25]
	v_mad_i64_i32 v[20:21], s[26:27], v40, s30, 0
	v_lshl_add_u64 v[20:21], v[20:21], 1, s[22:23]
	s_and_b64 s[34:35], s[2:3], s[18:19]
	s_and_saveexec_b64 s[26:27], s[34:35]
	s_cbranch_execnz .LBB304_123
; %bb.116:
	s_or_b64 exec, exec, s[26:27]
	s_and_b64 s[34:35], s[4:5], s[18:19]
	s_and_saveexec_b64 s[26:27], s[34:35]
	s_cbranch_execnz .LBB304_127
.LBB304_117:
	s_or_b64 exec, exec, s[26:27]
	s_and_b64 s[34:35], s[6:7], s[18:19]
	s_and_saveexec_b64 s[26:27], s[34:35]
	s_cbranch_execnz .LBB304_131
.LBB304_118:
	s_or_b64 exec, exec, s[26:27]
	s_and_b64 s[34:35], s[8:9], s[18:19]
	s_and_saveexec_b64 s[26:27], s[34:35]
	s_cbranch_execnz .LBB304_135
.LBB304_119:
	s_or_b64 exec, exec, s[26:27]
	s_and_b64 s[34:35], s[10:11], s[18:19]
	s_and_saveexec_b64 s[26:27], s[34:35]
	s_cbranch_execnz .LBB304_139
.LBB304_120:
	s_or_b64 exec, exec, s[26:27]
	s_and_b64 s[34:35], s[12:13], s[18:19]
	s_and_saveexec_b64 s[26:27], s[34:35]
	s_cbranch_execnz .LBB304_143
.LBB304_121:
	s_or_b64 exec, exec, s[26:27]
	s_and_b64 s[34:35], s[14:15], s[18:19]
	s_and_saveexec_b64 s[26:27], s[34:35]
	s_cbranch_execnz .LBB304_147
.LBB304_122:
	s_or_b64 exec, exec, s[26:27]
	s_and_b64 s[26:27], s[16:17], s[18:19]
	s_and_saveexec_b64 s[18:19], s[26:27]
	s_cbranch_execnz .LBB304_151
	s_branch .LBB304_155
.LBB304_123:
	s_and_b64 vcc, exec, s[0:1]
	s_cbranch_vccnz .LBB304_125
; %bb.124:
	v_lshl_add_u64 v[40:41], v[24:25], 1, v[22:23]
	global_load_ushort v40, v[40:41], off
	s_waitcnt vmcnt(0)
	v_mul_f16_e32 v40, s28, v40
	s_branch .LBB304_126
.LBB304_125:
	v_mov_b32_e32 v40, 0
.LBB304_126:
	v_pk_max_f16 v41, v4, v4
	v_pk_max_f16 v42, v16, v16
	;; [unrolled: 1-line block ×3, first 2 shown]
	v_pk_min_f16 v41, v42, v41
	v_pk_max_f16 v42, v5, v5
	v_pk_add_f16 v41, v59, v41
	v_pk_min_f16 v42, v43, v42
	s_nop 0
	v_pk_add_f16 v41, v41, v42
	s_nop 0
	v_add_f16_sdwa v41, v41, v41 dst_sel:DWORD dst_unused:UNUSED_PAD src0_sel:DWORD src1_sel:WORD_1
	v_add_f16_e32 v42, v41, v40
	v_lshl_add_u64 v[40:41], v[24:25], 1, v[20:21]
	global_store_short v[40:41], v42, off
	s_or_b64 exec, exec, s[26:27]
	s_and_b64 s[34:35], s[4:5], s[18:19]
	s_and_saveexec_b64 s[26:27], s[34:35]
	s_cbranch_execz .LBB304_117
.LBB304_127:
	s_and_b64 vcc, exec, s[0:1]
	s_cbranch_vccnz .LBB304_129
; %bb.128:
	v_lshl_add_u64 v[40:41], v[26:27], 1, v[22:23]
	global_load_ushort v40, v[40:41], off
	s_waitcnt vmcnt(0)
	v_mul_f16_e32 v40, s28, v40
	s_branch .LBB304_130
.LBB304_129:
	v_mov_b32_e32 v40, 0
.LBB304_130:
	v_pk_max_f16 v41, v4, v4
	v_pk_max_f16 v42, v18, v18
	;; [unrolled: 1-line block ×3, first 2 shown]
	v_pk_min_f16 v41, v42, v41
	v_pk_max_f16 v42, v5, v5
	v_pk_add_f16 v41, v58, v41
	v_pk_min_f16 v42, v43, v42
	s_nop 0
	v_pk_add_f16 v41, v41, v42
	s_nop 0
	v_add_f16_sdwa v41, v41, v41 dst_sel:DWORD dst_unused:UNUSED_PAD src0_sel:DWORD src1_sel:WORD_1
	v_add_f16_e32 v42, v41, v40
	v_lshl_add_u64 v[40:41], v[26:27], 1, v[20:21]
	global_store_short v[40:41], v42, off
	s_or_b64 exec, exec, s[26:27]
	s_and_b64 s[34:35], s[6:7], s[18:19]
	s_and_saveexec_b64 s[26:27], s[34:35]
	s_cbranch_execz .LBB304_118
.LBB304_131:
	s_and_b64 vcc, exec, s[0:1]
	s_cbranch_vccnz .LBB304_133
; %bb.132:
	v_lshl_add_u64 v[40:41], v[28:29], 1, v[22:23]
	global_load_ushort v40, v[40:41], off
	s_waitcnt vmcnt(0)
	v_mul_f16_e32 v40, s28, v40
	s_branch .LBB304_134
.LBB304_133:
	v_mov_b32_e32 v40, 0
.LBB304_134:
	v_pk_max_f16 v41, v4, v4
	v_pk_max_f16 v42, v12, v12
	;; [unrolled: 1-line block ×3, first 2 shown]
	v_pk_min_f16 v41, v42, v41
	v_pk_max_f16 v42, v5, v5
	v_pk_add_f16 v41, v57, v41
	v_pk_min_f16 v42, v43, v42
	s_nop 0
	v_pk_add_f16 v41, v41, v42
	s_nop 0
	v_add_f16_sdwa v41, v41, v41 dst_sel:DWORD dst_unused:UNUSED_PAD src0_sel:DWORD src1_sel:WORD_1
	v_add_f16_e32 v42, v41, v40
	v_lshl_add_u64 v[40:41], v[28:29], 1, v[20:21]
	global_store_short v[40:41], v42, off
	s_or_b64 exec, exec, s[26:27]
	s_and_b64 s[34:35], s[8:9], s[18:19]
	s_and_saveexec_b64 s[26:27], s[34:35]
	s_cbranch_execz .LBB304_119
.LBB304_135:
	s_and_b64 vcc, exec, s[0:1]
	s_cbranch_vccnz .LBB304_137
; %bb.136:
	v_lshl_add_u64 v[40:41], v[30:31], 1, v[22:23]
	global_load_ushort v40, v[40:41], off
	s_waitcnt vmcnt(0)
	v_mul_f16_e32 v40, s28, v40
	s_branch .LBB304_138
.LBB304_137:
	v_mov_b32_e32 v40, 0
.LBB304_138:
	v_pk_max_f16 v41, v4, v4
	v_pk_max_f16 v42, v14, v14
	;; [unrolled: 1-line block ×3, first 2 shown]
	v_pk_min_f16 v41, v42, v41
	v_pk_max_f16 v42, v5, v5
	v_pk_add_f16 v41, v56, v41
	v_pk_min_f16 v42, v43, v42
	s_nop 0
	v_pk_add_f16 v41, v41, v42
	s_nop 0
	v_add_f16_sdwa v41, v41, v41 dst_sel:DWORD dst_unused:UNUSED_PAD src0_sel:DWORD src1_sel:WORD_1
	v_add_f16_e32 v42, v41, v40
	v_lshl_add_u64 v[40:41], v[30:31], 1, v[20:21]
	global_store_short v[40:41], v42, off
	s_or_b64 exec, exec, s[26:27]
	s_and_b64 s[34:35], s[10:11], s[18:19]
	s_and_saveexec_b64 s[26:27], s[34:35]
	s_cbranch_execz .LBB304_120
.LBB304_139:
	s_and_b64 vcc, exec, s[0:1]
	s_cbranch_vccnz .LBB304_141
; %bb.140:
	v_lshl_add_u64 v[40:41], v[32:33], 1, v[22:23]
	global_load_ushort v40, v[40:41], off
	s_waitcnt vmcnt(0)
	v_mul_f16_e32 v40, s28, v40
	s_branch .LBB304_142
.LBB304_141:
	v_mov_b32_e32 v40, 0
.LBB304_142:
	v_pk_max_f16 v41, v4, v4
	v_pk_max_f16 v42, v8, v8
	;; [unrolled: 1-line block ×3, first 2 shown]
	v_pk_min_f16 v41, v42, v41
	v_pk_max_f16 v42, v5, v5
	v_pk_add_f16 v41, v55, v41
	v_pk_min_f16 v42, v43, v42
	s_nop 0
	v_pk_add_f16 v41, v41, v42
	s_nop 0
	v_add_f16_sdwa v41, v41, v41 dst_sel:DWORD dst_unused:UNUSED_PAD src0_sel:DWORD src1_sel:WORD_1
	v_add_f16_e32 v42, v41, v40
	v_lshl_add_u64 v[40:41], v[32:33], 1, v[20:21]
	global_store_short v[40:41], v42, off
	s_or_b64 exec, exec, s[26:27]
	s_and_b64 s[34:35], s[12:13], s[18:19]
	s_and_saveexec_b64 s[26:27], s[34:35]
	s_cbranch_execz .LBB304_121
.LBB304_143:
	s_and_b64 vcc, exec, s[0:1]
	s_cbranch_vccnz .LBB304_145
; %bb.144:
	v_lshl_add_u64 v[40:41], v[34:35], 1, v[22:23]
	global_load_ushort v40, v[40:41], off
	s_waitcnt vmcnt(0)
	v_mul_f16_e32 v40, s28, v40
	s_branch .LBB304_146
.LBB304_145:
	v_mov_b32_e32 v40, 0
.LBB304_146:
	v_pk_max_f16 v41, v4, v4
	v_pk_max_f16 v42, v10, v10
	v_pk_max_f16 v43, v11, v11
	v_pk_min_f16 v41, v42, v41
	v_pk_max_f16 v42, v5, v5
	v_pk_add_f16 v41, v54, v41
	v_pk_min_f16 v42, v43, v42
	s_nop 0
	v_pk_add_f16 v41, v41, v42
	s_nop 0
	v_add_f16_sdwa v41, v41, v41 dst_sel:DWORD dst_unused:UNUSED_PAD src0_sel:DWORD src1_sel:WORD_1
	v_add_f16_e32 v42, v41, v40
	v_lshl_add_u64 v[40:41], v[34:35], 1, v[20:21]
	global_store_short v[40:41], v42, off
	s_or_b64 exec, exec, s[26:27]
	s_and_b64 s[34:35], s[14:15], s[18:19]
	s_and_saveexec_b64 s[26:27], s[34:35]
	s_cbranch_execz .LBB304_122
.LBB304_147:
	s_and_b64 vcc, exec, s[0:1]
	s_cbranch_vccnz .LBB304_149
; %bb.148:
	v_lshl_add_u64 v[40:41], v[36:37], 1, v[22:23]
	global_load_ushort v40, v[40:41], off
	s_waitcnt vmcnt(0)
	v_mul_f16_e32 v40, s28, v40
	s_branch .LBB304_150
.LBB304_149:
	v_mov_b32_e32 v40, 0
.LBB304_150:
	v_pk_max_f16 v41, v4, v4
	v_pk_max_f16 v42, v0, v0
	;; [unrolled: 1-line block ×3, first 2 shown]
	v_pk_min_f16 v41, v42, v41
	v_pk_max_f16 v42, v5, v5
	v_pk_add_f16 v41, v53, v41
	v_pk_min_f16 v42, v43, v42
	s_nop 0
	v_pk_add_f16 v41, v41, v42
	s_nop 0
	v_add_f16_sdwa v41, v41, v41 dst_sel:DWORD dst_unused:UNUSED_PAD src0_sel:DWORD src1_sel:WORD_1
	v_add_f16_e32 v42, v41, v40
	v_lshl_add_u64 v[40:41], v[36:37], 1, v[20:21]
	global_store_short v[40:41], v42, off
	s_or_b64 exec, exec, s[26:27]
	s_and_b64 s[26:27], s[16:17], s[18:19]
	s_and_saveexec_b64 s[18:19], s[26:27]
	s_cbranch_execz .LBB304_155
.LBB304_151:
	s_and_b64 vcc, exec, s[0:1]
	s_cbranch_vccnz .LBB304_153
; %bb.152:
	v_lshl_add_u64 v[22:23], v[38:39], 1, v[22:23]
	global_load_ushort v22, v[22:23], off
	s_waitcnt vmcnt(0)
	v_mul_f16_e32 v22, s28, v22
	s_branch .LBB304_154
.LBB304_153:
	v_mov_b32_e32 v22, 0
.LBB304_154:
	v_pk_max_f16 v4, v4, v4
	v_pk_max_f16 v23, v2, v2
	;; [unrolled: 1-line block ×3, first 2 shown]
	v_pk_min_f16 v4, v23, v4
	v_pk_max_f16 v23, v3, v3
	v_pk_add_f16 v4, v52, v4
	v_pk_min_f16 v5, v23, v5
	s_nop 0
	v_pk_add_f16 v4, v4, v5
	s_nop 0
	v_add_f16_sdwa v4, v4, v4 dst_sel:DWORD dst_unused:UNUSED_PAD src0_sel:DWORD src1_sel:WORD_1
	v_add_f16_e32 v22, v4, v22
	v_lshl_add_u64 v[4:5], v[38:39], 1, v[20:21]
	global_store_short v[4:5], v22, off
.LBB304_155:
	s_or_b64 exec, exec, s[18:19]
	v_add_u32_e32 v22, 0x60, v69
	v_cmp_gt_i32_e64 s[18:19], s21, v22
	v_mad_i64_i32 v[4:5], s[20:21], v22, s31, 0
	v_lshl_add_u64 v[20:21], v[4:5], 1, s[24:25]
	v_mad_i64_i32 v[4:5], s[20:21], v22, s30, 0
	v_lshl_add_u64 v[4:5], v[4:5], 1, s[22:23]
	s_and_b64 s[20:21], s[2:3], s[18:19]
	s_and_saveexec_b64 s[2:3], s[20:21]
	s_cbranch_execnz .LBB304_164
; %bb.156:
	s_or_b64 exec, exec, s[2:3]
	s_and_b64 s[4:5], s[4:5], s[18:19]
	s_and_saveexec_b64 s[2:3], s[4:5]
	s_cbranch_execnz .LBB304_168
.LBB304_157:
	s_or_b64 exec, exec, s[2:3]
	s_and_b64 s[4:5], s[6:7], s[18:19]
	s_and_saveexec_b64 s[2:3], s[4:5]
	s_cbranch_execnz .LBB304_172
.LBB304_158:
	s_or_b64 exec, exec, s[2:3]
	s_and_b64 s[4:5], s[8:9], s[18:19]
	s_and_saveexec_b64 s[2:3], s[4:5]
	s_cbranch_execnz .LBB304_176
.LBB304_159:
	s_or_b64 exec, exec, s[2:3]
	s_and_b64 s[4:5], s[10:11], s[18:19]
	s_and_saveexec_b64 s[2:3], s[4:5]
	s_cbranch_execnz .LBB304_180
.LBB304_160:
	s_or_b64 exec, exec, s[2:3]
	s_and_b64 s[4:5], s[12:13], s[18:19]
	s_and_saveexec_b64 s[2:3], s[4:5]
	s_cbranch_execnz .LBB304_184
.LBB304_161:
	s_or_b64 exec, exec, s[2:3]
	s_and_b64 s[4:5], s[14:15], s[18:19]
	s_and_saveexec_b64 s[2:3], s[4:5]
	s_cbranch_execnz .LBB304_188
.LBB304_162:
	s_or_b64 exec, exec, s[2:3]
	s_and_b64 s[2:3], s[16:17], s[18:19]
	s_and_saveexec_b64 s[4:5], s[2:3]
	s_cbranch_execnz .LBB304_192
.LBB304_163:
	s_endpgm
.LBB304_164:
	s_and_b64 vcc, exec, s[0:1]
	s_cbranch_vccnz .LBB304_166
; %bb.165:
	v_lshl_add_u64 v[22:23], v[24:25], 1, v[20:21]
	global_load_ushort v22, v[22:23], off
	s_waitcnt vmcnt(0)
	v_mul_f16_e32 v22, s28, v22
	s_branch .LBB304_167
.LBB304_166:
	v_mov_b32_e32 v22, 0
.LBB304_167:
	v_pk_max_f16 v23, v6, v6
	v_pk_max_f16 v16, v16, v16
	;; [unrolled: 1-line block ×3, first 2 shown]
	v_pk_min_f16 v16, v16, v23
	v_pk_max_f16 v23, v7, v7
	v_pk_add_f16 v16, v51, v16
	v_pk_min_f16 v17, v17, v23
	s_nop 0
	v_pk_add_f16 v16, v16, v17
	s_nop 0
	v_add_f16_sdwa v16, v16, v16 dst_sel:DWORD dst_unused:UNUSED_PAD src0_sel:DWORD src1_sel:WORD_1
	v_add_f16_e32 v22, v16, v22
	v_lshl_add_u64 v[16:17], v[24:25], 1, v[4:5]
	global_store_short v[16:17], v22, off
	s_or_b64 exec, exec, s[2:3]
	s_and_b64 s[4:5], s[4:5], s[18:19]
	s_and_saveexec_b64 s[2:3], s[4:5]
	s_cbranch_execz .LBB304_157
.LBB304_168:
	s_and_b64 vcc, exec, s[0:1]
	s_cbranch_vccnz .LBB304_170
; %bb.169:
	v_lshl_add_u64 v[16:17], v[26:27], 1, v[20:21]
	global_load_ushort v16, v[16:17], off
	s_waitcnt vmcnt(0)
	v_mul_f16_e32 v16, s28, v16
	s_branch .LBB304_171
.LBB304_170:
	v_mov_b32_e32 v16, 0
.LBB304_171:
	v_pk_max_f16 v17, v6, v6
	v_pk_max_f16 v18, v18, v18
	;; [unrolled: 1-line block ×3, first 2 shown]
	v_pk_min_f16 v17, v18, v17
	v_pk_max_f16 v18, v7, v7
	v_pk_add_f16 v17, v50, v17
	v_pk_min_f16 v18, v19, v18
	s_nop 0
	v_pk_add_f16 v17, v17, v18
	s_nop 0
	v_add_f16_sdwa v17, v17, v17 dst_sel:DWORD dst_unused:UNUSED_PAD src0_sel:DWORD src1_sel:WORD_1
	v_add_f16_e32 v18, v17, v16
	v_lshl_add_u64 v[16:17], v[26:27], 1, v[4:5]
	global_store_short v[16:17], v18, off
	s_or_b64 exec, exec, s[2:3]
	s_and_b64 s[4:5], s[6:7], s[18:19]
	s_and_saveexec_b64 s[2:3], s[4:5]
	s_cbranch_execz .LBB304_158
.LBB304_172:
	s_and_b64 vcc, exec, s[0:1]
	s_cbranch_vccnz .LBB304_174
; %bb.173:
	v_lshl_add_u64 v[16:17], v[28:29], 1, v[20:21]
	global_load_ushort v16, v[16:17], off
	s_waitcnt vmcnt(0)
	v_mul_f16_e32 v16, s28, v16
	s_branch .LBB304_175
.LBB304_174:
	v_mov_b32_e32 v16, 0
.LBB304_175:
	v_pk_max_f16 v17, v6, v6
	v_pk_max_f16 v12, v12, v12
	;; [unrolled: 1-line block ×3, first 2 shown]
	v_pk_min_f16 v12, v12, v17
	v_pk_max_f16 v17, v7, v7
	v_pk_add_f16 v12, v49, v12
	v_pk_min_f16 v13, v13, v17
	s_nop 0
	v_pk_add_f16 v12, v12, v13
	s_nop 0
	v_add_f16_sdwa v12, v12, v12 dst_sel:DWORD dst_unused:UNUSED_PAD src0_sel:DWORD src1_sel:WORD_1
	v_add_f16_e32 v16, v12, v16
	v_lshl_add_u64 v[12:13], v[28:29], 1, v[4:5]
	global_store_short v[12:13], v16, off
	s_or_b64 exec, exec, s[2:3]
	s_and_b64 s[4:5], s[8:9], s[18:19]
	s_and_saveexec_b64 s[2:3], s[4:5]
	s_cbranch_execz .LBB304_159
.LBB304_176:
	s_and_b64 vcc, exec, s[0:1]
	s_cbranch_vccnz .LBB304_178
; %bb.177:
	v_lshl_add_u64 v[12:13], v[30:31], 1, v[20:21]
	global_load_ushort v12, v[12:13], off
	s_waitcnt vmcnt(0)
	v_mul_f16_e32 v12, s28, v12
	s_branch .LBB304_179
.LBB304_178:
	v_mov_b32_e32 v12, 0
.LBB304_179:
	v_pk_max_f16 v13, v6, v6
	v_pk_max_f16 v14, v14, v14
	;; [unrolled: 1-line block ×3, first 2 shown]
	v_pk_min_f16 v13, v14, v13
	v_pk_max_f16 v14, v7, v7
	v_pk_add_f16 v13, v48, v13
	v_pk_min_f16 v14, v15, v14
	s_nop 0
	v_pk_add_f16 v13, v13, v14
	s_nop 0
	v_add_f16_sdwa v13, v13, v13 dst_sel:DWORD dst_unused:UNUSED_PAD src0_sel:DWORD src1_sel:WORD_1
	v_add_f16_e32 v14, v13, v12
	v_lshl_add_u64 v[12:13], v[30:31], 1, v[4:5]
	global_store_short v[12:13], v14, off
	s_or_b64 exec, exec, s[2:3]
	s_and_b64 s[4:5], s[10:11], s[18:19]
	s_and_saveexec_b64 s[2:3], s[4:5]
	s_cbranch_execz .LBB304_160
.LBB304_180:
	s_and_b64 vcc, exec, s[0:1]
	s_cbranch_vccnz .LBB304_182
; %bb.181:
	v_lshl_add_u64 v[12:13], v[32:33], 1, v[20:21]
	global_load_ushort v12, v[12:13], off
	s_waitcnt vmcnt(0)
	v_mul_f16_e32 v12, s28, v12
	s_branch .LBB304_183
.LBB304_182:
	v_mov_b32_e32 v12, 0
.LBB304_183:
	v_pk_max_f16 v13, v6, v6
	v_pk_max_f16 v8, v8, v8
	v_pk_max_f16 v9, v9, v9
	v_pk_min_f16 v8, v8, v13
	v_pk_max_f16 v13, v7, v7
	v_pk_add_f16 v8, v47, v8
	v_pk_min_f16 v9, v9, v13
	s_nop 0
	v_pk_add_f16 v8, v8, v9
	s_nop 0
	v_add_f16_sdwa v8, v8, v8 dst_sel:DWORD dst_unused:UNUSED_PAD src0_sel:DWORD src1_sel:WORD_1
	v_add_f16_e32 v12, v8, v12
	v_lshl_add_u64 v[8:9], v[32:33], 1, v[4:5]
	global_store_short v[8:9], v12, off
	s_or_b64 exec, exec, s[2:3]
	s_and_b64 s[4:5], s[12:13], s[18:19]
	s_and_saveexec_b64 s[2:3], s[4:5]
	s_cbranch_execz .LBB304_161
.LBB304_184:
	s_and_b64 vcc, exec, s[0:1]
	s_cbranch_vccnz .LBB304_186
; %bb.185:
	v_lshl_add_u64 v[8:9], v[34:35], 1, v[20:21]
	global_load_ushort v8, v[8:9], off
	s_waitcnt vmcnt(0)
	v_mul_f16_e32 v8, s28, v8
	s_branch .LBB304_187
.LBB304_186:
	v_mov_b32_e32 v8, 0
.LBB304_187:
	v_pk_max_f16 v9, v6, v6
	v_pk_max_f16 v10, v10, v10
	;; [unrolled: 1-line block ×3, first 2 shown]
	v_pk_min_f16 v9, v10, v9
	v_pk_max_f16 v10, v7, v7
	v_pk_add_f16 v9, v46, v9
	v_pk_min_f16 v10, v11, v10
	s_nop 0
	v_pk_add_f16 v9, v9, v10
	s_nop 0
	v_add_f16_sdwa v9, v9, v9 dst_sel:DWORD dst_unused:UNUSED_PAD src0_sel:DWORD src1_sel:WORD_1
	v_add_f16_e32 v10, v9, v8
	v_lshl_add_u64 v[8:9], v[34:35], 1, v[4:5]
	global_store_short v[8:9], v10, off
	s_or_b64 exec, exec, s[2:3]
	s_and_b64 s[4:5], s[14:15], s[18:19]
	s_and_saveexec_b64 s[2:3], s[4:5]
	s_cbranch_execz .LBB304_162
.LBB304_188:
	s_and_b64 vcc, exec, s[0:1]
	s_cbranch_vccnz .LBB304_190
; %bb.189:
	v_lshl_add_u64 v[8:9], v[36:37], 1, v[20:21]
	global_load_ushort v8, v[8:9], off
	s_waitcnt vmcnt(0)
	v_mul_f16_e32 v8, s28, v8
	s_branch .LBB304_191
.LBB304_190:
	v_mov_b32_e32 v8, 0
.LBB304_191:
	v_pk_max_f16 v9, v6, v6
	v_pk_max_f16 v0, v0, v0
	v_pk_max_f16 v1, v1, v1
	v_pk_min_f16 v0, v0, v9
	v_pk_max_f16 v9, v7, v7
	v_pk_add_f16 v0, v45, v0
	v_pk_min_f16 v1, v1, v9
	s_nop 0
	v_pk_add_f16 v0, v0, v1
	s_nop 0
	v_add_f16_sdwa v0, v0, v0 dst_sel:DWORD dst_unused:UNUSED_PAD src0_sel:DWORD src1_sel:WORD_1
	v_add_f16_e32 v8, v0, v8
	v_lshl_add_u64 v[0:1], v[36:37], 1, v[4:5]
	global_store_short v[0:1], v8, off
	s_or_b64 exec, exec, s[2:3]
	s_and_b64 s[2:3], s[16:17], s[18:19]
	s_and_saveexec_b64 s[4:5], s[2:3]
	s_cbranch_execz .LBB304_163
.LBB304_192:
	s_and_b64 vcc, exec, s[0:1]
	s_cbranch_vccnz .LBB304_194
; %bb.193:
	v_lshl_add_u64 v[0:1], v[38:39], 1, v[20:21]
	global_load_ushort v0, v[0:1], off
	s_waitcnt vmcnt(0)
	v_mul_f16_e32 v0, s28, v0
	s_branch .LBB304_195
.LBB304_194:
	v_mov_b32_e32 v0, 0
.LBB304_195:
	v_pk_max_f16 v1, v6, v6
	v_pk_max_f16 v2, v2, v2
	;; [unrolled: 1-line block ×3, first 2 shown]
	v_pk_min_f16 v1, v2, v1
	v_pk_max_f16 v2, v7, v7
	v_pk_add_f16 v1, v44, v1
	v_pk_min_f16 v2, v3, v2
	s_nop 0
	v_pk_add_f16 v1, v1, v2
	s_nop 0
	v_add_f16_sdwa v1, v1, v1 dst_sel:DWORD dst_unused:UNUSED_PAD src0_sel:DWORD src1_sel:WORD_1
	v_add_f16_e32 v2, v1, v0
	v_lshl_add_u64 v[0:1], v[38:39], 1, v[4:5]
	global_store_short v[0:1], v2, off
	s_endpgm
	.section	.rodata,"a",@progbits
	.p2align	6, 0x0
	.amdhsa_kernel _ZN12_GLOBAL__N_120geam_min_plus_kernelIDF16_Dv2_DF16_S1_Li8ELi32ELi64ELi128ELi4ELi4ELi64ELi64ELi4ELc84ELc84ELb1ELb1ELb0EDF16_KDF16_DF16_EEviiiT16_PT17_ilS5_ilS3_S5_ilPT18_ili26rocblas_geam_ex_operation_
		.amdhsa_group_segment_fixed_size 3072
		.amdhsa_private_segment_fixed_size 0
		.amdhsa_kernarg_size 128
		.amdhsa_user_sgpr_count 2
		.amdhsa_user_sgpr_dispatch_ptr 0
		.amdhsa_user_sgpr_queue_ptr 0
		.amdhsa_user_sgpr_kernarg_segment_ptr 1
		.amdhsa_user_sgpr_dispatch_id 0
		.amdhsa_user_sgpr_kernarg_preload_length 0
		.amdhsa_user_sgpr_kernarg_preload_offset 0
		.amdhsa_user_sgpr_private_segment_size 0
		.amdhsa_uses_dynamic_stack 0
		.amdhsa_enable_private_segment 0
		.amdhsa_system_sgpr_workgroup_id_x 1
		.amdhsa_system_sgpr_workgroup_id_y 0
		.amdhsa_system_sgpr_workgroup_id_z 1
		.amdhsa_system_sgpr_workgroup_info 0
		.amdhsa_system_vgpr_workitem_id 1
		.amdhsa_next_free_vgpr 122
		.amdhsa_next_free_sgpr 36
		.amdhsa_accum_offset 124
		.amdhsa_reserve_vcc 1
		.amdhsa_float_round_mode_32 0
		.amdhsa_float_round_mode_16_64 0
		.amdhsa_float_denorm_mode_32 3
		.amdhsa_float_denorm_mode_16_64 3
		.amdhsa_dx10_clamp 1
		.amdhsa_ieee_mode 1
		.amdhsa_fp16_overflow 0
		.amdhsa_tg_split 0
		.amdhsa_exception_fp_ieee_invalid_op 0
		.amdhsa_exception_fp_denorm_src 0
		.amdhsa_exception_fp_ieee_div_zero 0
		.amdhsa_exception_fp_ieee_overflow 0
		.amdhsa_exception_fp_ieee_underflow 0
		.amdhsa_exception_fp_ieee_inexact 0
		.amdhsa_exception_int_div_zero 0
	.end_amdhsa_kernel
	.section	.text._ZN12_GLOBAL__N_120geam_min_plus_kernelIDF16_Dv2_DF16_S1_Li8ELi32ELi64ELi128ELi4ELi4ELi64ELi64ELi4ELc84ELc84ELb1ELb1ELb0EDF16_KDF16_DF16_EEviiiT16_PT17_ilS5_ilS3_S5_ilPT18_ili26rocblas_geam_ex_operation_,"axG",@progbits,_ZN12_GLOBAL__N_120geam_min_plus_kernelIDF16_Dv2_DF16_S1_Li8ELi32ELi64ELi128ELi4ELi4ELi64ELi64ELi4ELc84ELc84ELb1ELb1ELb0EDF16_KDF16_DF16_EEviiiT16_PT17_ilS5_ilS3_S5_ilPT18_ili26rocblas_geam_ex_operation_,comdat
.Lfunc_end304:
	.size	_ZN12_GLOBAL__N_120geam_min_plus_kernelIDF16_Dv2_DF16_S1_Li8ELi32ELi64ELi128ELi4ELi4ELi64ELi64ELi4ELc84ELc84ELb1ELb1ELb0EDF16_KDF16_DF16_EEviiiT16_PT17_ilS5_ilS3_S5_ilPT18_ili26rocblas_geam_ex_operation_, .Lfunc_end304-_ZN12_GLOBAL__N_120geam_min_plus_kernelIDF16_Dv2_DF16_S1_Li8ELi32ELi64ELi128ELi4ELi4ELi64ELi64ELi4ELc84ELc84ELb1ELb1ELb0EDF16_KDF16_DF16_EEviiiT16_PT17_ilS5_ilS3_S5_ilPT18_ili26rocblas_geam_ex_operation_
                                        ; -- End function
	.set _ZN12_GLOBAL__N_120geam_min_plus_kernelIDF16_Dv2_DF16_S1_Li8ELi32ELi64ELi128ELi4ELi4ELi64ELi64ELi4ELc84ELc84ELb1ELb1ELb0EDF16_KDF16_DF16_EEviiiT16_PT17_ilS5_ilS3_S5_ilPT18_ili26rocblas_geam_ex_operation_.num_vgpr, 122
	.set _ZN12_GLOBAL__N_120geam_min_plus_kernelIDF16_Dv2_DF16_S1_Li8ELi32ELi64ELi128ELi4ELi4ELi64ELi64ELi4ELc84ELc84ELb1ELb1ELb0EDF16_KDF16_DF16_EEviiiT16_PT17_ilS5_ilS3_S5_ilPT18_ili26rocblas_geam_ex_operation_.num_agpr, 0
	.set _ZN12_GLOBAL__N_120geam_min_plus_kernelIDF16_Dv2_DF16_S1_Li8ELi32ELi64ELi128ELi4ELi4ELi64ELi64ELi4ELc84ELc84ELb1ELb1ELb0EDF16_KDF16_DF16_EEviiiT16_PT17_ilS5_ilS3_S5_ilPT18_ili26rocblas_geam_ex_operation_.numbered_sgpr, 36
	.set _ZN12_GLOBAL__N_120geam_min_plus_kernelIDF16_Dv2_DF16_S1_Li8ELi32ELi64ELi128ELi4ELi4ELi64ELi64ELi4ELc84ELc84ELb1ELb1ELb0EDF16_KDF16_DF16_EEviiiT16_PT17_ilS5_ilS3_S5_ilPT18_ili26rocblas_geam_ex_operation_.num_named_barrier, 0
	.set _ZN12_GLOBAL__N_120geam_min_plus_kernelIDF16_Dv2_DF16_S1_Li8ELi32ELi64ELi128ELi4ELi4ELi64ELi64ELi4ELc84ELc84ELb1ELb1ELb0EDF16_KDF16_DF16_EEviiiT16_PT17_ilS5_ilS3_S5_ilPT18_ili26rocblas_geam_ex_operation_.private_seg_size, 0
	.set _ZN12_GLOBAL__N_120geam_min_plus_kernelIDF16_Dv2_DF16_S1_Li8ELi32ELi64ELi128ELi4ELi4ELi64ELi64ELi4ELc84ELc84ELb1ELb1ELb0EDF16_KDF16_DF16_EEviiiT16_PT17_ilS5_ilS3_S5_ilPT18_ili26rocblas_geam_ex_operation_.uses_vcc, 1
	.set _ZN12_GLOBAL__N_120geam_min_plus_kernelIDF16_Dv2_DF16_S1_Li8ELi32ELi64ELi128ELi4ELi4ELi64ELi64ELi4ELc84ELc84ELb1ELb1ELb0EDF16_KDF16_DF16_EEviiiT16_PT17_ilS5_ilS3_S5_ilPT18_ili26rocblas_geam_ex_operation_.uses_flat_scratch, 0
	.set _ZN12_GLOBAL__N_120geam_min_plus_kernelIDF16_Dv2_DF16_S1_Li8ELi32ELi64ELi128ELi4ELi4ELi64ELi64ELi4ELc84ELc84ELb1ELb1ELb0EDF16_KDF16_DF16_EEviiiT16_PT17_ilS5_ilS3_S5_ilPT18_ili26rocblas_geam_ex_operation_.has_dyn_sized_stack, 0
	.set _ZN12_GLOBAL__N_120geam_min_plus_kernelIDF16_Dv2_DF16_S1_Li8ELi32ELi64ELi128ELi4ELi4ELi64ELi64ELi4ELc84ELc84ELb1ELb1ELb0EDF16_KDF16_DF16_EEviiiT16_PT17_ilS5_ilS3_S5_ilPT18_ili26rocblas_geam_ex_operation_.has_recursion, 0
	.set _ZN12_GLOBAL__N_120geam_min_plus_kernelIDF16_Dv2_DF16_S1_Li8ELi32ELi64ELi128ELi4ELi4ELi64ELi64ELi4ELc84ELc84ELb1ELb1ELb0EDF16_KDF16_DF16_EEviiiT16_PT17_ilS5_ilS3_S5_ilPT18_ili26rocblas_geam_ex_operation_.has_indirect_call, 0
	.section	.AMDGPU.csdata,"",@progbits
; Kernel info:
; codeLenInByte = 11176
; TotalNumSgprs: 42
; NumVgprs: 122
; NumAgprs: 0
; TotalNumVgprs: 122
; ScratchSize: 0
; MemoryBound: 0
; FloatMode: 240
; IeeeMode: 1
; LDSByteSize: 3072 bytes/workgroup (compile time only)
; SGPRBlocks: 5
; VGPRBlocks: 15
; NumSGPRsForWavesPerEU: 42
; NumVGPRsForWavesPerEU: 122
; AccumOffset: 124
; Occupancy: 4
; WaveLimiterHint : 0
; COMPUTE_PGM_RSRC2:SCRATCH_EN: 0
; COMPUTE_PGM_RSRC2:USER_SGPR: 2
; COMPUTE_PGM_RSRC2:TRAP_HANDLER: 0
; COMPUTE_PGM_RSRC2:TGID_X_EN: 1
; COMPUTE_PGM_RSRC2:TGID_Y_EN: 0
; COMPUTE_PGM_RSRC2:TGID_Z_EN: 1
; COMPUTE_PGM_RSRC2:TIDIG_COMP_CNT: 1
; COMPUTE_PGM_RSRC3_GFX90A:ACCUM_OFFSET: 30
; COMPUTE_PGM_RSRC3_GFX90A:TG_SPLIT: 0
	.section	.text._ZN12_GLOBAL__N_120geam_min_plus_kernelIDF16_Dv2_DF16_S1_Li8ELi32ELi64ELi128ELi4ELi4ELi64ELi64ELi4ELc84ELc84ELb0ELb1ELb0EDF16_KDF16_DF16_EEviiiT16_PT17_ilS5_ilS3_S5_ilPT18_ili26rocblas_geam_ex_operation_,"axG",@progbits,_ZN12_GLOBAL__N_120geam_min_plus_kernelIDF16_Dv2_DF16_S1_Li8ELi32ELi64ELi128ELi4ELi4ELi64ELi64ELi4ELc84ELc84ELb0ELb1ELb0EDF16_KDF16_DF16_EEviiiT16_PT17_ilS5_ilS3_S5_ilPT18_ili26rocblas_geam_ex_operation_,comdat
	.globl	_ZN12_GLOBAL__N_120geam_min_plus_kernelIDF16_Dv2_DF16_S1_Li8ELi32ELi64ELi128ELi4ELi4ELi64ELi64ELi4ELc84ELc84ELb0ELb1ELb0EDF16_KDF16_DF16_EEviiiT16_PT17_ilS5_ilS3_S5_ilPT18_ili26rocblas_geam_ex_operation_ ; -- Begin function _ZN12_GLOBAL__N_120geam_min_plus_kernelIDF16_Dv2_DF16_S1_Li8ELi32ELi64ELi128ELi4ELi4ELi64ELi64ELi4ELc84ELc84ELb0ELb1ELb0EDF16_KDF16_DF16_EEviiiT16_PT17_ilS5_ilS3_S5_ilPT18_ili26rocblas_geam_ex_operation_
	.p2align	8
	.type	_ZN12_GLOBAL__N_120geam_min_plus_kernelIDF16_Dv2_DF16_S1_Li8ELi32ELi64ELi128ELi4ELi4ELi64ELi64ELi4ELc84ELc84ELb0ELb1ELb0EDF16_KDF16_DF16_EEviiiT16_PT17_ilS5_ilS3_S5_ilPT18_ili26rocblas_geam_ex_operation_,@function
_ZN12_GLOBAL__N_120geam_min_plus_kernelIDF16_Dv2_DF16_S1_Li8ELi32ELi64ELi128ELi4ELi4ELi64ELi64ELi4ELc84ELc84ELb0ELb1ELb0EDF16_KDF16_DF16_EEviiiT16_PT17_ilS5_ilS3_S5_ilPT18_ili26rocblas_geam_ex_operation_: ; @_ZN12_GLOBAL__N_120geam_min_plus_kernelIDF16_Dv2_DF16_S1_Li8ELi32ELi64ELi128ELi4ELi4ELi64ELi64ELi4ELc84ELc84ELb0ELb1ELb0EDF16_KDF16_DF16_EEviiiT16_PT17_ilS5_ilS3_S5_ilPT18_ili26rocblas_geam_ex_operation_
; %bb.0:
	s_load_dwordx4 s[20:23], s[0:1], 0x0
	s_load_dwordx4 s[4:7], s[0:1], 0x20
	s_waitcnt lgkmcnt(0)
	v_cmp_eq_f16_e64 s[8:9], s23, 0
	v_cmp_neq_f16_e64 s[14:15], s23, 0
	s_and_b64 vcc, exec, s[8:9]
	s_cbranch_vccnz .LBB305_37
; %bb.1:
	s_load_dwordx2 s[10:11], s[0:1], 0x10
	s_mul_i32 s5, s5, s3
	s_mul_hi_u32 s12, s4, s3
	s_add_i32 s5, s12, s5
	s_mul_i32 s4, s4, s3
	s_lshl_b64 s[4:5], s[4:5], 1
	s_waitcnt lgkmcnt(0)
	s_add_u32 s26, s10, s4
	s_addc_u32 s27, s11, s5
	s_andn2_b64 vcc, exec, s[8:9]
	s_mov_b64 s[4:5], -1
	s_cbranch_vccnz .LBB305_3
.LBB305_2:
	s_mov_b64 s[4:5], 0
.LBB305_3:
	s_mov_b64 s[24:25], 0
	s_andn2_b64 vcc, exec, s[4:5]
	s_mov_b64 s[16:17], 0
	s_cbranch_vccnz .LBB305_5
; %bb.4:
	s_load_dwordx2 s[4:5], s[0:1], 0x38
	s_waitcnt lgkmcnt(0)
	s_mul_i32 s5, s5, s3
	s_mul_hi_u32 s8, s4, s3
	s_add_i32 s5, s8, s5
	s_mul_i32 s4, s4, s3
	s_lshl_b64 s[4:5], s[4:5], 1
	s_add_u32 s16, s6, s4
	s_addc_u32 s17, s7, s5
.LBB305_5:
	s_load_dword s30, s[0:1], 0x40
	s_load_dwordx4 s[8:11], s[0:1], 0x58
	s_waitcnt lgkmcnt(0)
	v_cmp_eq_f16_e64 s[4:5], s30, 0
	v_cmp_neq_f16_e64 s[12:13], s30, 0
	s_and_b64 vcc, exec, s[4:5]
	s_cbranch_vccnz .LBB305_7
; %bb.6:
	s_load_dwordx2 s[4:5], s[0:1], 0x48
	s_mul_i32 s6, s9, s3
	s_mul_hi_u32 s7, s8, s3
	s_add_i32 s7, s7, s6
	s_mul_i32 s6, s8, s3
	s_lshl_b64 s[6:7], s[6:7], 1
	s_waitcnt lgkmcnt(0)
	s_add_u32 s24, s4, s6
	s_addc_u32 s25, s5, s7
.LBB305_7:
	s_add_i32 s4, s20, -1
	s_ashr_i32 s5, s4, 31
	s_lshr_b32 s5, s5, 26
	s_add_i32 s4, s4, s5
	s_ashr_i32 s4, s4, 6
	s_add_i32 s5, s4, 1
	v_cvt_f32_u32_e32 v1, s5
	v_and_b32_e32 v30, 0x3ff, v0
	v_bfe_u32 v31, v0, 10, 10
	v_and_b32_e32 v32, 3, v0
	v_rcp_iflag_f32_e32 v1, v1
	s_not_b32 s4, s4
	v_lshl_add_u32 v2, v31, 3, v30
	s_load_dword s35, s[0:1], 0x18
	v_mul_f32_e32 v0, 0x4f7ffffe, v1
	v_cvt_u32_f32_e32 v0, v0
	v_lshrrev_b32_e32 v7, 2, v2
	v_mov_b32_e32 v8, 0
	v_mov_b32_e32 v9, 0
	v_readfirstlane_b32 s6, v0
	s_mul_i32 s4, s4, s6
	s_mul_hi_u32 s4, s6, s4
	s_add_i32 s6, s6, s4
	s_mul_hi_u32 s4, s2, s6
	s_mul_i32 s6, s4, s5
	s_sub_i32 s6, s2, s6
	s_add_i32 s7, s4, 1
	s_sub_i32 s8, s6, s5
	s_cmp_ge_u32 s6, s5
	s_cselect_b32 s4, s7, s4
	s_cselect_b32 s6, s8, s6
	s_add_i32 s7, s4, 1
	s_cmp_ge_u32 s6, s5
	s_cselect_b32 s6, s7, s4
	s_mul_i32 s4, s6, s5
	s_sub_i32 s2, s2, s4
	s_lshl_b32 s2, s2, 6
	v_add_u32_e32 v4, s2, v7
	v_cmp_gt_i32_e64 s[4:5], s22, v32
	v_cmp_gt_i32_e32 vcc, s20, v4
	s_and_b64 s[4:5], s[4:5], vcc
	s_and_b64 s[8:9], s[14:15], s[4:5]
	v_lshlrev_b32_e32 v0, 1, v32
	s_and_saveexec_b64 s[4:5], s[8:9]
	s_cbranch_execz .LBB305_9
; %bb.8:
	s_waitcnt lgkmcnt(0)
	v_mad_i64_i32 v[10:11], s[8:9], v4, s35, 0
	v_lshl_add_u64 v[10:11], v[10:11], 1, s[26:27]
	v_mov_b32_e32 v1, 0
	v_lshl_add_u64 v[10:11], v[10:11], 0, v[0:1]
	global_load_ushort v1, v[10:11], off
	s_waitcnt vmcnt(0)
	v_mul_f16_e32 v9, s23, v1
.LBB305_9:
	s_or_b64 exec, exec, s[4:5]
	s_load_dword s33, s[0:1], 0x30
	v_and_b32_e32 v10, 63, v2
	v_lshrrev_b32_e32 v33, 6, v2
	s_lshl_b32 s31, s6, 7
	s_add_i32 s34, s22, -1
	v_or_b32_e32 v24, s31, v10
	v_min_i32_e32 v1, s34, v33
	v_cmp_le_i32_e64 s[6:7], s22, v33
	s_waitcnt lgkmcnt(0)
	v_mad_i64_i32 v[2:3], s[4:5], s33, v1, 0
	v_cmp_le_i32_e64 s[8:9], s21, v24
	s_or_b64 s[4:5], s[8:9], s[6:7]
	s_xor_b64 s[18:19], s[14:15], -1
	v_lshl_add_u64 v[2:3], v[2:3], 1, s[16:17]
	s_nor_b64 s[28:29], s[4:5], s[18:19]
	v_ashrrev_i32_e32 v25, 31, v24
	s_and_saveexec_b64 s[4:5], s[28:29]
	s_cbranch_execz .LBB305_11
; %bb.10:
	v_lshl_add_u64 v[12:13], v[24:25], 1, v[2:3]
	global_load_ushort v1, v[12:13], off
	s_waitcnt vmcnt(0)
	v_mul_f16_e32 v8, s23, v1
.LBB305_11:
	s_or_b64 exec, exec, s[4:5]
	v_or_b32_e32 v1, 64, v24
	v_cmp_le_i32_e64 s[4:5], s21, v1
	s_or_b64 s[6:7], s[4:5], s[6:7]
	s_nor_b64 s[28:29], s[6:7], s[18:19]
	v_mov_b32_e32 v1, 0
	v_mov_b32_e32 v11, 0
	s_and_saveexec_b64 s[6:7], s[28:29]
	s_cbranch_execz .LBB305_13
; %bb.12:
	v_lshl_add_u64 v[2:3], v[24:25], 1, v[2:3]
	global_load_ushort v2, v[2:3], off offset:128
	s_waitcnt vmcnt(0)
	v_mul_f16_e32 v11, s23, v2
.LBB305_13:
	s_or_b64 exec, exec, s[6:7]
	v_or_b32_e32 v2, 4, v32
	v_cmp_gt_i32_e64 s[6:7], s22, v2
	s_and_b64 s[6:7], s[6:7], vcc
	s_and_b64 s[28:29], s[14:15], s[6:7]
	s_and_saveexec_b64 s[6:7], s[28:29]
	s_cbranch_execz .LBB305_15
; %bb.14:
	v_mad_i64_i32 v[2:3], s[28:29], v4, s35, 0
	v_lshl_add_u64 v[2:3], v[2:3], 1, s[26:27]
	v_mov_b32_e32 v1, 0
	v_lshl_add_u64 v[2:3], v[2:3], 0, v[0:1]
	global_load_ushort v1, v[2:3], off offset:8
	s_waitcnt vmcnt(0)
	v_mul_f16_e32 v1, s23, v1
.LBB305_15:
	s_or_b64 exec, exec, s[6:7]
	v_add_u32_e32 v2, 4, v33
	v_cmp_le_i32_e64 s[6:7], s22, v2
	v_min_i32_e32 v2, s34, v2
	v_mad_i64_i32 v[2:3], s[28:29], s33, v2, 0
	s_or_b64 s[28:29], s[8:9], s[6:7]
	v_lshl_add_u64 v[2:3], v[2:3], 1, s[16:17]
	s_nor_b64 s[36:37], s[28:29], s[18:19]
	v_mov_b32_e32 v5, 0
	v_mov_b32_e32 v6, 0
	s_and_saveexec_b64 s[28:29], s[36:37]
	s_cbranch_execz .LBB305_17
; %bb.16:
	v_lshl_add_u64 v[12:13], v[24:25], 1, v[2:3]
	global_load_ushort v6, v[12:13], off
	s_waitcnt vmcnt(0)
	v_mul_f16_e32 v6, s23, v6
.LBB305_17:
	s_or_b64 exec, exec, s[28:29]
	s_or_b64 s[6:7], s[4:5], s[6:7]
	s_nor_b64 s[28:29], s[6:7], s[18:19]
	s_and_saveexec_b64 s[6:7], s[28:29]
	s_cbranch_execz .LBB305_19
; %bb.18:
	v_lshl_add_u64 v[2:3], v[24:25], 1, v[2:3]
	global_load_ushort v2, v[2:3], off offset:128
	s_waitcnt vmcnt(0)
	v_mul_f16_e32 v5, s23, v2
.LBB305_19:
	s_or_b64 exec, exec, s[6:7]
	v_lshlrev_b32_e32 v2, 3, v10
	v_lshl_or_b32 v0, v7, 3, v0
	v_lshl_add_u32 v36, v33, 1, v2
	v_lshlrev_b32_e32 v35, 3, v30
	v_lshlrev_b32_e32 v34, 3, v31
	ds_write_b16 v0, v9 offset:2048
	ds_write_b16 v36, v8
	ds_write_b16 v36, v11 offset:512
	s_waitcnt lgkmcnt(0)
	s_barrier
	ds_read2_b64 v[8:11], v34 offset1:32
	v_add_u32_e32 v37, 0x800, v35
	ds_read2_b64 v[12:15], v37 offset0:48 offset1:56
	ds_read2_b64 v[16:19], v34 offset0:64 offset1:96
	ds_read2_b64 v[20:23], v37 offset1:8
	ds_read2_b64 v[26:29], v37 offset0:16 offset1:24
	ds_read2_b64 v[38:41], v37 offset0:32 offset1:40
	s_waitcnt lgkmcnt(5)
	v_pk_max_f16 v2, v8, v8
	s_waitcnt lgkmcnt(4)
	v_pk_max_f16 v3, v14, v14
	v_pk_max_f16 v8, v10, v10
	v_pk_min_f16 v7, v3, v2
	s_waitcnt lgkmcnt(3)
	v_pk_max_f16 v10, v16, v16
	s_waitcnt lgkmcnt(2)
	v_pk_max_f16 v14, v20, v20
	v_pk_max_f16 v18, v18, v18
	;; [unrolled: 1-line block ×3, first 2 shown]
	s_waitcnt lgkmcnt(1)
	v_pk_max_f16 v26, v26, v26
	v_pk_max_f16 v28, v28, v28
	s_waitcnt lgkmcnt(0)
	v_pk_max_f16 v38, v38, v38
	v_pk_max_f16 v9, v9, v9
	;; [unrolled: 1-line block ×5, first 2 shown]
	v_pk_min_f16 v16, v14, v2
	v_pk_min_f16 v20, v14, v8
	;; [unrolled: 1-line block ×17, first 2 shown]
	v_pk_max_f16 v11, v11, v11
	v_pk_min_f16 v61, v38, v8
	v_pk_min_f16 v62, v38, v10
	v_pk_min_f16 v38, v38, v18
	v_pk_min_f16 v63, v40, v2
	v_pk_min_f16 v64, v40, v8
	v_pk_min_f16 v69, v40, v10
	v_pk_min_f16 v40, v40, v18
	v_pk_min_f16 v2, v12, v2
	v_pk_min_f16 v49, v3, v8
	v_pk_min_f16 v8, v12, v8
	v_pk_min_f16 v50, v3, v10
	v_pk_min_f16 v10, v12, v10
	v_pk_min_f16 v12, v12, v18
	v_pk_min_f16 v3, v3, v18
	v_pk_add_f16 v7, v7, 0
	v_pk_min_f16 v18, v15, v9
	v_pk_max_f16 v17, v17, v17
	v_pk_add_f16 v68, v7, v18
	v_pk_add_f16 v7, v49, 0
	v_pk_min_f16 v18, v15, v11
	v_pk_max_f16 v21, v21, v21
	v_pk_add_f16 v60, v7, v18
	;; [unrolled: 4-line block ×5, first 2 shown]
	v_pk_add_f16 v7, v42, 0
	v_pk_min_f16 v16, v21, v17
	v_pk_add_f16 v18, v28, 0
	v_pk_add_f16 v59, v7, v16
	v_pk_add_f16 v7, v14, 0
	v_pk_min_f16 v14, v21, v19
	v_pk_add_f16 v20, v56, 0
	v_pk_add_f16 v51, v7, v14
	;; [unrolled: 4-line block ×6, first 2 shown]
	v_pk_max_f16 v14, v27, v27
	v_pk_add_f16 v7, v46, 0
	v_pk_min_f16 v16, v14, v9
	v_pk_add_f16 v38, v40, 0
	v_pk_add_f16 v72, v7, v16
	;; [unrolled: 1-line block ×3, first 2 shown]
	v_pk_min_f16 v16, v14, v11
	v_pk_min_f16 v40, v29, v9
	v_pk_add_f16 v65, v7, v16
	v_pk_add_f16 v7, v48, 0
	v_pk_min_f16 v16, v14, v17
	v_pk_min_f16 v14, v14, v19
	v_pk_add_f16 v57, v7, v16
	v_pk_add_f16 v7, v26, 0
	;; [unrolled: 1-line block ×7, first 2 shown]
	v_pk_min_f16 v7, v29, v11
	v_pk_add_f16 v27, v64, 0
	v_pk_add_f16 v64, v14, v7
	v_pk_min_f16 v7, v29, v17
	v_pk_add_f16 v26, v63, 0
	v_pk_add_f16 v56, v16, v7
	v_pk_min_f16 v7, v29, v19
	v_pk_add_f16 v22, v62, 0
	v_pk_add_f16 v48, v18, v7
	v_pk_max_f16 v7, v39, v39
	v_pk_add_f16 v10, v10, 0
	v_pk_min_f16 v14, v7, v9
	v_pk_add_f16 v12, v12, 0
	v_pk_add_f16 v70, v20, v14
	v_pk_min_f16 v14, v7, v11
	v_pk_add_f16 v28, v69, 0
	v_pk_add_f16 v63, v21, v14
	v_pk_min_f16 v14, v7, v17
	v_pk_min_f16 v7, v7, v19
	v_pk_add_f16 v55, v22, v14
	v_pk_add_f16 v47, v23, v7
	v_pk_max_f16 v7, v41, v41
	v_pk_add_f16 v3, v3, 0
	v_pk_min_f16 v14, v7, v9
	s_mov_b32 s28, 0
	v_pk_add_f16 v39, v26, v14
	v_pk_min_f16 v14, v7, v11
	s_cmp_lt_i32 s22, 9
	v_pk_add_f16 v62, v27, v14
	v_pk_min_f16 v14, v7, v17
	v_pk_min_f16 v7, v7, v19
	v_pk_add_f16 v54, v28, v14
	v_pk_add_f16 v46, v38, v7
	v_pk_max_f16 v7, v13, v13
	ds_write_b16 v0, v1 offset:2560
	ds_write_b16 v36, v6 offset:1024
	;; [unrolled: 1-line block ×3, first 2 shown]
	v_pk_min_f16 v9, v7, v9
	s_waitcnt lgkmcnt(0)
	v_pk_add_f16 v38, v2, v9
	v_pk_min_f16 v2, v7, v11
	s_barrier
	v_pk_add_f16 v61, v8, v2
	v_pk_min_f16 v2, v7, v17
	s_nop 0
	v_pk_add_f16 v53, v10, v2
	v_pk_min_f16 v2, v7, v19
	s_nop 0
	v_pk_add_f16 v45, v12, v2
	v_pk_min_f16 v2, v15, v19
	s_nop 0
	v_pk_add_f16 v44, v3, v2
	s_cbranch_scc1 .LBB305_34
; %bb.20:
	v_add_u32_e32 v40, 0x800, v0
	v_add_u32_e32 v41, 0xa00, v0
	v_mov_b32_e32 v0, 0xa00
	v_lshl_add_u32 v43, v30, 3, v0
	v_mov_b32_e32 v0, 0x400
	v_and_b32_e32 v2, 3, v30
	v_lshl_add_u32 v69, v31, 3, v0
	v_mad_i64_i32 v[0:1], s[6:7], s35, v4, 0
	v_lshlrev_b32_e32 v2, 1, v2
	v_mov_b32_e32 v3, 0
	v_lshl_add_u64 v[0:1], v[0:1], 1, v[2:3]
	v_lshl_add_u64 v[0:1], s[26:27], 0, v[0:1]
	v_add_u32_e32 v42, 0x400, v36
	s_add_i32 s29, s22, -8
	v_lshl_add_u64 v[26:27], v[0:1], 0, 16
	s_branch .LBB305_22
.LBB305_21:                             ;   in Loop: Header=BB305_22 Depth=1
	s_or_b64 exec, exec, s[6:7]
	v_pk_max_f16 v2, v2, v2
	v_pk_max_f16 v20, v20, v20
	;; [unrolled: 1-line block ×24, first 2 shown]
	v_pk_min_f16 v88, v4, v20
	v_pk_min_f16 v89, v4, v22
	;; [unrolled: 1-line block ×64, first 2 shown]
	v_pk_add_f16 v1, v68, v94
	v_pk_add_f16 v3, v60, v95
	;; [unrolled: 1-line block ×13, first 2 shown]
	ds_read2_b64 v[0:3], v37 offset0:48 offset1:56
	ds_read2_b64 v[4:7], v34 offset1:32
	v_pk_add_f16 v12, v51, v12
	v_pk_add_f16 v65, v65, v83
	;; [unrolled: 1-line block ×4, first 2 shown]
	s_waitcnt lgkmcnt(1)
	v_pk_max_f16 v2, v2, v2
	s_waitcnt lgkmcnt(0)
	v_pk_max_f16 v4, v4, v4
	v_pk_add_f16 v28, v74, v28
	v_pk_add_f16 v59, v59, v78
	;; [unrolled: 1-line block ×10, first 2 shown]
	ds_read2_b64 v[8:11], v34 offset0:64 offset1:96
	v_pk_min_f16 v12, v2, v4
	v_pk_add_f16 v18, v28, v18
	v_pk_add_f16 v28, v29, v97
	;; [unrolled: 1-line block ×6, first 2 shown]
	ds_read2_b64 v[12:15], v37 offset1:8
	v_pk_max_f16 v6, v6, v6
	v_pk_add_f16 v52, v52, v96
	v_pk_add_f16 v49, v71, v85
	v_pk_add_f16 v71, v16, v17
	v_pk_min_f16 v16, v2, v6
	s_waitcnt lgkmcnt(1)
	v_pk_max_f16 v8, v8, v8
	v_pk_add_f16 v52, v52, v116
	v_pk_add_f16 v46, v46, v16
	v_pk_min_f16 v16, v2, v8
	s_waitcnt lgkmcnt(0)
	v_pk_max_f16 v12, v12, v12
	v_pk_add_f16 v52, v52, v16
	v_pk_min_f16 v16, v12, v4
	v_pk_add_f16 v50, v72, v82
	v_pk_add_f16 v72, v18, v16
	v_pk_min_f16 v16, v12, v6
	v_pk_add_f16 v51, v73, v79
	v_pk_add_f16 v28, v28, v16
	v_pk_min_f16 v16, v12, v8
	v_pk_max_f16 v10, v10, v10
	v_pk_max_f16 v14, v14, v14
	v_pk_add_f16 v51, v51, v99
	v_pk_add_f16 v29, v29, v16
	v_pk_min_f16 v12, v12, v10
	v_pk_min_f16 v16, v14, v4
	v_pk_add_f16 v12, v53, v12
	v_pk_add_f16 v53, v51, v16
	v_pk_min_f16 v16, v14, v6
	v_pk_add_f16 v44, v44, v19
	v_pk_add_f16 v78, v59, v16
	ds_read2_b64 v[16:19], v37 offset0:16 offset1:24
	v_pk_add_f16 v58, v58, v81
	v_pk_add_f16 v68, v20, v21
	;; [unrolled: 1-line block ×3, first 2 shown]
	v_pk_min_f16 v20, v14, v8
	s_waitcnt lgkmcnt(0)
	v_pk_max_f16 v16, v16, v16
	v_pk_add_f16 v50, v50, v102
	v_pk_add_f16 v58, v58, v20
	v_pk_min_f16 v20, v16, v4
	v_pk_add_f16 v57, v57, v84
	v_pk_add_f16 v79, v50, v20
	v_pk_min_f16 v20, v16, v6
	;; [unrolled: 3-line block ×3, first 2 shown]
	v_pk_max_f16 v18, v18, v18
	v_pk_add_f16 v64, v64, v86
	v_pk_add_f16 v49, v49, v105
	;; [unrolled: 1-line block ×3, first 2 shown]
	v_pk_min_f16 v16, v16, v10
	v_pk_min_f16 v20, v18, v4
	v_pk_add_f16 v64, v64, v106
	v_pk_add_f16 v16, v62, v16
	;; [unrolled: 1-line block ×3, first 2 shown]
	v_pk_min_f16 v20, v18, v6
	v_pk_add_f16 v48, v70, v88
	v_pk_add_f16 v70, v22, v23
	;; [unrolled: 1-line block ×3, first 2 shown]
	ds_read2_b64 v[20:23], v37 offset0:32 offset1:40
	v_pk_add_f16 v56, v56, v87
	v_pk_min_f16 v49, v18, v8
	v_pk_add_f16 v56, v56, v107
	v_pk_add_f16 v63, v63, v89
	s_waitcnt lgkmcnt(0)
	v_pk_max_f16 v20, v20, v20
	v_pk_add_f16 v48, v48, v108
	v_pk_add_f16 v56, v56, v49
	v_pk_min_f16 v49, v20, v4
	v_pk_add_f16 v55, v55, v90
	v_pk_add_f16 v63, v63, v109
	;; [unrolled: 1-line block ×3, first 2 shown]
	v_pk_min_f16 v48, v20, v6
	v_pk_add_f16 v39, v39, v91
	v_pk_add_f16 v55, v55, v110
	v_pk_add_f16 v63, v63, v48
	v_pk_min_f16 v48, v20, v8
	v_pk_max_f16 v22, v22, v22
	v_pk_add_f16 v39, v39, v111
	v_pk_add_f16 v55, v55, v48
	v_pk_min_f16 v48, v22, v4
	v_pk_add_f16 v47, v47, v112
	v_pk_add_f16 v39, v39, v48
	v_pk_min_f16 v48, v22, v6
	v_pk_max_f16 v0, v0, v0
	v_pk_max_f16 v3, v3, v3
	;; [unrolled: 1-line block ×3, first 2 shown]
	v_pk_min_f16 v14, v14, v10
	v_pk_min_f16 v18, v18, v10
	;; [unrolled: 1-line block ×3, first 2 shown]
	v_pk_add_f16 v81, v47, v48
	v_pk_min_f16 v47, v22, v8
	v_pk_min_f16 v22, v22, v10
	;; [unrolled: 1-line block ×8, first 2 shown]
	v_pk_max_f16 v7, v7, v7
	v_pk_add_f16 v4, v68, v4
	v_pk_add_f16 v68, v45, v10
	v_pk_min_f16 v10, v3, v7
	v_pk_max_f16 v9, v9, v9
	v_pk_add_f16 v14, v60, v14
	v_pk_add_f16 v60, v46, v10
	v_pk_min_f16 v10, v3, v9
	v_pk_max_f16 v11, v11, v11
	v_pk_add_f16 v52, v52, v10
	v_pk_max_f16 v10, v13, v13
	v_pk_add_f16 v22, v67, v22
	v_pk_min_f16 v13, v10, v5
	v_pk_add_f16 v20, v66, v20
	v_pk_add_f16 v74, v72, v13
	v_pk_min_f16 v13, v10, v7
	v_pk_add_f16 v18, v65, v18
	v_pk_add_f16 v67, v28, v13
	v_pk_min_f16 v13, v10, v9
	v_pk_min_f16 v10, v10, v11
	v_pk_add_f16 v8, v71, v8
	v_pk_add_f16 v51, v12, v10
	v_pk_max_f16 v10, v15, v15
	v_pk_add_f16 v54, v54, v93
	v_pk_min_f16 v12, v10, v5
	v_pk_add_f16 v6, v70, v6
	v_pk_add_f16 v73, v53, v12
	v_pk_min_f16 v12, v10, v7
	v_pk_add_f16 v54, v54, v113
	v_pk_add_f16 v66, v78, v12
	v_pk_min_f16 v12, v10, v9
	v_pk_min_f16 v10, v10, v11
	v_pk_add_f16 v58, v58, v12
	v_pk_add_f16 v50, v14, v10
	v_pk_max_f16 v10, v17, v17
	v_pk_add_f16 v54, v54, v47
	v_pk_min_f16 v12, v10, v5
	v_pk_max_f16 v1, v1, v1
	v_pk_add_f16 v72, v79, v12
	v_pk_min_f16 v12, v10, v7
	v_pk_add_f16 v38, v38, v117
	v_pk_add_f16 v65, v61, v12
	v_pk_min_f16 v12, v10, v9
	v_pk_min_f16 v10, v10, v11
	v_pk_add_f16 v57, v57, v12
	v_pk_add_f16 v49, v16, v10
	v_pk_max_f16 v10, v19, v19
	v_pk_add_f16 v0, v38, v0
	v_pk_min_f16 v12, v10, v5
	v_pk_add_f16 v2, v44, v2
	v_pk_add_f16 v71, v62, v12
	v_pk_min_f16 v12, v10, v7
	s_add_i32 s28, s28, 8
	v_pk_add_f16 v64, v64, v12
	v_pk_min_f16 v12, v10, v9
	v_pk_min_f16 v10, v10, v11
	v_pk_add_f16 v56, v56, v12
	v_pk_add_f16 v48, v18, v10
	v_pk_max_f16 v10, v21, v21
	v_pk_add_f16 v59, v29, v13
	v_pk_min_f16 v12, v10, v5
	s_cmp_ge_i32 s28, s29
	v_pk_add_f16 v70, v80, v12
	v_pk_min_f16 v12, v10, v7
	v_lshl_add_u64 v[26:27], v[26:27], 0, 16
	v_pk_add_f16 v63, v63, v12
	v_pk_min_f16 v12, v10, v9
	v_pk_min_f16 v10, v10, v11
	v_pk_add_f16 v55, v55, v12
	v_pk_add_f16 v47, v20, v10
	v_pk_max_f16 v10, v23, v23
	ds_write_b16 v41, v76
	ds_write_b16 v42, v75
	ds_write_b16 v42, v77 offset:512
	v_pk_min_f16 v12, v10, v5
	v_pk_min_f16 v5, v1, v5
	v_pk_add_f16 v39, v39, v12
	v_pk_add_f16 v38, v4, v5
	v_pk_min_f16 v4, v1, v7
	v_pk_min_f16 v12, v10, v7
	v_pk_add_f16 v61, v6, v4
	v_pk_min_f16 v4, v1, v9
	v_pk_min_f16 v1, v1, v11
	;; [unrolled: 3-line block ×3, first 2 shown]
	v_pk_add_f16 v45, v0, v1
	v_pk_min_f16 v0, v3, v11
	v_pk_add_f16 v54, v54, v12
	v_pk_add_f16 v46, v22, v10
	;; [unrolled: 1-line block ×4, first 2 shown]
	s_waitcnt lgkmcnt(0)
	s_barrier
	s_cbranch_scc1 .LBB305_34
.LBB305_22:                             ; =>This Inner Loop Header: Depth=1
	v_add_u32_e32 v29, s28, v32
	v_add_u32_e32 v0, 8, v29
	v_cmp_gt_i32_e64 s[6:7], s22, v0
	s_and_b64 s[6:7], s[6:7], vcc
	s_and_b64 s[26:27], s[14:15], s[6:7]
	v_mov_b32_e32 v75, 0
	s_and_saveexec_b64 s[6:7], s[26:27]
	s_cbranch_execz .LBB305_24
; %bb.23:                               ;   in Loop: Header=BB305_22 Depth=1
	global_load_ushort v0, v[26:27], off
	s_waitcnt vmcnt(0)
	v_mul_f16_e32 v75, s23, v0
.LBB305_24:                             ;   in Loop: Header=BB305_22 Depth=1
	s_or_b64 exec, exec, s[6:7]
	v_add_u32_e32 v28, s28, v33
	v_add_u32_e32 v0, 8, v28
	v_cmp_le_i32_e64 s[6:7], s22, v0
	v_min_i32_e32 v0, s34, v0
	v_mad_i64_i32 v[0:1], s[26:27], v0, s33, 0
	v_lshl_add_u64 v[0:1], v[0:1], 1, s[16:17]
	s_or_b64 s[26:27], s[8:9], s[6:7]
	s_nor_b64 s[36:37], s[26:27], s[18:19]
	v_mov_b32_e32 v76, 0
	v_lshl_add_u64 v[0:1], v[24:25], 1, v[0:1]
	v_mov_b32_e32 v77, 0
	s_and_saveexec_b64 s[26:27], s[36:37]
	s_cbranch_execz .LBB305_26
; %bb.25:                               ;   in Loop: Header=BB305_22 Depth=1
	global_load_ushort v2, v[0:1], off
	s_waitcnt vmcnt(0)
	v_mul_f16_e32 v77, s23, v2
.LBB305_26:                             ;   in Loop: Header=BB305_22 Depth=1
	s_or_b64 exec, exec, s[26:27]
	s_or_b64 s[6:7], s[4:5], s[6:7]
	s_nor_b64 s[26:27], s[6:7], s[18:19]
	s_and_saveexec_b64 s[6:7], s[26:27]
	s_cbranch_execz .LBB305_28
; %bb.27:                               ;   in Loop: Header=BB305_22 Depth=1
	global_load_ushort v0, v[0:1], off offset:128
	s_waitcnt vmcnt(0)
	v_mul_f16_e32 v76, s23, v0
.LBB305_28:                             ;   in Loop: Header=BB305_22 Depth=1
	s_or_b64 exec, exec, s[6:7]
	ds_read2_b64 v[0:3], v43 offset0:48 offset1:56
	ds_read2_b64 v[16:19], v69 offset0:64 offset1:96
	ds_read2_b64 v[20:23], v69 offset1:32
	ds_read2_b64 v[12:15], v43 offset1:8
	ds_read2_b64 v[8:11], v43 offset0:16 offset1:24
	ds_read2_b64 v[4:7], v43 offset0:32 offset1:40
	v_add_u32_e32 v29, 12, v29
	v_cmp_gt_i32_e64 s[6:7], s22, v29
	s_and_b64 s[6:7], s[6:7], vcc
	ds_write_b16 v40, v75
	ds_write_b16 v36, v77
	ds_write_b16 v36, v76 offset:512
	s_and_b64 s[6:7], s[14:15], s[6:7]
	v_mov_b32_e32 v75, 0
	v_mov_b32_e32 v76, 0
	s_waitcnt lgkmcnt(0)
	s_barrier
	s_and_saveexec_b64 s[26:27], s[6:7]
	s_xor_b64 s[6:7], exec, s[26:27]
	s_cbranch_execz .LBB305_30
; %bb.29:                               ;   in Loop: Header=BB305_22 Depth=1
	global_load_ushort v29, v[26:27], off offset:8
	s_waitcnt vmcnt(0)
	v_mul_f16_e32 v76, s23, v29
.LBB305_30:                             ;   in Loop: Header=BB305_22 Depth=1
	s_or_b64 exec, exec, s[6:7]
	v_add_u32_e32 v28, 12, v28
	v_cmp_le_i32_e64 s[6:7], s22, v28
	v_min_i32_e32 v28, s34, v28
	v_mad_i64_i32 v[28:29], s[26:27], v28, s33, 0
	v_lshl_add_u64 v[28:29], v[28:29], 1, s[16:17]
	s_or_b64 s[26:27], s[8:9], s[6:7]
	s_nor_b64 s[36:37], s[26:27], s[18:19]
	v_lshl_add_u64 v[28:29], v[24:25], 1, v[28:29]
	s_and_saveexec_b64 s[26:27], s[36:37]
	s_cbranch_execz .LBB305_32
; %bb.31:                               ;   in Loop: Header=BB305_22 Depth=1
	global_load_ushort v75, v[28:29], off
	s_waitcnt vmcnt(0)
	v_mul_f16_e32 v75, s23, v75
.LBB305_32:                             ;   in Loop: Header=BB305_22 Depth=1
	s_or_b64 exec, exec, s[26:27]
	s_or_b64 s[6:7], s[4:5], s[6:7]
	s_nor_b64 s[26:27], s[6:7], s[18:19]
	v_mov_b32_e32 v77, 0
	s_and_saveexec_b64 s[6:7], s[26:27]
	s_cbranch_execz .LBB305_21
; %bb.33:                               ;   in Loop: Header=BB305_22 Depth=1
	global_load_ushort v28, v[28:29], off offset:128
	s_waitcnt vmcnt(0)
	v_mul_f16_e32 v77, s23, v28
	s_branch .LBB305_21
.LBB305_34:
	s_load_dwordx2 s[4:5], s[0:1], 0x70
	s_load_dword s29, s[0:1], 0x50
	s_load_dword s28, s[0:1], 0x68
	v_add_u32_e32 v8, 0x800, v35
	ds_read2_b64 v[0:3], v8 offset0:112 offset1:120
	ds_read2_b64 v[4:7], v34 offset0:192 offset1:224
	;; [unrolled: 1-line block ×6, first 2 shown]
	s_waitcnt lgkmcnt(0)
	s_mul_i32 s1, s5, s3
	s_mul_hi_u32 s5, s4, s3
	s_mul_i32 s0, s4, s3
	s_add_i32 s1, s5, s1
	s_lshl_b64 s[0:1], s[0:1], 1
	s_add_u32 s22, s10, s0
	v_add_u32_e32 v69, s31, v31
	s_addc_u32 s23, s11, s1
	v_mad_i64_i32 v[26:27], s[0:1], v69, s29, 0
	v_add_u32_e32 v24, s2, v30
	v_lshl_add_u64 v[42:43], v[26:27], 1, s[24:25]
	v_mad_i64_i32 v[26:27], s[0:1], v69, s28, 0
	v_cmp_gt_i32_e64 s[18:19], s21, v69
	v_lshl_add_u64 v[40:41], v[26:27], 1, s[22:23]
	v_cmp_gt_i32_e64 s[2:3], s20, v24
	v_cndmask_b32_e64 v26, 0, 1, s[12:13]
	s_and_b64 s[4:5], s[2:3], s[18:19]
	v_ashrrev_i32_e32 v25, 31, v24
	v_cmp_ne_u32_e64 s[0:1], 1, v26
	s_and_saveexec_b64 s[6:7], s[4:5]
	s_xor_b64 s[4:5], exec, s[6:7]
	s_cbranch_execz .LBB305_40
; %bb.35:
	s_and_b64 vcc, exec, s[0:1]
	s_cbranch_vccnz .LBB305_38
; %bb.36:
	v_lshl_add_u64 v[26:27], v[24:25], 1, v[42:43]
	global_load_ushort v26, v[26:27], off
	s_waitcnt vmcnt(0)
	v_mul_f16_e32 v26, s30, v26
	s_branch .LBB305_39
.LBB305_37:
	s_mov_b64 s[26:27], 0
	s_andn2_b64 vcc, exec, s[8:9]
	s_mov_b64 s[4:5], -1
	s_cbranch_vccz .LBB305_2
	s_branch .LBB305_3
.LBB305_38:
	v_mov_b32_e32 v26, 0
.LBB305_39:
	v_pk_max_f16 v27, v20, v20
	v_pk_max_f16 v28, v16, v16
	;; [unrolled: 1-line block ×3, first 2 shown]
	v_pk_min_f16 v27, v28, v27
	v_pk_max_f16 v28, v21, v21
	v_pk_add_f16 v27, v74, v27
	v_pk_min_f16 v28, v29, v28
	s_nop 0
	v_pk_add_f16 v27, v27, v28
	s_nop 0
	v_add_f16_sdwa v27, v27, v27 dst_sel:DWORD dst_unused:UNUSED_PAD src0_sel:DWORD src1_sel:WORD_1
	v_add_f16_e32 v28, v27, v26
	v_lshl_add_u64 v[26:27], v[24:25], 1, v[40:41]
	global_store_short v[26:27], v28, off
.LBB305_40:
	s_or_b64 exec, exec, s[4:5]
	v_add_u32_e32 v26, 8, v24
	v_cmp_gt_i32_e64 s[4:5], s20, v26
	s_and_b64 s[8:9], s[4:5], s[18:19]
	v_ashrrev_i32_e32 v27, 31, v26
	s_and_saveexec_b64 s[6:7], s[8:9]
	s_cbranch_execz .LBB305_45
; %bb.41:
	s_and_b64 vcc, exec, s[0:1]
	s_cbranch_vccnz .LBB305_43
; %bb.42:
	v_lshl_add_u64 v[28:29], v[26:27], 1, v[42:43]
	global_load_ushort v28, v[28:29], off
	s_waitcnt vmcnt(0)
	v_mul_f16_e32 v28, s30, v28
	s_branch .LBB305_44
.LBB305_43:
	v_mov_b32_e32 v28, 0
.LBB305_44:
	v_pk_max_f16 v29, v20, v20
	v_pk_max_f16 v30, v18, v18
	v_pk_max_f16 v31, v19, v19
	v_pk_min_f16 v29, v30, v29
	v_pk_max_f16 v30, v21, v21
	v_pk_add_f16 v29, v73, v29
	v_pk_min_f16 v30, v31, v30
	s_nop 0
	v_pk_add_f16 v29, v29, v30
	s_nop 0
	v_add_f16_sdwa v29, v29, v29 dst_sel:DWORD dst_unused:UNUSED_PAD src0_sel:DWORD src1_sel:WORD_1
	v_add_f16_e32 v30, v29, v28
	v_lshl_add_u64 v[28:29], v[26:27], 1, v[40:41]
	global_store_short v[28:29], v30, off
.LBB305_45:
	s_or_b64 exec, exec, s[6:7]
	v_add_u32_e32 v28, 16, v24
	v_cmp_gt_i32_e64 s[6:7], s20, v28
	s_and_b64 s[10:11], s[6:7], s[18:19]
	v_ashrrev_i32_e32 v29, 31, v28
	s_and_saveexec_b64 s[8:9], s[10:11]
	s_cbranch_execz .LBB305_50
; %bb.46:
	s_and_b64 vcc, exec, s[0:1]
	s_cbranch_vccnz .LBB305_48
; %bb.47:
	v_lshl_add_u64 v[30:31], v[28:29], 1, v[42:43]
	global_load_ushort v30, v[30:31], off
	s_waitcnt vmcnt(0)
	v_mul_f16_e32 v30, s30, v30
	s_branch .LBB305_49
.LBB305_48:
	v_mov_b32_e32 v30, 0
.LBB305_49:
	v_pk_max_f16 v31, v20, v20
	v_pk_max_f16 v32, v12, v12
	v_pk_max_f16 v33, v13, v13
	v_pk_min_f16 v31, v32, v31
	v_pk_max_f16 v32, v21, v21
	v_pk_add_f16 v31, v72, v31
	v_pk_min_f16 v32, v33, v32
	s_nop 0
	v_pk_add_f16 v31, v31, v32
	s_nop 0
	v_add_f16_sdwa v31, v31, v31 dst_sel:DWORD dst_unused:UNUSED_PAD src0_sel:DWORD src1_sel:WORD_1
	v_add_f16_e32 v32, v31, v30
	v_lshl_add_u64 v[30:31], v[28:29], 1, v[40:41]
	global_store_short v[30:31], v32, off
.LBB305_50:
	;; [unrolled: 34-line block ×4, first 2 shown]
	s_or_b64 exec, exec, s[12:13]
	v_add_u32_e32 v34, 40, v24
	v_cmp_gt_i32_e64 s[12:13], s20, v34
	s_and_b64 s[16:17], s[12:13], s[18:19]
	v_ashrrev_i32_e32 v35, 31, v34
	s_and_saveexec_b64 s[14:15], s[16:17]
	s_cbranch_execz .LBB305_65
; %bb.61:
	s_and_b64 vcc, exec, s[0:1]
	s_cbranch_vccnz .LBB305_63
; %bb.62:
	v_lshl_add_u64 v[36:37], v[34:35], 1, v[42:43]
	global_load_ushort v36, v[36:37], off
	s_waitcnt vmcnt(0)
	v_mul_f16_e32 v36, s30, v36
	s_branch .LBB305_64
.LBB305_63:
	v_mov_b32_e32 v36, 0
.LBB305_64:
	v_pk_max_f16 v37, v20, v20
	v_pk_max_f16 v70, v10, v10
	s_nop 0
	v_pk_min_f16 v37, v70, v37
	v_pk_max_f16 v70, v11, v11
	v_pk_add_f16 v37, v39, v37
	v_pk_max_f16 v39, v21, v21
	s_nop 0
	v_pk_min_f16 v39, v70, v39
	s_nop 0
	v_pk_add_f16 v37, v37, v39
	s_nop 0
	v_add_f16_sdwa v37, v37, v37 dst_sel:DWORD dst_unused:UNUSED_PAD src0_sel:DWORD src1_sel:WORD_1
	v_add_f16_e32 v39, v37, v36
	v_lshl_add_u64 v[36:37], v[34:35], 1, v[40:41]
	global_store_short v[36:37], v39, off
.LBB305_65:
	s_or_b64 exec, exec, s[14:15]
	v_add_u32_e32 v36, 48, v24
	v_cmp_gt_i32_e64 s[14:15], s20, v36
	s_and_b64 s[26:27], s[14:15], s[18:19]
	v_ashrrev_i32_e32 v37, 31, v36
	s_and_saveexec_b64 s[16:17], s[26:27]
	s_cbranch_execz .LBB305_70
; %bb.66:
	s_and_b64 vcc, exec, s[0:1]
	s_cbranch_vccnz .LBB305_68
; %bb.67:
	v_lshl_add_u64 v[70:71], v[36:37], 1, v[42:43]
	global_load_ushort v39, v[70:71], off
	s_waitcnt vmcnt(0)
	v_mul_f16_e32 v39, s30, v39
	s_branch .LBB305_69
.LBB305_68:
	v_mov_b32_e32 v39, 0
.LBB305_69:
	v_pk_max_f16 v70, v20, v20
	v_pk_max_f16 v71, v0, v0
	s_nop 0
	v_pk_min_f16 v70, v71, v70
	v_pk_max_f16 v71, v1, v1
	v_pk_add_f16 v38, v38, v70
	v_pk_max_f16 v70, v21, v21
	s_nop 0
	v_pk_min_f16 v70, v71, v70
	s_nop 0
	v_pk_add_f16 v38, v38, v70
	s_nop 0
	v_add_f16_sdwa v38, v38, v38 dst_sel:DWORD dst_unused:UNUSED_PAD src0_sel:DWORD src1_sel:WORD_1
	v_add_f16_e32 v70, v38, v39
	v_lshl_add_u64 v[38:39], v[36:37], 1, v[40:41]
	global_store_short v[38:39], v70, off
.LBB305_70:
	s_or_b64 exec, exec, s[16:17]
	v_add_u32_e32 v38, 56, v24
	v_cmp_gt_i32_e64 s[16:17], s20, v38
	s_and_b64 s[26:27], s[16:17], s[18:19]
	v_ashrrev_i32_e32 v39, 31, v38
	s_and_saveexec_b64 s[18:19], s[26:27]
	s_cbranch_execz .LBB305_75
; %bb.71:
	s_and_b64 vcc, exec, s[0:1]
	s_cbranch_vccnz .LBB305_73
; %bb.72:
	v_lshl_add_u64 v[42:43], v[38:39], 1, v[42:43]
	global_load_ushort v42, v[42:43], off
	s_waitcnt vmcnt(0)
	v_mul_f16_e32 v42, s30, v42
	s_branch .LBB305_74
.LBB305_73:
	v_mov_b32_e32 v42, 0
.LBB305_74:
	v_pk_max_f16 v20, v20, v20
	v_pk_max_f16 v43, v2, v2
	v_pk_max_f16 v21, v21, v21
	v_pk_min_f16 v20, v43, v20
	v_pk_max_f16 v43, v3, v3
	v_pk_add_f16 v20, v68, v20
	v_pk_min_f16 v21, v43, v21
	s_nop 0
	v_pk_add_f16 v20, v20, v21
	s_nop 0
	v_add_f16_sdwa v20, v20, v20 dst_sel:DWORD dst_unused:UNUSED_PAD src0_sel:DWORD src1_sel:WORD_1
	v_add_f16_e32 v42, v20, v42
	v_lshl_add_u64 v[20:21], v[38:39], 1, v[40:41]
	global_store_short v[20:21], v42, off
.LBB305_75:
	s_or_b64 exec, exec, s[18:19]
	v_add_u32_e32 v42, 32, v69
	v_mad_i64_i32 v[20:21], s[26:27], v42, s29, 0
	v_cmp_gt_i32_e64 s[18:19], s21, v42
	v_lshl_add_u64 v[40:41], v[20:21], 1, s[24:25]
	v_mad_i64_i32 v[20:21], s[26:27], v42, s28, 0
	v_lshl_add_u64 v[20:21], v[20:21], 1, s[22:23]
	s_and_b64 s[34:35], s[2:3], s[18:19]
	s_and_saveexec_b64 s[26:27], s[34:35]
	s_cbranch_execnz .LBB305_83
; %bb.76:
	s_or_b64 exec, exec, s[26:27]
	s_and_b64 s[34:35], s[4:5], s[18:19]
	s_and_saveexec_b64 s[26:27], s[34:35]
	s_cbranch_execnz .LBB305_87
.LBB305_77:
	s_or_b64 exec, exec, s[26:27]
	s_and_b64 s[34:35], s[6:7], s[18:19]
	s_and_saveexec_b64 s[26:27], s[34:35]
	s_cbranch_execnz .LBB305_91
.LBB305_78:
	s_or_b64 exec, exec, s[26:27]
	s_and_b64 s[34:35], s[8:9], s[18:19]
	s_and_saveexec_b64 s[26:27], s[34:35]
	s_cbranch_execnz .LBB305_95
.LBB305_79:
	s_or_b64 exec, exec, s[26:27]
	s_and_b64 s[34:35], s[10:11], s[18:19]
	s_and_saveexec_b64 s[26:27], s[34:35]
	s_cbranch_execnz .LBB305_99
.LBB305_80:
	s_or_b64 exec, exec, s[26:27]
	s_and_b64 s[34:35], s[12:13], s[18:19]
	s_and_saveexec_b64 s[26:27], s[34:35]
	s_cbranch_execnz .LBB305_103
.LBB305_81:
	s_or_b64 exec, exec, s[26:27]
	s_and_b64 s[34:35], s[14:15], s[18:19]
	s_and_saveexec_b64 s[26:27], s[34:35]
	s_cbranch_execnz .LBB305_107
.LBB305_82:
	s_or_b64 exec, exec, s[26:27]
	s_and_b64 s[26:27], s[16:17], s[18:19]
	s_and_saveexec_b64 s[18:19], s[26:27]
	s_cbranch_execnz .LBB305_111
	s_branch .LBB305_115
.LBB305_83:
	s_and_b64 vcc, exec, s[0:1]
	s_cbranch_vccnz .LBB305_85
; %bb.84:
	v_lshl_add_u64 v[42:43], v[24:25], 1, v[40:41]
	global_load_ushort v42, v[42:43], off
	s_waitcnt vmcnt(0)
	v_mul_f16_e32 v42, s30, v42
	s_branch .LBB305_86
.LBB305_85:
	v_mov_b32_e32 v42, 0
.LBB305_86:
	v_pk_max_f16 v43, v22, v22
	v_pk_max_f16 v68, v16, v16
	s_nop 0
	v_pk_min_f16 v43, v68, v43
	v_pk_max_f16 v68, v17, v17
	v_pk_add_f16 v43, v67, v43
	v_pk_max_f16 v67, v23, v23
	s_nop 0
	v_pk_min_f16 v67, v68, v67
	s_nop 0
	v_pk_add_f16 v43, v43, v67
	s_nop 0
	v_add_f16_sdwa v43, v43, v43 dst_sel:DWORD dst_unused:UNUSED_PAD src0_sel:DWORD src1_sel:WORD_1
	v_add_f16_e32 v67, v43, v42
	v_lshl_add_u64 v[42:43], v[24:25], 1, v[20:21]
	global_store_short v[42:43], v67, off
	s_or_b64 exec, exec, s[26:27]
	s_and_b64 s[34:35], s[4:5], s[18:19]
	s_and_saveexec_b64 s[26:27], s[34:35]
	s_cbranch_execz .LBB305_77
.LBB305_87:
	s_and_b64 vcc, exec, s[0:1]
	s_cbranch_vccnz .LBB305_89
; %bb.88:
	v_lshl_add_u64 v[42:43], v[26:27], 1, v[40:41]
	global_load_ushort v42, v[42:43], off
	s_waitcnt vmcnt(0)
	v_mul_f16_e32 v42, s30, v42
	s_branch .LBB305_90
.LBB305_89:
	v_mov_b32_e32 v42, 0
.LBB305_90:
	v_pk_max_f16 v43, v22, v22
	v_pk_max_f16 v67, v18, v18
	s_nop 0
	v_pk_min_f16 v43, v67, v43
	v_pk_max_f16 v67, v19, v19
	v_pk_add_f16 v43, v66, v43
	v_pk_max_f16 v66, v23, v23
	s_nop 0
	v_pk_min_f16 v66, v67, v66
	s_nop 0
	v_pk_add_f16 v43, v43, v66
	s_nop 0
	v_add_f16_sdwa v43, v43, v43 dst_sel:DWORD dst_unused:UNUSED_PAD src0_sel:DWORD src1_sel:WORD_1
	v_add_f16_e32 v66, v43, v42
	v_lshl_add_u64 v[42:43], v[26:27], 1, v[20:21]
	global_store_short v[42:43], v66, off
	s_or_b64 exec, exec, s[26:27]
	s_and_b64 s[34:35], s[6:7], s[18:19]
	s_and_saveexec_b64 s[26:27], s[34:35]
	s_cbranch_execz .LBB305_78
.LBB305_91:
	s_and_b64 vcc, exec, s[0:1]
	s_cbranch_vccnz .LBB305_93
; %bb.92:
	v_lshl_add_u64 v[42:43], v[28:29], 1, v[40:41]
	global_load_ushort v42, v[42:43], off
	s_waitcnt vmcnt(0)
	v_mul_f16_e32 v42, s30, v42
	s_branch .LBB305_94
.LBB305_93:
	v_mov_b32_e32 v42, 0
.LBB305_94:
	v_pk_max_f16 v43, v22, v22
	v_pk_max_f16 v66, v12, v12
	s_nop 0
	v_pk_min_f16 v43, v66, v43
	v_pk_max_f16 v66, v13, v13
	v_pk_add_f16 v43, v65, v43
	v_pk_max_f16 v65, v23, v23
	s_nop 0
	v_pk_min_f16 v65, v66, v65
	s_nop 0
	v_pk_add_f16 v43, v43, v65
	s_nop 0
	v_add_f16_sdwa v43, v43, v43 dst_sel:DWORD dst_unused:UNUSED_PAD src0_sel:DWORD src1_sel:WORD_1
	v_add_f16_e32 v65, v43, v42
	v_lshl_add_u64 v[42:43], v[28:29], 1, v[20:21]
	global_store_short v[42:43], v65, off
	s_or_b64 exec, exec, s[26:27]
	s_and_b64 s[34:35], s[8:9], s[18:19]
	s_and_saveexec_b64 s[26:27], s[34:35]
	s_cbranch_execz .LBB305_79
.LBB305_95:
	s_and_b64 vcc, exec, s[0:1]
	s_cbranch_vccnz .LBB305_97
; %bb.96:
	v_lshl_add_u64 v[42:43], v[30:31], 1, v[40:41]
	global_load_ushort v42, v[42:43], off
	s_waitcnt vmcnt(0)
	v_mul_f16_e32 v42, s30, v42
	s_branch .LBB305_98
.LBB305_97:
	v_mov_b32_e32 v42, 0
.LBB305_98:
	v_pk_max_f16 v43, v22, v22
	v_pk_max_f16 v65, v14, v14
	s_nop 0
	v_pk_min_f16 v43, v65, v43
	v_pk_max_f16 v65, v15, v15
	v_pk_add_f16 v43, v64, v43
	v_pk_max_f16 v64, v23, v23
	s_nop 0
	v_pk_min_f16 v64, v65, v64
	s_nop 0
	v_pk_add_f16 v43, v43, v64
	s_nop 0
	v_add_f16_sdwa v43, v43, v43 dst_sel:DWORD dst_unused:UNUSED_PAD src0_sel:DWORD src1_sel:WORD_1
	v_add_f16_e32 v64, v43, v42
	v_lshl_add_u64 v[42:43], v[30:31], 1, v[20:21]
	global_store_short v[42:43], v64, off
	s_or_b64 exec, exec, s[26:27]
	s_and_b64 s[34:35], s[10:11], s[18:19]
	s_and_saveexec_b64 s[26:27], s[34:35]
	s_cbranch_execz .LBB305_80
.LBB305_99:
	s_and_b64 vcc, exec, s[0:1]
	s_cbranch_vccnz .LBB305_101
; %bb.100:
	v_lshl_add_u64 v[42:43], v[32:33], 1, v[40:41]
	global_load_ushort v42, v[42:43], off
	s_waitcnt vmcnt(0)
	v_mul_f16_e32 v42, s30, v42
	s_branch .LBB305_102
.LBB305_101:
	v_mov_b32_e32 v42, 0
.LBB305_102:
	v_pk_max_f16 v43, v22, v22
	v_pk_max_f16 v64, v8, v8
	s_nop 0
	v_pk_min_f16 v43, v64, v43
	v_pk_max_f16 v64, v9, v9
	v_pk_add_f16 v43, v63, v43
	v_pk_max_f16 v63, v23, v23
	s_nop 0
	v_pk_min_f16 v63, v64, v63
	s_nop 0
	v_pk_add_f16 v43, v43, v63
	s_nop 0
	v_add_f16_sdwa v43, v43, v43 dst_sel:DWORD dst_unused:UNUSED_PAD src0_sel:DWORD src1_sel:WORD_1
	v_add_f16_e32 v63, v43, v42
	v_lshl_add_u64 v[42:43], v[32:33], 1, v[20:21]
	global_store_short v[42:43], v63, off
	s_or_b64 exec, exec, s[26:27]
	s_and_b64 s[34:35], s[12:13], s[18:19]
	s_and_saveexec_b64 s[26:27], s[34:35]
	s_cbranch_execz .LBB305_81
.LBB305_103:
	s_and_b64 vcc, exec, s[0:1]
	s_cbranch_vccnz .LBB305_105
; %bb.104:
	v_lshl_add_u64 v[42:43], v[34:35], 1, v[40:41]
	global_load_ushort v42, v[42:43], off
	s_waitcnt vmcnt(0)
	v_mul_f16_e32 v42, s30, v42
	s_branch .LBB305_106
.LBB305_105:
	v_mov_b32_e32 v42, 0
.LBB305_106:
	v_pk_max_f16 v43, v22, v22
	v_pk_max_f16 v63, v10, v10
	s_nop 0
	v_pk_min_f16 v43, v63, v43
	v_pk_max_f16 v63, v11, v11
	v_pk_add_f16 v43, v62, v43
	v_pk_max_f16 v62, v23, v23
	s_nop 0
	v_pk_min_f16 v62, v63, v62
	s_nop 0
	v_pk_add_f16 v43, v43, v62
	s_nop 0
	v_add_f16_sdwa v43, v43, v43 dst_sel:DWORD dst_unused:UNUSED_PAD src0_sel:DWORD src1_sel:WORD_1
	v_add_f16_e32 v62, v43, v42
	v_lshl_add_u64 v[42:43], v[34:35], 1, v[20:21]
	global_store_short v[42:43], v62, off
	s_or_b64 exec, exec, s[26:27]
	s_and_b64 s[34:35], s[14:15], s[18:19]
	s_and_saveexec_b64 s[26:27], s[34:35]
	s_cbranch_execz .LBB305_82
.LBB305_107:
	s_and_b64 vcc, exec, s[0:1]
	s_cbranch_vccnz .LBB305_109
; %bb.108:
	v_lshl_add_u64 v[42:43], v[36:37], 1, v[40:41]
	global_load_ushort v42, v[42:43], off
	s_waitcnt vmcnt(0)
	v_mul_f16_e32 v42, s30, v42
	s_branch .LBB305_110
.LBB305_109:
	v_mov_b32_e32 v42, 0
.LBB305_110:
	v_pk_max_f16 v43, v22, v22
	v_pk_max_f16 v62, v0, v0
	s_nop 0
	v_pk_min_f16 v43, v62, v43
	v_pk_max_f16 v62, v1, v1
	v_pk_add_f16 v43, v61, v43
	v_pk_max_f16 v61, v23, v23
	s_nop 0
	v_pk_min_f16 v61, v62, v61
	s_nop 0
	v_pk_add_f16 v43, v43, v61
	s_nop 0
	v_add_f16_sdwa v43, v43, v43 dst_sel:DWORD dst_unused:UNUSED_PAD src0_sel:DWORD src1_sel:WORD_1
	v_add_f16_e32 v61, v43, v42
	v_lshl_add_u64 v[42:43], v[36:37], 1, v[20:21]
	global_store_short v[42:43], v61, off
	s_or_b64 exec, exec, s[26:27]
	s_and_b64 s[26:27], s[16:17], s[18:19]
	s_and_saveexec_b64 s[18:19], s[26:27]
	s_cbranch_execz .LBB305_115
.LBB305_111:
	s_and_b64 vcc, exec, s[0:1]
	s_cbranch_vccnz .LBB305_113
; %bb.112:
	v_lshl_add_u64 v[40:41], v[38:39], 1, v[40:41]
	global_load_ushort v40, v[40:41], off
	s_waitcnt vmcnt(0)
	v_mul_f16_e32 v40, s30, v40
	s_branch .LBB305_114
.LBB305_113:
	v_mov_b32_e32 v40, 0
.LBB305_114:
	v_pk_max_f16 v22, v22, v22
	v_pk_max_f16 v41, v2, v2
	;; [unrolled: 1-line block ×3, first 2 shown]
	v_pk_min_f16 v22, v41, v22
	v_pk_max_f16 v41, v3, v3
	v_pk_add_f16 v22, v60, v22
	v_pk_min_f16 v23, v41, v23
	v_lshl_add_u64 v[20:21], v[38:39], 1, v[20:21]
	v_pk_add_f16 v22, v22, v23
	s_nop 0
	v_add_f16_sdwa v22, v22, v22 dst_sel:DWORD dst_unused:UNUSED_PAD src0_sel:DWORD src1_sel:WORD_1
	v_add_f16_e32 v22, v22, v40
	global_store_short v[20:21], v22, off
.LBB305_115:
	s_or_b64 exec, exec, s[18:19]
	v_add_u32_e32 v40, 64, v69
	v_mad_i64_i32 v[20:21], s[26:27], v40, s29, 0
	v_cmp_gt_i32_e64 s[18:19], s21, v40
	v_lshl_add_u64 v[22:23], v[20:21], 1, s[24:25]
	v_mad_i64_i32 v[20:21], s[26:27], v40, s28, 0
	v_lshl_add_u64 v[20:21], v[20:21], 1, s[22:23]
	s_and_b64 s[34:35], s[2:3], s[18:19]
	s_and_saveexec_b64 s[26:27], s[34:35]
	s_cbranch_execnz .LBB305_123
; %bb.116:
	s_or_b64 exec, exec, s[26:27]
	s_and_b64 s[34:35], s[4:5], s[18:19]
	s_and_saveexec_b64 s[26:27], s[34:35]
	s_cbranch_execnz .LBB305_127
.LBB305_117:
	s_or_b64 exec, exec, s[26:27]
	s_and_b64 s[34:35], s[6:7], s[18:19]
	s_and_saveexec_b64 s[26:27], s[34:35]
	s_cbranch_execnz .LBB305_131
.LBB305_118:
	s_or_b64 exec, exec, s[26:27]
	s_and_b64 s[34:35], s[8:9], s[18:19]
	s_and_saveexec_b64 s[26:27], s[34:35]
	s_cbranch_execnz .LBB305_135
.LBB305_119:
	s_or_b64 exec, exec, s[26:27]
	s_and_b64 s[34:35], s[10:11], s[18:19]
	s_and_saveexec_b64 s[26:27], s[34:35]
	s_cbranch_execnz .LBB305_139
.LBB305_120:
	s_or_b64 exec, exec, s[26:27]
	s_and_b64 s[34:35], s[12:13], s[18:19]
	s_and_saveexec_b64 s[26:27], s[34:35]
	s_cbranch_execnz .LBB305_143
.LBB305_121:
	s_or_b64 exec, exec, s[26:27]
	s_and_b64 s[34:35], s[14:15], s[18:19]
	s_and_saveexec_b64 s[26:27], s[34:35]
	s_cbranch_execnz .LBB305_147
.LBB305_122:
	s_or_b64 exec, exec, s[26:27]
	s_and_b64 s[26:27], s[16:17], s[18:19]
	s_and_saveexec_b64 s[18:19], s[26:27]
	s_cbranch_execnz .LBB305_151
	s_branch .LBB305_155
.LBB305_123:
	s_and_b64 vcc, exec, s[0:1]
	s_cbranch_vccnz .LBB305_125
; %bb.124:
	v_lshl_add_u64 v[40:41], v[24:25], 1, v[22:23]
	global_load_ushort v40, v[40:41], off
	s_waitcnt vmcnt(0)
	v_mul_f16_e32 v40, s30, v40
	s_branch .LBB305_126
.LBB305_125:
	v_mov_b32_e32 v40, 0
.LBB305_126:
	v_pk_max_f16 v41, v4, v4
	v_pk_max_f16 v42, v16, v16
	;; [unrolled: 1-line block ×3, first 2 shown]
	v_pk_min_f16 v41, v42, v41
	v_pk_max_f16 v42, v5, v5
	v_pk_add_f16 v41, v59, v41
	v_pk_min_f16 v42, v43, v42
	s_nop 0
	v_pk_add_f16 v41, v41, v42
	s_nop 0
	v_add_f16_sdwa v41, v41, v41 dst_sel:DWORD dst_unused:UNUSED_PAD src0_sel:DWORD src1_sel:WORD_1
	v_add_f16_e32 v42, v41, v40
	v_lshl_add_u64 v[40:41], v[24:25], 1, v[20:21]
	global_store_short v[40:41], v42, off
	s_or_b64 exec, exec, s[26:27]
	s_and_b64 s[34:35], s[4:5], s[18:19]
	s_and_saveexec_b64 s[26:27], s[34:35]
	s_cbranch_execz .LBB305_117
.LBB305_127:
	s_and_b64 vcc, exec, s[0:1]
	s_cbranch_vccnz .LBB305_129
; %bb.128:
	v_lshl_add_u64 v[40:41], v[26:27], 1, v[22:23]
	global_load_ushort v40, v[40:41], off
	s_waitcnt vmcnt(0)
	v_mul_f16_e32 v40, s30, v40
	s_branch .LBB305_130
.LBB305_129:
	v_mov_b32_e32 v40, 0
.LBB305_130:
	v_pk_max_f16 v41, v4, v4
	v_pk_max_f16 v42, v18, v18
	;; [unrolled: 1-line block ×3, first 2 shown]
	v_pk_min_f16 v41, v42, v41
	v_pk_max_f16 v42, v5, v5
	v_pk_add_f16 v41, v58, v41
	v_pk_min_f16 v42, v43, v42
	s_nop 0
	v_pk_add_f16 v41, v41, v42
	s_nop 0
	v_add_f16_sdwa v41, v41, v41 dst_sel:DWORD dst_unused:UNUSED_PAD src0_sel:DWORD src1_sel:WORD_1
	v_add_f16_e32 v42, v41, v40
	v_lshl_add_u64 v[40:41], v[26:27], 1, v[20:21]
	global_store_short v[40:41], v42, off
	s_or_b64 exec, exec, s[26:27]
	s_and_b64 s[34:35], s[6:7], s[18:19]
	s_and_saveexec_b64 s[26:27], s[34:35]
	s_cbranch_execz .LBB305_118
.LBB305_131:
	s_and_b64 vcc, exec, s[0:1]
	s_cbranch_vccnz .LBB305_133
; %bb.132:
	v_lshl_add_u64 v[40:41], v[28:29], 1, v[22:23]
	global_load_ushort v40, v[40:41], off
	s_waitcnt vmcnt(0)
	v_mul_f16_e32 v40, s30, v40
	s_branch .LBB305_134
.LBB305_133:
	v_mov_b32_e32 v40, 0
.LBB305_134:
	v_pk_max_f16 v41, v4, v4
	v_pk_max_f16 v42, v12, v12
	v_pk_max_f16 v43, v13, v13
	v_pk_min_f16 v41, v42, v41
	v_pk_max_f16 v42, v5, v5
	v_pk_add_f16 v41, v57, v41
	v_pk_min_f16 v42, v43, v42
	s_nop 0
	v_pk_add_f16 v41, v41, v42
	s_nop 0
	v_add_f16_sdwa v41, v41, v41 dst_sel:DWORD dst_unused:UNUSED_PAD src0_sel:DWORD src1_sel:WORD_1
	v_add_f16_e32 v42, v41, v40
	v_lshl_add_u64 v[40:41], v[28:29], 1, v[20:21]
	global_store_short v[40:41], v42, off
	s_or_b64 exec, exec, s[26:27]
	s_and_b64 s[34:35], s[8:9], s[18:19]
	s_and_saveexec_b64 s[26:27], s[34:35]
	s_cbranch_execz .LBB305_119
.LBB305_135:
	s_and_b64 vcc, exec, s[0:1]
	s_cbranch_vccnz .LBB305_137
; %bb.136:
	v_lshl_add_u64 v[40:41], v[30:31], 1, v[22:23]
	global_load_ushort v40, v[40:41], off
	s_waitcnt vmcnt(0)
	v_mul_f16_e32 v40, s30, v40
	s_branch .LBB305_138
.LBB305_137:
	v_mov_b32_e32 v40, 0
.LBB305_138:
	v_pk_max_f16 v41, v4, v4
	v_pk_max_f16 v42, v14, v14
	;; [unrolled: 1-line block ×3, first 2 shown]
	v_pk_min_f16 v41, v42, v41
	v_pk_max_f16 v42, v5, v5
	v_pk_add_f16 v41, v56, v41
	v_pk_min_f16 v42, v43, v42
	s_nop 0
	v_pk_add_f16 v41, v41, v42
	s_nop 0
	v_add_f16_sdwa v41, v41, v41 dst_sel:DWORD dst_unused:UNUSED_PAD src0_sel:DWORD src1_sel:WORD_1
	v_add_f16_e32 v42, v41, v40
	v_lshl_add_u64 v[40:41], v[30:31], 1, v[20:21]
	global_store_short v[40:41], v42, off
	s_or_b64 exec, exec, s[26:27]
	s_and_b64 s[34:35], s[10:11], s[18:19]
	s_and_saveexec_b64 s[26:27], s[34:35]
	s_cbranch_execz .LBB305_120
.LBB305_139:
	s_and_b64 vcc, exec, s[0:1]
	s_cbranch_vccnz .LBB305_141
; %bb.140:
	v_lshl_add_u64 v[40:41], v[32:33], 1, v[22:23]
	global_load_ushort v40, v[40:41], off
	s_waitcnt vmcnt(0)
	v_mul_f16_e32 v40, s30, v40
	s_branch .LBB305_142
.LBB305_141:
	v_mov_b32_e32 v40, 0
.LBB305_142:
	v_pk_max_f16 v41, v4, v4
	v_pk_max_f16 v42, v8, v8
	;; [unrolled: 1-line block ×3, first 2 shown]
	v_pk_min_f16 v41, v42, v41
	v_pk_max_f16 v42, v5, v5
	v_pk_add_f16 v41, v55, v41
	v_pk_min_f16 v42, v43, v42
	s_nop 0
	v_pk_add_f16 v41, v41, v42
	s_nop 0
	v_add_f16_sdwa v41, v41, v41 dst_sel:DWORD dst_unused:UNUSED_PAD src0_sel:DWORD src1_sel:WORD_1
	v_add_f16_e32 v42, v41, v40
	v_lshl_add_u64 v[40:41], v[32:33], 1, v[20:21]
	global_store_short v[40:41], v42, off
	s_or_b64 exec, exec, s[26:27]
	s_and_b64 s[34:35], s[12:13], s[18:19]
	s_and_saveexec_b64 s[26:27], s[34:35]
	s_cbranch_execz .LBB305_121
.LBB305_143:
	s_and_b64 vcc, exec, s[0:1]
	s_cbranch_vccnz .LBB305_145
; %bb.144:
	v_lshl_add_u64 v[40:41], v[34:35], 1, v[22:23]
	global_load_ushort v40, v[40:41], off
	s_waitcnt vmcnt(0)
	v_mul_f16_e32 v40, s30, v40
	s_branch .LBB305_146
.LBB305_145:
	v_mov_b32_e32 v40, 0
.LBB305_146:
	v_pk_max_f16 v41, v4, v4
	v_pk_max_f16 v42, v10, v10
	;; [unrolled: 1-line block ×3, first 2 shown]
	v_pk_min_f16 v41, v42, v41
	v_pk_max_f16 v42, v5, v5
	v_pk_add_f16 v41, v54, v41
	v_pk_min_f16 v42, v43, v42
	s_nop 0
	v_pk_add_f16 v41, v41, v42
	s_nop 0
	v_add_f16_sdwa v41, v41, v41 dst_sel:DWORD dst_unused:UNUSED_PAD src0_sel:DWORD src1_sel:WORD_1
	v_add_f16_e32 v42, v41, v40
	v_lshl_add_u64 v[40:41], v[34:35], 1, v[20:21]
	global_store_short v[40:41], v42, off
	s_or_b64 exec, exec, s[26:27]
	s_and_b64 s[34:35], s[14:15], s[18:19]
	s_and_saveexec_b64 s[26:27], s[34:35]
	s_cbranch_execz .LBB305_122
.LBB305_147:
	s_and_b64 vcc, exec, s[0:1]
	s_cbranch_vccnz .LBB305_149
; %bb.148:
	v_lshl_add_u64 v[40:41], v[36:37], 1, v[22:23]
	global_load_ushort v40, v[40:41], off
	s_waitcnt vmcnt(0)
	v_mul_f16_e32 v40, s30, v40
	s_branch .LBB305_150
.LBB305_149:
	v_mov_b32_e32 v40, 0
.LBB305_150:
	v_pk_max_f16 v41, v4, v4
	v_pk_max_f16 v42, v0, v0
	;; [unrolled: 1-line block ×3, first 2 shown]
	v_pk_min_f16 v41, v42, v41
	v_pk_max_f16 v42, v5, v5
	v_pk_add_f16 v41, v53, v41
	v_pk_min_f16 v42, v43, v42
	s_nop 0
	v_pk_add_f16 v41, v41, v42
	s_nop 0
	v_add_f16_sdwa v41, v41, v41 dst_sel:DWORD dst_unused:UNUSED_PAD src0_sel:DWORD src1_sel:WORD_1
	v_add_f16_e32 v42, v41, v40
	v_lshl_add_u64 v[40:41], v[36:37], 1, v[20:21]
	global_store_short v[40:41], v42, off
	s_or_b64 exec, exec, s[26:27]
	s_and_b64 s[26:27], s[16:17], s[18:19]
	s_and_saveexec_b64 s[18:19], s[26:27]
	s_cbranch_execz .LBB305_155
.LBB305_151:
	s_and_b64 vcc, exec, s[0:1]
	s_cbranch_vccnz .LBB305_153
; %bb.152:
	v_lshl_add_u64 v[22:23], v[38:39], 1, v[22:23]
	global_load_ushort v22, v[22:23], off
	s_waitcnt vmcnt(0)
	v_mul_f16_e32 v22, s30, v22
	s_branch .LBB305_154
.LBB305_153:
	v_mov_b32_e32 v22, 0
.LBB305_154:
	v_pk_max_f16 v4, v4, v4
	v_pk_max_f16 v23, v2, v2
	;; [unrolled: 1-line block ×3, first 2 shown]
	v_pk_min_f16 v4, v23, v4
	v_pk_max_f16 v23, v3, v3
	v_pk_add_f16 v4, v52, v4
	v_pk_min_f16 v5, v23, v5
	s_nop 0
	v_pk_add_f16 v4, v4, v5
	s_nop 0
	v_add_f16_sdwa v4, v4, v4 dst_sel:DWORD dst_unused:UNUSED_PAD src0_sel:DWORD src1_sel:WORD_1
	v_add_f16_e32 v22, v4, v22
	v_lshl_add_u64 v[4:5], v[38:39], 1, v[20:21]
	global_store_short v[4:5], v22, off
.LBB305_155:
	s_or_b64 exec, exec, s[18:19]
	v_add_u32_e32 v22, 0x60, v69
	v_cmp_gt_i32_e64 s[18:19], s21, v22
	v_mad_i64_i32 v[4:5], s[20:21], v22, s29, 0
	v_lshl_add_u64 v[20:21], v[4:5], 1, s[24:25]
	v_mad_i64_i32 v[4:5], s[20:21], v22, s28, 0
	v_lshl_add_u64 v[4:5], v[4:5], 1, s[22:23]
	s_and_b64 s[20:21], s[2:3], s[18:19]
	s_and_saveexec_b64 s[2:3], s[20:21]
	s_cbranch_execnz .LBB305_164
; %bb.156:
	s_or_b64 exec, exec, s[2:3]
	s_and_b64 s[4:5], s[4:5], s[18:19]
	s_and_saveexec_b64 s[2:3], s[4:5]
	s_cbranch_execnz .LBB305_168
.LBB305_157:
	s_or_b64 exec, exec, s[2:3]
	s_and_b64 s[4:5], s[6:7], s[18:19]
	s_and_saveexec_b64 s[2:3], s[4:5]
	s_cbranch_execnz .LBB305_172
.LBB305_158:
	s_or_b64 exec, exec, s[2:3]
	s_and_b64 s[4:5], s[8:9], s[18:19]
	s_and_saveexec_b64 s[2:3], s[4:5]
	s_cbranch_execnz .LBB305_176
.LBB305_159:
	s_or_b64 exec, exec, s[2:3]
	s_and_b64 s[4:5], s[10:11], s[18:19]
	s_and_saveexec_b64 s[2:3], s[4:5]
	s_cbranch_execnz .LBB305_180
.LBB305_160:
	s_or_b64 exec, exec, s[2:3]
	s_and_b64 s[4:5], s[12:13], s[18:19]
	s_and_saveexec_b64 s[2:3], s[4:5]
	s_cbranch_execnz .LBB305_184
.LBB305_161:
	s_or_b64 exec, exec, s[2:3]
	s_and_b64 s[4:5], s[14:15], s[18:19]
	s_and_saveexec_b64 s[2:3], s[4:5]
	s_cbranch_execnz .LBB305_188
.LBB305_162:
	s_or_b64 exec, exec, s[2:3]
	s_and_b64 s[2:3], s[16:17], s[18:19]
	s_and_saveexec_b64 s[4:5], s[2:3]
	s_cbranch_execnz .LBB305_192
.LBB305_163:
	s_endpgm
.LBB305_164:
	s_and_b64 vcc, exec, s[0:1]
	s_cbranch_vccnz .LBB305_166
; %bb.165:
	v_lshl_add_u64 v[22:23], v[24:25], 1, v[20:21]
	global_load_ushort v22, v[22:23], off
	s_waitcnt vmcnt(0)
	v_mul_f16_e32 v22, s30, v22
	s_branch .LBB305_167
.LBB305_166:
	v_mov_b32_e32 v22, 0
.LBB305_167:
	v_pk_max_f16 v23, v6, v6
	v_pk_max_f16 v16, v16, v16
	;; [unrolled: 1-line block ×3, first 2 shown]
	v_pk_min_f16 v16, v16, v23
	v_pk_max_f16 v23, v7, v7
	v_pk_add_f16 v16, v51, v16
	v_pk_min_f16 v17, v17, v23
	s_nop 0
	v_pk_add_f16 v16, v16, v17
	s_nop 0
	v_add_f16_sdwa v16, v16, v16 dst_sel:DWORD dst_unused:UNUSED_PAD src0_sel:DWORD src1_sel:WORD_1
	v_add_f16_e32 v22, v16, v22
	v_lshl_add_u64 v[16:17], v[24:25], 1, v[4:5]
	global_store_short v[16:17], v22, off
	s_or_b64 exec, exec, s[2:3]
	s_and_b64 s[4:5], s[4:5], s[18:19]
	s_and_saveexec_b64 s[2:3], s[4:5]
	s_cbranch_execz .LBB305_157
.LBB305_168:
	s_and_b64 vcc, exec, s[0:1]
	s_cbranch_vccnz .LBB305_170
; %bb.169:
	v_lshl_add_u64 v[16:17], v[26:27], 1, v[20:21]
	global_load_ushort v16, v[16:17], off
	s_waitcnt vmcnt(0)
	v_mul_f16_e32 v16, s30, v16
	s_branch .LBB305_171
.LBB305_170:
	v_mov_b32_e32 v16, 0
.LBB305_171:
	v_pk_max_f16 v17, v6, v6
	v_pk_max_f16 v18, v18, v18
	;; [unrolled: 1-line block ×3, first 2 shown]
	v_pk_min_f16 v17, v18, v17
	v_pk_max_f16 v18, v7, v7
	v_pk_add_f16 v17, v50, v17
	v_pk_min_f16 v18, v19, v18
	s_nop 0
	v_pk_add_f16 v17, v17, v18
	s_nop 0
	v_add_f16_sdwa v17, v17, v17 dst_sel:DWORD dst_unused:UNUSED_PAD src0_sel:DWORD src1_sel:WORD_1
	v_add_f16_e32 v18, v17, v16
	v_lshl_add_u64 v[16:17], v[26:27], 1, v[4:5]
	global_store_short v[16:17], v18, off
	s_or_b64 exec, exec, s[2:3]
	s_and_b64 s[4:5], s[6:7], s[18:19]
	s_and_saveexec_b64 s[2:3], s[4:5]
	s_cbranch_execz .LBB305_158
.LBB305_172:
	s_and_b64 vcc, exec, s[0:1]
	s_cbranch_vccnz .LBB305_174
; %bb.173:
	v_lshl_add_u64 v[16:17], v[28:29], 1, v[20:21]
	global_load_ushort v16, v[16:17], off
	s_waitcnt vmcnt(0)
	v_mul_f16_e32 v16, s30, v16
	s_branch .LBB305_175
.LBB305_174:
	v_mov_b32_e32 v16, 0
.LBB305_175:
	v_pk_max_f16 v17, v6, v6
	v_pk_max_f16 v12, v12, v12
	;; [unrolled: 1-line block ×3, first 2 shown]
	v_pk_min_f16 v12, v12, v17
	v_pk_max_f16 v17, v7, v7
	v_pk_add_f16 v12, v49, v12
	v_pk_min_f16 v13, v13, v17
	s_nop 0
	v_pk_add_f16 v12, v12, v13
	s_nop 0
	v_add_f16_sdwa v12, v12, v12 dst_sel:DWORD dst_unused:UNUSED_PAD src0_sel:DWORD src1_sel:WORD_1
	v_add_f16_e32 v16, v12, v16
	v_lshl_add_u64 v[12:13], v[28:29], 1, v[4:5]
	global_store_short v[12:13], v16, off
	s_or_b64 exec, exec, s[2:3]
	s_and_b64 s[4:5], s[8:9], s[18:19]
	s_and_saveexec_b64 s[2:3], s[4:5]
	s_cbranch_execz .LBB305_159
.LBB305_176:
	s_and_b64 vcc, exec, s[0:1]
	s_cbranch_vccnz .LBB305_178
; %bb.177:
	v_lshl_add_u64 v[12:13], v[30:31], 1, v[20:21]
	global_load_ushort v12, v[12:13], off
	s_waitcnt vmcnt(0)
	v_mul_f16_e32 v12, s30, v12
	s_branch .LBB305_179
.LBB305_178:
	v_mov_b32_e32 v12, 0
.LBB305_179:
	v_pk_max_f16 v13, v6, v6
	v_pk_max_f16 v14, v14, v14
	;; [unrolled: 1-line block ×3, first 2 shown]
	v_pk_min_f16 v13, v14, v13
	v_pk_max_f16 v14, v7, v7
	v_pk_add_f16 v13, v48, v13
	v_pk_min_f16 v14, v15, v14
	s_nop 0
	v_pk_add_f16 v13, v13, v14
	s_nop 0
	v_add_f16_sdwa v13, v13, v13 dst_sel:DWORD dst_unused:UNUSED_PAD src0_sel:DWORD src1_sel:WORD_1
	v_add_f16_e32 v14, v13, v12
	v_lshl_add_u64 v[12:13], v[30:31], 1, v[4:5]
	global_store_short v[12:13], v14, off
	s_or_b64 exec, exec, s[2:3]
	s_and_b64 s[4:5], s[10:11], s[18:19]
	s_and_saveexec_b64 s[2:3], s[4:5]
	s_cbranch_execz .LBB305_160
.LBB305_180:
	s_and_b64 vcc, exec, s[0:1]
	s_cbranch_vccnz .LBB305_182
; %bb.181:
	v_lshl_add_u64 v[12:13], v[32:33], 1, v[20:21]
	global_load_ushort v12, v[12:13], off
	s_waitcnt vmcnt(0)
	v_mul_f16_e32 v12, s30, v12
	s_branch .LBB305_183
.LBB305_182:
	v_mov_b32_e32 v12, 0
.LBB305_183:
	v_pk_max_f16 v13, v6, v6
	v_pk_max_f16 v8, v8, v8
	;; [unrolled: 1-line block ×3, first 2 shown]
	v_pk_min_f16 v8, v8, v13
	v_pk_max_f16 v13, v7, v7
	v_pk_add_f16 v8, v47, v8
	v_pk_min_f16 v9, v9, v13
	s_nop 0
	v_pk_add_f16 v8, v8, v9
	s_nop 0
	v_add_f16_sdwa v8, v8, v8 dst_sel:DWORD dst_unused:UNUSED_PAD src0_sel:DWORD src1_sel:WORD_1
	v_add_f16_e32 v12, v8, v12
	v_lshl_add_u64 v[8:9], v[32:33], 1, v[4:5]
	global_store_short v[8:9], v12, off
	s_or_b64 exec, exec, s[2:3]
	s_and_b64 s[4:5], s[12:13], s[18:19]
	s_and_saveexec_b64 s[2:3], s[4:5]
	s_cbranch_execz .LBB305_161
.LBB305_184:
	s_and_b64 vcc, exec, s[0:1]
	s_cbranch_vccnz .LBB305_186
; %bb.185:
	v_lshl_add_u64 v[8:9], v[34:35], 1, v[20:21]
	global_load_ushort v8, v[8:9], off
	s_waitcnt vmcnt(0)
	v_mul_f16_e32 v8, s30, v8
	s_branch .LBB305_187
.LBB305_186:
	v_mov_b32_e32 v8, 0
.LBB305_187:
	v_pk_max_f16 v9, v6, v6
	v_pk_max_f16 v10, v10, v10
	;; [unrolled: 1-line block ×3, first 2 shown]
	v_pk_min_f16 v9, v10, v9
	v_pk_max_f16 v10, v7, v7
	v_pk_add_f16 v9, v46, v9
	v_pk_min_f16 v10, v11, v10
	s_nop 0
	v_pk_add_f16 v9, v9, v10
	s_nop 0
	v_add_f16_sdwa v9, v9, v9 dst_sel:DWORD dst_unused:UNUSED_PAD src0_sel:DWORD src1_sel:WORD_1
	v_add_f16_e32 v10, v9, v8
	v_lshl_add_u64 v[8:9], v[34:35], 1, v[4:5]
	global_store_short v[8:9], v10, off
	s_or_b64 exec, exec, s[2:3]
	s_and_b64 s[4:5], s[14:15], s[18:19]
	s_and_saveexec_b64 s[2:3], s[4:5]
	s_cbranch_execz .LBB305_162
.LBB305_188:
	s_and_b64 vcc, exec, s[0:1]
	s_cbranch_vccnz .LBB305_190
; %bb.189:
	v_lshl_add_u64 v[8:9], v[36:37], 1, v[20:21]
	global_load_ushort v8, v[8:9], off
	s_waitcnt vmcnt(0)
	v_mul_f16_e32 v8, s30, v8
	s_branch .LBB305_191
.LBB305_190:
	v_mov_b32_e32 v8, 0
.LBB305_191:
	v_pk_max_f16 v9, v6, v6
	v_pk_max_f16 v0, v0, v0
	;; [unrolled: 1-line block ×3, first 2 shown]
	v_pk_min_f16 v0, v0, v9
	v_pk_max_f16 v9, v7, v7
	v_pk_add_f16 v0, v45, v0
	v_pk_min_f16 v1, v1, v9
	s_nop 0
	v_pk_add_f16 v0, v0, v1
	s_nop 0
	v_add_f16_sdwa v0, v0, v0 dst_sel:DWORD dst_unused:UNUSED_PAD src0_sel:DWORD src1_sel:WORD_1
	v_add_f16_e32 v8, v0, v8
	v_lshl_add_u64 v[0:1], v[36:37], 1, v[4:5]
	global_store_short v[0:1], v8, off
	s_or_b64 exec, exec, s[2:3]
	s_and_b64 s[2:3], s[16:17], s[18:19]
	s_and_saveexec_b64 s[4:5], s[2:3]
	s_cbranch_execz .LBB305_163
.LBB305_192:
	s_and_b64 vcc, exec, s[0:1]
	s_cbranch_vccnz .LBB305_194
; %bb.193:
	v_lshl_add_u64 v[0:1], v[38:39], 1, v[20:21]
	global_load_ushort v0, v[0:1], off
	s_waitcnt vmcnt(0)
	v_mul_f16_e32 v0, s30, v0
	s_branch .LBB305_195
.LBB305_194:
	v_mov_b32_e32 v0, 0
.LBB305_195:
	v_pk_max_f16 v1, v6, v6
	v_pk_max_f16 v2, v2, v2
	;; [unrolled: 1-line block ×3, first 2 shown]
	v_pk_min_f16 v1, v2, v1
	v_pk_max_f16 v2, v7, v7
	v_pk_add_f16 v1, v44, v1
	v_pk_min_f16 v2, v3, v2
	s_nop 0
	v_pk_add_f16 v1, v1, v2
	s_nop 0
	v_add_f16_sdwa v1, v1, v1 dst_sel:DWORD dst_unused:UNUSED_PAD src0_sel:DWORD src1_sel:WORD_1
	v_add_f16_e32 v2, v1, v0
	v_lshl_add_u64 v[0:1], v[38:39], 1, v[4:5]
	global_store_short v[0:1], v2, off
	s_endpgm
	.section	.rodata,"a",@progbits
	.p2align	6, 0x0
	.amdhsa_kernel _ZN12_GLOBAL__N_120geam_min_plus_kernelIDF16_Dv2_DF16_S1_Li8ELi32ELi64ELi128ELi4ELi4ELi64ELi64ELi4ELc84ELc84ELb0ELb1ELb0EDF16_KDF16_DF16_EEviiiT16_PT17_ilS5_ilS3_S5_ilPT18_ili26rocblas_geam_ex_operation_
		.amdhsa_group_segment_fixed_size 3072
		.amdhsa_private_segment_fixed_size 0
		.amdhsa_kernarg_size 128
		.amdhsa_user_sgpr_count 2
		.amdhsa_user_sgpr_dispatch_ptr 0
		.amdhsa_user_sgpr_queue_ptr 0
		.amdhsa_user_sgpr_kernarg_segment_ptr 1
		.amdhsa_user_sgpr_dispatch_id 0
		.amdhsa_user_sgpr_kernarg_preload_length 0
		.amdhsa_user_sgpr_kernarg_preload_offset 0
		.amdhsa_user_sgpr_private_segment_size 0
		.amdhsa_uses_dynamic_stack 0
		.amdhsa_enable_private_segment 0
		.amdhsa_system_sgpr_workgroup_id_x 1
		.amdhsa_system_sgpr_workgroup_id_y 0
		.amdhsa_system_sgpr_workgroup_id_z 1
		.amdhsa_system_sgpr_workgroup_info 0
		.amdhsa_system_vgpr_workitem_id 1
		.amdhsa_next_free_vgpr 118
		.amdhsa_next_free_sgpr 38
		.amdhsa_accum_offset 120
		.amdhsa_reserve_vcc 1
		.amdhsa_float_round_mode_32 0
		.amdhsa_float_round_mode_16_64 0
		.amdhsa_float_denorm_mode_32 3
		.amdhsa_float_denorm_mode_16_64 3
		.amdhsa_dx10_clamp 1
		.amdhsa_ieee_mode 1
		.amdhsa_fp16_overflow 0
		.amdhsa_tg_split 0
		.amdhsa_exception_fp_ieee_invalid_op 0
		.amdhsa_exception_fp_denorm_src 0
		.amdhsa_exception_fp_ieee_div_zero 0
		.amdhsa_exception_fp_ieee_overflow 0
		.amdhsa_exception_fp_ieee_underflow 0
		.amdhsa_exception_fp_ieee_inexact 0
		.amdhsa_exception_int_div_zero 0
	.end_amdhsa_kernel
	.section	.text._ZN12_GLOBAL__N_120geam_min_plus_kernelIDF16_Dv2_DF16_S1_Li8ELi32ELi64ELi128ELi4ELi4ELi64ELi64ELi4ELc84ELc84ELb0ELb1ELb0EDF16_KDF16_DF16_EEviiiT16_PT17_ilS5_ilS3_S5_ilPT18_ili26rocblas_geam_ex_operation_,"axG",@progbits,_ZN12_GLOBAL__N_120geam_min_plus_kernelIDF16_Dv2_DF16_S1_Li8ELi32ELi64ELi128ELi4ELi4ELi64ELi64ELi4ELc84ELc84ELb0ELb1ELb0EDF16_KDF16_DF16_EEviiiT16_PT17_ilS5_ilS3_S5_ilPT18_ili26rocblas_geam_ex_operation_,comdat
.Lfunc_end305:
	.size	_ZN12_GLOBAL__N_120geam_min_plus_kernelIDF16_Dv2_DF16_S1_Li8ELi32ELi64ELi128ELi4ELi4ELi64ELi64ELi4ELc84ELc84ELb0ELb1ELb0EDF16_KDF16_DF16_EEviiiT16_PT17_ilS5_ilS3_S5_ilPT18_ili26rocblas_geam_ex_operation_, .Lfunc_end305-_ZN12_GLOBAL__N_120geam_min_plus_kernelIDF16_Dv2_DF16_S1_Li8ELi32ELi64ELi128ELi4ELi4ELi64ELi64ELi4ELc84ELc84ELb0ELb1ELb0EDF16_KDF16_DF16_EEviiiT16_PT17_ilS5_ilS3_S5_ilPT18_ili26rocblas_geam_ex_operation_
                                        ; -- End function
	.set _ZN12_GLOBAL__N_120geam_min_plus_kernelIDF16_Dv2_DF16_S1_Li8ELi32ELi64ELi128ELi4ELi4ELi64ELi64ELi4ELc84ELc84ELb0ELb1ELb0EDF16_KDF16_DF16_EEviiiT16_PT17_ilS5_ilS3_S5_ilPT18_ili26rocblas_geam_ex_operation_.num_vgpr, 118
	.set _ZN12_GLOBAL__N_120geam_min_plus_kernelIDF16_Dv2_DF16_S1_Li8ELi32ELi64ELi128ELi4ELi4ELi64ELi64ELi4ELc84ELc84ELb0ELb1ELb0EDF16_KDF16_DF16_EEviiiT16_PT17_ilS5_ilS3_S5_ilPT18_ili26rocblas_geam_ex_operation_.num_agpr, 0
	.set _ZN12_GLOBAL__N_120geam_min_plus_kernelIDF16_Dv2_DF16_S1_Li8ELi32ELi64ELi128ELi4ELi4ELi64ELi64ELi4ELc84ELc84ELb0ELb1ELb0EDF16_KDF16_DF16_EEviiiT16_PT17_ilS5_ilS3_S5_ilPT18_ili26rocblas_geam_ex_operation_.numbered_sgpr, 38
	.set _ZN12_GLOBAL__N_120geam_min_plus_kernelIDF16_Dv2_DF16_S1_Li8ELi32ELi64ELi128ELi4ELi4ELi64ELi64ELi4ELc84ELc84ELb0ELb1ELb0EDF16_KDF16_DF16_EEviiiT16_PT17_ilS5_ilS3_S5_ilPT18_ili26rocblas_geam_ex_operation_.num_named_barrier, 0
	.set _ZN12_GLOBAL__N_120geam_min_plus_kernelIDF16_Dv2_DF16_S1_Li8ELi32ELi64ELi128ELi4ELi4ELi64ELi64ELi4ELc84ELc84ELb0ELb1ELb0EDF16_KDF16_DF16_EEviiiT16_PT17_ilS5_ilS3_S5_ilPT18_ili26rocblas_geam_ex_operation_.private_seg_size, 0
	.set _ZN12_GLOBAL__N_120geam_min_plus_kernelIDF16_Dv2_DF16_S1_Li8ELi32ELi64ELi128ELi4ELi4ELi64ELi64ELi4ELc84ELc84ELb0ELb1ELb0EDF16_KDF16_DF16_EEviiiT16_PT17_ilS5_ilS3_S5_ilPT18_ili26rocblas_geam_ex_operation_.uses_vcc, 1
	.set _ZN12_GLOBAL__N_120geam_min_plus_kernelIDF16_Dv2_DF16_S1_Li8ELi32ELi64ELi128ELi4ELi4ELi64ELi64ELi4ELc84ELc84ELb0ELb1ELb0EDF16_KDF16_DF16_EEviiiT16_PT17_ilS5_ilS3_S5_ilPT18_ili26rocblas_geam_ex_operation_.uses_flat_scratch, 0
	.set _ZN12_GLOBAL__N_120geam_min_plus_kernelIDF16_Dv2_DF16_S1_Li8ELi32ELi64ELi128ELi4ELi4ELi64ELi64ELi4ELc84ELc84ELb0ELb1ELb0EDF16_KDF16_DF16_EEviiiT16_PT17_ilS5_ilS3_S5_ilPT18_ili26rocblas_geam_ex_operation_.has_dyn_sized_stack, 0
	.set _ZN12_GLOBAL__N_120geam_min_plus_kernelIDF16_Dv2_DF16_S1_Li8ELi32ELi64ELi128ELi4ELi4ELi64ELi64ELi4ELc84ELc84ELb0ELb1ELb0EDF16_KDF16_DF16_EEviiiT16_PT17_ilS5_ilS3_S5_ilPT18_ili26rocblas_geam_ex_operation_.has_recursion, 0
	.set _ZN12_GLOBAL__N_120geam_min_plus_kernelIDF16_Dv2_DF16_S1_Li8ELi32ELi64ELi128ELi4ELi4ELi64ELi64ELi4ELc84ELc84ELb0ELb1ELb0EDF16_KDF16_DF16_EEviiiT16_PT17_ilS5_ilS3_S5_ilPT18_ili26rocblas_geam_ex_operation_.has_indirect_call, 0
	.section	.AMDGPU.csdata,"",@progbits
; Kernel info:
; codeLenInByte = 11268
; TotalNumSgprs: 44
; NumVgprs: 118
; NumAgprs: 0
; TotalNumVgprs: 118
; ScratchSize: 0
; MemoryBound: 0
; FloatMode: 240
; IeeeMode: 1
; LDSByteSize: 3072 bytes/workgroup (compile time only)
; SGPRBlocks: 5
; VGPRBlocks: 14
; NumSGPRsForWavesPerEU: 44
; NumVGPRsForWavesPerEU: 118
; AccumOffset: 120
; Occupancy: 4
; WaveLimiterHint : 0
; COMPUTE_PGM_RSRC2:SCRATCH_EN: 0
; COMPUTE_PGM_RSRC2:USER_SGPR: 2
; COMPUTE_PGM_RSRC2:TRAP_HANDLER: 0
; COMPUTE_PGM_RSRC2:TGID_X_EN: 1
; COMPUTE_PGM_RSRC2:TGID_Y_EN: 0
; COMPUTE_PGM_RSRC2:TGID_Z_EN: 1
; COMPUTE_PGM_RSRC2:TIDIG_COMP_CNT: 1
; COMPUTE_PGM_RSRC3_GFX90A:ACCUM_OFFSET: 29
; COMPUTE_PGM_RSRC3_GFX90A:TG_SPLIT: 0
	.section	.AMDGPU.gpr_maximums,"",@progbits
	.set amdgpu.max_num_vgpr, 0
	.set amdgpu.max_num_agpr, 0
	.set amdgpu.max_num_sgpr, 0
	.section	.AMDGPU.csdata,"",@progbits
	.type	__hip_cuid_aeda9425abbf7882,@object ; @__hip_cuid_aeda9425abbf7882
	.section	.bss,"aw",@nobits
	.globl	__hip_cuid_aeda9425abbf7882
__hip_cuid_aeda9425abbf7882:
	.byte	0                               ; 0x0
	.size	__hip_cuid_aeda9425abbf7882, 1

	.ident	"AMD clang version 22.0.0git (https://github.com/RadeonOpenCompute/llvm-project roc-7.2.4 26084 f58b06dce1f9c15707c5f808fd002e18c2accf7e)"
	.section	".note.GNU-stack","",@progbits
	.addrsig
	.addrsig_sym __hip_cuid_aeda9425abbf7882
	.amdgpu_metadata
---
amdhsa.kernels:
  - .agpr_count:     0
    .args:
      - .offset:         0
        .size:           4
        .value_kind:     by_value
      - .offset:         4
        .size:           4
        .value_kind:     by_value
      - .offset:         8
        .size:           4
        .value_kind:     by_value
      - .address_space:  global
        .offset:         16
        .size:           8
        .value_kind:     global_buffer
      - .offset:         24
        .size:           8
        .value_kind:     by_value
      - .offset:         32
        .size:           4
        .value_kind:     by_value
      - .offset:         40
        .size:           8
        .value_kind:     by_value
      - .address_space:  global
        .offset:         48
        .size:           8
        .value_kind:     global_buffer
      - .offset:         56
        .size:           8
        .value_kind:     by_value
      - .offset:         64
        .size:           4
        .value_kind:     by_value
      - .offset:         72
        .size:           8
        .value_kind:     by_value
    .group_segment_fixed_size: 0
    .kernarg_segment_align: 8
    .kernarg_segment_size: 80
    .language:       OpenCL C
    .language_version:
      - 2
      - 0
    .max_flat_workgroup_size: 1024
    .name:           _ZN12_GLOBAL__N_120geam_ex_scale_kernelILi32ELi32EffPKPKfPKPfEEviiT2_T3_lilT4_lil
    .private_segment_fixed_size: 0
    .sgpr_count:     24
    .sgpr_spill_count: 0
    .symbol:         _ZN12_GLOBAL__N_120geam_ex_scale_kernelILi32ELi32EffPKPKfPKPfEEviiT2_T3_lilT4_lil.kd
    .uniform_work_group_size: 1
    .uses_dynamic_stack: false
    .vgpr_count:     10
    .vgpr_spill_count: 0
    .wavefront_size: 64
  - .agpr_count:     0
    .args:
      - .offset:         0
        .size:           4
        .value_kind:     by_value
      - .offset:         4
        .size:           4
        .value_kind:     by_value
      - .address_space:  global
        .offset:         8
        .size:           8
        .value_kind:     global_buffer
      - .address_space:  global
        .offset:         16
        .size:           8
        .value_kind:     global_buffer
      - .offset:         24
        .size:           8
        .value_kind:     by_value
      - .offset:         32
        .size:           4
        .value_kind:     by_value
      - .offset:         40
        .size:           8
        .value_kind:     by_value
      - .address_space:  global
        .offset:         48
        .size:           8
        .value_kind:     global_buffer
      - .offset:         56
        .size:           8
        .value_kind:     by_value
      - .offset:         64
        .size:           4
        .value_kind:     by_value
      - .offset:         72
        .size:           8
        .value_kind:     by_value
    .group_segment_fixed_size: 0
    .kernarg_segment_align: 8
    .kernarg_segment_size: 80
    .language:       OpenCL C
    .language_version:
      - 2
      - 0
    .max_flat_workgroup_size: 1024
    .name:           _ZN12_GLOBAL__N_120geam_ex_scale_kernelILi32ELi32EfPKfPKS2_PKPfEEviiT2_T3_lilT4_lil
    .private_segment_fixed_size: 0
    .sgpr_count:     23
    .sgpr_spill_count: 0
    .symbol:         _ZN12_GLOBAL__N_120geam_ex_scale_kernelILi32ELi32EfPKfPKS2_PKPfEEviiT2_T3_lilT4_lil.kd
    .uniform_work_group_size: 1
    .uses_dynamic_stack: false
    .vgpr_count:     10
    .vgpr_spill_count: 0
    .wavefront_size: 64
  - .agpr_count:     0
    .args:
      - .offset:         0
        .size:           4
        .value_kind:     by_value
      - .offset:         4
        .size:           4
        .value_kind:     by_value
      - .offset:         8
        .size:           4
        .value_kind:     by_value
      - .address_space:  global
        .offset:         16
        .size:           8
        .value_kind:     global_buffer
      - .offset:         24
        .size:           8
        .value_kind:     by_value
      - .offset:         32
        .size:           4
        .value_kind:     by_value
      - .offset:         40
        .size:           8
        .value_kind:     by_value
      - .address_space:  global
        .offset:         48
        .size:           8
        .value_kind:     global_buffer
      - .offset:         56
        .size:           8
        .value_kind:     by_value
      - .offset:         64
        .size:           4
        .value_kind:     by_value
      - .offset:         72
        .size:           8
        .value_kind:     by_value
    .group_segment_fixed_size: 0
    .kernarg_segment_align: 8
    .kernarg_segment_size: 80
    .language:       OpenCL C
    .language_version:
      - 2
      - 0
    .max_flat_workgroup_size: 1024
    .name:           _ZN12_GLOBAL__N_120geam_ex_round_kernelILi32ELi32EffPKPKfPKPfEEviiT2_T3_lilT4_lil
    .private_segment_fixed_size: 0
    .sgpr_count:     24
    .sgpr_spill_count: 0
    .symbol:         _ZN12_GLOBAL__N_120geam_ex_round_kernelILi32ELi32EffPKPKfPKPfEEviiT2_T3_lilT4_lil.kd
    .uniform_work_group_size: 1
    .uses_dynamic_stack: false
    .vgpr_count:     10
    .vgpr_spill_count: 0
    .wavefront_size: 64
  - .agpr_count:     0
    .args:
      - .offset:         0
        .size:           4
        .value_kind:     by_value
      - .offset:         4
        .size:           4
        .value_kind:     by_value
      - .offset:         8
        .size:           4
        .value_kind:     by_value
      - .address_space:  global
        .offset:         16
        .size:           8
        .value_kind:     global_buffer
      - .address_space:  global
        .offset:         24
        .size:           8
        .value_kind:     global_buffer
      - .offset:         32
        .size:           4
        .value_kind:     by_value
      - .offset:         40
        .size:           8
        .value_kind:     by_value
      - .address_space:  global
        .offset:         48
        .size:           8
        .value_kind:     global_buffer
      - .offset:         56
        .size:           4
        .value_kind:     by_value
      - .offset:         64
        .size:           8
        .value_kind:     by_value
      - .address_space:  global
        .offset:         72
        .size:           8
        .value_kind:     global_buffer
      - .address_space:  global
        .offset:         80
        .size:           8
        .value_kind:     global_buffer
      - .offset:         88
        .size:           4
        .value_kind:     by_value
      - .offset:         96
        .size:           8
        .value_kind:     by_value
      - .address_space:  global
        .offset:         104
        .size:           8
        .value_kind:     global_buffer
      - .offset:         112
        .size:           4
        .value_kind:     by_value
      - .offset:         120
        .size:           8
        .value_kind:     by_value
      - .offset:         128
        .size:           4
        .value_kind:     by_value
      - .offset:         132
        .size:           4
        .value_kind:     by_value
    .group_segment_fixed_size: 10240
    .kernarg_segment_align: 8
    .kernarg_segment_size: 136
    .language:       OpenCL C
    .language_version:
      - 2
      - 0
    .max_flat_workgroup_size: 256
    .name:           _ZN12_GLOBAL__N_120geam_min_plus_kernelIf15HIP_vector_typeIfLj2EEfLi32ELi8ELi256ELi64ELi4ELi64ELi4ELi4ELi64ELc78ELc78ELb0ELb0ELb1EPKfKS4_KPfEEviiiT16_PT17_ilSA_ilS8_SA_ilPT18_ili26rocblas_geam_ex_operation_
    .private_segment_fixed_size: 0
    .sgpr_count:     34
    .sgpr_spill_count: 0
    .symbol:         _ZN12_GLOBAL__N_120geam_min_plus_kernelIf15HIP_vector_typeIfLj2EEfLi32ELi8ELi256ELi64ELi4ELi64ELi4ELi4ELi64ELc78ELc78ELb0ELb0ELb1EPKfKS4_KPfEEviiiT16_PT17_ilSA_ilS8_SA_ilPT18_ili26rocblas_geam_ex_operation_.kd
    .uniform_work_group_size: 1
    .uses_dynamic_stack: false
    .vgpr_count:     158
    .vgpr_spill_count: 0
    .wavefront_size: 64
  - .agpr_count:     0
    .args:
      - .offset:         0
        .size:           4
        .value_kind:     by_value
      - .offset:         4
        .size:           4
        .value_kind:     by_value
      - .offset:         8
        .size:           4
        .value_kind:     by_value
      - .offset:         12
        .size:           4
        .value_kind:     by_value
      - .address_space:  global
        .offset:         16
        .size:           8
        .value_kind:     global_buffer
      - .offset:         24
        .size:           4
        .value_kind:     by_value
      - .offset:         32
        .size:           8
        .value_kind:     by_value
      - .address_space:  global
        .offset:         40
        .size:           8
        .value_kind:     global_buffer
      - .offset:         48
        .size:           4
        .value_kind:     by_value
      - .offset:         56
        .size:           8
        .value_kind:     by_value
      - .offset:         64
        .size:           4
        .value_kind:     by_value
      - .address_space:  global
        .offset:         72
        .size:           8
        .value_kind:     global_buffer
      - .offset:         80
        .size:           4
        .value_kind:     by_value
      - .offset:         88
        .size:           8
        .value_kind:     by_value
      - .address_space:  global
        .offset:         96
        .size:           8
        .value_kind:     global_buffer
      - .offset:         104
        .size:           4
        .value_kind:     by_value
      - .offset:         112
        .size:           8
        .value_kind:     by_value
      - .offset:         120
        .size:           4
        .value_kind:     by_value
      - .offset:         124
        .size:           4
        .value_kind:     by_value
    .group_segment_fixed_size: 10240
    .kernarg_segment_align: 8
    .kernarg_segment_size: 128
    .language:       OpenCL C
    .language_version:
      - 2
      - 0
    .max_flat_workgroup_size: 256
    .name:           _ZN12_GLOBAL__N_120geam_min_plus_kernelIf15HIP_vector_typeIfLj2EEfLi32ELi8ELi256ELi64ELi4ELi64ELi4ELi4ELi64ELc78ELc78ELb1ELb0ELb1EfKPKfKPfEEviiiT16_PT17_ilSA_ilS8_SA_ilPT18_ili26rocblas_geam_ex_operation_
    .private_segment_fixed_size: 0
    .sgpr_count:     28
    .sgpr_spill_count: 0
    .symbol:         _ZN12_GLOBAL__N_120geam_min_plus_kernelIf15HIP_vector_typeIfLj2EEfLi32ELi8ELi256ELi64ELi4ELi64ELi4ELi4ELi64ELc78ELc78ELb1ELb0ELb1EfKPKfKPfEEviiiT16_PT17_ilSA_ilS8_SA_ilPT18_ili26rocblas_geam_ex_operation_.kd
    .uniform_work_group_size: 1
    .uses_dynamic_stack: false
    .vgpr_count:     177
    .vgpr_spill_count: 0
    .wavefront_size: 64
  - .agpr_count:     0
    .args:
      - .offset:         0
        .size:           4
        .value_kind:     by_value
      - .offset:         4
        .size:           4
        .value_kind:     by_value
      - .offset:         8
        .size:           4
        .value_kind:     by_value
      - .offset:         12
        .size:           4
        .value_kind:     by_value
      - .address_space:  global
        .offset:         16
        .size:           8
        .value_kind:     global_buffer
      - .offset:         24
        .size:           4
        .value_kind:     by_value
      - .offset:         32
        .size:           8
        .value_kind:     by_value
      - .address_space:  global
        .offset:         40
        .size:           8
        .value_kind:     global_buffer
      - .offset:         48
        .size:           4
        .value_kind:     by_value
      - .offset:         56
        .size:           8
        .value_kind:     by_value
      - .offset:         64
        .size:           4
        .value_kind:     by_value
      - .address_space:  global
        .offset:         72
        .size:           8
        .value_kind:     global_buffer
      - .offset:         80
        .size:           4
        .value_kind:     by_value
      - .offset:         88
        .size:           8
        .value_kind:     by_value
      - .address_space:  global
        .offset:         96
        .size:           8
        .value_kind:     global_buffer
      - .offset:         104
        .size:           4
        .value_kind:     by_value
      - .offset:         112
        .size:           8
        .value_kind:     by_value
      - .offset:         120
        .size:           4
        .value_kind:     by_value
      - .offset:         124
        .size:           4
        .value_kind:     by_value
    .group_segment_fixed_size: 10240
    .kernarg_segment_align: 8
    .kernarg_segment_size: 128
    .language:       OpenCL C
    .language_version:
      - 2
      - 0
    .max_flat_workgroup_size: 256
    .name:           _ZN12_GLOBAL__N_120geam_min_plus_kernelIf15HIP_vector_typeIfLj2EEfLi32ELi8ELi256ELi64ELi4ELi64ELi4ELi4ELi64ELc78ELc78ELb0ELb0ELb1EfKPKfKPfEEviiiT16_PT17_ilSA_ilS8_SA_ilPT18_ili26rocblas_geam_ex_operation_
    .private_segment_fixed_size: 0
    .sgpr_count:     38
    .sgpr_spill_count: 0
    .symbol:         _ZN12_GLOBAL__N_120geam_min_plus_kernelIf15HIP_vector_typeIfLj2EEfLi32ELi8ELi256ELi64ELi4ELi64ELi4ELi4ELi64ELc78ELc78ELb0ELb0ELb1EfKPKfKPfEEviiiT16_PT17_ilSA_ilS8_SA_ilPT18_ili26rocblas_geam_ex_operation_.kd
    .uniform_work_group_size: 1
    .uses_dynamic_stack: false
    .vgpr_count:     158
    .vgpr_spill_count: 0
    .wavefront_size: 64
  - .agpr_count:     0
    .args:
      - .offset:         0
        .size:           4
        .value_kind:     by_value
      - .offset:         4
        .size:           4
        .value_kind:     by_value
      - .offset:         8
        .size:           4
        .value_kind:     by_value
      - .address_space:  global
        .offset:         16
        .size:           8
        .value_kind:     global_buffer
      - .address_space:  global
        .offset:         24
        .size:           8
        .value_kind:     global_buffer
      - .offset:         32
        .size:           4
        .value_kind:     by_value
      - .offset:         40
        .size:           8
        .value_kind:     by_value
      - .address_space:  global
        .offset:         48
        .size:           8
        .value_kind:     global_buffer
      - .offset:         56
        .size:           4
        .value_kind:     by_value
      - .offset:         64
        .size:           8
        .value_kind:     by_value
      - .address_space:  global
        .offset:         72
        .size:           8
        .value_kind:     global_buffer
      - .address_space:  global
        .offset:         80
        .size:           8
        .value_kind:     global_buffer
      - .offset:         88
        .size:           4
        .value_kind:     by_value
      - .offset:         96
        .size:           8
        .value_kind:     by_value
      - .address_space:  global
        .offset:         104
        .size:           8
        .value_kind:     global_buffer
      - .offset:         112
        .size:           4
        .value_kind:     by_value
      - .offset:         120
        .size:           8
        .value_kind:     by_value
      - .offset:         128
        .size:           4
        .value_kind:     by_value
      - .offset:         132
        .size:           4
        .value_kind:     by_value
    .group_segment_fixed_size: 10240
    .kernarg_segment_align: 8
    .kernarg_segment_size: 136
    .language:       OpenCL C
    .language_version:
      - 2
      - 0
    .max_flat_workgroup_size: 256
    .name:           _ZN12_GLOBAL__N_120geam_min_plus_kernelIf15HIP_vector_typeIfLj2EEfLi32ELi8ELi256ELi64ELi4ELi64ELi4ELi4ELi64ELc78ELc78ELb0ELb1ELb1EPKfKS4_KPfEEviiiT16_PT17_ilSA_ilS8_SA_ilPT18_ili26rocblas_geam_ex_operation_
    .private_segment_fixed_size: 0
    .sgpr_count:     46
    .sgpr_spill_count: 0
    .symbol:         _ZN12_GLOBAL__N_120geam_min_plus_kernelIf15HIP_vector_typeIfLj2EEfLi32ELi8ELi256ELi64ELi4ELi64ELi4ELi4ELi64ELc78ELc78ELb0ELb1ELb1EPKfKS4_KPfEEviiiT16_PT17_ilSA_ilS8_SA_ilPT18_ili26rocblas_geam_ex_operation_.kd
    .uniform_work_group_size: 1
    .uses_dynamic_stack: false
    .vgpr_count:     157
    .vgpr_spill_count: 0
    .wavefront_size: 64
  - .agpr_count:     0
    .args:
      - .offset:         0
        .size:           4
        .value_kind:     by_value
      - .offset:         4
        .size:           4
        .value_kind:     by_value
      - .offset:         8
        .size:           4
        .value_kind:     by_value
      - .offset:         12
        .size:           4
        .value_kind:     by_value
      - .address_space:  global
        .offset:         16
        .size:           8
        .value_kind:     global_buffer
      - .offset:         24
        .size:           4
        .value_kind:     by_value
      - .offset:         32
        .size:           8
        .value_kind:     by_value
      - .address_space:  global
        .offset:         40
        .size:           8
        .value_kind:     global_buffer
      - .offset:         48
        .size:           4
        .value_kind:     by_value
      - .offset:         56
        .size:           8
        .value_kind:     by_value
      - .offset:         64
        .size:           4
        .value_kind:     by_value
      - .address_space:  global
        .offset:         72
        .size:           8
        .value_kind:     global_buffer
      - .offset:         80
        .size:           4
        .value_kind:     by_value
      - .offset:         88
        .size:           8
        .value_kind:     by_value
      - .address_space:  global
        .offset:         96
        .size:           8
        .value_kind:     global_buffer
      - .offset:         104
        .size:           4
        .value_kind:     by_value
      - .offset:         112
        .size:           8
        .value_kind:     by_value
      - .offset:         120
        .size:           4
        .value_kind:     by_value
      - .offset:         124
        .size:           4
        .value_kind:     by_value
    .group_segment_fixed_size: 10240
    .kernarg_segment_align: 8
    .kernarg_segment_size: 128
    .language:       OpenCL C
    .language_version:
      - 2
      - 0
    .max_flat_workgroup_size: 256
    .name:           _ZN12_GLOBAL__N_120geam_min_plus_kernelIf15HIP_vector_typeIfLj2EEfLi32ELi8ELi256ELi64ELi4ELi64ELi4ELi4ELi64ELc78ELc78ELb1ELb1ELb1EfKPKfKPfEEviiiT16_PT17_ilSA_ilS8_SA_ilPT18_ili26rocblas_geam_ex_operation_
    .private_segment_fixed_size: 0
    .sgpr_count:     44
    .sgpr_spill_count: 0
    .symbol:         _ZN12_GLOBAL__N_120geam_min_plus_kernelIf15HIP_vector_typeIfLj2EEfLi32ELi8ELi256ELi64ELi4ELi64ELi4ELi4ELi64ELc78ELc78ELb1ELb1ELb1EfKPKfKPfEEviiiT16_PT17_ilSA_ilS8_SA_ilPT18_ili26rocblas_geam_ex_operation_.kd
    .uniform_work_group_size: 1
    .uses_dynamic_stack: false
    .vgpr_count:     161
    .vgpr_spill_count: 0
    .wavefront_size: 64
  - .agpr_count:     0
    .args:
      - .offset:         0
        .size:           4
        .value_kind:     by_value
      - .offset:         4
        .size:           4
        .value_kind:     by_value
      - .offset:         8
        .size:           4
        .value_kind:     by_value
      - .offset:         12
        .size:           4
        .value_kind:     by_value
      - .address_space:  global
        .offset:         16
        .size:           8
        .value_kind:     global_buffer
      - .offset:         24
        .size:           4
        .value_kind:     by_value
      - .offset:         32
        .size:           8
        .value_kind:     by_value
      - .address_space:  global
        .offset:         40
        .size:           8
        .value_kind:     global_buffer
      - .offset:         48
        .size:           4
        .value_kind:     by_value
      - .offset:         56
        .size:           8
        .value_kind:     by_value
      - .offset:         64
        .size:           4
        .value_kind:     by_value
      - .address_space:  global
        .offset:         72
        .size:           8
        .value_kind:     global_buffer
      - .offset:         80
        .size:           4
        .value_kind:     by_value
      - .offset:         88
        .size:           8
        .value_kind:     by_value
      - .address_space:  global
        .offset:         96
        .size:           8
        .value_kind:     global_buffer
      - .offset:         104
        .size:           4
        .value_kind:     by_value
      - .offset:         112
        .size:           8
        .value_kind:     by_value
      - .offset:         120
        .size:           4
        .value_kind:     by_value
      - .offset:         124
        .size:           4
        .value_kind:     by_value
    .group_segment_fixed_size: 10240
    .kernarg_segment_align: 8
    .kernarg_segment_size: 128
    .language:       OpenCL C
    .language_version:
      - 2
      - 0
    .max_flat_workgroup_size: 256
    .name:           _ZN12_GLOBAL__N_120geam_min_plus_kernelIf15HIP_vector_typeIfLj2EEfLi32ELi8ELi256ELi64ELi4ELi64ELi4ELi4ELi64ELc78ELc78ELb0ELb1ELb1EfKPKfKPfEEviiiT16_PT17_ilSA_ilS8_SA_ilPT18_ili26rocblas_geam_ex_operation_
    .private_segment_fixed_size: 0
    .sgpr_count:     46
    .sgpr_spill_count: 0
    .symbol:         _ZN12_GLOBAL__N_120geam_min_plus_kernelIf15HIP_vector_typeIfLj2EEfLi32ELi8ELi256ELi64ELi4ELi64ELi4ELi4ELi64ELc78ELc78ELb0ELb1ELb1EfKPKfKPfEEviiiT16_PT17_ilSA_ilS8_SA_ilPT18_ili26rocblas_geam_ex_operation_.kd
    .uniform_work_group_size: 1
    .uses_dynamic_stack: false
    .vgpr_count:     157
    .vgpr_spill_count: 0
    .wavefront_size: 64
  - .agpr_count:     0
    .args:
      - .offset:         0
        .size:           4
        .value_kind:     by_value
      - .offset:         4
        .size:           4
        .value_kind:     by_value
      - .offset:         8
        .size:           4
        .value_kind:     by_value
      - .address_space:  global
        .offset:         16
        .size:           8
        .value_kind:     global_buffer
      - .address_space:  global
        .offset:         24
        .size:           8
        .value_kind:     global_buffer
      - .offset:         32
        .size:           4
        .value_kind:     by_value
      - .offset:         40
        .size:           8
        .value_kind:     by_value
      - .address_space:  global
        .offset:         48
        .size:           8
        .value_kind:     global_buffer
      - .offset:         56
        .size:           4
        .value_kind:     by_value
      - .offset:         64
        .size:           8
        .value_kind:     by_value
      - .address_space:  global
        .offset:         72
        .size:           8
        .value_kind:     global_buffer
      - .address_space:  global
        .offset:         80
        .size:           8
        .value_kind:     global_buffer
      - .offset:         88
        .size:           4
        .value_kind:     by_value
      - .offset:         96
        .size:           8
        .value_kind:     by_value
      - .address_space:  global
        .offset:         104
        .size:           8
        .value_kind:     global_buffer
      - .offset:         112
        .size:           4
        .value_kind:     by_value
      - .offset:         120
        .size:           8
        .value_kind:     by_value
      - .offset:         128
        .size:           4
        .value_kind:     by_value
      - .offset:         132
        .size:           4
        .value_kind:     by_value
    .group_segment_fixed_size: 8192
    .kernarg_segment_align: 8
    .kernarg_segment_size: 136
    .language:       OpenCL C
    .language_version:
      - 2
      - 0
    .max_flat_workgroup_size: 256
    .name:           _ZN12_GLOBAL__N_120geam_min_plus_kernelIf15HIP_vector_typeIfLj2EEfLi32ELi8ELi128ELi128ELi4ELi4ELi64ELi4ELi64ELc84ELc78ELb0ELb0ELb1EPKfKS4_KPfEEviiiT16_PT17_ilSA_ilS8_SA_ilPT18_ili26rocblas_geam_ex_operation_
    .private_segment_fixed_size: 0
    .sgpr_count:     34
    .sgpr_spill_count: 0
    .symbol:         _ZN12_GLOBAL__N_120geam_min_plus_kernelIf15HIP_vector_typeIfLj2EEfLi32ELi8ELi128ELi128ELi4ELi4ELi64ELi4ELi64ELc84ELc78ELb0ELb0ELb1EPKfKS4_KPfEEviiiT16_PT17_ilSA_ilS8_SA_ilPT18_ili26rocblas_geam_ex_operation_.kd
    .uniform_work_group_size: 1
    .uses_dynamic_stack: false
    .vgpr_count:     138
    .vgpr_spill_count: 0
    .wavefront_size: 64
  - .agpr_count:     0
    .args:
      - .offset:         0
        .size:           4
        .value_kind:     by_value
      - .offset:         4
        .size:           4
        .value_kind:     by_value
      - .offset:         8
        .size:           4
        .value_kind:     by_value
      - .offset:         12
        .size:           4
        .value_kind:     by_value
      - .address_space:  global
        .offset:         16
        .size:           8
        .value_kind:     global_buffer
      - .offset:         24
        .size:           4
        .value_kind:     by_value
      - .offset:         32
        .size:           8
        .value_kind:     by_value
      - .address_space:  global
        .offset:         40
        .size:           8
        .value_kind:     global_buffer
      - .offset:         48
        .size:           4
        .value_kind:     by_value
      - .offset:         56
        .size:           8
        .value_kind:     by_value
      - .offset:         64
        .size:           4
        .value_kind:     by_value
      - .address_space:  global
        .offset:         72
        .size:           8
        .value_kind:     global_buffer
      - .offset:         80
        .size:           4
        .value_kind:     by_value
      - .offset:         88
        .size:           8
        .value_kind:     by_value
      - .address_space:  global
        .offset:         96
        .size:           8
        .value_kind:     global_buffer
      - .offset:         104
        .size:           4
        .value_kind:     by_value
      - .offset:         112
        .size:           8
        .value_kind:     by_value
      - .offset:         120
        .size:           4
        .value_kind:     by_value
      - .offset:         124
        .size:           4
        .value_kind:     by_value
    .group_segment_fixed_size: 8192
    .kernarg_segment_align: 8
    .kernarg_segment_size: 128
    .language:       OpenCL C
    .language_version:
      - 2
      - 0
    .max_flat_workgroup_size: 256
    .name:           _ZN12_GLOBAL__N_120geam_min_plus_kernelIf15HIP_vector_typeIfLj2EEfLi32ELi8ELi128ELi128ELi4ELi4ELi64ELi4ELi64ELc84ELc78ELb1ELb0ELb1EfKPKfKPfEEviiiT16_PT17_ilSA_ilS8_SA_ilPT18_ili26rocblas_geam_ex_operation_
    .private_segment_fixed_size: 0
    .sgpr_count:     31
    .sgpr_spill_count: 0
    .symbol:         _ZN12_GLOBAL__N_120geam_min_plus_kernelIf15HIP_vector_typeIfLj2EEfLi32ELi8ELi128ELi128ELi4ELi4ELi64ELi4ELi64ELc84ELc78ELb1ELb0ELb1EfKPKfKPfEEviiiT16_PT17_ilSA_ilS8_SA_ilPT18_ili26rocblas_geam_ex_operation_.kd
    .uniform_work_group_size: 1
    .uses_dynamic_stack: false
    .vgpr_count:     138
    .vgpr_spill_count: 0
    .wavefront_size: 64
  - .agpr_count:     0
    .args:
      - .offset:         0
        .size:           4
        .value_kind:     by_value
      - .offset:         4
        .size:           4
        .value_kind:     by_value
      - .offset:         8
        .size:           4
        .value_kind:     by_value
      - .offset:         12
        .size:           4
        .value_kind:     by_value
      - .address_space:  global
        .offset:         16
        .size:           8
        .value_kind:     global_buffer
      - .offset:         24
        .size:           4
        .value_kind:     by_value
      - .offset:         32
        .size:           8
        .value_kind:     by_value
      - .address_space:  global
        .offset:         40
        .size:           8
        .value_kind:     global_buffer
      - .offset:         48
        .size:           4
        .value_kind:     by_value
      - .offset:         56
        .size:           8
        .value_kind:     by_value
      - .offset:         64
        .size:           4
        .value_kind:     by_value
      - .address_space:  global
        .offset:         72
        .size:           8
        .value_kind:     global_buffer
      - .offset:         80
        .size:           4
        .value_kind:     by_value
      - .offset:         88
        .size:           8
        .value_kind:     by_value
      - .address_space:  global
        .offset:         96
        .size:           8
        .value_kind:     global_buffer
      - .offset:         104
        .size:           4
        .value_kind:     by_value
      - .offset:         112
        .size:           8
        .value_kind:     by_value
      - .offset:         120
        .size:           4
        .value_kind:     by_value
      - .offset:         124
        .size:           4
        .value_kind:     by_value
    .group_segment_fixed_size: 8192
    .kernarg_segment_align: 8
    .kernarg_segment_size: 128
    .language:       OpenCL C
    .language_version:
      - 2
      - 0
    .max_flat_workgroup_size: 256
    .name:           _ZN12_GLOBAL__N_120geam_min_plus_kernelIf15HIP_vector_typeIfLj2EEfLi32ELi8ELi128ELi128ELi4ELi4ELi64ELi4ELi64ELc84ELc78ELb0ELb0ELb1EfKPKfKPfEEviiiT16_PT17_ilSA_ilS8_SA_ilPT18_ili26rocblas_geam_ex_operation_
    .private_segment_fixed_size: 0
    .sgpr_count:     36
    .sgpr_spill_count: 0
    .symbol:         _ZN12_GLOBAL__N_120geam_min_plus_kernelIf15HIP_vector_typeIfLj2EEfLi32ELi8ELi128ELi128ELi4ELi4ELi64ELi4ELi64ELc84ELc78ELb0ELb0ELb1EfKPKfKPfEEviiiT16_PT17_ilSA_ilS8_SA_ilPT18_ili26rocblas_geam_ex_operation_.kd
    .uniform_work_group_size: 1
    .uses_dynamic_stack: false
    .vgpr_count:     138
    .vgpr_spill_count: 0
    .wavefront_size: 64
  - .agpr_count:     0
    .args:
      - .offset:         0
        .size:           4
        .value_kind:     by_value
      - .offset:         4
        .size:           4
        .value_kind:     by_value
      - .offset:         8
        .size:           4
        .value_kind:     by_value
      - .address_space:  global
        .offset:         16
        .size:           8
        .value_kind:     global_buffer
      - .address_space:  global
        .offset:         24
        .size:           8
        .value_kind:     global_buffer
      - .offset:         32
        .size:           4
        .value_kind:     by_value
      - .offset:         40
        .size:           8
        .value_kind:     by_value
      - .address_space:  global
        .offset:         48
        .size:           8
        .value_kind:     global_buffer
      - .offset:         56
        .size:           4
        .value_kind:     by_value
      - .offset:         64
        .size:           8
        .value_kind:     by_value
      - .address_space:  global
        .offset:         72
        .size:           8
        .value_kind:     global_buffer
      - .address_space:  global
        .offset:         80
        .size:           8
        .value_kind:     global_buffer
      - .offset:         88
        .size:           4
        .value_kind:     by_value
      - .offset:         96
        .size:           8
        .value_kind:     by_value
      - .address_space:  global
        .offset:         104
        .size:           8
        .value_kind:     global_buffer
      - .offset:         112
        .size:           4
        .value_kind:     by_value
      - .offset:         120
        .size:           8
        .value_kind:     by_value
      - .offset:         128
        .size:           4
        .value_kind:     by_value
      - .offset:         132
        .size:           4
        .value_kind:     by_value
    .group_segment_fixed_size: 8192
    .kernarg_segment_align: 8
    .kernarg_segment_size: 136
    .language:       OpenCL C
    .language_version:
      - 2
      - 0
    .max_flat_workgroup_size: 256
    .name:           _ZN12_GLOBAL__N_120geam_min_plus_kernelIf15HIP_vector_typeIfLj2EEfLi32ELi8ELi128ELi128ELi4ELi4ELi64ELi4ELi64ELc84ELc78ELb0ELb1ELb1EPKfKS4_KPfEEviiiT16_PT17_ilSA_ilS8_SA_ilPT18_ili26rocblas_geam_ex_operation_
    .private_segment_fixed_size: 0
    .sgpr_count:     44
    .sgpr_spill_count: 0
    .symbol:         _ZN12_GLOBAL__N_120geam_min_plus_kernelIf15HIP_vector_typeIfLj2EEfLi32ELi8ELi128ELi128ELi4ELi4ELi64ELi4ELi64ELc84ELc78ELb0ELb1ELb1EPKfKS4_KPfEEviiiT16_PT17_ilSA_ilS8_SA_ilPT18_ili26rocblas_geam_ex_operation_.kd
    .uniform_work_group_size: 1
    .uses_dynamic_stack: false
    .vgpr_count:     132
    .vgpr_spill_count: 0
    .wavefront_size: 64
  - .agpr_count:     0
    .args:
      - .offset:         0
        .size:           4
        .value_kind:     by_value
      - .offset:         4
        .size:           4
        .value_kind:     by_value
      - .offset:         8
        .size:           4
        .value_kind:     by_value
      - .offset:         12
        .size:           4
        .value_kind:     by_value
      - .address_space:  global
        .offset:         16
        .size:           8
        .value_kind:     global_buffer
      - .offset:         24
        .size:           4
        .value_kind:     by_value
      - .offset:         32
        .size:           8
        .value_kind:     by_value
      - .address_space:  global
        .offset:         40
        .size:           8
        .value_kind:     global_buffer
      - .offset:         48
        .size:           4
        .value_kind:     by_value
      - .offset:         56
        .size:           8
        .value_kind:     by_value
      - .offset:         64
        .size:           4
        .value_kind:     by_value
      - .address_space:  global
        .offset:         72
        .size:           8
        .value_kind:     global_buffer
      - .offset:         80
        .size:           4
        .value_kind:     by_value
      - .offset:         88
        .size:           8
        .value_kind:     by_value
      - .address_space:  global
        .offset:         96
        .size:           8
        .value_kind:     global_buffer
      - .offset:         104
        .size:           4
        .value_kind:     by_value
      - .offset:         112
        .size:           8
        .value_kind:     by_value
      - .offset:         120
        .size:           4
        .value_kind:     by_value
      - .offset:         124
        .size:           4
        .value_kind:     by_value
    .group_segment_fixed_size: 8192
    .kernarg_segment_align: 8
    .kernarg_segment_size: 128
    .language:       OpenCL C
    .language_version:
      - 2
      - 0
    .max_flat_workgroup_size: 256
    .name:           _ZN12_GLOBAL__N_120geam_min_plus_kernelIf15HIP_vector_typeIfLj2EEfLi32ELi8ELi128ELi128ELi4ELi4ELi64ELi4ELi64ELc84ELc78ELb1ELb1ELb1EfKPKfKPfEEviiiT16_PT17_ilSA_ilS8_SA_ilPT18_ili26rocblas_geam_ex_operation_
    .private_segment_fixed_size: 0
    .sgpr_count:     42
    .sgpr_spill_count: 0
    .symbol:         _ZN12_GLOBAL__N_120geam_min_plus_kernelIf15HIP_vector_typeIfLj2EEfLi32ELi8ELi128ELi128ELi4ELi4ELi64ELi4ELi64ELc84ELc78ELb1ELb1ELb1EfKPKfKPfEEviiiT16_PT17_ilSA_ilS8_SA_ilPT18_ili26rocblas_geam_ex_operation_.kd
    .uniform_work_group_size: 1
    .uses_dynamic_stack: false
    .vgpr_count:     140
    .vgpr_spill_count: 0
    .wavefront_size: 64
  - .agpr_count:     0
    .args:
      - .offset:         0
        .size:           4
        .value_kind:     by_value
      - .offset:         4
        .size:           4
        .value_kind:     by_value
      - .offset:         8
        .size:           4
        .value_kind:     by_value
      - .offset:         12
        .size:           4
        .value_kind:     by_value
      - .address_space:  global
        .offset:         16
        .size:           8
        .value_kind:     global_buffer
      - .offset:         24
        .size:           4
        .value_kind:     by_value
      - .offset:         32
        .size:           8
        .value_kind:     by_value
      - .address_space:  global
        .offset:         40
        .size:           8
        .value_kind:     global_buffer
      - .offset:         48
        .size:           4
        .value_kind:     by_value
      - .offset:         56
        .size:           8
        .value_kind:     by_value
      - .offset:         64
        .size:           4
        .value_kind:     by_value
      - .address_space:  global
        .offset:         72
        .size:           8
        .value_kind:     global_buffer
      - .offset:         80
        .size:           4
        .value_kind:     by_value
      - .offset:         88
        .size:           8
        .value_kind:     by_value
      - .address_space:  global
        .offset:         96
        .size:           8
        .value_kind:     global_buffer
      - .offset:         104
        .size:           4
        .value_kind:     by_value
      - .offset:         112
        .size:           8
        .value_kind:     by_value
      - .offset:         120
        .size:           4
        .value_kind:     by_value
      - .offset:         124
        .size:           4
        .value_kind:     by_value
    .group_segment_fixed_size: 8192
    .kernarg_segment_align: 8
    .kernarg_segment_size: 128
    .language:       OpenCL C
    .language_version:
      - 2
      - 0
    .max_flat_workgroup_size: 256
    .name:           _ZN12_GLOBAL__N_120geam_min_plus_kernelIf15HIP_vector_typeIfLj2EEfLi32ELi8ELi128ELi128ELi4ELi4ELi64ELi4ELi64ELc84ELc78ELb0ELb1ELb1EfKPKfKPfEEviiiT16_PT17_ilSA_ilS8_SA_ilPT18_ili26rocblas_geam_ex_operation_
    .private_segment_fixed_size: 0
    .sgpr_count:     44
    .sgpr_spill_count: 0
    .symbol:         _ZN12_GLOBAL__N_120geam_min_plus_kernelIf15HIP_vector_typeIfLj2EEfLi32ELi8ELi128ELi128ELi4ELi4ELi64ELi4ELi64ELc84ELc78ELb0ELb1ELb1EfKPKfKPfEEviiiT16_PT17_ilSA_ilS8_SA_ilPT18_ili26rocblas_geam_ex_operation_.kd
    .uniform_work_group_size: 1
    .uses_dynamic_stack: false
    .vgpr_count:     132
    .vgpr_spill_count: 0
    .wavefront_size: 64
  - .agpr_count:     0
    .args:
      - .offset:         0
        .size:           4
        .value_kind:     by_value
      - .offset:         4
        .size:           4
        .value_kind:     by_value
      - .offset:         8
        .size:           4
        .value_kind:     by_value
      - .address_space:  global
        .offset:         16
        .size:           8
        .value_kind:     global_buffer
      - .address_space:  global
        .offset:         24
        .size:           8
        .value_kind:     global_buffer
      - .offset:         32
        .size:           4
        .value_kind:     by_value
      - .offset:         40
        .size:           8
        .value_kind:     by_value
      - .address_space:  global
        .offset:         48
        .size:           8
        .value_kind:     global_buffer
      - .offset:         56
        .size:           4
        .value_kind:     by_value
      - .offset:         64
        .size:           8
        .value_kind:     by_value
      - .address_space:  global
        .offset:         72
        .size:           8
        .value_kind:     global_buffer
      - .address_space:  global
        .offset:         80
        .size:           8
        .value_kind:     global_buffer
      - .offset:         88
        .size:           4
        .value_kind:     by_value
      - .offset:         96
        .size:           8
        .value_kind:     by_value
      - .address_space:  global
        .offset:         104
        .size:           8
        .value_kind:     global_buffer
      - .offset:         112
        .size:           4
        .value_kind:     by_value
      - .offset:         120
        .size:           8
        .value_kind:     by_value
      - .offset:         128
        .size:           4
        .value_kind:     by_value
      - .offset:         132
        .size:           4
        .value_kind:     by_value
    .group_segment_fixed_size: 10240
    .kernarg_segment_align: 8
    .kernarg_segment_size: 136
    .language:       OpenCL C
    .language_version:
      - 2
      - 0
    .max_flat_workgroup_size: 256
    .name:           _ZN12_GLOBAL__N_120geam_min_plus_kernelIf15HIP_vector_typeIfLj2EEfLi8ELi32ELi64ELi256ELi4ELi64ELi4ELi64ELi4ELc78ELc84ELb0ELb0ELb1EPKfKS4_KPfEEviiiT16_PT17_ilSA_ilS8_SA_ilPT18_ili26rocblas_geam_ex_operation_
    .private_segment_fixed_size: 0
    .sgpr_count:     36
    .sgpr_spill_count: 0
    .symbol:         _ZN12_GLOBAL__N_120geam_min_plus_kernelIf15HIP_vector_typeIfLj2EEfLi8ELi32ELi64ELi256ELi4ELi64ELi4ELi64ELi4ELc78ELc84ELb0ELb0ELb1EPKfKS4_KPfEEviiiT16_PT17_ilSA_ilS8_SA_ilPT18_ili26rocblas_geam_ex_operation_.kd
    .uniform_work_group_size: 1
    .uses_dynamic_stack: false
    .vgpr_count:     162
    .vgpr_spill_count: 0
    .wavefront_size: 64
  - .agpr_count:     0
    .args:
      - .offset:         0
        .size:           4
        .value_kind:     by_value
      - .offset:         4
        .size:           4
        .value_kind:     by_value
      - .offset:         8
        .size:           4
        .value_kind:     by_value
      - .offset:         12
        .size:           4
        .value_kind:     by_value
      - .address_space:  global
        .offset:         16
        .size:           8
        .value_kind:     global_buffer
      - .offset:         24
        .size:           4
        .value_kind:     by_value
      - .offset:         32
        .size:           8
        .value_kind:     by_value
      - .address_space:  global
        .offset:         40
        .size:           8
        .value_kind:     global_buffer
      - .offset:         48
        .size:           4
        .value_kind:     by_value
      - .offset:         56
        .size:           8
        .value_kind:     by_value
      - .offset:         64
        .size:           4
        .value_kind:     by_value
      - .address_space:  global
        .offset:         72
        .size:           8
        .value_kind:     global_buffer
      - .offset:         80
        .size:           4
        .value_kind:     by_value
      - .offset:         88
        .size:           8
        .value_kind:     by_value
      - .address_space:  global
        .offset:         96
        .size:           8
        .value_kind:     global_buffer
      - .offset:         104
        .size:           4
        .value_kind:     by_value
      - .offset:         112
        .size:           8
        .value_kind:     by_value
      - .offset:         120
        .size:           4
        .value_kind:     by_value
      - .offset:         124
        .size:           4
        .value_kind:     by_value
    .group_segment_fixed_size: 10240
    .kernarg_segment_align: 8
    .kernarg_segment_size: 128
    .language:       OpenCL C
    .language_version:
      - 2
      - 0
    .max_flat_workgroup_size: 256
    .name:           _ZN12_GLOBAL__N_120geam_min_plus_kernelIf15HIP_vector_typeIfLj2EEfLi8ELi32ELi64ELi256ELi4ELi64ELi4ELi64ELi4ELc78ELc84ELb1ELb0ELb1EfKPKfKPfEEviiiT16_PT17_ilSA_ilS8_SA_ilPT18_ili26rocblas_geam_ex_operation_
    .private_segment_fixed_size: 0
    .sgpr_count:     30
    .sgpr_spill_count: 0
    .symbol:         _ZN12_GLOBAL__N_120geam_min_plus_kernelIf15HIP_vector_typeIfLj2EEfLi8ELi32ELi64ELi256ELi4ELi64ELi4ELi64ELi4ELc78ELc84ELb1ELb0ELb1EfKPKfKPfEEviiiT16_PT17_ilSA_ilS8_SA_ilPT18_ili26rocblas_geam_ex_operation_.kd
    .uniform_work_group_size: 1
    .uses_dynamic_stack: false
    .vgpr_count:     177
    .vgpr_spill_count: 0
    .wavefront_size: 64
  - .agpr_count:     0
    .args:
      - .offset:         0
        .size:           4
        .value_kind:     by_value
      - .offset:         4
        .size:           4
        .value_kind:     by_value
      - .offset:         8
        .size:           4
        .value_kind:     by_value
      - .offset:         12
        .size:           4
        .value_kind:     by_value
      - .address_space:  global
        .offset:         16
        .size:           8
        .value_kind:     global_buffer
      - .offset:         24
        .size:           4
        .value_kind:     by_value
      - .offset:         32
        .size:           8
        .value_kind:     by_value
      - .address_space:  global
        .offset:         40
        .size:           8
        .value_kind:     global_buffer
      - .offset:         48
        .size:           4
        .value_kind:     by_value
      - .offset:         56
        .size:           8
        .value_kind:     by_value
      - .offset:         64
        .size:           4
        .value_kind:     by_value
      - .address_space:  global
        .offset:         72
        .size:           8
        .value_kind:     global_buffer
      - .offset:         80
        .size:           4
        .value_kind:     by_value
      - .offset:         88
        .size:           8
        .value_kind:     by_value
      - .address_space:  global
        .offset:         96
        .size:           8
        .value_kind:     global_buffer
      - .offset:         104
        .size:           4
        .value_kind:     by_value
      - .offset:         112
        .size:           8
        .value_kind:     by_value
      - .offset:         120
        .size:           4
        .value_kind:     by_value
      - .offset:         124
        .size:           4
        .value_kind:     by_value
    .group_segment_fixed_size: 10240
    .kernarg_segment_align: 8
    .kernarg_segment_size: 128
    .language:       OpenCL C
    .language_version:
      - 2
      - 0
    .max_flat_workgroup_size: 256
    .name:           _ZN12_GLOBAL__N_120geam_min_plus_kernelIf15HIP_vector_typeIfLj2EEfLi8ELi32ELi64ELi256ELi4ELi64ELi4ELi64ELi4ELc78ELc84ELb0ELb0ELb1EfKPKfKPfEEviiiT16_PT17_ilSA_ilS8_SA_ilPT18_ili26rocblas_geam_ex_operation_
    .private_segment_fixed_size: 0
    .sgpr_count:     35
    .sgpr_spill_count: 0
    .symbol:         _ZN12_GLOBAL__N_120geam_min_plus_kernelIf15HIP_vector_typeIfLj2EEfLi8ELi32ELi64ELi256ELi4ELi64ELi4ELi64ELi4ELc78ELc84ELb0ELb0ELb1EfKPKfKPfEEviiiT16_PT17_ilSA_ilS8_SA_ilPT18_ili26rocblas_geam_ex_operation_.kd
    .uniform_work_group_size: 1
    .uses_dynamic_stack: false
    .vgpr_count:     162
    .vgpr_spill_count: 0
    .wavefront_size: 64
  - .agpr_count:     0
    .args:
      - .offset:         0
        .size:           4
        .value_kind:     by_value
      - .offset:         4
        .size:           4
        .value_kind:     by_value
      - .offset:         8
        .size:           4
        .value_kind:     by_value
      - .address_space:  global
        .offset:         16
        .size:           8
        .value_kind:     global_buffer
      - .address_space:  global
        .offset:         24
        .size:           8
        .value_kind:     global_buffer
      - .offset:         32
        .size:           4
        .value_kind:     by_value
      - .offset:         40
        .size:           8
        .value_kind:     by_value
      - .address_space:  global
        .offset:         48
        .size:           8
        .value_kind:     global_buffer
      - .offset:         56
        .size:           4
        .value_kind:     by_value
      - .offset:         64
        .size:           8
        .value_kind:     by_value
      - .address_space:  global
        .offset:         72
        .size:           8
        .value_kind:     global_buffer
      - .address_space:  global
        .offset:         80
        .size:           8
        .value_kind:     global_buffer
      - .offset:         88
        .size:           4
        .value_kind:     by_value
      - .offset:         96
        .size:           8
        .value_kind:     by_value
      - .address_space:  global
        .offset:         104
        .size:           8
        .value_kind:     global_buffer
      - .offset:         112
        .size:           4
        .value_kind:     by_value
      - .offset:         120
        .size:           8
        .value_kind:     by_value
      - .offset:         128
        .size:           4
        .value_kind:     by_value
      - .offset:         132
        .size:           4
        .value_kind:     by_value
    .group_segment_fixed_size: 10240
    .kernarg_segment_align: 8
    .kernarg_segment_size: 136
    .language:       OpenCL C
    .language_version:
      - 2
      - 0
    .max_flat_workgroup_size: 256
    .name:           _ZN12_GLOBAL__N_120geam_min_plus_kernelIf15HIP_vector_typeIfLj2EEfLi8ELi32ELi64ELi256ELi4ELi64ELi4ELi64ELi4ELc78ELc84ELb0ELb1ELb1EPKfKS4_KPfEEviiiT16_PT17_ilSA_ilS8_SA_ilPT18_ili26rocblas_geam_ex_operation_
    .private_segment_fixed_size: 0
    .sgpr_count:     48
    .sgpr_spill_count: 0
    .symbol:         _ZN12_GLOBAL__N_120geam_min_plus_kernelIf15HIP_vector_typeIfLj2EEfLi8ELi32ELi64ELi256ELi4ELi64ELi4ELi64ELi4ELc78ELc84ELb0ELb1ELb1EPKfKS4_KPfEEviiiT16_PT17_ilSA_ilS8_SA_ilPT18_ili26rocblas_geam_ex_operation_.kd
    .uniform_work_group_size: 1
    .uses_dynamic_stack: false
    .vgpr_count:     161
    .vgpr_spill_count: 0
    .wavefront_size: 64
  - .agpr_count:     0
    .args:
      - .offset:         0
        .size:           4
        .value_kind:     by_value
      - .offset:         4
        .size:           4
        .value_kind:     by_value
      - .offset:         8
        .size:           4
        .value_kind:     by_value
      - .offset:         12
        .size:           4
        .value_kind:     by_value
      - .address_space:  global
        .offset:         16
        .size:           8
        .value_kind:     global_buffer
      - .offset:         24
        .size:           4
        .value_kind:     by_value
      - .offset:         32
        .size:           8
        .value_kind:     by_value
      - .address_space:  global
        .offset:         40
        .size:           8
        .value_kind:     global_buffer
      - .offset:         48
        .size:           4
        .value_kind:     by_value
      - .offset:         56
        .size:           8
        .value_kind:     by_value
      - .offset:         64
        .size:           4
        .value_kind:     by_value
      - .address_space:  global
        .offset:         72
        .size:           8
        .value_kind:     global_buffer
      - .offset:         80
        .size:           4
        .value_kind:     by_value
      - .offset:         88
        .size:           8
        .value_kind:     by_value
      - .address_space:  global
        .offset:         96
        .size:           8
        .value_kind:     global_buffer
      - .offset:         104
        .size:           4
        .value_kind:     by_value
      - .offset:         112
        .size:           8
        .value_kind:     by_value
      - .offset:         120
        .size:           4
        .value_kind:     by_value
      - .offset:         124
        .size:           4
        .value_kind:     by_value
    .group_segment_fixed_size: 10240
    .kernarg_segment_align: 8
    .kernarg_segment_size: 128
    .language:       OpenCL C
    .language_version:
      - 2
      - 0
    .max_flat_workgroup_size: 256
    .name:           _ZN12_GLOBAL__N_120geam_min_plus_kernelIf15HIP_vector_typeIfLj2EEfLi8ELi32ELi64ELi256ELi4ELi64ELi4ELi64ELi4ELc78ELc84ELb1ELb1ELb1EfKPKfKPfEEviiiT16_PT17_ilSA_ilS8_SA_ilPT18_ili26rocblas_geam_ex_operation_
    .private_segment_fixed_size: 0
    .sgpr_count:     44
    .sgpr_spill_count: 0
    .symbol:         _ZN12_GLOBAL__N_120geam_min_plus_kernelIf15HIP_vector_typeIfLj2EEfLi8ELi32ELi64ELi256ELi4ELi64ELi4ELi64ELi4ELc78ELc84ELb1ELb1ELb1EfKPKfKPfEEviiiT16_PT17_ilSA_ilS8_SA_ilPT18_ili26rocblas_geam_ex_operation_.kd
    .uniform_work_group_size: 1
    .uses_dynamic_stack: false
    .vgpr_count:     164
    .vgpr_spill_count: 0
    .wavefront_size: 64
  - .agpr_count:     0
    .args:
      - .offset:         0
        .size:           4
        .value_kind:     by_value
      - .offset:         4
        .size:           4
        .value_kind:     by_value
      - .offset:         8
        .size:           4
        .value_kind:     by_value
      - .offset:         12
        .size:           4
        .value_kind:     by_value
      - .address_space:  global
        .offset:         16
        .size:           8
        .value_kind:     global_buffer
      - .offset:         24
        .size:           4
        .value_kind:     by_value
      - .offset:         32
        .size:           8
        .value_kind:     by_value
      - .address_space:  global
        .offset:         40
        .size:           8
        .value_kind:     global_buffer
      - .offset:         48
        .size:           4
        .value_kind:     by_value
      - .offset:         56
        .size:           8
        .value_kind:     by_value
      - .offset:         64
        .size:           4
        .value_kind:     by_value
      - .address_space:  global
        .offset:         72
        .size:           8
        .value_kind:     global_buffer
      - .offset:         80
        .size:           4
        .value_kind:     by_value
      - .offset:         88
        .size:           8
        .value_kind:     by_value
      - .address_space:  global
        .offset:         96
        .size:           8
        .value_kind:     global_buffer
      - .offset:         104
        .size:           4
        .value_kind:     by_value
      - .offset:         112
        .size:           8
        .value_kind:     by_value
      - .offset:         120
        .size:           4
        .value_kind:     by_value
      - .offset:         124
        .size:           4
        .value_kind:     by_value
    .group_segment_fixed_size: 10240
    .kernarg_segment_align: 8
    .kernarg_segment_size: 128
    .language:       OpenCL C
    .language_version:
      - 2
      - 0
    .max_flat_workgroup_size: 256
    .name:           _ZN12_GLOBAL__N_120geam_min_plus_kernelIf15HIP_vector_typeIfLj2EEfLi8ELi32ELi64ELi256ELi4ELi64ELi4ELi64ELi4ELc78ELc84ELb0ELb1ELb1EfKPKfKPfEEviiiT16_PT17_ilSA_ilS8_SA_ilPT18_ili26rocblas_geam_ex_operation_
    .private_segment_fixed_size: 0
    .sgpr_count:     48
    .sgpr_spill_count: 0
    .symbol:         _ZN12_GLOBAL__N_120geam_min_plus_kernelIf15HIP_vector_typeIfLj2EEfLi8ELi32ELi64ELi256ELi4ELi64ELi4ELi64ELi4ELc78ELc84ELb0ELb1ELb1EfKPKfKPfEEviiiT16_PT17_ilSA_ilS8_SA_ilPT18_ili26rocblas_geam_ex_operation_.kd
    .uniform_work_group_size: 1
    .uses_dynamic_stack: false
    .vgpr_count:     161
    .vgpr_spill_count: 0
    .wavefront_size: 64
  - .agpr_count:     0
    .args:
      - .offset:         0
        .size:           4
        .value_kind:     by_value
      - .offset:         4
        .size:           4
        .value_kind:     by_value
      - .offset:         8
        .size:           4
        .value_kind:     by_value
      - .address_space:  global
        .offset:         16
        .size:           8
        .value_kind:     global_buffer
      - .address_space:  global
        .offset:         24
        .size:           8
        .value_kind:     global_buffer
      - .offset:         32
        .size:           4
        .value_kind:     by_value
      - .offset:         40
        .size:           8
        .value_kind:     by_value
      - .address_space:  global
        .offset:         48
        .size:           8
        .value_kind:     global_buffer
      - .offset:         56
        .size:           4
        .value_kind:     by_value
      - .offset:         64
        .size:           8
        .value_kind:     by_value
      - .address_space:  global
        .offset:         72
        .size:           8
        .value_kind:     global_buffer
      - .address_space:  global
        .offset:         80
        .size:           8
        .value_kind:     global_buffer
      - .offset:         88
        .size:           4
        .value_kind:     by_value
      - .offset:         96
        .size:           8
        .value_kind:     by_value
      - .address_space:  global
        .offset:         104
        .size:           8
        .value_kind:     global_buffer
      - .offset:         112
        .size:           4
        .value_kind:     by_value
      - .offset:         120
        .size:           8
        .value_kind:     by_value
      - .offset:         128
        .size:           4
        .value_kind:     by_value
      - .offset:         132
        .size:           4
        .value_kind:     by_value
    .group_segment_fixed_size: 10240
    .kernarg_segment_align: 8
    .kernarg_segment_size: 136
    .language:       OpenCL C
    .language_version:
      - 2
      - 0
    .max_flat_workgroup_size: 256
    .name:           _ZN12_GLOBAL__N_120geam_min_plus_kernelIf15HIP_vector_typeIfLj2EEfLi8ELi32ELi64ELi256ELi4ELi4ELi64ELi64ELi4ELc84ELc84ELb0ELb0ELb1EPKfKS4_KPfEEviiiT16_PT17_ilSA_ilS8_SA_ilPT18_ili26rocblas_geam_ex_operation_
    .private_segment_fixed_size: 0
    .sgpr_count:     34
    .sgpr_spill_count: 0
    .symbol:         _ZN12_GLOBAL__N_120geam_min_plus_kernelIf15HIP_vector_typeIfLj2EEfLi8ELi32ELi64ELi256ELi4ELi4ELi64ELi64ELi4ELc84ELc84ELb0ELb0ELb1EPKfKS4_KPfEEviiiT16_PT17_ilSA_ilS8_SA_ilPT18_ili26rocblas_geam_ex_operation_.kd
    .uniform_work_group_size: 1
    .uses_dynamic_stack: false
    .vgpr_count:     158
    .vgpr_spill_count: 0
    .wavefront_size: 64
  - .agpr_count:     0
    .args:
      - .offset:         0
        .size:           4
        .value_kind:     by_value
      - .offset:         4
        .size:           4
        .value_kind:     by_value
      - .offset:         8
        .size:           4
        .value_kind:     by_value
      - .offset:         12
        .size:           4
        .value_kind:     by_value
      - .address_space:  global
        .offset:         16
        .size:           8
        .value_kind:     global_buffer
      - .offset:         24
        .size:           4
        .value_kind:     by_value
      - .offset:         32
        .size:           8
        .value_kind:     by_value
      - .address_space:  global
        .offset:         40
        .size:           8
        .value_kind:     global_buffer
      - .offset:         48
        .size:           4
        .value_kind:     by_value
      - .offset:         56
        .size:           8
        .value_kind:     by_value
      - .offset:         64
        .size:           4
        .value_kind:     by_value
      - .address_space:  global
        .offset:         72
        .size:           8
        .value_kind:     global_buffer
      - .offset:         80
        .size:           4
        .value_kind:     by_value
      - .offset:         88
        .size:           8
        .value_kind:     by_value
      - .address_space:  global
        .offset:         96
        .size:           8
        .value_kind:     global_buffer
      - .offset:         104
        .size:           4
        .value_kind:     by_value
      - .offset:         112
        .size:           8
        .value_kind:     by_value
      - .offset:         120
        .size:           4
        .value_kind:     by_value
      - .offset:         124
        .size:           4
        .value_kind:     by_value
    .group_segment_fixed_size: 10240
    .kernarg_segment_align: 8
    .kernarg_segment_size: 128
    .language:       OpenCL C
    .language_version:
      - 2
      - 0
    .max_flat_workgroup_size: 256
    .name:           _ZN12_GLOBAL__N_120geam_min_plus_kernelIf15HIP_vector_typeIfLj2EEfLi8ELi32ELi64ELi256ELi4ELi4ELi64ELi64ELi4ELc84ELc84ELb1ELb0ELb1EfKPKfKPfEEviiiT16_PT17_ilSA_ilS8_SA_ilPT18_ili26rocblas_geam_ex_operation_
    .private_segment_fixed_size: 0
    .sgpr_count:     28
    .sgpr_spill_count: 0
    .symbol:         _ZN12_GLOBAL__N_120geam_min_plus_kernelIf15HIP_vector_typeIfLj2EEfLi8ELi32ELi64ELi256ELi4ELi4ELi64ELi64ELi4ELc84ELc84ELb1ELb0ELb1EfKPKfKPfEEviiiT16_PT17_ilSA_ilS8_SA_ilPT18_ili26rocblas_geam_ex_operation_.kd
    .uniform_work_group_size: 1
    .uses_dynamic_stack: false
    .vgpr_count:     177
    .vgpr_spill_count: 0
    .wavefront_size: 64
  - .agpr_count:     0
    .args:
      - .offset:         0
        .size:           4
        .value_kind:     by_value
      - .offset:         4
        .size:           4
        .value_kind:     by_value
      - .offset:         8
        .size:           4
        .value_kind:     by_value
      - .offset:         12
        .size:           4
        .value_kind:     by_value
      - .address_space:  global
        .offset:         16
        .size:           8
        .value_kind:     global_buffer
      - .offset:         24
        .size:           4
        .value_kind:     by_value
      - .offset:         32
        .size:           8
        .value_kind:     by_value
      - .address_space:  global
        .offset:         40
        .size:           8
        .value_kind:     global_buffer
      - .offset:         48
        .size:           4
        .value_kind:     by_value
      - .offset:         56
        .size:           8
        .value_kind:     by_value
      - .offset:         64
        .size:           4
        .value_kind:     by_value
      - .address_space:  global
        .offset:         72
        .size:           8
        .value_kind:     global_buffer
      - .offset:         80
        .size:           4
        .value_kind:     by_value
      - .offset:         88
        .size:           8
        .value_kind:     by_value
      - .address_space:  global
        .offset:         96
        .size:           8
        .value_kind:     global_buffer
      - .offset:         104
        .size:           4
        .value_kind:     by_value
      - .offset:         112
        .size:           8
        .value_kind:     by_value
      - .offset:         120
        .size:           4
        .value_kind:     by_value
      - .offset:         124
        .size:           4
        .value_kind:     by_value
    .group_segment_fixed_size: 10240
    .kernarg_segment_align: 8
    .kernarg_segment_size: 128
    .language:       OpenCL C
    .language_version:
      - 2
      - 0
    .max_flat_workgroup_size: 256
    .name:           _ZN12_GLOBAL__N_120geam_min_plus_kernelIf15HIP_vector_typeIfLj2EEfLi8ELi32ELi64ELi256ELi4ELi4ELi64ELi64ELi4ELc84ELc84ELb0ELb0ELb1EfKPKfKPfEEviiiT16_PT17_ilSA_ilS8_SA_ilPT18_ili26rocblas_geam_ex_operation_
    .private_segment_fixed_size: 0
    .sgpr_count:     35
    .sgpr_spill_count: 0
    .symbol:         _ZN12_GLOBAL__N_120geam_min_plus_kernelIf15HIP_vector_typeIfLj2EEfLi8ELi32ELi64ELi256ELi4ELi4ELi64ELi64ELi4ELc84ELc84ELb0ELb0ELb1EfKPKfKPfEEviiiT16_PT17_ilSA_ilS8_SA_ilPT18_ili26rocblas_geam_ex_operation_.kd
    .uniform_work_group_size: 1
    .uses_dynamic_stack: false
    .vgpr_count:     158
    .vgpr_spill_count: 0
    .wavefront_size: 64
  - .agpr_count:     0
    .args:
      - .offset:         0
        .size:           4
        .value_kind:     by_value
      - .offset:         4
        .size:           4
        .value_kind:     by_value
      - .offset:         8
        .size:           4
        .value_kind:     by_value
      - .address_space:  global
        .offset:         16
        .size:           8
        .value_kind:     global_buffer
      - .address_space:  global
        .offset:         24
        .size:           8
        .value_kind:     global_buffer
      - .offset:         32
        .size:           4
        .value_kind:     by_value
      - .offset:         40
        .size:           8
        .value_kind:     by_value
      - .address_space:  global
        .offset:         48
        .size:           8
        .value_kind:     global_buffer
      - .offset:         56
        .size:           4
        .value_kind:     by_value
      - .offset:         64
        .size:           8
        .value_kind:     by_value
      - .address_space:  global
        .offset:         72
        .size:           8
        .value_kind:     global_buffer
      - .address_space:  global
        .offset:         80
        .size:           8
        .value_kind:     global_buffer
      - .offset:         88
        .size:           4
        .value_kind:     by_value
      - .offset:         96
        .size:           8
        .value_kind:     by_value
      - .address_space:  global
        .offset:         104
        .size:           8
        .value_kind:     global_buffer
      - .offset:         112
        .size:           4
        .value_kind:     by_value
      - .offset:         120
        .size:           8
        .value_kind:     by_value
      - .offset:         128
        .size:           4
        .value_kind:     by_value
      - .offset:         132
        .size:           4
        .value_kind:     by_value
    .group_segment_fixed_size: 10240
    .kernarg_segment_align: 8
    .kernarg_segment_size: 136
    .language:       OpenCL C
    .language_version:
      - 2
      - 0
    .max_flat_workgroup_size: 256
    .name:           _ZN12_GLOBAL__N_120geam_min_plus_kernelIf15HIP_vector_typeIfLj2EEfLi8ELi32ELi64ELi256ELi4ELi4ELi64ELi64ELi4ELc84ELc84ELb0ELb1ELb1EPKfKS4_KPfEEviiiT16_PT17_ilSA_ilS8_SA_ilPT18_ili26rocblas_geam_ex_operation_
    .private_segment_fixed_size: 0
    .sgpr_count:     46
    .sgpr_spill_count: 0
    .symbol:         _ZN12_GLOBAL__N_120geam_min_plus_kernelIf15HIP_vector_typeIfLj2EEfLi8ELi32ELi64ELi256ELi4ELi4ELi64ELi64ELi4ELc84ELc84ELb0ELb1ELb1EPKfKS4_KPfEEviiiT16_PT17_ilSA_ilS8_SA_ilPT18_ili26rocblas_geam_ex_operation_.kd
    .uniform_work_group_size: 1
    .uses_dynamic_stack: false
    .vgpr_count:     157
    .vgpr_spill_count: 0
    .wavefront_size: 64
  - .agpr_count:     0
    .args:
      - .offset:         0
        .size:           4
        .value_kind:     by_value
      - .offset:         4
        .size:           4
        .value_kind:     by_value
      - .offset:         8
        .size:           4
        .value_kind:     by_value
      - .offset:         12
        .size:           4
        .value_kind:     by_value
      - .address_space:  global
        .offset:         16
        .size:           8
        .value_kind:     global_buffer
      - .offset:         24
        .size:           4
        .value_kind:     by_value
      - .offset:         32
        .size:           8
        .value_kind:     by_value
      - .address_space:  global
        .offset:         40
        .size:           8
        .value_kind:     global_buffer
      - .offset:         48
        .size:           4
        .value_kind:     by_value
      - .offset:         56
        .size:           8
        .value_kind:     by_value
      - .offset:         64
        .size:           4
        .value_kind:     by_value
      - .address_space:  global
        .offset:         72
        .size:           8
        .value_kind:     global_buffer
      - .offset:         80
        .size:           4
        .value_kind:     by_value
      - .offset:         88
        .size:           8
        .value_kind:     by_value
      - .address_space:  global
        .offset:         96
        .size:           8
        .value_kind:     global_buffer
      - .offset:         104
        .size:           4
        .value_kind:     by_value
      - .offset:         112
        .size:           8
        .value_kind:     by_value
      - .offset:         120
        .size:           4
        .value_kind:     by_value
      - .offset:         124
        .size:           4
        .value_kind:     by_value
    .group_segment_fixed_size: 10240
    .kernarg_segment_align: 8
    .kernarg_segment_size: 128
    .language:       OpenCL C
    .language_version:
      - 2
      - 0
    .max_flat_workgroup_size: 256
    .name:           _ZN12_GLOBAL__N_120geam_min_plus_kernelIf15HIP_vector_typeIfLj2EEfLi8ELi32ELi64ELi256ELi4ELi4ELi64ELi64ELi4ELc84ELc84ELb1ELb1ELb1EfKPKfKPfEEviiiT16_PT17_ilSA_ilS8_SA_ilPT18_ili26rocblas_geam_ex_operation_
    .private_segment_fixed_size: 0
    .sgpr_count:     44
    .sgpr_spill_count: 0
    .symbol:         _ZN12_GLOBAL__N_120geam_min_plus_kernelIf15HIP_vector_typeIfLj2EEfLi8ELi32ELi64ELi256ELi4ELi4ELi64ELi64ELi4ELc84ELc84ELb1ELb1ELb1EfKPKfKPfEEviiiT16_PT17_ilSA_ilS8_SA_ilPT18_ili26rocblas_geam_ex_operation_.kd
    .uniform_work_group_size: 1
    .uses_dynamic_stack: false
    .vgpr_count:     161
    .vgpr_spill_count: 0
    .wavefront_size: 64
  - .agpr_count:     0
    .args:
      - .offset:         0
        .size:           4
        .value_kind:     by_value
      - .offset:         4
        .size:           4
        .value_kind:     by_value
      - .offset:         8
        .size:           4
        .value_kind:     by_value
      - .offset:         12
        .size:           4
        .value_kind:     by_value
      - .address_space:  global
        .offset:         16
        .size:           8
        .value_kind:     global_buffer
      - .offset:         24
        .size:           4
        .value_kind:     by_value
      - .offset:         32
        .size:           8
        .value_kind:     by_value
      - .address_space:  global
        .offset:         40
        .size:           8
        .value_kind:     global_buffer
      - .offset:         48
        .size:           4
        .value_kind:     by_value
      - .offset:         56
        .size:           8
        .value_kind:     by_value
      - .offset:         64
        .size:           4
        .value_kind:     by_value
      - .address_space:  global
        .offset:         72
        .size:           8
        .value_kind:     global_buffer
      - .offset:         80
        .size:           4
        .value_kind:     by_value
      - .offset:         88
        .size:           8
        .value_kind:     by_value
      - .address_space:  global
        .offset:         96
        .size:           8
        .value_kind:     global_buffer
      - .offset:         104
        .size:           4
        .value_kind:     by_value
      - .offset:         112
        .size:           8
        .value_kind:     by_value
      - .offset:         120
        .size:           4
        .value_kind:     by_value
      - .offset:         124
        .size:           4
        .value_kind:     by_value
    .group_segment_fixed_size: 10240
    .kernarg_segment_align: 8
    .kernarg_segment_size: 128
    .language:       OpenCL C
    .language_version:
      - 2
      - 0
    .max_flat_workgroup_size: 256
    .name:           _ZN12_GLOBAL__N_120geam_min_plus_kernelIf15HIP_vector_typeIfLj2EEfLi8ELi32ELi64ELi256ELi4ELi4ELi64ELi64ELi4ELc84ELc84ELb0ELb1ELb1EfKPKfKPfEEviiiT16_PT17_ilSA_ilS8_SA_ilPT18_ili26rocblas_geam_ex_operation_
    .private_segment_fixed_size: 0
    .sgpr_count:     46
    .sgpr_spill_count: 0
    .symbol:         _ZN12_GLOBAL__N_120geam_min_plus_kernelIf15HIP_vector_typeIfLj2EEfLi8ELi32ELi64ELi256ELi4ELi4ELi64ELi64ELi4ELc84ELc84ELb0ELb1ELb1EfKPKfKPfEEviiiT16_PT17_ilSA_ilS8_SA_ilPT18_ili26rocblas_geam_ex_operation_.kd
    .uniform_work_group_size: 1
    .uses_dynamic_stack: false
    .vgpr_count:     157
    .vgpr_spill_count: 0
    .wavefront_size: 64
  - .agpr_count:     0
    .args:
      - .offset:         0
        .size:           4
        .value_kind:     by_value
      - .offset:         4
        .size:           4
        .value_kind:     by_value
      - .offset:         8
        .size:           4
        .value_kind:     by_value
      - .address_space:  global
        .offset:         16
        .size:           8
        .value_kind:     global_buffer
      - .address_space:  global
        .offset:         24
        .size:           8
        .value_kind:     global_buffer
      - .offset:         32
        .size:           4
        .value_kind:     by_value
      - .offset:         40
        .size:           8
        .value_kind:     by_value
      - .address_space:  global
        .offset:         48
        .size:           8
        .value_kind:     global_buffer
      - .offset:         56
        .size:           4
        .value_kind:     by_value
      - .offset:         64
        .size:           8
        .value_kind:     by_value
      - .address_space:  global
        .offset:         72
        .size:           8
        .value_kind:     global_buffer
      - .address_space:  global
        .offset:         80
        .size:           8
        .value_kind:     global_buffer
      - .offset:         88
        .size:           4
        .value_kind:     by_value
      - .offset:         96
        .size:           8
        .value_kind:     by_value
      - .address_space:  global
        .offset:         104
        .size:           8
        .value_kind:     global_buffer
      - .offset:         112
        .size:           4
        .value_kind:     by_value
      - .offset:         120
        .size:           8
        .value_kind:     by_value
      - .offset:         128
        .size:           4
        .value_kind:     by_value
      - .offset:         132
        .size:           4
        .value_kind:     by_value
    .group_segment_fixed_size: 6144
    .kernarg_segment_align: 8
    .kernarg_segment_size: 136
    .language:       OpenCL C
    .language_version:
      - 2
      - 0
    .max_flat_workgroup_size: 256
    .name:           _ZN12_GLOBAL__N_120geam_min_plus_kernelIf15HIP_vector_typeIfLj2EES2_Li8ELi32ELi64ELi128ELi4ELi64ELi4ELi4ELi64ELc78ELc78ELb0ELb0ELb0EPKfKS4_KPfEEviiiT16_PT17_ilSA_ilS8_SA_ilPT18_ili26rocblas_geam_ex_operation_
    .private_segment_fixed_size: 0
    .sgpr_count:     35
    .sgpr_spill_count: 0
    .symbol:         _ZN12_GLOBAL__N_120geam_min_plus_kernelIf15HIP_vector_typeIfLj2EES2_Li8ELi32ELi64ELi128ELi4ELi64ELi4ELi4ELi64ELc78ELc78ELb0ELb0ELb0EPKfKS4_KPfEEviiiT16_PT17_ilSA_ilS8_SA_ilPT18_ili26rocblas_geam_ex_operation_.kd
    .uniform_work_group_size: 1
    .uses_dynamic_stack: false
    .vgpr_count:     114
    .vgpr_spill_count: 0
    .wavefront_size: 64
  - .agpr_count:     0
    .args:
      - .offset:         0
        .size:           4
        .value_kind:     by_value
      - .offset:         4
        .size:           4
        .value_kind:     by_value
      - .offset:         8
        .size:           4
        .value_kind:     by_value
      - .offset:         12
        .size:           4
        .value_kind:     by_value
      - .address_space:  global
        .offset:         16
        .size:           8
        .value_kind:     global_buffer
      - .offset:         24
        .size:           4
        .value_kind:     by_value
      - .offset:         32
        .size:           8
        .value_kind:     by_value
      - .address_space:  global
        .offset:         40
        .size:           8
        .value_kind:     global_buffer
      - .offset:         48
        .size:           4
        .value_kind:     by_value
      - .offset:         56
        .size:           8
        .value_kind:     by_value
      - .offset:         64
        .size:           4
        .value_kind:     by_value
      - .address_space:  global
        .offset:         72
        .size:           8
        .value_kind:     global_buffer
      - .offset:         80
        .size:           4
        .value_kind:     by_value
      - .offset:         88
        .size:           8
        .value_kind:     by_value
      - .address_space:  global
        .offset:         96
        .size:           8
        .value_kind:     global_buffer
      - .offset:         104
        .size:           4
        .value_kind:     by_value
      - .offset:         112
        .size:           8
        .value_kind:     by_value
      - .offset:         120
        .size:           4
        .value_kind:     by_value
      - .offset:         124
        .size:           4
        .value_kind:     by_value
    .group_segment_fixed_size: 6144
    .kernarg_segment_align: 8
    .kernarg_segment_size: 128
    .language:       OpenCL C
    .language_version:
      - 2
      - 0
    .max_flat_workgroup_size: 256
    .name:           _ZN12_GLOBAL__N_120geam_min_plus_kernelIf15HIP_vector_typeIfLj2EES2_Li8ELi32ELi64ELi128ELi4ELi64ELi4ELi4ELi64ELc78ELc78ELb1ELb0ELb0EfKPKfKPfEEviiiT16_PT17_ilSA_ilS8_SA_ilPT18_ili26rocblas_geam_ex_operation_
    .private_segment_fixed_size: 0
    .sgpr_count:     30
    .sgpr_spill_count: 0
    .symbol:         _ZN12_GLOBAL__N_120geam_min_plus_kernelIf15HIP_vector_typeIfLj2EES2_Li8ELi32ELi64ELi128ELi4ELi64ELi4ELi4ELi64ELc78ELc78ELb1ELb0ELb0EfKPKfKPfEEviiiT16_PT17_ilSA_ilS8_SA_ilPT18_ili26rocblas_geam_ex_operation_.kd
    .uniform_work_group_size: 1
    .uses_dynamic_stack: false
    .vgpr_count:     117
    .vgpr_spill_count: 0
    .wavefront_size: 64
  - .agpr_count:     0
    .args:
      - .offset:         0
        .size:           4
        .value_kind:     by_value
      - .offset:         4
        .size:           4
        .value_kind:     by_value
      - .offset:         8
        .size:           4
        .value_kind:     by_value
      - .offset:         12
        .size:           4
        .value_kind:     by_value
      - .address_space:  global
        .offset:         16
        .size:           8
        .value_kind:     global_buffer
      - .offset:         24
        .size:           4
        .value_kind:     by_value
      - .offset:         32
        .size:           8
        .value_kind:     by_value
      - .address_space:  global
        .offset:         40
        .size:           8
        .value_kind:     global_buffer
      - .offset:         48
        .size:           4
        .value_kind:     by_value
      - .offset:         56
        .size:           8
        .value_kind:     by_value
      - .offset:         64
        .size:           4
        .value_kind:     by_value
      - .address_space:  global
        .offset:         72
        .size:           8
        .value_kind:     global_buffer
      - .offset:         80
        .size:           4
        .value_kind:     by_value
      - .offset:         88
        .size:           8
        .value_kind:     by_value
      - .address_space:  global
        .offset:         96
        .size:           8
        .value_kind:     global_buffer
      - .offset:         104
        .size:           4
        .value_kind:     by_value
      - .offset:         112
        .size:           8
        .value_kind:     by_value
      - .offset:         120
        .size:           4
        .value_kind:     by_value
      - .offset:         124
        .size:           4
        .value_kind:     by_value
    .group_segment_fixed_size: 6144
    .kernarg_segment_align: 8
    .kernarg_segment_size: 128
    .language:       OpenCL C
    .language_version:
      - 2
      - 0
    .max_flat_workgroup_size: 256
    .name:           _ZN12_GLOBAL__N_120geam_min_plus_kernelIf15HIP_vector_typeIfLj2EES2_Li8ELi32ELi64ELi128ELi4ELi64ELi4ELi4ELi64ELc78ELc78ELb0ELb0ELb0EfKPKfKPfEEviiiT16_PT17_ilSA_ilS8_SA_ilPT18_ili26rocblas_geam_ex_operation_
    .private_segment_fixed_size: 0
    .sgpr_count:     36
    .sgpr_spill_count: 0
    .symbol:         _ZN12_GLOBAL__N_120geam_min_plus_kernelIf15HIP_vector_typeIfLj2EES2_Li8ELi32ELi64ELi128ELi4ELi64ELi4ELi4ELi64ELc78ELc78ELb0ELb0ELb0EfKPKfKPfEEviiiT16_PT17_ilSA_ilS8_SA_ilPT18_ili26rocblas_geam_ex_operation_.kd
    .uniform_work_group_size: 1
    .uses_dynamic_stack: false
    .vgpr_count:     114
    .vgpr_spill_count: 0
    .wavefront_size: 64
  - .agpr_count:     0
    .args:
      - .offset:         0
        .size:           4
        .value_kind:     by_value
      - .offset:         4
        .size:           4
        .value_kind:     by_value
      - .offset:         8
        .size:           4
        .value_kind:     by_value
      - .address_space:  global
        .offset:         16
        .size:           8
        .value_kind:     global_buffer
      - .address_space:  global
        .offset:         24
        .size:           8
        .value_kind:     global_buffer
      - .offset:         32
        .size:           4
        .value_kind:     by_value
      - .offset:         40
        .size:           8
        .value_kind:     by_value
      - .address_space:  global
        .offset:         48
        .size:           8
        .value_kind:     global_buffer
      - .offset:         56
        .size:           4
        .value_kind:     by_value
      - .offset:         64
        .size:           8
        .value_kind:     by_value
      - .address_space:  global
        .offset:         72
        .size:           8
        .value_kind:     global_buffer
      - .address_space:  global
        .offset:         80
        .size:           8
        .value_kind:     global_buffer
      - .offset:         88
        .size:           4
        .value_kind:     by_value
      - .offset:         96
        .size:           8
        .value_kind:     by_value
      - .address_space:  global
        .offset:         104
        .size:           8
        .value_kind:     global_buffer
      - .offset:         112
        .size:           4
        .value_kind:     by_value
      - .offset:         120
        .size:           8
        .value_kind:     by_value
      - .offset:         128
        .size:           4
        .value_kind:     by_value
      - .offset:         132
        .size:           4
        .value_kind:     by_value
    .group_segment_fixed_size: 6144
    .kernarg_segment_align: 8
    .kernarg_segment_size: 136
    .language:       OpenCL C
    .language_version:
      - 2
      - 0
    .max_flat_workgroup_size: 256
    .name:           _ZN12_GLOBAL__N_120geam_min_plus_kernelIf15HIP_vector_typeIfLj2EES2_Li8ELi32ELi64ELi128ELi4ELi64ELi4ELi4ELi64ELc78ELc78ELb0ELb1ELb0EPKfKS4_KPfEEviiiT16_PT17_ilSA_ilS8_SA_ilPT18_ili26rocblas_geam_ex_operation_
    .private_segment_fixed_size: 0
    .sgpr_count:     44
    .sgpr_spill_count: 0
    .symbol:         _ZN12_GLOBAL__N_120geam_min_plus_kernelIf15HIP_vector_typeIfLj2EES2_Li8ELi32ELi64ELi128ELi4ELi64ELi4ELi4ELi64ELc78ELc78ELb0ELb1ELb0EPKfKS4_KPfEEviiiT16_PT17_ilSA_ilS8_SA_ilPT18_ili26rocblas_geam_ex_operation_.kd
    .uniform_work_group_size: 1
    .uses_dynamic_stack: false
    .vgpr_count:     112
    .vgpr_spill_count: 0
    .wavefront_size: 64
  - .agpr_count:     0
    .args:
      - .offset:         0
        .size:           4
        .value_kind:     by_value
      - .offset:         4
        .size:           4
        .value_kind:     by_value
      - .offset:         8
        .size:           4
        .value_kind:     by_value
      - .offset:         12
        .size:           4
        .value_kind:     by_value
      - .address_space:  global
        .offset:         16
        .size:           8
        .value_kind:     global_buffer
      - .offset:         24
        .size:           4
        .value_kind:     by_value
      - .offset:         32
        .size:           8
        .value_kind:     by_value
      - .address_space:  global
        .offset:         40
        .size:           8
        .value_kind:     global_buffer
      - .offset:         48
        .size:           4
        .value_kind:     by_value
      - .offset:         56
        .size:           8
        .value_kind:     by_value
      - .offset:         64
        .size:           4
        .value_kind:     by_value
      - .address_space:  global
        .offset:         72
        .size:           8
        .value_kind:     global_buffer
      - .offset:         80
        .size:           4
        .value_kind:     by_value
      - .offset:         88
        .size:           8
        .value_kind:     by_value
      - .address_space:  global
        .offset:         96
        .size:           8
        .value_kind:     global_buffer
      - .offset:         104
        .size:           4
        .value_kind:     by_value
      - .offset:         112
        .size:           8
        .value_kind:     by_value
      - .offset:         120
        .size:           4
        .value_kind:     by_value
      - .offset:         124
        .size:           4
        .value_kind:     by_value
    .group_segment_fixed_size: 6144
    .kernarg_segment_align: 8
    .kernarg_segment_size: 128
    .language:       OpenCL C
    .language_version:
      - 2
      - 0
    .max_flat_workgroup_size: 256
    .name:           _ZN12_GLOBAL__N_120geam_min_plus_kernelIf15HIP_vector_typeIfLj2EES2_Li8ELi32ELi64ELi128ELi4ELi64ELi4ELi4ELi64ELc78ELc78ELb1ELb1ELb0EfKPKfKPfEEviiiT16_PT17_ilSA_ilS8_SA_ilPT18_ili26rocblas_geam_ex_operation_
    .private_segment_fixed_size: 0
    .sgpr_count:     42
    .sgpr_spill_count: 0
    .symbol:         _ZN12_GLOBAL__N_120geam_min_plus_kernelIf15HIP_vector_typeIfLj2EES2_Li8ELi32ELi64ELi128ELi4ELi64ELi4ELi4ELi64ELc78ELc78ELb1ELb1ELb0EfKPKfKPfEEviiiT16_PT17_ilSA_ilS8_SA_ilPT18_ili26rocblas_geam_ex_operation_.kd
    .uniform_work_group_size: 1
    .uses_dynamic_stack: false
    .vgpr_count:     117
    .vgpr_spill_count: 0
    .wavefront_size: 64
  - .agpr_count:     0
    .args:
      - .offset:         0
        .size:           4
        .value_kind:     by_value
      - .offset:         4
        .size:           4
        .value_kind:     by_value
      - .offset:         8
        .size:           4
        .value_kind:     by_value
      - .offset:         12
        .size:           4
        .value_kind:     by_value
      - .address_space:  global
        .offset:         16
        .size:           8
        .value_kind:     global_buffer
      - .offset:         24
        .size:           4
        .value_kind:     by_value
      - .offset:         32
        .size:           8
        .value_kind:     by_value
      - .address_space:  global
        .offset:         40
        .size:           8
        .value_kind:     global_buffer
      - .offset:         48
        .size:           4
        .value_kind:     by_value
      - .offset:         56
        .size:           8
        .value_kind:     by_value
      - .offset:         64
        .size:           4
        .value_kind:     by_value
      - .address_space:  global
        .offset:         72
        .size:           8
        .value_kind:     global_buffer
      - .offset:         80
        .size:           4
        .value_kind:     by_value
      - .offset:         88
        .size:           8
        .value_kind:     by_value
      - .address_space:  global
        .offset:         96
        .size:           8
        .value_kind:     global_buffer
      - .offset:         104
        .size:           4
        .value_kind:     by_value
      - .offset:         112
        .size:           8
        .value_kind:     by_value
      - .offset:         120
        .size:           4
        .value_kind:     by_value
      - .offset:         124
        .size:           4
        .value_kind:     by_value
    .group_segment_fixed_size: 6144
    .kernarg_segment_align: 8
    .kernarg_segment_size: 128
    .language:       OpenCL C
    .language_version:
      - 2
      - 0
    .max_flat_workgroup_size: 256
    .name:           _ZN12_GLOBAL__N_120geam_min_plus_kernelIf15HIP_vector_typeIfLj2EES2_Li8ELi32ELi64ELi128ELi4ELi64ELi4ELi4ELi64ELc78ELc78ELb0ELb1ELb0EfKPKfKPfEEviiiT16_PT17_ilSA_ilS8_SA_ilPT18_ili26rocblas_geam_ex_operation_
    .private_segment_fixed_size: 0
    .sgpr_count:     42
    .sgpr_spill_count: 0
    .symbol:         _ZN12_GLOBAL__N_120geam_min_plus_kernelIf15HIP_vector_typeIfLj2EES2_Li8ELi32ELi64ELi128ELi4ELi64ELi4ELi4ELi64ELc78ELc78ELb0ELb1ELb0EfKPKfKPfEEviiiT16_PT17_ilSA_ilS8_SA_ilPT18_ili26rocblas_geam_ex_operation_.kd
    .uniform_work_group_size: 1
    .uses_dynamic_stack: false
    .vgpr_count:     112
    .vgpr_spill_count: 0
    .wavefront_size: 64
  - .agpr_count:     0
    .args:
      - .offset:         0
        .size:           4
        .value_kind:     by_value
      - .offset:         4
        .size:           4
        .value_kind:     by_value
      - .offset:         8
        .size:           4
        .value_kind:     by_value
      - .address_space:  global
        .offset:         16
        .size:           8
        .value_kind:     global_buffer
      - .address_space:  global
        .offset:         24
        .size:           8
        .value_kind:     global_buffer
      - .offset:         32
        .size:           4
        .value_kind:     by_value
      - .offset:         40
        .size:           8
        .value_kind:     by_value
      - .address_space:  global
        .offset:         48
        .size:           8
        .value_kind:     global_buffer
      - .offset:         56
        .size:           4
        .value_kind:     by_value
      - .offset:         64
        .size:           8
        .value_kind:     by_value
      - .address_space:  global
        .offset:         72
        .size:           8
        .value_kind:     global_buffer
      - .address_space:  global
        .offset:         80
        .size:           8
        .value_kind:     global_buffer
      - .offset:         88
        .size:           4
        .value_kind:     by_value
      - .offset:         96
        .size:           8
        .value_kind:     by_value
      - .address_space:  global
        .offset:         104
        .size:           8
        .value_kind:     global_buffer
      - .offset:         112
        .size:           4
        .value_kind:     by_value
      - .offset:         120
        .size:           8
        .value_kind:     by_value
      - .offset:         128
        .size:           4
        .value_kind:     by_value
      - .offset:         132
        .size:           4
        .value_kind:     by_value
    .group_segment_fixed_size: 6144
    .kernarg_segment_align: 8
    .kernarg_segment_size: 136
    .language:       OpenCL C
    .language_version:
      - 2
      - 0
    .max_flat_workgroup_size: 256
    .name:           _ZN12_GLOBAL__N_120geam_min_plus_kernelIf15HIP_vector_typeIfLj2EES2_Li8ELi32ELi64ELi128ELi4ELi4ELi64ELi4ELi64ELc84ELc78ELb0ELb0ELb0EPKfKS4_KPfEEviiiT16_PT17_ilSA_ilS8_SA_ilPT18_ili26rocblas_geam_ex_operation_
    .private_segment_fixed_size: 0
    .sgpr_count:     35
    .sgpr_spill_count: 0
    .symbol:         _ZN12_GLOBAL__N_120geam_min_plus_kernelIf15HIP_vector_typeIfLj2EES2_Li8ELi32ELi64ELi128ELi4ELi4ELi64ELi4ELi64ELc84ELc78ELb0ELb0ELb0EPKfKS4_KPfEEviiiT16_PT17_ilSA_ilS8_SA_ilPT18_ili26rocblas_geam_ex_operation_.kd
    .uniform_work_group_size: 1
    .uses_dynamic_stack: false
    .vgpr_count:     112
    .vgpr_spill_count: 0
    .wavefront_size: 64
  - .agpr_count:     0
    .args:
      - .offset:         0
        .size:           4
        .value_kind:     by_value
      - .offset:         4
        .size:           4
        .value_kind:     by_value
      - .offset:         8
        .size:           4
        .value_kind:     by_value
      - .offset:         12
        .size:           4
        .value_kind:     by_value
      - .address_space:  global
        .offset:         16
        .size:           8
        .value_kind:     global_buffer
      - .offset:         24
        .size:           4
        .value_kind:     by_value
      - .offset:         32
        .size:           8
        .value_kind:     by_value
      - .address_space:  global
        .offset:         40
        .size:           8
        .value_kind:     global_buffer
      - .offset:         48
        .size:           4
        .value_kind:     by_value
      - .offset:         56
        .size:           8
        .value_kind:     by_value
      - .offset:         64
        .size:           4
        .value_kind:     by_value
      - .address_space:  global
        .offset:         72
        .size:           8
        .value_kind:     global_buffer
      - .offset:         80
        .size:           4
        .value_kind:     by_value
      - .offset:         88
        .size:           8
        .value_kind:     by_value
      - .address_space:  global
        .offset:         96
        .size:           8
        .value_kind:     global_buffer
      - .offset:         104
        .size:           4
        .value_kind:     by_value
      - .offset:         112
        .size:           8
        .value_kind:     by_value
      - .offset:         120
        .size:           4
        .value_kind:     by_value
      - .offset:         124
        .size:           4
        .value_kind:     by_value
    .group_segment_fixed_size: 6144
    .kernarg_segment_align: 8
    .kernarg_segment_size: 128
    .language:       OpenCL C
    .language_version:
      - 2
      - 0
    .max_flat_workgroup_size: 256
    .name:           _ZN12_GLOBAL__N_120geam_min_plus_kernelIf15HIP_vector_typeIfLj2EES2_Li8ELi32ELi64ELi128ELi4ELi4ELi64ELi4ELi64ELc84ELc78ELb1ELb0ELb0EfKPKfKPfEEviiiT16_PT17_ilSA_ilS8_SA_ilPT18_ili26rocblas_geam_ex_operation_
    .private_segment_fixed_size: 0
    .sgpr_count:     30
    .sgpr_spill_count: 0
    .symbol:         _ZN12_GLOBAL__N_120geam_min_plus_kernelIf15HIP_vector_typeIfLj2EES2_Li8ELi32ELi64ELi128ELi4ELi4ELi64ELi4ELi64ELc84ELc78ELb1ELb0ELb0EfKPKfKPfEEviiiT16_PT17_ilSA_ilS8_SA_ilPT18_ili26rocblas_geam_ex_operation_.kd
    .uniform_work_group_size: 1
    .uses_dynamic_stack: false
    .vgpr_count:     117
    .vgpr_spill_count: 0
    .wavefront_size: 64
  - .agpr_count:     0
    .args:
      - .offset:         0
        .size:           4
        .value_kind:     by_value
      - .offset:         4
        .size:           4
        .value_kind:     by_value
      - .offset:         8
        .size:           4
        .value_kind:     by_value
      - .offset:         12
        .size:           4
        .value_kind:     by_value
      - .address_space:  global
        .offset:         16
        .size:           8
        .value_kind:     global_buffer
      - .offset:         24
        .size:           4
        .value_kind:     by_value
      - .offset:         32
        .size:           8
        .value_kind:     by_value
      - .address_space:  global
        .offset:         40
        .size:           8
        .value_kind:     global_buffer
      - .offset:         48
        .size:           4
        .value_kind:     by_value
      - .offset:         56
        .size:           8
        .value_kind:     by_value
      - .offset:         64
        .size:           4
        .value_kind:     by_value
      - .address_space:  global
        .offset:         72
        .size:           8
        .value_kind:     global_buffer
      - .offset:         80
        .size:           4
        .value_kind:     by_value
      - .offset:         88
        .size:           8
        .value_kind:     by_value
      - .address_space:  global
        .offset:         96
        .size:           8
        .value_kind:     global_buffer
      - .offset:         104
        .size:           4
        .value_kind:     by_value
      - .offset:         112
        .size:           8
        .value_kind:     by_value
      - .offset:         120
        .size:           4
        .value_kind:     by_value
      - .offset:         124
        .size:           4
        .value_kind:     by_value
    .group_segment_fixed_size: 6144
    .kernarg_segment_align: 8
    .kernarg_segment_size: 128
    .language:       OpenCL C
    .language_version:
      - 2
      - 0
    .max_flat_workgroup_size: 256
    .name:           _ZN12_GLOBAL__N_120geam_min_plus_kernelIf15HIP_vector_typeIfLj2EES2_Li8ELi32ELi64ELi128ELi4ELi4ELi64ELi4ELi64ELc84ELc78ELb0ELb0ELb0EfKPKfKPfEEviiiT16_PT17_ilSA_ilS8_SA_ilPT18_ili26rocblas_geam_ex_operation_
    .private_segment_fixed_size: 0
    .sgpr_count:     37
    .sgpr_spill_count: 0
    .symbol:         _ZN12_GLOBAL__N_120geam_min_plus_kernelIf15HIP_vector_typeIfLj2EES2_Li8ELi32ELi64ELi128ELi4ELi4ELi64ELi4ELi64ELc84ELc78ELb0ELb0ELb0EfKPKfKPfEEviiiT16_PT17_ilSA_ilS8_SA_ilPT18_ili26rocblas_geam_ex_operation_.kd
    .uniform_work_group_size: 1
    .uses_dynamic_stack: false
    .vgpr_count:     112
    .vgpr_spill_count: 0
    .wavefront_size: 64
  - .agpr_count:     0
    .args:
      - .offset:         0
        .size:           4
        .value_kind:     by_value
      - .offset:         4
        .size:           4
        .value_kind:     by_value
      - .offset:         8
        .size:           4
        .value_kind:     by_value
      - .address_space:  global
        .offset:         16
        .size:           8
        .value_kind:     global_buffer
      - .address_space:  global
        .offset:         24
        .size:           8
        .value_kind:     global_buffer
      - .offset:         32
        .size:           4
        .value_kind:     by_value
      - .offset:         40
        .size:           8
        .value_kind:     by_value
      - .address_space:  global
        .offset:         48
        .size:           8
        .value_kind:     global_buffer
      - .offset:         56
        .size:           4
        .value_kind:     by_value
      - .offset:         64
        .size:           8
        .value_kind:     by_value
      - .address_space:  global
        .offset:         72
        .size:           8
        .value_kind:     global_buffer
      - .address_space:  global
        .offset:         80
        .size:           8
        .value_kind:     global_buffer
      - .offset:         88
        .size:           4
        .value_kind:     by_value
      - .offset:         96
        .size:           8
        .value_kind:     by_value
      - .address_space:  global
        .offset:         104
        .size:           8
        .value_kind:     global_buffer
      - .offset:         112
        .size:           4
        .value_kind:     by_value
      - .offset:         120
        .size:           8
        .value_kind:     by_value
      - .offset:         128
        .size:           4
        .value_kind:     by_value
      - .offset:         132
        .size:           4
        .value_kind:     by_value
    .group_segment_fixed_size: 6144
    .kernarg_segment_align: 8
    .kernarg_segment_size: 136
    .language:       OpenCL C
    .language_version:
      - 2
      - 0
    .max_flat_workgroup_size: 256
    .name:           _ZN12_GLOBAL__N_120geam_min_plus_kernelIf15HIP_vector_typeIfLj2EES2_Li8ELi32ELi64ELi128ELi4ELi4ELi64ELi4ELi64ELc84ELc78ELb0ELb1ELb0EPKfKS4_KPfEEviiiT16_PT17_ilSA_ilS8_SA_ilPT18_ili26rocblas_geam_ex_operation_
    .private_segment_fixed_size: 0
    .sgpr_count:     42
    .sgpr_spill_count: 0
    .symbol:         _ZN12_GLOBAL__N_120geam_min_plus_kernelIf15HIP_vector_typeIfLj2EES2_Li8ELi32ELi64ELi128ELi4ELi4ELi64ELi4ELi64ELc84ELc78ELb0ELb1ELb0EPKfKS4_KPfEEviiiT16_PT17_ilSA_ilS8_SA_ilPT18_ili26rocblas_geam_ex_operation_.kd
    .uniform_work_group_size: 1
    .uses_dynamic_stack: false
    .vgpr_count:     112
    .vgpr_spill_count: 0
    .wavefront_size: 64
  - .agpr_count:     0
    .args:
      - .offset:         0
        .size:           4
        .value_kind:     by_value
      - .offset:         4
        .size:           4
        .value_kind:     by_value
      - .offset:         8
        .size:           4
        .value_kind:     by_value
      - .offset:         12
        .size:           4
        .value_kind:     by_value
      - .address_space:  global
        .offset:         16
        .size:           8
        .value_kind:     global_buffer
      - .offset:         24
        .size:           4
        .value_kind:     by_value
      - .offset:         32
        .size:           8
        .value_kind:     by_value
      - .address_space:  global
        .offset:         40
        .size:           8
        .value_kind:     global_buffer
      - .offset:         48
        .size:           4
        .value_kind:     by_value
      - .offset:         56
        .size:           8
        .value_kind:     by_value
      - .offset:         64
        .size:           4
        .value_kind:     by_value
      - .address_space:  global
        .offset:         72
        .size:           8
        .value_kind:     global_buffer
      - .offset:         80
        .size:           4
        .value_kind:     by_value
      - .offset:         88
        .size:           8
        .value_kind:     by_value
      - .address_space:  global
        .offset:         96
        .size:           8
        .value_kind:     global_buffer
      - .offset:         104
        .size:           4
        .value_kind:     by_value
      - .offset:         112
        .size:           8
        .value_kind:     by_value
      - .offset:         120
        .size:           4
        .value_kind:     by_value
      - .offset:         124
        .size:           4
        .value_kind:     by_value
    .group_segment_fixed_size: 6144
    .kernarg_segment_align: 8
    .kernarg_segment_size: 128
    .language:       OpenCL C
    .language_version:
      - 2
      - 0
    .max_flat_workgroup_size: 256
    .name:           _ZN12_GLOBAL__N_120geam_min_plus_kernelIf15HIP_vector_typeIfLj2EES2_Li8ELi32ELi64ELi128ELi4ELi4ELi64ELi4ELi64ELc84ELc78ELb1ELb1ELb0EfKPKfKPfEEviiiT16_PT17_ilSA_ilS8_SA_ilPT18_ili26rocblas_geam_ex_operation_
    .private_segment_fixed_size: 0
    .sgpr_count:     42
    .sgpr_spill_count: 0
    .symbol:         _ZN12_GLOBAL__N_120geam_min_plus_kernelIf15HIP_vector_typeIfLj2EES2_Li8ELi32ELi64ELi128ELi4ELi4ELi64ELi4ELi64ELc84ELc78ELb1ELb1ELb0EfKPKfKPfEEviiiT16_PT17_ilSA_ilS8_SA_ilPT18_ili26rocblas_geam_ex_operation_.kd
    .uniform_work_group_size: 1
    .uses_dynamic_stack: false
    .vgpr_count:     118
    .vgpr_spill_count: 0
    .wavefront_size: 64
  - .agpr_count:     0
    .args:
      - .offset:         0
        .size:           4
        .value_kind:     by_value
      - .offset:         4
        .size:           4
        .value_kind:     by_value
      - .offset:         8
        .size:           4
        .value_kind:     by_value
      - .offset:         12
        .size:           4
        .value_kind:     by_value
      - .address_space:  global
        .offset:         16
        .size:           8
        .value_kind:     global_buffer
      - .offset:         24
        .size:           4
        .value_kind:     by_value
      - .offset:         32
        .size:           8
        .value_kind:     by_value
      - .address_space:  global
        .offset:         40
        .size:           8
        .value_kind:     global_buffer
      - .offset:         48
        .size:           4
        .value_kind:     by_value
      - .offset:         56
        .size:           8
        .value_kind:     by_value
      - .offset:         64
        .size:           4
        .value_kind:     by_value
      - .address_space:  global
        .offset:         72
        .size:           8
        .value_kind:     global_buffer
      - .offset:         80
        .size:           4
        .value_kind:     by_value
      - .offset:         88
        .size:           8
        .value_kind:     by_value
      - .address_space:  global
        .offset:         96
        .size:           8
        .value_kind:     global_buffer
      - .offset:         104
        .size:           4
        .value_kind:     by_value
      - .offset:         112
        .size:           8
        .value_kind:     by_value
      - .offset:         120
        .size:           4
        .value_kind:     by_value
      - .offset:         124
        .size:           4
        .value_kind:     by_value
    .group_segment_fixed_size: 6144
    .kernarg_segment_align: 8
    .kernarg_segment_size: 128
    .language:       OpenCL C
    .language_version:
      - 2
      - 0
    .max_flat_workgroup_size: 256
    .name:           _ZN12_GLOBAL__N_120geam_min_plus_kernelIf15HIP_vector_typeIfLj2EES2_Li8ELi32ELi64ELi128ELi4ELi4ELi64ELi4ELi64ELc84ELc78ELb0ELb1ELb0EfKPKfKPfEEviiiT16_PT17_ilSA_ilS8_SA_ilPT18_ili26rocblas_geam_ex_operation_
    .private_segment_fixed_size: 0
    .sgpr_count:     42
    .sgpr_spill_count: 0
    .symbol:         _ZN12_GLOBAL__N_120geam_min_plus_kernelIf15HIP_vector_typeIfLj2EES2_Li8ELi32ELi64ELi128ELi4ELi4ELi64ELi4ELi64ELc84ELc78ELb0ELb1ELb0EfKPKfKPfEEviiiT16_PT17_ilSA_ilS8_SA_ilPT18_ili26rocblas_geam_ex_operation_.kd
    .uniform_work_group_size: 1
    .uses_dynamic_stack: false
    .vgpr_count:     112
    .vgpr_spill_count: 0
    .wavefront_size: 64
  - .agpr_count:     0
    .args:
      - .offset:         0
        .size:           4
        .value_kind:     by_value
      - .offset:         4
        .size:           4
        .value_kind:     by_value
      - .offset:         8
        .size:           4
        .value_kind:     by_value
      - .address_space:  global
        .offset:         16
        .size:           8
        .value_kind:     global_buffer
      - .address_space:  global
        .offset:         24
        .size:           8
        .value_kind:     global_buffer
      - .offset:         32
        .size:           4
        .value_kind:     by_value
      - .offset:         40
        .size:           8
        .value_kind:     by_value
      - .address_space:  global
        .offset:         48
        .size:           8
        .value_kind:     global_buffer
      - .offset:         56
        .size:           4
        .value_kind:     by_value
      - .offset:         64
        .size:           8
        .value_kind:     by_value
      - .address_space:  global
        .offset:         72
        .size:           8
        .value_kind:     global_buffer
      - .address_space:  global
        .offset:         80
        .size:           8
        .value_kind:     global_buffer
      - .offset:         88
        .size:           4
        .value_kind:     by_value
      - .offset:         96
        .size:           8
        .value_kind:     by_value
      - .address_space:  global
        .offset:         104
        .size:           8
        .value_kind:     global_buffer
      - .offset:         112
        .size:           4
        .value_kind:     by_value
      - .offset:         120
        .size:           8
        .value_kind:     by_value
      - .offset:         128
        .size:           4
        .value_kind:     by_value
      - .offset:         132
        .size:           4
        .value_kind:     by_value
    .group_segment_fixed_size: 6144
    .kernarg_segment_align: 8
    .kernarg_segment_size: 136
    .language:       OpenCL C
    .language_version:
      - 2
      - 0
    .max_flat_workgroup_size: 256
    .name:           _ZN12_GLOBAL__N_120geam_min_plus_kernelIf15HIP_vector_typeIfLj2EES2_Li8ELi32ELi64ELi128ELi4ELi64ELi4ELi64ELi4ELc78ELc84ELb0ELb0ELb0EPKfKS4_KPfEEviiiT16_PT17_ilSA_ilS8_SA_ilPT18_ili26rocblas_geam_ex_operation_
    .private_segment_fixed_size: 0
    .sgpr_count:     35
    .sgpr_spill_count: 0
    .symbol:         _ZN12_GLOBAL__N_120geam_min_plus_kernelIf15HIP_vector_typeIfLj2EES2_Li8ELi32ELi64ELi128ELi4ELi64ELi4ELi64ELi4ELc78ELc84ELb0ELb0ELb0EPKfKS4_KPfEEviiiT16_PT17_ilSA_ilS8_SA_ilPT18_ili26rocblas_geam_ex_operation_.kd
    .uniform_work_group_size: 1
    .uses_dynamic_stack: false
    .vgpr_count:     109
    .vgpr_spill_count: 0
    .wavefront_size: 64
  - .agpr_count:     0
    .args:
      - .offset:         0
        .size:           4
        .value_kind:     by_value
      - .offset:         4
        .size:           4
        .value_kind:     by_value
      - .offset:         8
        .size:           4
        .value_kind:     by_value
      - .offset:         12
        .size:           4
        .value_kind:     by_value
      - .address_space:  global
        .offset:         16
        .size:           8
        .value_kind:     global_buffer
      - .offset:         24
        .size:           4
        .value_kind:     by_value
      - .offset:         32
        .size:           8
        .value_kind:     by_value
      - .address_space:  global
        .offset:         40
        .size:           8
        .value_kind:     global_buffer
      - .offset:         48
        .size:           4
        .value_kind:     by_value
      - .offset:         56
        .size:           8
        .value_kind:     by_value
      - .offset:         64
        .size:           4
        .value_kind:     by_value
      - .address_space:  global
        .offset:         72
        .size:           8
        .value_kind:     global_buffer
      - .offset:         80
        .size:           4
        .value_kind:     by_value
      - .offset:         88
        .size:           8
        .value_kind:     by_value
      - .address_space:  global
        .offset:         96
        .size:           8
        .value_kind:     global_buffer
      - .offset:         104
        .size:           4
        .value_kind:     by_value
      - .offset:         112
        .size:           8
        .value_kind:     by_value
      - .offset:         120
        .size:           4
        .value_kind:     by_value
      - .offset:         124
        .size:           4
        .value_kind:     by_value
    .group_segment_fixed_size: 6144
    .kernarg_segment_align: 8
    .kernarg_segment_size: 128
    .language:       OpenCL C
    .language_version:
      - 2
      - 0
    .max_flat_workgroup_size: 256
    .name:           _ZN12_GLOBAL__N_120geam_min_plus_kernelIf15HIP_vector_typeIfLj2EES2_Li8ELi32ELi64ELi128ELi4ELi64ELi4ELi64ELi4ELc78ELc84ELb1ELb0ELb0EfKPKfKPfEEviiiT16_PT17_ilSA_ilS8_SA_ilPT18_ili26rocblas_geam_ex_operation_
    .private_segment_fixed_size: 0
    .sgpr_count:     31
    .sgpr_spill_count: 0
    .symbol:         _ZN12_GLOBAL__N_120geam_min_plus_kernelIf15HIP_vector_typeIfLj2EES2_Li8ELi32ELi64ELi128ELi4ELi64ELi4ELi64ELi4ELc78ELc84ELb1ELb0ELb0EfKPKfKPfEEviiiT16_PT17_ilSA_ilS8_SA_ilPT18_ili26rocblas_geam_ex_operation_.kd
    .uniform_work_group_size: 1
    .uses_dynamic_stack: false
    .vgpr_count:     109
    .vgpr_spill_count: 0
    .wavefront_size: 64
  - .agpr_count:     0
    .args:
      - .offset:         0
        .size:           4
        .value_kind:     by_value
      - .offset:         4
        .size:           4
        .value_kind:     by_value
      - .offset:         8
        .size:           4
        .value_kind:     by_value
      - .offset:         12
        .size:           4
        .value_kind:     by_value
      - .address_space:  global
        .offset:         16
        .size:           8
        .value_kind:     global_buffer
      - .offset:         24
        .size:           4
        .value_kind:     by_value
      - .offset:         32
        .size:           8
        .value_kind:     by_value
      - .address_space:  global
        .offset:         40
        .size:           8
        .value_kind:     global_buffer
      - .offset:         48
        .size:           4
        .value_kind:     by_value
      - .offset:         56
        .size:           8
        .value_kind:     by_value
      - .offset:         64
        .size:           4
        .value_kind:     by_value
      - .address_space:  global
        .offset:         72
        .size:           8
        .value_kind:     global_buffer
      - .offset:         80
        .size:           4
        .value_kind:     by_value
      - .offset:         88
        .size:           8
        .value_kind:     by_value
      - .address_space:  global
        .offset:         96
        .size:           8
        .value_kind:     global_buffer
      - .offset:         104
        .size:           4
        .value_kind:     by_value
      - .offset:         112
        .size:           8
        .value_kind:     by_value
      - .offset:         120
        .size:           4
        .value_kind:     by_value
      - .offset:         124
        .size:           4
        .value_kind:     by_value
    .group_segment_fixed_size: 6144
    .kernarg_segment_align: 8
    .kernarg_segment_size: 128
    .language:       OpenCL C
    .language_version:
      - 2
      - 0
    .max_flat_workgroup_size: 256
    .name:           _ZN12_GLOBAL__N_120geam_min_plus_kernelIf15HIP_vector_typeIfLj2EES2_Li8ELi32ELi64ELi128ELi4ELi64ELi4ELi64ELi4ELc78ELc84ELb0ELb0ELb0EfKPKfKPfEEviiiT16_PT17_ilSA_ilS8_SA_ilPT18_ili26rocblas_geam_ex_operation_
    .private_segment_fixed_size: 0
    .sgpr_count:     37
    .sgpr_spill_count: 0
    .symbol:         _ZN12_GLOBAL__N_120geam_min_plus_kernelIf15HIP_vector_typeIfLj2EES2_Li8ELi32ELi64ELi128ELi4ELi64ELi4ELi64ELi4ELc78ELc84ELb0ELb0ELb0EfKPKfKPfEEviiiT16_PT17_ilSA_ilS8_SA_ilPT18_ili26rocblas_geam_ex_operation_.kd
    .uniform_work_group_size: 1
    .uses_dynamic_stack: false
    .vgpr_count:     109
    .vgpr_spill_count: 0
    .wavefront_size: 64
  - .agpr_count:     0
    .args:
      - .offset:         0
        .size:           4
        .value_kind:     by_value
      - .offset:         4
        .size:           4
        .value_kind:     by_value
      - .offset:         8
        .size:           4
        .value_kind:     by_value
      - .address_space:  global
        .offset:         16
        .size:           8
        .value_kind:     global_buffer
      - .address_space:  global
        .offset:         24
        .size:           8
        .value_kind:     global_buffer
      - .offset:         32
        .size:           4
        .value_kind:     by_value
      - .offset:         40
        .size:           8
        .value_kind:     by_value
      - .address_space:  global
        .offset:         48
        .size:           8
        .value_kind:     global_buffer
      - .offset:         56
        .size:           4
        .value_kind:     by_value
      - .offset:         64
        .size:           8
        .value_kind:     by_value
      - .address_space:  global
        .offset:         72
        .size:           8
        .value_kind:     global_buffer
      - .address_space:  global
        .offset:         80
        .size:           8
        .value_kind:     global_buffer
      - .offset:         88
        .size:           4
        .value_kind:     by_value
      - .offset:         96
        .size:           8
        .value_kind:     by_value
      - .address_space:  global
        .offset:         104
        .size:           8
        .value_kind:     global_buffer
      - .offset:         112
        .size:           4
        .value_kind:     by_value
      - .offset:         120
        .size:           8
        .value_kind:     by_value
      - .offset:         128
        .size:           4
        .value_kind:     by_value
      - .offset:         132
        .size:           4
        .value_kind:     by_value
    .group_segment_fixed_size: 6144
    .kernarg_segment_align: 8
    .kernarg_segment_size: 136
    .language:       OpenCL C
    .language_version:
      - 2
      - 0
    .max_flat_workgroup_size: 256
    .name:           _ZN12_GLOBAL__N_120geam_min_plus_kernelIf15HIP_vector_typeIfLj2EES2_Li8ELi32ELi64ELi128ELi4ELi64ELi4ELi64ELi4ELc78ELc84ELb0ELb1ELb0EPKfKS4_KPfEEviiiT16_PT17_ilSA_ilS8_SA_ilPT18_ili26rocblas_geam_ex_operation_
    .private_segment_fixed_size: 0
    .sgpr_count:     46
    .sgpr_spill_count: 0
    .symbol:         _ZN12_GLOBAL__N_120geam_min_plus_kernelIf15HIP_vector_typeIfLj2EES2_Li8ELi32ELi64ELi128ELi4ELi64ELi4ELi64ELi4ELc78ELc84ELb0ELb1ELb0EPKfKS4_KPfEEviiiT16_PT17_ilSA_ilS8_SA_ilPT18_ili26rocblas_geam_ex_operation_.kd
    .uniform_work_group_size: 1
    .uses_dynamic_stack: false
    .vgpr_count:     108
    .vgpr_spill_count: 0
    .wavefront_size: 64
  - .agpr_count:     0
    .args:
      - .offset:         0
        .size:           4
        .value_kind:     by_value
      - .offset:         4
        .size:           4
        .value_kind:     by_value
      - .offset:         8
        .size:           4
        .value_kind:     by_value
      - .offset:         12
        .size:           4
        .value_kind:     by_value
      - .address_space:  global
        .offset:         16
        .size:           8
        .value_kind:     global_buffer
      - .offset:         24
        .size:           4
        .value_kind:     by_value
      - .offset:         32
        .size:           8
        .value_kind:     by_value
      - .address_space:  global
        .offset:         40
        .size:           8
        .value_kind:     global_buffer
      - .offset:         48
        .size:           4
        .value_kind:     by_value
      - .offset:         56
        .size:           8
        .value_kind:     by_value
      - .offset:         64
        .size:           4
        .value_kind:     by_value
      - .address_space:  global
        .offset:         72
        .size:           8
        .value_kind:     global_buffer
      - .offset:         80
        .size:           4
        .value_kind:     by_value
      - .offset:         88
        .size:           8
        .value_kind:     by_value
      - .address_space:  global
        .offset:         96
        .size:           8
        .value_kind:     global_buffer
      - .offset:         104
        .size:           4
        .value_kind:     by_value
      - .offset:         112
        .size:           8
        .value_kind:     by_value
      - .offset:         120
        .size:           4
        .value_kind:     by_value
      - .offset:         124
        .size:           4
        .value_kind:     by_value
    .group_segment_fixed_size: 6144
    .kernarg_segment_align: 8
    .kernarg_segment_size: 128
    .language:       OpenCL C
    .language_version:
      - 2
      - 0
    .max_flat_workgroup_size: 256
    .name:           _ZN12_GLOBAL__N_120geam_min_plus_kernelIf15HIP_vector_typeIfLj2EES2_Li8ELi32ELi64ELi128ELi4ELi64ELi4ELi64ELi4ELc78ELc84ELb1ELb1ELb0EfKPKfKPfEEviiiT16_PT17_ilSA_ilS8_SA_ilPT18_ili26rocblas_geam_ex_operation_
    .private_segment_fixed_size: 0
    .sgpr_count:     42
    .sgpr_spill_count: 0
    .symbol:         _ZN12_GLOBAL__N_120geam_min_plus_kernelIf15HIP_vector_typeIfLj2EES2_Li8ELi32ELi64ELi128ELi4ELi64ELi4ELi64ELi4ELc78ELc84ELb1ELb1ELb0EfKPKfKPfEEviiiT16_PT17_ilSA_ilS8_SA_ilPT18_ili26rocblas_geam_ex_operation_.kd
    .uniform_work_group_size: 1
    .uses_dynamic_stack: false
    .vgpr_count:     108
    .vgpr_spill_count: 0
    .wavefront_size: 64
  - .agpr_count:     0
    .args:
      - .offset:         0
        .size:           4
        .value_kind:     by_value
      - .offset:         4
        .size:           4
        .value_kind:     by_value
      - .offset:         8
        .size:           4
        .value_kind:     by_value
      - .offset:         12
        .size:           4
        .value_kind:     by_value
      - .address_space:  global
        .offset:         16
        .size:           8
        .value_kind:     global_buffer
      - .offset:         24
        .size:           4
        .value_kind:     by_value
      - .offset:         32
        .size:           8
        .value_kind:     by_value
      - .address_space:  global
        .offset:         40
        .size:           8
        .value_kind:     global_buffer
      - .offset:         48
        .size:           4
        .value_kind:     by_value
      - .offset:         56
        .size:           8
        .value_kind:     by_value
      - .offset:         64
        .size:           4
        .value_kind:     by_value
      - .address_space:  global
        .offset:         72
        .size:           8
        .value_kind:     global_buffer
      - .offset:         80
        .size:           4
        .value_kind:     by_value
      - .offset:         88
        .size:           8
        .value_kind:     by_value
      - .address_space:  global
        .offset:         96
        .size:           8
        .value_kind:     global_buffer
      - .offset:         104
        .size:           4
        .value_kind:     by_value
      - .offset:         112
        .size:           8
        .value_kind:     by_value
      - .offset:         120
        .size:           4
        .value_kind:     by_value
      - .offset:         124
        .size:           4
        .value_kind:     by_value
    .group_segment_fixed_size: 6144
    .kernarg_segment_align: 8
    .kernarg_segment_size: 128
    .language:       OpenCL C
    .language_version:
      - 2
      - 0
    .max_flat_workgroup_size: 256
    .name:           _ZN12_GLOBAL__N_120geam_min_plus_kernelIf15HIP_vector_typeIfLj2EES2_Li8ELi32ELi64ELi128ELi4ELi64ELi4ELi64ELi4ELc78ELc84ELb0ELb1ELb0EfKPKfKPfEEviiiT16_PT17_ilSA_ilS8_SA_ilPT18_ili26rocblas_geam_ex_operation_
    .private_segment_fixed_size: 0
    .sgpr_count:     46
    .sgpr_spill_count: 0
    .symbol:         _ZN12_GLOBAL__N_120geam_min_plus_kernelIf15HIP_vector_typeIfLj2EES2_Li8ELi32ELi64ELi128ELi4ELi64ELi4ELi64ELi4ELc78ELc84ELb0ELb1ELb0EfKPKfKPfEEviiiT16_PT17_ilSA_ilS8_SA_ilPT18_ili26rocblas_geam_ex_operation_.kd
    .uniform_work_group_size: 1
    .uses_dynamic_stack: false
    .vgpr_count:     108
    .vgpr_spill_count: 0
    .wavefront_size: 64
  - .agpr_count:     0
    .args:
      - .offset:         0
        .size:           4
        .value_kind:     by_value
      - .offset:         4
        .size:           4
        .value_kind:     by_value
      - .offset:         8
        .size:           4
        .value_kind:     by_value
      - .address_space:  global
        .offset:         16
        .size:           8
        .value_kind:     global_buffer
      - .address_space:  global
        .offset:         24
        .size:           8
        .value_kind:     global_buffer
      - .offset:         32
        .size:           4
        .value_kind:     by_value
      - .offset:         40
        .size:           8
        .value_kind:     by_value
      - .address_space:  global
        .offset:         48
        .size:           8
        .value_kind:     global_buffer
      - .offset:         56
        .size:           4
        .value_kind:     by_value
      - .offset:         64
        .size:           8
        .value_kind:     by_value
      - .address_space:  global
        .offset:         72
        .size:           8
        .value_kind:     global_buffer
      - .address_space:  global
        .offset:         80
        .size:           8
        .value_kind:     global_buffer
      - .offset:         88
        .size:           4
        .value_kind:     by_value
      - .offset:         96
        .size:           8
        .value_kind:     by_value
      - .address_space:  global
        .offset:         104
        .size:           8
        .value_kind:     global_buffer
      - .offset:         112
        .size:           4
        .value_kind:     by_value
      - .offset:         120
        .size:           8
        .value_kind:     by_value
      - .offset:         128
        .size:           4
        .value_kind:     by_value
      - .offset:         132
        .size:           4
        .value_kind:     by_value
    .group_segment_fixed_size: 6144
    .kernarg_segment_align: 8
    .kernarg_segment_size: 136
    .language:       OpenCL C
    .language_version:
      - 2
      - 0
    .max_flat_workgroup_size: 256
    .name:           _ZN12_GLOBAL__N_120geam_min_plus_kernelIf15HIP_vector_typeIfLj2EES2_Li8ELi32ELi64ELi128ELi4ELi4ELi64ELi64ELi4ELc84ELc84ELb0ELb0ELb0EPKfKS4_KPfEEviiiT16_PT17_ilSA_ilS8_SA_ilPT18_ili26rocblas_geam_ex_operation_
    .private_segment_fixed_size: 0
    .sgpr_count:     35
    .sgpr_spill_count: 0
    .symbol:         _ZN12_GLOBAL__N_120geam_min_plus_kernelIf15HIP_vector_typeIfLj2EES2_Li8ELi32ELi64ELi128ELi4ELi4ELi64ELi64ELi4ELc84ELc84ELb0ELb0ELb0EPKfKS4_KPfEEviiiT16_PT17_ilSA_ilS8_SA_ilPT18_ili26rocblas_geam_ex_operation_.kd
    .uniform_work_group_size: 1
    .uses_dynamic_stack: false
    .vgpr_count:     112
    .vgpr_spill_count: 0
    .wavefront_size: 64
  - .agpr_count:     0
    .args:
      - .offset:         0
        .size:           4
        .value_kind:     by_value
      - .offset:         4
        .size:           4
        .value_kind:     by_value
      - .offset:         8
        .size:           4
        .value_kind:     by_value
      - .offset:         12
        .size:           4
        .value_kind:     by_value
      - .address_space:  global
        .offset:         16
        .size:           8
        .value_kind:     global_buffer
      - .offset:         24
        .size:           4
        .value_kind:     by_value
      - .offset:         32
        .size:           8
        .value_kind:     by_value
      - .address_space:  global
        .offset:         40
        .size:           8
        .value_kind:     global_buffer
      - .offset:         48
        .size:           4
        .value_kind:     by_value
      - .offset:         56
        .size:           8
        .value_kind:     by_value
      - .offset:         64
        .size:           4
        .value_kind:     by_value
      - .address_space:  global
        .offset:         72
        .size:           8
        .value_kind:     global_buffer
      - .offset:         80
        .size:           4
        .value_kind:     by_value
      - .offset:         88
        .size:           8
        .value_kind:     by_value
      - .address_space:  global
        .offset:         96
        .size:           8
        .value_kind:     global_buffer
      - .offset:         104
        .size:           4
        .value_kind:     by_value
      - .offset:         112
        .size:           8
        .value_kind:     by_value
      - .offset:         120
        .size:           4
        .value_kind:     by_value
      - .offset:         124
        .size:           4
        .value_kind:     by_value
    .group_segment_fixed_size: 6144
    .kernarg_segment_align: 8
    .kernarg_segment_size: 128
    .language:       OpenCL C
    .language_version:
      - 2
      - 0
    .max_flat_workgroup_size: 256
    .name:           _ZN12_GLOBAL__N_120geam_min_plus_kernelIf15HIP_vector_typeIfLj2EES2_Li8ELi32ELi64ELi128ELi4ELi4ELi64ELi64ELi4ELc84ELc84ELb1ELb0ELb0EfKPKfKPfEEviiiT16_PT17_ilSA_ilS8_SA_ilPT18_ili26rocblas_geam_ex_operation_
    .private_segment_fixed_size: 0
    .sgpr_count:     30
    .sgpr_spill_count: 0
    .symbol:         _ZN12_GLOBAL__N_120geam_min_plus_kernelIf15HIP_vector_typeIfLj2EES2_Li8ELi32ELi64ELi128ELi4ELi4ELi64ELi64ELi4ELc84ELc84ELb1ELb0ELb0EfKPKfKPfEEviiiT16_PT17_ilSA_ilS8_SA_ilPT18_ili26rocblas_geam_ex_operation_.kd
    .uniform_work_group_size: 1
    .uses_dynamic_stack: false
    .vgpr_count:     113
    .vgpr_spill_count: 0
    .wavefront_size: 64
  - .agpr_count:     0
    .args:
      - .offset:         0
        .size:           4
        .value_kind:     by_value
      - .offset:         4
        .size:           4
        .value_kind:     by_value
      - .offset:         8
        .size:           4
        .value_kind:     by_value
      - .offset:         12
        .size:           4
        .value_kind:     by_value
      - .address_space:  global
        .offset:         16
        .size:           8
        .value_kind:     global_buffer
      - .offset:         24
        .size:           4
        .value_kind:     by_value
      - .offset:         32
        .size:           8
        .value_kind:     by_value
      - .address_space:  global
        .offset:         40
        .size:           8
        .value_kind:     global_buffer
      - .offset:         48
        .size:           4
        .value_kind:     by_value
      - .offset:         56
        .size:           8
        .value_kind:     by_value
      - .offset:         64
        .size:           4
        .value_kind:     by_value
      - .address_space:  global
        .offset:         72
        .size:           8
        .value_kind:     global_buffer
      - .offset:         80
        .size:           4
        .value_kind:     by_value
      - .offset:         88
        .size:           8
        .value_kind:     by_value
      - .address_space:  global
        .offset:         96
        .size:           8
        .value_kind:     global_buffer
      - .offset:         104
        .size:           4
        .value_kind:     by_value
      - .offset:         112
        .size:           8
        .value_kind:     by_value
      - .offset:         120
        .size:           4
        .value_kind:     by_value
      - .offset:         124
        .size:           4
        .value_kind:     by_value
    .group_segment_fixed_size: 6144
    .kernarg_segment_align: 8
    .kernarg_segment_size: 128
    .language:       OpenCL C
    .language_version:
      - 2
      - 0
    .max_flat_workgroup_size: 256
    .name:           _ZN12_GLOBAL__N_120geam_min_plus_kernelIf15HIP_vector_typeIfLj2EES2_Li8ELi32ELi64ELi128ELi4ELi4ELi64ELi64ELi4ELc84ELc84ELb0ELb0ELb0EfKPKfKPfEEviiiT16_PT17_ilSA_ilS8_SA_ilPT18_ili26rocblas_geam_ex_operation_
    .private_segment_fixed_size: 0
    .sgpr_count:     36
    .sgpr_spill_count: 0
    .symbol:         _ZN12_GLOBAL__N_120geam_min_plus_kernelIf15HIP_vector_typeIfLj2EES2_Li8ELi32ELi64ELi128ELi4ELi4ELi64ELi64ELi4ELc84ELc84ELb0ELb0ELb0EfKPKfKPfEEviiiT16_PT17_ilSA_ilS8_SA_ilPT18_ili26rocblas_geam_ex_operation_.kd
    .uniform_work_group_size: 1
    .uses_dynamic_stack: false
    .vgpr_count:     112
    .vgpr_spill_count: 0
    .wavefront_size: 64
  - .agpr_count:     0
    .args:
      - .offset:         0
        .size:           4
        .value_kind:     by_value
      - .offset:         4
        .size:           4
        .value_kind:     by_value
      - .offset:         8
        .size:           4
        .value_kind:     by_value
      - .address_space:  global
        .offset:         16
        .size:           8
        .value_kind:     global_buffer
      - .address_space:  global
        .offset:         24
        .size:           8
        .value_kind:     global_buffer
      - .offset:         32
        .size:           4
        .value_kind:     by_value
      - .offset:         40
        .size:           8
        .value_kind:     by_value
      - .address_space:  global
        .offset:         48
        .size:           8
        .value_kind:     global_buffer
      - .offset:         56
        .size:           4
        .value_kind:     by_value
      - .offset:         64
        .size:           8
        .value_kind:     by_value
      - .address_space:  global
        .offset:         72
        .size:           8
        .value_kind:     global_buffer
      - .address_space:  global
        .offset:         80
        .size:           8
        .value_kind:     global_buffer
      - .offset:         88
        .size:           4
        .value_kind:     by_value
      - .offset:         96
        .size:           8
        .value_kind:     by_value
      - .address_space:  global
        .offset:         104
        .size:           8
        .value_kind:     global_buffer
      - .offset:         112
        .size:           4
        .value_kind:     by_value
      - .offset:         120
        .size:           8
        .value_kind:     by_value
      - .offset:         128
        .size:           4
        .value_kind:     by_value
      - .offset:         132
        .size:           4
        .value_kind:     by_value
    .group_segment_fixed_size: 6144
    .kernarg_segment_align: 8
    .kernarg_segment_size: 136
    .language:       OpenCL C
    .language_version:
      - 2
      - 0
    .max_flat_workgroup_size: 256
    .name:           _ZN12_GLOBAL__N_120geam_min_plus_kernelIf15HIP_vector_typeIfLj2EES2_Li8ELi32ELi64ELi128ELi4ELi4ELi64ELi64ELi4ELc84ELc84ELb0ELb1ELb0EPKfKS4_KPfEEviiiT16_PT17_ilSA_ilS8_SA_ilPT18_ili26rocblas_geam_ex_operation_
    .private_segment_fixed_size: 0
    .sgpr_count:     44
    .sgpr_spill_count: 0
    .symbol:         _ZN12_GLOBAL__N_120geam_min_plus_kernelIf15HIP_vector_typeIfLj2EES2_Li8ELi32ELi64ELi128ELi4ELi4ELi64ELi64ELi4ELc84ELc84ELb0ELb1ELb0EPKfKS4_KPfEEviiiT16_PT17_ilSA_ilS8_SA_ilPT18_ili26rocblas_geam_ex_operation_.kd
    .uniform_work_group_size: 1
    .uses_dynamic_stack: false
    .vgpr_count:     111
    .vgpr_spill_count: 0
    .wavefront_size: 64
  - .agpr_count:     0
    .args:
      - .offset:         0
        .size:           4
        .value_kind:     by_value
      - .offset:         4
        .size:           4
        .value_kind:     by_value
      - .offset:         8
        .size:           4
        .value_kind:     by_value
      - .offset:         12
        .size:           4
        .value_kind:     by_value
      - .address_space:  global
        .offset:         16
        .size:           8
        .value_kind:     global_buffer
      - .offset:         24
        .size:           4
        .value_kind:     by_value
      - .offset:         32
        .size:           8
        .value_kind:     by_value
      - .address_space:  global
        .offset:         40
        .size:           8
        .value_kind:     global_buffer
      - .offset:         48
        .size:           4
        .value_kind:     by_value
      - .offset:         56
        .size:           8
        .value_kind:     by_value
      - .offset:         64
        .size:           4
        .value_kind:     by_value
      - .address_space:  global
        .offset:         72
        .size:           8
        .value_kind:     global_buffer
      - .offset:         80
        .size:           4
        .value_kind:     by_value
      - .offset:         88
        .size:           8
        .value_kind:     by_value
      - .address_space:  global
        .offset:         96
        .size:           8
        .value_kind:     global_buffer
      - .offset:         104
        .size:           4
        .value_kind:     by_value
      - .offset:         112
        .size:           8
        .value_kind:     by_value
      - .offset:         120
        .size:           4
        .value_kind:     by_value
      - .offset:         124
        .size:           4
        .value_kind:     by_value
    .group_segment_fixed_size: 6144
    .kernarg_segment_align: 8
    .kernarg_segment_size: 128
    .language:       OpenCL C
    .language_version:
      - 2
      - 0
    .max_flat_workgroup_size: 256
    .name:           _ZN12_GLOBAL__N_120geam_min_plus_kernelIf15HIP_vector_typeIfLj2EES2_Li8ELi32ELi64ELi128ELi4ELi4ELi64ELi64ELi4ELc84ELc84ELb1ELb1ELb0EfKPKfKPfEEviiiT16_PT17_ilSA_ilS8_SA_ilPT18_ili26rocblas_geam_ex_operation_
    .private_segment_fixed_size: 0
    .sgpr_count:     42
    .sgpr_spill_count: 0
    .symbol:         _ZN12_GLOBAL__N_120geam_min_plus_kernelIf15HIP_vector_typeIfLj2EES2_Li8ELi32ELi64ELi128ELi4ELi4ELi64ELi64ELi4ELc84ELc84ELb1ELb1ELb0EfKPKfKPfEEviiiT16_PT17_ilSA_ilS8_SA_ilPT18_ili26rocblas_geam_ex_operation_.kd
    .uniform_work_group_size: 1
    .uses_dynamic_stack: false
    .vgpr_count:     111
    .vgpr_spill_count: 0
    .wavefront_size: 64
  - .agpr_count:     0
    .args:
      - .offset:         0
        .size:           4
        .value_kind:     by_value
      - .offset:         4
        .size:           4
        .value_kind:     by_value
      - .offset:         8
        .size:           4
        .value_kind:     by_value
      - .offset:         12
        .size:           4
        .value_kind:     by_value
      - .address_space:  global
        .offset:         16
        .size:           8
        .value_kind:     global_buffer
      - .offset:         24
        .size:           4
        .value_kind:     by_value
      - .offset:         32
        .size:           8
        .value_kind:     by_value
      - .address_space:  global
        .offset:         40
        .size:           8
        .value_kind:     global_buffer
      - .offset:         48
        .size:           4
        .value_kind:     by_value
      - .offset:         56
        .size:           8
        .value_kind:     by_value
      - .offset:         64
        .size:           4
        .value_kind:     by_value
      - .address_space:  global
        .offset:         72
        .size:           8
        .value_kind:     global_buffer
      - .offset:         80
        .size:           4
        .value_kind:     by_value
      - .offset:         88
        .size:           8
        .value_kind:     by_value
      - .address_space:  global
        .offset:         96
        .size:           8
        .value_kind:     global_buffer
      - .offset:         104
        .size:           4
        .value_kind:     by_value
      - .offset:         112
        .size:           8
        .value_kind:     by_value
      - .offset:         120
        .size:           4
        .value_kind:     by_value
      - .offset:         124
        .size:           4
        .value_kind:     by_value
    .group_segment_fixed_size: 6144
    .kernarg_segment_align: 8
    .kernarg_segment_size: 128
    .language:       OpenCL C
    .language_version:
      - 2
      - 0
    .max_flat_workgroup_size: 256
    .name:           _ZN12_GLOBAL__N_120geam_min_plus_kernelIf15HIP_vector_typeIfLj2EES2_Li8ELi32ELi64ELi128ELi4ELi4ELi64ELi64ELi4ELc84ELc84ELb0ELb1ELb0EfKPKfKPfEEviiiT16_PT17_ilSA_ilS8_SA_ilPT18_ili26rocblas_geam_ex_operation_
    .private_segment_fixed_size: 0
    .sgpr_count:     44
    .sgpr_spill_count: 0
    .symbol:         _ZN12_GLOBAL__N_120geam_min_plus_kernelIf15HIP_vector_typeIfLj2EES2_Li8ELi32ELi64ELi128ELi4ELi4ELi64ELi64ELi4ELc84ELc84ELb0ELb1ELb0EfKPKfKPfEEviiiT16_PT17_ilSA_ilS8_SA_ilPT18_ili26rocblas_geam_ex_operation_.kd
    .uniform_work_group_size: 1
    .uses_dynamic_stack: false
    .vgpr_count:     111
    .vgpr_spill_count: 0
    .wavefront_size: 64
  - .agpr_count:     0
    .args:
      - .offset:         0
        .size:           4
        .value_kind:     by_value
      - .offset:         4
        .size:           4
        .value_kind:     by_value
      - .offset:         8
        .size:           4
        .value_kind:     by_value
      - .address_space:  global
        .offset:         16
        .size:           8
        .value_kind:     global_buffer
      - .offset:         24
        .size:           8
        .value_kind:     by_value
      - .offset:         32
        .size:           4
        .value_kind:     by_value
      - .offset:         40
        .size:           8
        .value_kind:     by_value
      - .address_space:  global
        .offset:         48
        .size:           8
        .value_kind:     global_buffer
      - .offset:         56
        .size:           8
        .value_kind:     by_value
      - .offset:         64
        .size:           4
        .value_kind:     by_value
      - .offset:         72
        .size:           8
        .value_kind:     by_value
    .group_segment_fixed_size: 0
    .kernarg_segment_align: 8
    .kernarg_segment_size: 80
    .language:       OpenCL C
    .language_version:
      - 2
      - 0
    .max_flat_workgroup_size: 1024
    .name:           _ZN12_GLOBAL__N_120geam_ex_scale_kernelILi32ELi32EffPKfPfEEviiT2_T3_lilT4_lil
    .private_segment_fixed_size: 0
    .sgpr_count:     30
    .sgpr_spill_count: 0
    .symbol:         _ZN12_GLOBAL__N_120geam_ex_scale_kernelILi32ELi32EffPKfPfEEviiT2_T3_lilT4_lil.kd
    .uniform_work_group_size: 1
    .uses_dynamic_stack: false
    .vgpr_count:     10
    .vgpr_spill_count: 0
    .wavefront_size: 64
  - .agpr_count:     0
    .args:
      - .offset:         0
        .size:           4
        .value_kind:     by_value
      - .offset:         4
        .size:           4
        .value_kind:     by_value
      - .address_space:  global
        .offset:         8
        .size:           8
        .value_kind:     global_buffer
      - .address_space:  global
        .offset:         16
        .size:           8
        .value_kind:     global_buffer
      - .offset:         24
        .size:           8
        .value_kind:     by_value
      - .offset:         32
        .size:           4
        .value_kind:     by_value
      - .offset:         40
        .size:           8
        .value_kind:     by_value
      - .address_space:  global
        .offset:         48
        .size:           8
        .value_kind:     global_buffer
      - .offset:         56
        .size:           8
        .value_kind:     by_value
      - .offset:         64
        .size:           4
        .value_kind:     by_value
      - .offset:         72
        .size:           8
        .value_kind:     by_value
    .group_segment_fixed_size: 0
    .kernarg_segment_align: 8
    .kernarg_segment_size: 80
    .language:       OpenCL C
    .language_version:
      - 2
      - 0
    .max_flat_workgroup_size: 1024
    .name:           _ZN12_GLOBAL__N_120geam_ex_scale_kernelILi32ELi32EfPKfS2_PfEEviiT2_T3_lilT4_lil
    .private_segment_fixed_size: 0
    .sgpr_count:     26
    .sgpr_spill_count: 0
    .symbol:         _ZN12_GLOBAL__N_120geam_ex_scale_kernelILi32ELi32EfPKfS2_PfEEviiT2_T3_lilT4_lil.kd
    .uniform_work_group_size: 1
    .uses_dynamic_stack: false
    .vgpr_count:     10
    .vgpr_spill_count: 0
    .wavefront_size: 64
  - .agpr_count:     0
    .args:
      - .offset:         0
        .size:           4
        .value_kind:     by_value
      - .offset:         4
        .size:           4
        .value_kind:     by_value
      - .offset:         8
        .size:           4
        .value_kind:     by_value
      - .address_space:  global
        .offset:         16
        .size:           8
        .value_kind:     global_buffer
      - .offset:         24
        .size:           8
        .value_kind:     by_value
      - .offset:         32
        .size:           4
        .value_kind:     by_value
      - .offset:         40
        .size:           8
        .value_kind:     by_value
      - .address_space:  global
        .offset:         48
        .size:           8
        .value_kind:     global_buffer
      - .offset:         56
        .size:           8
        .value_kind:     by_value
      - .offset:         64
        .size:           4
        .value_kind:     by_value
      - .offset:         72
        .size:           8
        .value_kind:     by_value
    .group_segment_fixed_size: 0
    .kernarg_segment_align: 8
    .kernarg_segment_size: 80
    .language:       OpenCL C
    .language_version:
      - 2
      - 0
    .max_flat_workgroup_size: 1024
    .name:           _ZN12_GLOBAL__N_120geam_ex_round_kernelILi32ELi32EffPKfPfEEviiT2_T3_lilT4_lil
    .private_segment_fixed_size: 0
    .sgpr_count:     30
    .sgpr_spill_count: 0
    .symbol:         _ZN12_GLOBAL__N_120geam_ex_round_kernelILi32ELi32EffPKfPfEEviiT2_T3_lilT4_lil.kd
    .uniform_work_group_size: 1
    .uses_dynamic_stack: false
    .vgpr_count:     10
    .vgpr_spill_count: 0
    .wavefront_size: 64
  - .agpr_count:     0
    .args:
      - .offset:         0
        .size:           4
        .value_kind:     by_value
      - .offset:         4
        .size:           4
        .value_kind:     by_value
      - .offset:         8
        .size:           4
        .value_kind:     by_value
      - .address_space:  global
        .offset:         16
        .size:           8
        .value_kind:     global_buffer
      - .address_space:  global
        .offset:         24
        .size:           8
        .value_kind:     global_buffer
      - .offset:         32
        .size:           4
        .value_kind:     by_value
      - .offset:         40
        .size:           8
        .value_kind:     by_value
      - .address_space:  global
        .offset:         48
        .size:           8
        .value_kind:     global_buffer
      - .offset:         56
        .size:           4
        .value_kind:     by_value
      - .offset:         64
        .size:           8
        .value_kind:     by_value
      - .address_space:  global
        .offset:         72
        .size:           8
        .value_kind:     global_buffer
      - .address_space:  global
        .offset:         80
        .size:           8
        .value_kind:     global_buffer
      - .offset:         88
        .size:           4
        .value_kind:     by_value
      - .offset:         96
        .size:           8
        .value_kind:     by_value
      - .address_space:  global
        .offset:         104
        .size:           8
        .value_kind:     global_buffer
      - .offset:         112
        .size:           4
        .value_kind:     by_value
      - .offset:         120
        .size:           8
        .value_kind:     by_value
      - .offset:         128
        .size:           4
        .value_kind:     by_value
      - .offset:         132
        .size:           4
        .value_kind:     by_value
    .group_segment_fixed_size: 10240
    .kernarg_segment_align: 8
    .kernarg_segment_size: 136
    .language:       OpenCL C
    .language_version:
      - 2
      - 0
    .max_flat_workgroup_size: 256
    .name:           _ZN12_GLOBAL__N_120geam_min_plus_kernelIf15HIP_vector_typeIfLj2EEfLi32ELi8ELi256ELi64ELi4ELi64ELi4ELi4ELi64ELc78ELc78ELb0ELb0ELb1EPKfS3_fEEviiiT16_PT17_ilS7_ilS5_S7_ilPT18_ili26rocblas_geam_ex_operation_
    .private_segment_fixed_size: 0
    .sgpr_count:     36
    .sgpr_spill_count: 0
    .symbol:         _ZN12_GLOBAL__N_120geam_min_plus_kernelIf15HIP_vector_typeIfLj2EEfLi32ELi8ELi256ELi64ELi4ELi64ELi4ELi4ELi64ELc78ELc78ELb0ELb0ELb1EPKfS3_fEEviiiT16_PT17_ilS7_ilS5_S7_ilPT18_ili26rocblas_geam_ex_operation_.kd
    .uniform_work_group_size: 1
    .uses_dynamic_stack: false
    .vgpr_count:     158
    .vgpr_spill_count: 0
    .wavefront_size: 64
  - .agpr_count:     0
    .args:
      - .offset:         0
        .size:           4
        .value_kind:     by_value
      - .offset:         4
        .size:           4
        .value_kind:     by_value
      - .offset:         8
        .size:           4
        .value_kind:     by_value
      - .offset:         12
        .size:           4
        .value_kind:     by_value
      - .address_space:  global
        .offset:         16
        .size:           8
        .value_kind:     global_buffer
      - .offset:         24
        .size:           4
        .value_kind:     by_value
      - .offset:         32
        .size:           8
        .value_kind:     by_value
      - .address_space:  global
        .offset:         40
        .size:           8
        .value_kind:     global_buffer
      - .offset:         48
        .size:           4
        .value_kind:     by_value
      - .offset:         56
        .size:           8
        .value_kind:     by_value
      - .offset:         64
        .size:           4
        .value_kind:     by_value
      - .address_space:  global
        .offset:         72
        .size:           8
        .value_kind:     global_buffer
      - .offset:         80
        .size:           4
        .value_kind:     by_value
      - .offset:         88
        .size:           8
        .value_kind:     by_value
      - .address_space:  global
        .offset:         96
        .size:           8
        .value_kind:     global_buffer
      - .offset:         104
        .size:           4
        .value_kind:     by_value
      - .offset:         112
        .size:           8
        .value_kind:     by_value
      - .offset:         120
        .size:           4
        .value_kind:     by_value
      - .offset:         124
        .size:           4
        .value_kind:     by_value
    .group_segment_fixed_size: 10240
    .kernarg_segment_align: 8
    .kernarg_segment_size: 128
    .language:       OpenCL C
    .language_version:
      - 2
      - 0
    .max_flat_workgroup_size: 256
    .name:           _ZN12_GLOBAL__N_120geam_min_plus_kernelIf15HIP_vector_typeIfLj2EEfLi32ELi8ELi256ELi64ELi4ELi64ELi4ELi4ELi64ELc78ELc78ELb1ELb0ELb1EfKffEEviiiT16_PT17_ilS6_ilS4_S6_ilPT18_ili26rocblas_geam_ex_operation_
    .private_segment_fixed_size: 0
    .sgpr_count:     30
    .sgpr_spill_count: 0
    .symbol:         _ZN12_GLOBAL__N_120geam_min_plus_kernelIf15HIP_vector_typeIfLj2EEfLi32ELi8ELi256ELi64ELi4ELi64ELi4ELi4ELi64ELc78ELc78ELb1ELb0ELb1EfKffEEviiiT16_PT17_ilS6_ilS4_S6_ilPT18_ili26rocblas_geam_ex_operation_.kd
    .uniform_work_group_size: 1
    .uses_dynamic_stack: false
    .vgpr_count:     175
    .vgpr_spill_count: 0
    .wavefront_size: 64
  - .agpr_count:     0
    .args:
      - .offset:         0
        .size:           4
        .value_kind:     by_value
      - .offset:         4
        .size:           4
        .value_kind:     by_value
      - .offset:         8
        .size:           4
        .value_kind:     by_value
      - .offset:         12
        .size:           4
        .value_kind:     by_value
      - .address_space:  global
        .offset:         16
        .size:           8
        .value_kind:     global_buffer
      - .offset:         24
        .size:           4
        .value_kind:     by_value
      - .offset:         32
        .size:           8
        .value_kind:     by_value
      - .address_space:  global
        .offset:         40
        .size:           8
        .value_kind:     global_buffer
      - .offset:         48
        .size:           4
        .value_kind:     by_value
      - .offset:         56
        .size:           8
        .value_kind:     by_value
      - .offset:         64
        .size:           4
        .value_kind:     by_value
      - .address_space:  global
        .offset:         72
        .size:           8
        .value_kind:     global_buffer
      - .offset:         80
        .size:           4
        .value_kind:     by_value
      - .offset:         88
        .size:           8
        .value_kind:     by_value
      - .address_space:  global
        .offset:         96
        .size:           8
        .value_kind:     global_buffer
      - .offset:         104
        .size:           4
        .value_kind:     by_value
      - .offset:         112
        .size:           8
        .value_kind:     by_value
      - .offset:         120
        .size:           4
        .value_kind:     by_value
      - .offset:         124
        .size:           4
        .value_kind:     by_value
    .group_segment_fixed_size: 10240
    .kernarg_segment_align: 8
    .kernarg_segment_size: 128
    .language:       OpenCL C
    .language_version:
      - 2
      - 0
    .max_flat_workgroup_size: 256
    .name:           _ZN12_GLOBAL__N_120geam_min_plus_kernelIf15HIP_vector_typeIfLj2EEfLi32ELi8ELi256ELi64ELi4ELi64ELi4ELi4ELi64ELc78ELc78ELb0ELb0ELb1EfKffEEviiiT16_PT17_ilS6_ilS4_S6_ilPT18_ili26rocblas_geam_ex_operation_
    .private_segment_fixed_size: 0
    .sgpr_count:     36
    .sgpr_spill_count: 0
    .symbol:         _ZN12_GLOBAL__N_120geam_min_plus_kernelIf15HIP_vector_typeIfLj2EEfLi32ELi8ELi256ELi64ELi4ELi64ELi4ELi4ELi64ELc78ELc78ELb0ELb0ELb1EfKffEEviiiT16_PT17_ilS6_ilS4_S6_ilPT18_ili26rocblas_geam_ex_operation_.kd
    .uniform_work_group_size: 1
    .uses_dynamic_stack: false
    .vgpr_count:     158
    .vgpr_spill_count: 0
    .wavefront_size: 64
  - .agpr_count:     0
    .args:
      - .offset:         0
        .size:           4
        .value_kind:     by_value
      - .offset:         4
        .size:           4
        .value_kind:     by_value
      - .offset:         8
        .size:           4
        .value_kind:     by_value
      - .address_space:  global
        .offset:         16
        .size:           8
        .value_kind:     global_buffer
      - .address_space:  global
        .offset:         24
        .size:           8
        .value_kind:     global_buffer
      - .offset:         32
        .size:           4
        .value_kind:     by_value
      - .offset:         40
        .size:           8
        .value_kind:     by_value
      - .address_space:  global
        .offset:         48
        .size:           8
        .value_kind:     global_buffer
      - .offset:         56
        .size:           4
        .value_kind:     by_value
      - .offset:         64
        .size:           8
        .value_kind:     by_value
      - .address_space:  global
        .offset:         72
        .size:           8
        .value_kind:     global_buffer
      - .address_space:  global
        .offset:         80
        .size:           8
        .value_kind:     global_buffer
      - .offset:         88
        .size:           4
        .value_kind:     by_value
      - .offset:         96
        .size:           8
        .value_kind:     by_value
      - .address_space:  global
        .offset:         104
        .size:           8
        .value_kind:     global_buffer
      - .offset:         112
        .size:           4
        .value_kind:     by_value
      - .offset:         120
        .size:           8
        .value_kind:     by_value
      - .offset:         128
        .size:           4
        .value_kind:     by_value
      - .offset:         132
        .size:           4
        .value_kind:     by_value
    .group_segment_fixed_size: 10240
    .kernarg_segment_align: 8
    .kernarg_segment_size: 136
    .language:       OpenCL C
    .language_version:
      - 2
      - 0
    .max_flat_workgroup_size: 256
    .name:           _ZN12_GLOBAL__N_120geam_min_plus_kernelIf15HIP_vector_typeIfLj2EEfLi32ELi8ELi256ELi64ELi4ELi64ELi4ELi4ELi64ELc78ELc78ELb0ELb1ELb1EPKfS3_fEEviiiT16_PT17_ilS7_ilS5_S7_ilPT18_ili26rocblas_geam_ex_operation_
    .private_segment_fixed_size: 0
    .sgpr_count:     48
    .sgpr_spill_count: 0
    .symbol:         _ZN12_GLOBAL__N_120geam_min_plus_kernelIf15HIP_vector_typeIfLj2EEfLi32ELi8ELi256ELi64ELi4ELi64ELi4ELi4ELi64ELc78ELc78ELb0ELb1ELb1EPKfS3_fEEviiiT16_PT17_ilS7_ilS5_S7_ilPT18_ili26rocblas_geam_ex_operation_.kd
    .uniform_work_group_size: 1
    .uses_dynamic_stack: false
    .vgpr_count:     157
    .vgpr_spill_count: 0
    .wavefront_size: 64
  - .agpr_count:     0
    .args:
      - .offset:         0
        .size:           4
        .value_kind:     by_value
      - .offset:         4
        .size:           4
        .value_kind:     by_value
      - .offset:         8
        .size:           4
        .value_kind:     by_value
      - .offset:         12
        .size:           4
        .value_kind:     by_value
      - .address_space:  global
        .offset:         16
        .size:           8
        .value_kind:     global_buffer
      - .offset:         24
        .size:           4
        .value_kind:     by_value
      - .offset:         32
        .size:           8
        .value_kind:     by_value
      - .address_space:  global
        .offset:         40
        .size:           8
        .value_kind:     global_buffer
      - .offset:         48
        .size:           4
        .value_kind:     by_value
      - .offset:         56
        .size:           8
        .value_kind:     by_value
      - .offset:         64
        .size:           4
        .value_kind:     by_value
      - .address_space:  global
        .offset:         72
        .size:           8
        .value_kind:     global_buffer
      - .offset:         80
        .size:           4
        .value_kind:     by_value
      - .offset:         88
        .size:           8
        .value_kind:     by_value
      - .address_space:  global
        .offset:         96
        .size:           8
        .value_kind:     global_buffer
      - .offset:         104
        .size:           4
        .value_kind:     by_value
      - .offset:         112
        .size:           8
        .value_kind:     by_value
      - .offset:         120
        .size:           4
        .value_kind:     by_value
      - .offset:         124
        .size:           4
        .value_kind:     by_value
    .group_segment_fixed_size: 10240
    .kernarg_segment_align: 8
    .kernarg_segment_size: 128
    .language:       OpenCL C
    .language_version:
      - 2
      - 0
    .max_flat_workgroup_size: 256
    .name:           _ZN12_GLOBAL__N_120geam_min_plus_kernelIf15HIP_vector_typeIfLj2EEfLi32ELi8ELi256ELi64ELi4ELi64ELi4ELi4ELi64ELc78ELc78ELb1ELb1ELb1EfKffEEviiiT16_PT17_ilS6_ilS4_S6_ilPT18_ili26rocblas_geam_ex_operation_
    .private_segment_fixed_size: 0
    .sgpr_count:     44
    .sgpr_spill_count: 0
    .symbol:         _ZN12_GLOBAL__N_120geam_min_plus_kernelIf15HIP_vector_typeIfLj2EEfLi32ELi8ELi256ELi64ELi4ELi64ELi4ELi4ELi64ELc78ELc78ELb1ELb1ELb1EfKffEEviiiT16_PT17_ilS6_ilS4_S6_ilPT18_ili26rocblas_geam_ex_operation_.kd
    .uniform_work_group_size: 1
    .uses_dynamic_stack: false
    .vgpr_count:     161
    .vgpr_spill_count: 0
    .wavefront_size: 64
  - .agpr_count:     0
    .args:
      - .offset:         0
        .size:           4
        .value_kind:     by_value
      - .offset:         4
        .size:           4
        .value_kind:     by_value
      - .offset:         8
        .size:           4
        .value_kind:     by_value
      - .offset:         12
        .size:           4
        .value_kind:     by_value
      - .address_space:  global
        .offset:         16
        .size:           8
        .value_kind:     global_buffer
      - .offset:         24
        .size:           4
        .value_kind:     by_value
      - .offset:         32
        .size:           8
        .value_kind:     by_value
      - .address_space:  global
        .offset:         40
        .size:           8
        .value_kind:     global_buffer
      - .offset:         48
        .size:           4
        .value_kind:     by_value
      - .offset:         56
        .size:           8
        .value_kind:     by_value
      - .offset:         64
        .size:           4
        .value_kind:     by_value
      - .address_space:  global
        .offset:         72
        .size:           8
        .value_kind:     global_buffer
      - .offset:         80
        .size:           4
        .value_kind:     by_value
      - .offset:         88
        .size:           8
        .value_kind:     by_value
      - .address_space:  global
        .offset:         96
        .size:           8
        .value_kind:     global_buffer
      - .offset:         104
        .size:           4
        .value_kind:     by_value
      - .offset:         112
        .size:           8
        .value_kind:     by_value
      - .offset:         120
        .size:           4
        .value_kind:     by_value
      - .offset:         124
        .size:           4
        .value_kind:     by_value
    .group_segment_fixed_size: 10240
    .kernarg_segment_align: 8
    .kernarg_segment_size: 128
    .language:       OpenCL C
    .language_version:
      - 2
      - 0
    .max_flat_workgroup_size: 256
    .name:           _ZN12_GLOBAL__N_120geam_min_plus_kernelIf15HIP_vector_typeIfLj2EEfLi32ELi8ELi256ELi64ELi4ELi64ELi4ELi4ELi64ELc78ELc78ELb0ELb1ELb1EfKffEEviiiT16_PT17_ilS6_ilS4_S6_ilPT18_ili26rocblas_geam_ex_operation_
    .private_segment_fixed_size: 0
    .sgpr_count:     48
    .sgpr_spill_count: 0
    .symbol:         _ZN12_GLOBAL__N_120geam_min_plus_kernelIf15HIP_vector_typeIfLj2EEfLi32ELi8ELi256ELi64ELi4ELi64ELi4ELi4ELi64ELc78ELc78ELb0ELb1ELb1EfKffEEviiiT16_PT17_ilS6_ilS4_S6_ilPT18_ili26rocblas_geam_ex_operation_.kd
    .uniform_work_group_size: 1
    .uses_dynamic_stack: false
    .vgpr_count:     157
    .vgpr_spill_count: 0
    .wavefront_size: 64
  - .agpr_count:     0
    .args:
      - .offset:         0
        .size:           4
        .value_kind:     by_value
      - .offset:         4
        .size:           4
        .value_kind:     by_value
      - .offset:         8
        .size:           4
        .value_kind:     by_value
      - .address_space:  global
        .offset:         16
        .size:           8
        .value_kind:     global_buffer
      - .address_space:  global
        .offset:         24
        .size:           8
        .value_kind:     global_buffer
      - .offset:         32
        .size:           4
        .value_kind:     by_value
      - .offset:         40
        .size:           8
        .value_kind:     by_value
      - .address_space:  global
        .offset:         48
        .size:           8
        .value_kind:     global_buffer
      - .offset:         56
        .size:           4
        .value_kind:     by_value
      - .offset:         64
        .size:           8
        .value_kind:     by_value
      - .address_space:  global
        .offset:         72
        .size:           8
        .value_kind:     global_buffer
      - .address_space:  global
        .offset:         80
        .size:           8
        .value_kind:     global_buffer
      - .offset:         88
        .size:           4
        .value_kind:     by_value
      - .offset:         96
        .size:           8
        .value_kind:     by_value
      - .address_space:  global
        .offset:         104
        .size:           8
        .value_kind:     global_buffer
      - .offset:         112
        .size:           4
        .value_kind:     by_value
      - .offset:         120
        .size:           8
        .value_kind:     by_value
      - .offset:         128
        .size:           4
        .value_kind:     by_value
      - .offset:         132
        .size:           4
        .value_kind:     by_value
    .group_segment_fixed_size: 8192
    .kernarg_segment_align: 8
    .kernarg_segment_size: 136
    .language:       OpenCL C
    .language_version:
      - 2
      - 0
    .max_flat_workgroup_size: 256
    .name:           _ZN12_GLOBAL__N_120geam_min_plus_kernelIf15HIP_vector_typeIfLj2EEfLi32ELi8ELi128ELi128ELi4ELi4ELi64ELi4ELi64ELc84ELc78ELb0ELb0ELb1EPKfS3_fEEviiiT16_PT17_ilS7_ilS5_S7_ilPT18_ili26rocblas_geam_ex_operation_
    .private_segment_fixed_size: 0
    .sgpr_count:     33
    .sgpr_spill_count: 0
    .symbol:         _ZN12_GLOBAL__N_120geam_min_plus_kernelIf15HIP_vector_typeIfLj2EEfLi32ELi8ELi128ELi128ELi4ELi4ELi64ELi4ELi64ELc84ELc78ELb0ELb0ELb1EPKfS3_fEEviiiT16_PT17_ilS7_ilS5_S7_ilPT18_ili26rocblas_geam_ex_operation_.kd
    .uniform_work_group_size: 1
    .uses_dynamic_stack: false
    .vgpr_count:     138
    .vgpr_spill_count: 0
    .wavefront_size: 64
  - .agpr_count:     0
    .args:
      - .offset:         0
        .size:           4
        .value_kind:     by_value
      - .offset:         4
        .size:           4
        .value_kind:     by_value
      - .offset:         8
        .size:           4
        .value_kind:     by_value
      - .offset:         12
        .size:           4
        .value_kind:     by_value
      - .address_space:  global
        .offset:         16
        .size:           8
        .value_kind:     global_buffer
      - .offset:         24
        .size:           4
        .value_kind:     by_value
      - .offset:         32
        .size:           8
        .value_kind:     by_value
      - .address_space:  global
        .offset:         40
        .size:           8
        .value_kind:     global_buffer
      - .offset:         48
        .size:           4
        .value_kind:     by_value
      - .offset:         56
        .size:           8
        .value_kind:     by_value
      - .offset:         64
        .size:           4
        .value_kind:     by_value
      - .address_space:  global
        .offset:         72
        .size:           8
        .value_kind:     global_buffer
      - .offset:         80
        .size:           4
        .value_kind:     by_value
      - .offset:         88
        .size:           8
        .value_kind:     by_value
      - .address_space:  global
        .offset:         96
        .size:           8
        .value_kind:     global_buffer
      - .offset:         104
        .size:           4
        .value_kind:     by_value
      - .offset:         112
        .size:           8
        .value_kind:     by_value
      - .offset:         120
        .size:           4
        .value_kind:     by_value
      - .offset:         124
        .size:           4
        .value_kind:     by_value
    .group_segment_fixed_size: 8192
    .kernarg_segment_align: 8
    .kernarg_segment_size: 128
    .language:       OpenCL C
    .language_version:
      - 2
      - 0
    .max_flat_workgroup_size: 256
    .name:           _ZN12_GLOBAL__N_120geam_min_plus_kernelIf15HIP_vector_typeIfLj2EEfLi32ELi8ELi128ELi128ELi4ELi4ELi64ELi4ELi64ELc84ELc78ELb1ELb0ELb1EfKffEEviiiT16_PT17_ilS6_ilS4_S6_ilPT18_ili26rocblas_geam_ex_operation_
    .private_segment_fixed_size: 0
    .sgpr_count:     30
    .sgpr_spill_count: 0
    .symbol:         _ZN12_GLOBAL__N_120geam_min_plus_kernelIf15HIP_vector_typeIfLj2EEfLi32ELi8ELi128ELi128ELi4ELi4ELi64ELi4ELi64ELc84ELc78ELb1ELb0ELb1EfKffEEviiiT16_PT17_ilS6_ilS4_S6_ilPT18_ili26rocblas_geam_ex_operation_.kd
    .uniform_work_group_size: 1
    .uses_dynamic_stack: false
    .vgpr_count:     138
    .vgpr_spill_count: 0
    .wavefront_size: 64
  - .agpr_count:     0
    .args:
      - .offset:         0
        .size:           4
        .value_kind:     by_value
      - .offset:         4
        .size:           4
        .value_kind:     by_value
      - .offset:         8
        .size:           4
        .value_kind:     by_value
      - .offset:         12
        .size:           4
        .value_kind:     by_value
      - .address_space:  global
        .offset:         16
        .size:           8
        .value_kind:     global_buffer
      - .offset:         24
        .size:           4
        .value_kind:     by_value
      - .offset:         32
        .size:           8
        .value_kind:     by_value
      - .address_space:  global
        .offset:         40
        .size:           8
        .value_kind:     global_buffer
      - .offset:         48
        .size:           4
        .value_kind:     by_value
      - .offset:         56
        .size:           8
        .value_kind:     by_value
      - .offset:         64
        .size:           4
        .value_kind:     by_value
      - .address_space:  global
        .offset:         72
        .size:           8
        .value_kind:     global_buffer
      - .offset:         80
        .size:           4
        .value_kind:     by_value
      - .offset:         88
        .size:           8
        .value_kind:     by_value
      - .address_space:  global
        .offset:         96
        .size:           8
        .value_kind:     global_buffer
      - .offset:         104
        .size:           4
        .value_kind:     by_value
      - .offset:         112
        .size:           8
        .value_kind:     by_value
      - .offset:         120
        .size:           4
        .value_kind:     by_value
      - .offset:         124
        .size:           4
        .value_kind:     by_value
    .group_segment_fixed_size: 8192
    .kernarg_segment_align: 8
    .kernarg_segment_size: 128
    .language:       OpenCL C
    .language_version:
      - 2
      - 0
    .max_flat_workgroup_size: 256
    .name:           _ZN12_GLOBAL__N_120geam_min_plus_kernelIf15HIP_vector_typeIfLj2EEfLi32ELi8ELi128ELi128ELi4ELi4ELi64ELi4ELi64ELc84ELc78ELb0ELb0ELb1EfKffEEviiiT16_PT17_ilS6_ilS4_S6_ilPT18_ili26rocblas_geam_ex_operation_
    .private_segment_fixed_size: 0
    .sgpr_count:     35
    .sgpr_spill_count: 0
    .symbol:         _ZN12_GLOBAL__N_120geam_min_plus_kernelIf15HIP_vector_typeIfLj2EEfLi32ELi8ELi128ELi128ELi4ELi4ELi64ELi4ELi64ELc84ELc78ELb0ELb0ELb1EfKffEEviiiT16_PT17_ilS6_ilS4_S6_ilPT18_ili26rocblas_geam_ex_operation_.kd
    .uniform_work_group_size: 1
    .uses_dynamic_stack: false
    .vgpr_count:     138
    .vgpr_spill_count: 0
    .wavefront_size: 64
  - .agpr_count:     0
    .args:
      - .offset:         0
        .size:           4
        .value_kind:     by_value
      - .offset:         4
        .size:           4
        .value_kind:     by_value
      - .offset:         8
        .size:           4
        .value_kind:     by_value
      - .address_space:  global
        .offset:         16
        .size:           8
        .value_kind:     global_buffer
      - .address_space:  global
        .offset:         24
        .size:           8
        .value_kind:     global_buffer
      - .offset:         32
        .size:           4
        .value_kind:     by_value
      - .offset:         40
        .size:           8
        .value_kind:     by_value
      - .address_space:  global
        .offset:         48
        .size:           8
        .value_kind:     global_buffer
      - .offset:         56
        .size:           4
        .value_kind:     by_value
      - .offset:         64
        .size:           8
        .value_kind:     by_value
      - .address_space:  global
        .offset:         72
        .size:           8
        .value_kind:     global_buffer
      - .address_space:  global
        .offset:         80
        .size:           8
        .value_kind:     global_buffer
      - .offset:         88
        .size:           4
        .value_kind:     by_value
      - .offset:         96
        .size:           8
        .value_kind:     by_value
      - .address_space:  global
        .offset:         104
        .size:           8
        .value_kind:     global_buffer
      - .offset:         112
        .size:           4
        .value_kind:     by_value
      - .offset:         120
        .size:           8
        .value_kind:     by_value
      - .offset:         128
        .size:           4
        .value_kind:     by_value
      - .offset:         132
        .size:           4
        .value_kind:     by_value
    .group_segment_fixed_size: 8192
    .kernarg_segment_align: 8
    .kernarg_segment_size: 136
    .language:       OpenCL C
    .language_version:
      - 2
      - 0
    .max_flat_workgroup_size: 256
    .name:           _ZN12_GLOBAL__N_120geam_min_plus_kernelIf15HIP_vector_typeIfLj2EEfLi32ELi8ELi128ELi128ELi4ELi4ELi64ELi4ELi64ELc84ELc78ELb0ELb1ELb1EPKfS3_fEEviiiT16_PT17_ilS7_ilS5_S7_ilPT18_ili26rocblas_geam_ex_operation_
    .private_segment_fixed_size: 0
    .sgpr_count:     46
    .sgpr_spill_count: 0
    .symbol:         _ZN12_GLOBAL__N_120geam_min_plus_kernelIf15HIP_vector_typeIfLj2EEfLi32ELi8ELi128ELi128ELi4ELi4ELi64ELi4ELi64ELc84ELc78ELb0ELb1ELb1EPKfS3_fEEviiiT16_PT17_ilS7_ilS5_S7_ilPT18_ili26rocblas_geam_ex_operation_.kd
    .uniform_work_group_size: 1
    .uses_dynamic_stack: false
    .vgpr_count:     132
    .vgpr_spill_count: 0
    .wavefront_size: 64
  - .agpr_count:     0
    .args:
      - .offset:         0
        .size:           4
        .value_kind:     by_value
      - .offset:         4
        .size:           4
        .value_kind:     by_value
      - .offset:         8
        .size:           4
        .value_kind:     by_value
      - .offset:         12
        .size:           4
        .value_kind:     by_value
      - .address_space:  global
        .offset:         16
        .size:           8
        .value_kind:     global_buffer
      - .offset:         24
        .size:           4
        .value_kind:     by_value
      - .offset:         32
        .size:           8
        .value_kind:     by_value
      - .address_space:  global
        .offset:         40
        .size:           8
        .value_kind:     global_buffer
      - .offset:         48
        .size:           4
        .value_kind:     by_value
      - .offset:         56
        .size:           8
        .value_kind:     by_value
      - .offset:         64
        .size:           4
        .value_kind:     by_value
      - .address_space:  global
        .offset:         72
        .size:           8
        .value_kind:     global_buffer
      - .offset:         80
        .size:           4
        .value_kind:     by_value
      - .offset:         88
        .size:           8
        .value_kind:     by_value
      - .address_space:  global
        .offset:         96
        .size:           8
        .value_kind:     global_buffer
      - .offset:         104
        .size:           4
        .value_kind:     by_value
      - .offset:         112
        .size:           8
        .value_kind:     by_value
      - .offset:         120
        .size:           4
        .value_kind:     by_value
      - .offset:         124
        .size:           4
        .value_kind:     by_value
    .group_segment_fixed_size: 8192
    .kernarg_segment_align: 8
    .kernarg_segment_size: 128
    .language:       OpenCL C
    .language_version:
      - 2
      - 0
    .max_flat_workgroup_size: 256
    .name:           _ZN12_GLOBAL__N_120geam_min_plus_kernelIf15HIP_vector_typeIfLj2EEfLi32ELi8ELi128ELi128ELi4ELi4ELi64ELi4ELi64ELc84ELc78ELb1ELb1ELb1EfKffEEviiiT16_PT17_ilS6_ilS4_S6_ilPT18_ili26rocblas_geam_ex_operation_
    .private_segment_fixed_size: 0
    .sgpr_count:     42
    .sgpr_spill_count: 0
    .symbol:         _ZN12_GLOBAL__N_120geam_min_plus_kernelIf15HIP_vector_typeIfLj2EEfLi32ELi8ELi128ELi128ELi4ELi4ELi64ELi4ELi64ELc84ELc78ELb1ELb1ELb1EfKffEEviiiT16_PT17_ilS6_ilS4_S6_ilPT18_ili26rocblas_geam_ex_operation_.kd
    .uniform_work_group_size: 1
    .uses_dynamic_stack: false
    .vgpr_count:     140
    .vgpr_spill_count: 0
    .wavefront_size: 64
  - .agpr_count:     0
    .args:
      - .offset:         0
        .size:           4
        .value_kind:     by_value
      - .offset:         4
        .size:           4
        .value_kind:     by_value
      - .offset:         8
        .size:           4
        .value_kind:     by_value
      - .offset:         12
        .size:           4
        .value_kind:     by_value
      - .address_space:  global
        .offset:         16
        .size:           8
        .value_kind:     global_buffer
      - .offset:         24
        .size:           4
        .value_kind:     by_value
      - .offset:         32
        .size:           8
        .value_kind:     by_value
      - .address_space:  global
        .offset:         40
        .size:           8
        .value_kind:     global_buffer
      - .offset:         48
        .size:           4
        .value_kind:     by_value
      - .offset:         56
        .size:           8
        .value_kind:     by_value
      - .offset:         64
        .size:           4
        .value_kind:     by_value
      - .address_space:  global
        .offset:         72
        .size:           8
        .value_kind:     global_buffer
      - .offset:         80
        .size:           4
        .value_kind:     by_value
      - .offset:         88
        .size:           8
        .value_kind:     by_value
      - .address_space:  global
        .offset:         96
        .size:           8
        .value_kind:     global_buffer
      - .offset:         104
        .size:           4
        .value_kind:     by_value
      - .offset:         112
        .size:           8
        .value_kind:     by_value
      - .offset:         120
        .size:           4
        .value_kind:     by_value
      - .offset:         124
        .size:           4
        .value_kind:     by_value
    .group_segment_fixed_size: 8192
    .kernarg_segment_align: 8
    .kernarg_segment_size: 128
    .language:       OpenCL C
    .language_version:
      - 2
      - 0
    .max_flat_workgroup_size: 256
    .name:           _ZN12_GLOBAL__N_120geam_min_plus_kernelIf15HIP_vector_typeIfLj2EEfLi32ELi8ELi128ELi128ELi4ELi4ELi64ELi4ELi64ELc84ELc78ELb0ELb1ELb1EfKffEEviiiT16_PT17_ilS6_ilS4_S6_ilPT18_ili26rocblas_geam_ex_operation_
    .private_segment_fixed_size: 0
    .sgpr_count:     46
    .sgpr_spill_count: 0
    .symbol:         _ZN12_GLOBAL__N_120geam_min_plus_kernelIf15HIP_vector_typeIfLj2EEfLi32ELi8ELi128ELi128ELi4ELi4ELi64ELi4ELi64ELc84ELc78ELb0ELb1ELb1EfKffEEviiiT16_PT17_ilS6_ilS4_S6_ilPT18_ili26rocblas_geam_ex_operation_.kd
    .uniform_work_group_size: 1
    .uses_dynamic_stack: false
    .vgpr_count:     132
    .vgpr_spill_count: 0
    .wavefront_size: 64
  - .agpr_count:     0
    .args:
      - .offset:         0
        .size:           4
        .value_kind:     by_value
      - .offset:         4
        .size:           4
        .value_kind:     by_value
      - .offset:         8
        .size:           4
        .value_kind:     by_value
      - .address_space:  global
        .offset:         16
        .size:           8
        .value_kind:     global_buffer
      - .address_space:  global
        .offset:         24
        .size:           8
        .value_kind:     global_buffer
      - .offset:         32
        .size:           4
        .value_kind:     by_value
      - .offset:         40
        .size:           8
        .value_kind:     by_value
      - .address_space:  global
        .offset:         48
        .size:           8
        .value_kind:     global_buffer
      - .offset:         56
        .size:           4
        .value_kind:     by_value
      - .offset:         64
        .size:           8
        .value_kind:     by_value
      - .address_space:  global
        .offset:         72
        .size:           8
        .value_kind:     global_buffer
      - .address_space:  global
        .offset:         80
        .size:           8
        .value_kind:     global_buffer
      - .offset:         88
        .size:           4
        .value_kind:     by_value
      - .offset:         96
        .size:           8
        .value_kind:     by_value
      - .address_space:  global
        .offset:         104
        .size:           8
        .value_kind:     global_buffer
      - .offset:         112
        .size:           4
        .value_kind:     by_value
      - .offset:         120
        .size:           8
        .value_kind:     by_value
      - .offset:         128
        .size:           4
        .value_kind:     by_value
      - .offset:         132
        .size:           4
        .value_kind:     by_value
    .group_segment_fixed_size: 10240
    .kernarg_segment_align: 8
    .kernarg_segment_size: 136
    .language:       OpenCL C
    .language_version:
      - 2
      - 0
    .max_flat_workgroup_size: 256
    .name:           _ZN12_GLOBAL__N_120geam_min_plus_kernelIf15HIP_vector_typeIfLj2EEfLi8ELi32ELi64ELi256ELi4ELi64ELi4ELi64ELi4ELc78ELc84ELb0ELb0ELb1EPKfS3_fEEviiiT16_PT17_ilS7_ilS5_S7_ilPT18_ili26rocblas_geam_ex_operation_
    .private_segment_fixed_size: 0
    .sgpr_count:     38
    .sgpr_spill_count: 0
    .symbol:         _ZN12_GLOBAL__N_120geam_min_plus_kernelIf15HIP_vector_typeIfLj2EEfLi8ELi32ELi64ELi256ELi4ELi64ELi4ELi64ELi4ELc78ELc84ELb0ELb0ELb1EPKfS3_fEEviiiT16_PT17_ilS7_ilS5_S7_ilPT18_ili26rocblas_geam_ex_operation_.kd
    .uniform_work_group_size: 1
    .uses_dynamic_stack: false
    .vgpr_count:     162
    .vgpr_spill_count: 0
    .wavefront_size: 64
  - .agpr_count:     0
    .args:
      - .offset:         0
        .size:           4
        .value_kind:     by_value
      - .offset:         4
        .size:           4
        .value_kind:     by_value
      - .offset:         8
        .size:           4
        .value_kind:     by_value
      - .offset:         12
        .size:           4
        .value_kind:     by_value
      - .address_space:  global
        .offset:         16
        .size:           8
        .value_kind:     global_buffer
      - .offset:         24
        .size:           4
        .value_kind:     by_value
      - .offset:         32
        .size:           8
        .value_kind:     by_value
      - .address_space:  global
        .offset:         40
        .size:           8
        .value_kind:     global_buffer
      - .offset:         48
        .size:           4
        .value_kind:     by_value
      - .offset:         56
        .size:           8
        .value_kind:     by_value
      - .offset:         64
        .size:           4
        .value_kind:     by_value
      - .address_space:  global
        .offset:         72
        .size:           8
        .value_kind:     global_buffer
      - .offset:         80
        .size:           4
        .value_kind:     by_value
      - .offset:         88
        .size:           8
        .value_kind:     by_value
      - .address_space:  global
        .offset:         96
        .size:           8
        .value_kind:     global_buffer
      - .offset:         104
        .size:           4
        .value_kind:     by_value
      - .offset:         112
        .size:           8
        .value_kind:     by_value
      - .offset:         120
        .size:           4
        .value_kind:     by_value
      - .offset:         124
        .size:           4
        .value_kind:     by_value
    .group_segment_fixed_size: 10240
    .kernarg_segment_align: 8
    .kernarg_segment_size: 128
    .language:       OpenCL C
    .language_version:
      - 2
      - 0
    .max_flat_workgroup_size: 256
    .name:           _ZN12_GLOBAL__N_120geam_min_plus_kernelIf15HIP_vector_typeIfLj2EEfLi8ELi32ELi64ELi256ELi4ELi64ELi4ELi64ELi4ELc78ELc84ELb1ELb0ELb1EfKffEEviiiT16_PT17_ilS6_ilS4_S6_ilPT18_ili26rocblas_geam_ex_operation_
    .private_segment_fixed_size: 0
    .sgpr_count:     31
    .sgpr_spill_count: 0
    .symbol:         _ZN12_GLOBAL__N_120geam_min_plus_kernelIf15HIP_vector_typeIfLj2EEfLi8ELi32ELi64ELi256ELi4ELi64ELi4ELi64ELi4ELc78ELc84ELb1ELb0ELb1EfKffEEviiiT16_PT17_ilS6_ilS4_S6_ilPT18_ili26rocblas_geam_ex_operation_.kd
    .uniform_work_group_size: 1
    .uses_dynamic_stack: false
    .vgpr_count:     177
    .vgpr_spill_count: 0
    .wavefront_size: 64
  - .agpr_count:     0
    .args:
      - .offset:         0
        .size:           4
        .value_kind:     by_value
      - .offset:         4
        .size:           4
        .value_kind:     by_value
      - .offset:         8
        .size:           4
        .value_kind:     by_value
      - .offset:         12
        .size:           4
        .value_kind:     by_value
      - .address_space:  global
        .offset:         16
        .size:           8
        .value_kind:     global_buffer
      - .offset:         24
        .size:           4
        .value_kind:     by_value
      - .offset:         32
        .size:           8
        .value_kind:     by_value
      - .address_space:  global
        .offset:         40
        .size:           8
        .value_kind:     global_buffer
      - .offset:         48
        .size:           4
        .value_kind:     by_value
      - .offset:         56
        .size:           8
        .value_kind:     by_value
      - .offset:         64
        .size:           4
        .value_kind:     by_value
      - .address_space:  global
        .offset:         72
        .size:           8
        .value_kind:     global_buffer
      - .offset:         80
        .size:           4
        .value_kind:     by_value
      - .offset:         88
        .size:           8
        .value_kind:     by_value
      - .address_space:  global
        .offset:         96
        .size:           8
        .value_kind:     global_buffer
      - .offset:         104
        .size:           4
        .value_kind:     by_value
      - .offset:         112
        .size:           8
        .value_kind:     by_value
      - .offset:         120
        .size:           4
        .value_kind:     by_value
      - .offset:         124
        .size:           4
        .value_kind:     by_value
    .group_segment_fixed_size: 10240
    .kernarg_segment_align: 8
    .kernarg_segment_size: 128
    .language:       OpenCL C
    .language_version:
      - 2
      - 0
    .max_flat_workgroup_size: 256
    .name:           _ZN12_GLOBAL__N_120geam_min_plus_kernelIf15HIP_vector_typeIfLj2EEfLi8ELi32ELi64ELi256ELi4ELi64ELi4ELi64ELi4ELc78ELc84ELb0ELb0ELb1EfKffEEviiiT16_PT17_ilS6_ilS4_S6_ilPT18_ili26rocblas_geam_ex_operation_
    .private_segment_fixed_size: 0
    .sgpr_count:     36
    .sgpr_spill_count: 0
    .symbol:         _ZN12_GLOBAL__N_120geam_min_plus_kernelIf15HIP_vector_typeIfLj2EEfLi8ELi32ELi64ELi256ELi4ELi64ELi4ELi64ELi4ELc78ELc84ELb0ELb0ELb1EfKffEEviiiT16_PT17_ilS6_ilS4_S6_ilPT18_ili26rocblas_geam_ex_operation_.kd
    .uniform_work_group_size: 1
    .uses_dynamic_stack: false
    .vgpr_count:     162
    .vgpr_spill_count: 0
    .wavefront_size: 64
  - .agpr_count:     0
    .args:
      - .offset:         0
        .size:           4
        .value_kind:     by_value
      - .offset:         4
        .size:           4
        .value_kind:     by_value
      - .offset:         8
        .size:           4
        .value_kind:     by_value
      - .address_space:  global
        .offset:         16
        .size:           8
        .value_kind:     global_buffer
      - .address_space:  global
        .offset:         24
        .size:           8
        .value_kind:     global_buffer
      - .offset:         32
        .size:           4
        .value_kind:     by_value
      - .offset:         40
        .size:           8
        .value_kind:     by_value
      - .address_space:  global
        .offset:         48
        .size:           8
        .value_kind:     global_buffer
      - .offset:         56
        .size:           4
        .value_kind:     by_value
      - .offset:         64
        .size:           8
        .value_kind:     by_value
      - .address_space:  global
        .offset:         72
        .size:           8
        .value_kind:     global_buffer
      - .address_space:  global
        .offset:         80
        .size:           8
        .value_kind:     global_buffer
      - .offset:         88
        .size:           4
        .value_kind:     by_value
      - .offset:         96
        .size:           8
        .value_kind:     by_value
      - .address_space:  global
        .offset:         104
        .size:           8
        .value_kind:     global_buffer
      - .offset:         112
        .size:           4
        .value_kind:     by_value
      - .offset:         120
        .size:           8
        .value_kind:     by_value
      - .offset:         128
        .size:           4
        .value_kind:     by_value
      - .offset:         132
        .size:           4
        .value_kind:     by_value
    .group_segment_fixed_size: 10240
    .kernarg_segment_align: 8
    .kernarg_segment_size: 136
    .language:       OpenCL C
    .language_version:
      - 2
      - 0
    .max_flat_workgroup_size: 256
    .name:           _ZN12_GLOBAL__N_120geam_min_plus_kernelIf15HIP_vector_typeIfLj2EEfLi8ELi32ELi64ELi256ELi4ELi64ELi4ELi64ELi4ELc78ELc84ELb0ELb1ELb1EPKfS3_fEEviiiT16_PT17_ilS7_ilS5_S7_ilPT18_ili26rocblas_geam_ex_operation_
    .private_segment_fixed_size: 0
    .sgpr_count:     50
    .sgpr_spill_count: 0
    .symbol:         _ZN12_GLOBAL__N_120geam_min_plus_kernelIf15HIP_vector_typeIfLj2EEfLi8ELi32ELi64ELi256ELi4ELi64ELi4ELi64ELi4ELc78ELc84ELb0ELb1ELb1EPKfS3_fEEviiiT16_PT17_ilS7_ilS5_S7_ilPT18_ili26rocblas_geam_ex_operation_.kd
    .uniform_work_group_size: 1
    .uses_dynamic_stack: false
    .vgpr_count:     161
    .vgpr_spill_count: 0
    .wavefront_size: 64
  - .agpr_count:     0
    .args:
      - .offset:         0
        .size:           4
        .value_kind:     by_value
      - .offset:         4
        .size:           4
        .value_kind:     by_value
      - .offset:         8
        .size:           4
        .value_kind:     by_value
      - .offset:         12
        .size:           4
        .value_kind:     by_value
      - .address_space:  global
        .offset:         16
        .size:           8
        .value_kind:     global_buffer
      - .offset:         24
        .size:           4
        .value_kind:     by_value
      - .offset:         32
        .size:           8
        .value_kind:     by_value
      - .address_space:  global
        .offset:         40
        .size:           8
        .value_kind:     global_buffer
      - .offset:         48
        .size:           4
        .value_kind:     by_value
      - .offset:         56
        .size:           8
        .value_kind:     by_value
      - .offset:         64
        .size:           4
        .value_kind:     by_value
      - .address_space:  global
        .offset:         72
        .size:           8
        .value_kind:     global_buffer
      - .offset:         80
        .size:           4
        .value_kind:     by_value
      - .offset:         88
        .size:           8
        .value_kind:     by_value
      - .address_space:  global
        .offset:         96
        .size:           8
        .value_kind:     global_buffer
      - .offset:         104
        .size:           4
        .value_kind:     by_value
      - .offset:         112
        .size:           8
        .value_kind:     by_value
      - .offset:         120
        .size:           4
        .value_kind:     by_value
      - .offset:         124
        .size:           4
        .value_kind:     by_value
    .group_segment_fixed_size: 10240
    .kernarg_segment_align: 8
    .kernarg_segment_size: 128
    .language:       OpenCL C
    .language_version:
      - 2
      - 0
    .max_flat_workgroup_size: 256
    .name:           _ZN12_GLOBAL__N_120geam_min_plus_kernelIf15HIP_vector_typeIfLj2EEfLi8ELi32ELi64ELi256ELi4ELi64ELi4ELi64ELi4ELc78ELc84ELb1ELb1ELb1EfKffEEviiiT16_PT17_ilS6_ilS4_S6_ilPT18_ili26rocblas_geam_ex_operation_
    .private_segment_fixed_size: 0
    .sgpr_count:     46
    .sgpr_spill_count: 0
    .symbol:         _ZN12_GLOBAL__N_120geam_min_plus_kernelIf15HIP_vector_typeIfLj2EEfLi8ELi32ELi64ELi256ELi4ELi64ELi4ELi64ELi4ELc78ELc84ELb1ELb1ELb1EfKffEEviiiT16_PT17_ilS6_ilS4_S6_ilPT18_ili26rocblas_geam_ex_operation_.kd
    .uniform_work_group_size: 1
    .uses_dynamic_stack: false
    .vgpr_count:     164
    .vgpr_spill_count: 0
    .wavefront_size: 64
  - .agpr_count:     0
    .args:
      - .offset:         0
        .size:           4
        .value_kind:     by_value
      - .offset:         4
        .size:           4
        .value_kind:     by_value
      - .offset:         8
        .size:           4
        .value_kind:     by_value
      - .offset:         12
        .size:           4
        .value_kind:     by_value
      - .address_space:  global
        .offset:         16
        .size:           8
        .value_kind:     global_buffer
      - .offset:         24
        .size:           4
        .value_kind:     by_value
      - .offset:         32
        .size:           8
        .value_kind:     by_value
      - .address_space:  global
        .offset:         40
        .size:           8
        .value_kind:     global_buffer
      - .offset:         48
        .size:           4
        .value_kind:     by_value
      - .offset:         56
        .size:           8
        .value_kind:     by_value
      - .offset:         64
        .size:           4
        .value_kind:     by_value
      - .address_space:  global
        .offset:         72
        .size:           8
        .value_kind:     global_buffer
      - .offset:         80
        .size:           4
        .value_kind:     by_value
      - .offset:         88
        .size:           8
        .value_kind:     by_value
      - .address_space:  global
        .offset:         96
        .size:           8
        .value_kind:     global_buffer
      - .offset:         104
        .size:           4
        .value_kind:     by_value
      - .offset:         112
        .size:           8
        .value_kind:     by_value
      - .offset:         120
        .size:           4
        .value_kind:     by_value
      - .offset:         124
        .size:           4
        .value_kind:     by_value
    .group_segment_fixed_size: 10240
    .kernarg_segment_align: 8
    .kernarg_segment_size: 128
    .language:       OpenCL C
    .language_version:
      - 2
      - 0
    .max_flat_workgroup_size: 256
    .name:           _ZN12_GLOBAL__N_120geam_min_plus_kernelIf15HIP_vector_typeIfLj2EEfLi8ELi32ELi64ELi256ELi4ELi64ELi4ELi64ELi4ELc78ELc84ELb0ELb1ELb1EfKffEEviiiT16_PT17_ilS6_ilS4_S6_ilPT18_ili26rocblas_geam_ex_operation_
    .private_segment_fixed_size: 0
    .sgpr_count:     50
    .sgpr_spill_count: 0
    .symbol:         _ZN12_GLOBAL__N_120geam_min_plus_kernelIf15HIP_vector_typeIfLj2EEfLi8ELi32ELi64ELi256ELi4ELi64ELi4ELi64ELi4ELc78ELc84ELb0ELb1ELb1EfKffEEviiiT16_PT17_ilS6_ilS4_S6_ilPT18_ili26rocblas_geam_ex_operation_.kd
    .uniform_work_group_size: 1
    .uses_dynamic_stack: false
    .vgpr_count:     161
    .vgpr_spill_count: 0
    .wavefront_size: 64
  - .agpr_count:     0
    .args:
      - .offset:         0
        .size:           4
        .value_kind:     by_value
      - .offset:         4
        .size:           4
        .value_kind:     by_value
      - .offset:         8
        .size:           4
        .value_kind:     by_value
      - .address_space:  global
        .offset:         16
        .size:           8
        .value_kind:     global_buffer
      - .address_space:  global
        .offset:         24
        .size:           8
        .value_kind:     global_buffer
      - .offset:         32
        .size:           4
        .value_kind:     by_value
      - .offset:         40
        .size:           8
        .value_kind:     by_value
      - .address_space:  global
        .offset:         48
        .size:           8
        .value_kind:     global_buffer
      - .offset:         56
        .size:           4
        .value_kind:     by_value
      - .offset:         64
        .size:           8
        .value_kind:     by_value
      - .address_space:  global
        .offset:         72
        .size:           8
        .value_kind:     global_buffer
      - .address_space:  global
        .offset:         80
        .size:           8
        .value_kind:     global_buffer
      - .offset:         88
        .size:           4
        .value_kind:     by_value
      - .offset:         96
        .size:           8
        .value_kind:     by_value
      - .address_space:  global
        .offset:         104
        .size:           8
        .value_kind:     global_buffer
      - .offset:         112
        .size:           4
        .value_kind:     by_value
      - .offset:         120
        .size:           8
        .value_kind:     by_value
      - .offset:         128
        .size:           4
        .value_kind:     by_value
      - .offset:         132
        .size:           4
        .value_kind:     by_value
    .group_segment_fixed_size: 10240
    .kernarg_segment_align: 8
    .kernarg_segment_size: 136
    .language:       OpenCL C
    .language_version:
      - 2
      - 0
    .max_flat_workgroup_size: 256
    .name:           _ZN12_GLOBAL__N_120geam_min_plus_kernelIf15HIP_vector_typeIfLj2EEfLi8ELi32ELi64ELi256ELi4ELi4ELi64ELi64ELi4ELc84ELc84ELb0ELb0ELb1EPKfS3_fEEviiiT16_PT17_ilS7_ilS5_S7_ilPT18_ili26rocblas_geam_ex_operation_
    .private_segment_fixed_size: 0
    .sgpr_count:     34
    .sgpr_spill_count: 0
    .symbol:         _ZN12_GLOBAL__N_120geam_min_plus_kernelIf15HIP_vector_typeIfLj2EEfLi8ELi32ELi64ELi256ELi4ELi4ELi64ELi64ELi4ELc84ELc84ELb0ELb0ELb1EPKfS3_fEEviiiT16_PT17_ilS7_ilS5_S7_ilPT18_ili26rocblas_geam_ex_operation_.kd
    .uniform_work_group_size: 1
    .uses_dynamic_stack: false
    .vgpr_count:     158
    .vgpr_spill_count: 0
    .wavefront_size: 64
  - .agpr_count:     0
    .args:
      - .offset:         0
        .size:           4
        .value_kind:     by_value
      - .offset:         4
        .size:           4
        .value_kind:     by_value
      - .offset:         8
        .size:           4
        .value_kind:     by_value
      - .offset:         12
        .size:           4
        .value_kind:     by_value
      - .address_space:  global
        .offset:         16
        .size:           8
        .value_kind:     global_buffer
      - .offset:         24
        .size:           4
        .value_kind:     by_value
      - .offset:         32
        .size:           8
        .value_kind:     by_value
      - .address_space:  global
        .offset:         40
        .size:           8
        .value_kind:     global_buffer
      - .offset:         48
        .size:           4
        .value_kind:     by_value
      - .offset:         56
        .size:           8
        .value_kind:     by_value
      - .offset:         64
        .size:           4
        .value_kind:     by_value
      - .address_space:  global
        .offset:         72
        .size:           8
        .value_kind:     global_buffer
      - .offset:         80
        .size:           4
        .value_kind:     by_value
      - .offset:         88
        .size:           8
        .value_kind:     by_value
      - .address_space:  global
        .offset:         96
        .size:           8
        .value_kind:     global_buffer
      - .offset:         104
        .size:           4
        .value_kind:     by_value
      - .offset:         112
        .size:           8
        .value_kind:     by_value
      - .offset:         120
        .size:           4
        .value_kind:     by_value
      - .offset:         124
        .size:           4
        .value_kind:     by_value
    .group_segment_fixed_size: 10240
    .kernarg_segment_align: 8
    .kernarg_segment_size: 128
    .language:       OpenCL C
    .language_version:
      - 2
      - 0
    .max_flat_workgroup_size: 256
    .name:           _ZN12_GLOBAL__N_120geam_min_plus_kernelIf15HIP_vector_typeIfLj2EEfLi8ELi32ELi64ELi256ELi4ELi4ELi64ELi64ELi4ELc84ELc84ELb1ELb0ELb1EfKffEEviiiT16_PT17_ilS6_ilS4_S6_ilPT18_ili26rocblas_geam_ex_operation_
    .private_segment_fixed_size: 0
    .sgpr_count:     30
    .sgpr_spill_count: 0
    .symbol:         _ZN12_GLOBAL__N_120geam_min_plus_kernelIf15HIP_vector_typeIfLj2EEfLi8ELi32ELi64ELi256ELi4ELi4ELi64ELi64ELi4ELc84ELc84ELb1ELb0ELb1EfKffEEviiiT16_PT17_ilS6_ilS4_S6_ilPT18_ili26rocblas_geam_ex_operation_.kd
    .uniform_work_group_size: 1
    .uses_dynamic_stack: false
    .vgpr_count:     176
    .vgpr_spill_count: 0
    .wavefront_size: 64
  - .agpr_count:     0
    .args:
      - .offset:         0
        .size:           4
        .value_kind:     by_value
      - .offset:         4
        .size:           4
        .value_kind:     by_value
      - .offset:         8
        .size:           4
        .value_kind:     by_value
      - .offset:         12
        .size:           4
        .value_kind:     by_value
      - .address_space:  global
        .offset:         16
        .size:           8
        .value_kind:     global_buffer
      - .offset:         24
        .size:           4
        .value_kind:     by_value
      - .offset:         32
        .size:           8
        .value_kind:     by_value
      - .address_space:  global
        .offset:         40
        .size:           8
        .value_kind:     global_buffer
      - .offset:         48
        .size:           4
        .value_kind:     by_value
      - .offset:         56
        .size:           8
        .value_kind:     by_value
      - .offset:         64
        .size:           4
        .value_kind:     by_value
      - .address_space:  global
        .offset:         72
        .size:           8
        .value_kind:     global_buffer
      - .offset:         80
        .size:           4
        .value_kind:     by_value
      - .offset:         88
        .size:           8
        .value_kind:     by_value
      - .address_space:  global
        .offset:         96
        .size:           8
        .value_kind:     global_buffer
      - .offset:         104
        .size:           4
        .value_kind:     by_value
      - .offset:         112
        .size:           8
        .value_kind:     by_value
      - .offset:         120
        .size:           4
        .value_kind:     by_value
      - .offset:         124
        .size:           4
        .value_kind:     by_value
    .group_segment_fixed_size: 10240
    .kernarg_segment_align: 8
    .kernarg_segment_size: 128
    .language:       OpenCL C
    .language_version:
      - 2
      - 0
    .max_flat_workgroup_size: 256
    .name:           _ZN12_GLOBAL__N_120geam_min_plus_kernelIf15HIP_vector_typeIfLj2EEfLi8ELi32ELi64ELi256ELi4ELi4ELi64ELi64ELi4ELc84ELc84ELb0ELb0ELb1EfKffEEviiiT16_PT17_ilS6_ilS4_S6_ilPT18_ili26rocblas_geam_ex_operation_
    .private_segment_fixed_size: 0
    .sgpr_count:     35
    .sgpr_spill_count: 0
    .symbol:         _ZN12_GLOBAL__N_120geam_min_plus_kernelIf15HIP_vector_typeIfLj2EEfLi8ELi32ELi64ELi256ELi4ELi4ELi64ELi64ELi4ELc84ELc84ELb0ELb0ELb1EfKffEEviiiT16_PT17_ilS6_ilS4_S6_ilPT18_ili26rocblas_geam_ex_operation_.kd
    .uniform_work_group_size: 1
    .uses_dynamic_stack: false
    .vgpr_count:     158
    .vgpr_spill_count: 0
    .wavefront_size: 64
  - .agpr_count:     0
    .args:
      - .offset:         0
        .size:           4
        .value_kind:     by_value
      - .offset:         4
        .size:           4
        .value_kind:     by_value
      - .offset:         8
        .size:           4
        .value_kind:     by_value
      - .address_space:  global
        .offset:         16
        .size:           8
        .value_kind:     global_buffer
      - .address_space:  global
        .offset:         24
        .size:           8
        .value_kind:     global_buffer
      - .offset:         32
        .size:           4
        .value_kind:     by_value
      - .offset:         40
        .size:           8
        .value_kind:     by_value
      - .address_space:  global
        .offset:         48
        .size:           8
        .value_kind:     global_buffer
      - .offset:         56
        .size:           4
        .value_kind:     by_value
      - .offset:         64
        .size:           8
        .value_kind:     by_value
      - .address_space:  global
        .offset:         72
        .size:           8
        .value_kind:     global_buffer
      - .address_space:  global
        .offset:         80
        .size:           8
        .value_kind:     global_buffer
      - .offset:         88
        .size:           4
        .value_kind:     by_value
      - .offset:         96
        .size:           8
        .value_kind:     by_value
      - .address_space:  global
        .offset:         104
        .size:           8
        .value_kind:     global_buffer
      - .offset:         112
        .size:           4
        .value_kind:     by_value
      - .offset:         120
        .size:           8
        .value_kind:     by_value
      - .offset:         128
        .size:           4
        .value_kind:     by_value
      - .offset:         132
        .size:           4
        .value_kind:     by_value
    .group_segment_fixed_size: 10240
    .kernarg_segment_align: 8
    .kernarg_segment_size: 136
    .language:       OpenCL C
    .language_version:
      - 2
      - 0
    .max_flat_workgroup_size: 256
    .name:           _ZN12_GLOBAL__N_120geam_min_plus_kernelIf15HIP_vector_typeIfLj2EEfLi8ELi32ELi64ELi256ELi4ELi4ELi64ELi64ELi4ELc84ELc84ELb0ELb1ELb1EPKfS3_fEEviiiT16_PT17_ilS7_ilS5_S7_ilPT18_ili26rocblas_geam_ex_operation_
    .private_segment_fixed_size: 0
    .sgpr_count:     48
    .sgpr_spill_count: 0
    .symbol:         _ZN12_GLOBAL__N_120geam_min_plus_kernelIf15HIP_vector_typeIfLj2EEfLi8ELi32ELi64ELi256ELi4ELi4ELi64ELi64ELi4ELc84ELc84ELb0ELb1ELb1EPKfS3_fEEviiiT16_PT17_ilS7_ilS5_S7_ilPT18_ili26rocblas_geam_ex_operation_.kd
    .uniform_work_group_size: 1
    .uses_dynamic_stack: false
    .vgpr_count:     157
    .vgpr_spill_count: 0
    .wavefront_size: 64
  - .agpr_count:     0
    .args:
      - .offset:         0
        .size:           4
        .value_kind:     by_value
      - .offset:         4
        .size:           4
        .value_kind:     by_value
      - .offset:         8
        .size:           4
        .value_kind:     by_value
      - .offset:         12
        .size:           4
        .value_kind:     by_value
      - .address_space:  global
        .offset:         16
        .size:           8
        .value_kind:     global_buffer
      - .offset:         24
        .size:           4
        .value_kind:     by_value
      - .offset:         32
        .size:           8
        .value_kind:     by_value
      - .address_space:  global
        .offset:         40
        .size:           8
        .value_kind:     global_buffer
      - .offset:         48
        .size:           4
        .value_kind:     by_value
      - .offset:         56
        .size:           8
        .value_kind:     by_value
      - .offset:         64
        .size:           4
        .value_kind:     by_value
      - .address_space:  global
        .offset:         72
        .size:           8
        .value_kind:     global_buffer
      - .offset:         80
        .size:           4
        .value_kind:     by_value
      - .offset:         88
        .size:           8
        .value_kind:     by_value
      - .address_space:  global
        .offset:         96
        .size:           8
        .value_kind:     global_buffer
      - .offset:         104
        .size:           4
        .value_kind:     by_value
      - .offset:         112
        .size:           8
        .value_kind:     by_value
      - .offset:         120
        .size:           4
        .value_kind:     by_value
      - .offset:         124
        .size:           4
        .value_kind:     by_value
    .group_segment_fixed_size: 10240
    .kernarg_segment_align: 8
    .kernarg_segment_size: 128
    .language:       OpenCL C
    .language_version:
      - 2
      - 0
    .max_flat_workgroup_size: 256
    .name:           _ZN12_GLOBAL__N_120geam_min_plus_kernelIf15HIP_vector_typeIfLj2EEfLi8ELi32ELi64ELi256ELi4ELi4ELi64ELi64ELi4ELc84ELc84ELb1ELb1ELb1EfKffEEviiiT16_PT17_ilS6_ilS4_S6_ilPT18_ili26rocblas_geam_ex_operation_
    .private_segment_fixed_size: 0
    .sgpr_count:     46
    .sgpr_spill_count: 0
    .symbol:         _ZN12_GLOBAL__N_120geam_min_plus_kernelIf15HIP_vector_typeIfLj2EEfLi8ELi32ELi64ELi256ELi4ELi4ELi64ELi64ELi4ELc84ELc84ELb1ELb1ELb1EfKffEEviiiT16_PT17_ilS6_ilS4_S6_ilPT18_ili26rocblas_geam_ex_operation_.kd
    .uniform_work_group_size: 1
    .uses_dynamic_stack: false
    .vgpr_count:     161
    .vgpr_spill_count: 0
    .wavefront_size: 64
  - .agpr_count:     0
    .args:
      - .offset:         0
        .size:           4
        .value_kind:     by_value
      - .offset:         4
        .size:           4
        .value_kind:     by_value
      - .offset:         8
        .size:           4
        .value_kind:     by_value
      - .offset:         12
        .size:           4
        .value_kind:     by_value
      - .address_space:  global
        .offset:         16
        .size:           8
        .value_kind:     global_buffer
      - .offset:         24
        .size:           4
        .value_kind:     by_value
      - .offset:         32
        .size:           8
        .value_kind:     by_value
      - .address_space:  global
        .offset:         40
        .size:           8
        .value_kind:     global_buffer
      - .offset:         48
        .size:           4
        .value_kind:     by_value
      - .offset:         56
        .size:           8
        .value_kind:     by_value
      - .offset:         64
        .size:           4
        .value_kind:     by_value
      - .address_space:  global
        .offset:         72
        .size:           8
        .value_kind:     global_buffer
      - .offset:         80
        .size:           4
        .value_kind:     by_value
      - .offset:         88
        .size:           8
        .value_kind:     by_value
      - .address_space:  global
        .offset:         96
        .size:           8
        .value_kind:     global_buffer
      - .offset:         104
        .size:           4
        .value_kind:     by_value
      - .offset:         112
        .size:           8
        .value_kind:     by_value
      - .offset:         120
        .size:           4
        .value_kind:     by_value
      - .offset:         124
        .size:           4
        .value_kind:     by_value
    .group_segment_fixed_size: 10240
    .kernarg_segment_align: 8
    .kernarg_segment_size: 128
    .language:       OpenCL C
    .language_version:
      - 2
      - 0
    .max_flat_workgroup_size: 256
    .name:           _ZN12_GLOBAL__N_120geam_min_plus_kernelIf15HIP_vector_typeIfLj2EEfLi8ELi32ELi64ELi256ELi4ELi4ELi64ELi64ELi4ELc84ELc84ELb0ELb1ELb1EfKffEEviiiT16_PT17_ilS6_ilS4_S6_ilPT18_ili26rocblas_geam_ex_operation_
    .private_segment_fixed_size: 0
    .sgpr_count:     48
    .sgpr_spill_count: 0
    .symbol:         _ZN12_GLOBAL__N_120geam_min_plus_kernelIf15HIP_vector_typeIfLj2EEfLi8ELi32ELi64ELi256ELi4ELi4ELi64ELi64ELi4ELc84ELc84ELb0ELb1ELb1EfKffEEviiiT16_PT17_ilS6_ilS4_S6_ilPT18_ili26rocblas_geam_ex_operation_.kd
    .uniform_work_group_size: 1
    .uses_dynamic_stack: false
    .vgpr_count:     157
    .vgpr_spill_count: 0
    .wavefront_size: 64
  - .agpr_count:     0
    .args:
      - .offset:         0
        .size:           4
        .value_kind:     by_value
      - .offset:         4
        .size:           4
        .value_kind:     by_value
      - .offset:         8
        .size:           4
        .value_kind:     by_value
      - .address_space:  global
        .offset:         16
        .size:           8
        .value_kind:     global_buffer
      - .address_space:  global
        .offset:         24
        .size:           8
        .value_kind:     global_buffer
      - .offset:         32
        .size:           4
        .value_kind:     by_value
      - .offset:         40
        .size:           8
        .value_kind:     by_value
      - .address_space:  global
        .offset:         48
        .size:           8
        .value_kind:     global_buffer
      - .offset:         56
        .size:           4
        .value_kind:     by_value
      - .offset:         64
        .size:           8
        .value_kind:     by_value
      - .address_space:  global
        .offset:         72
        .size:           8
        .value_kind:     global_buffer
      - .address_space:  global
        .offset:         80
        .size:           8
        .value_kind:     global_buffer
      - .offset:         88
        .size:           4
        .value_kind:     by_value
      - .offset:         96
        .size:           8
        .value_kind:     by_value
      - .address_space:  global
        .offset:         104
        .size:           8
        .value_kind:     global_buffer
      - .offset:         112
        .size:           4
        .value_kind:     by_value
      - .offset:         120
        .size:           8
        .value_kind:     by_value
      - .offset:         128
        .size:           4
        .value_kind:     by_value
      - .offset:         132
        .size:           4
        .value_kind:     by_value
    .group_segment_fixed_size: 6144
    .kernarg_segment_align: 8
    .kernarg_segment_size: 136
    .language:       OpenCL C
    .language_version:
      - 2
      - 0
    .max_flat_workgroup_size: 256
    .name:           _ZN12_GLOBAL__N_120geam_min_plus_kernelIf15HIP_vector_typeIfLj2EES2_Li8ELi32ELi64ELi128ELi4ELi64ELi4ELi4ELi64ELc78ELc78ELb0ELb0ELb0EPKfS3_fEEviiiT16_PT17_ilS7_ilS5_S7_ilPT18_ili26rocblas_geam_ex_operation_
    .private_segment_fixed_size: 0
    .sgpr_count:     34
    .sgpr_spill_count: 0
    .symbol:         _ZN12_GLOBAL__N_120geam_min_plus_kernelIf15HIP_vector_typeIfLj2EES2_Li8ELi32ELi64ELi128ELi4ELi64ELi4ELi4ELi64ELc78ELc78ELb0ELb0ELb0EPKfS3_fEEviiiT16_PT17_ilS7_ilS5_S7_ilPT18_ili26rocblas_geam_ex_operation_.kd
    .uniform_work_group_size: 1
    .uses_dynamic_stack: false
    .vgpr_count:     114
    .vgpr_spill_count: 0
    .wavefront_size: 64
  - .agpr_count:     0
    .args:
      - .offset:         0
        .size:           4
        .value_kind:     by_value
      - .offset:         4
        .size:           4
        .value_kind:     by_value
      - .offset:         8
        .size:           4
        .value_kind:     by_value
      - .offset:         12
        .size:           4
        .value_kind:     by_value
      - .address_space:  global
        .offset:         16
        .size:           8
        .value_kind:     global_buffer
      - .offset:         24
        .size:           4
        .value_kind:     by_value
      - .offset:         32
        .size:           8
        .value_kind:     by_value
      - .address_space:  global
        .offset:         40
        .size:           8
        .value_kind:     global_buffer
      - .offset:         48
        .size:           4
        .value_kind:     by_value
      - .offset:         56
        .size:           8
        .value_kind:     by_value
      - .offset:         64
        .size:           4
        .value_kind:     by_value
      - .address_space:  global
        .offset:         72
        .size:           8
        .value_kind:     global_buffer
      - .offset:         80
        .size:           4
        .value_kind:     by_value
      - .offset:         88
        .size:           8
        .value_kind:     by_value
      - .address_space:  global
        .offset:         96
        .size:           8
        .value_kind:     global_buffer
      - .offset:         104
        .size:           4
        .value_kind:     by_value
      - .offset:         112
        .size:           8
        .value_kind:     by_value
      - .offset:         120
        .size:           4
        .value_kind:     by_value
      - .offset:         124
        .size:           4
        .value_kind:     by_value
    .group_segment_fixed_size: 6144
    .kernarg_segment_align: 8
    .kernarg_segment_size: 128
    .language:       OpenCL C
    .language_version:
      - 2
      - 0
    .max_flat_workgroup_size: 256
    .name:           _ZN12_GLOBAL__N_120geam_min_plus_kernelIf15HIP_vector_typeIfLj2EES2_Li8ELi32ELi64ELi128ELi4ELi64ELi4ELi4ELi64ELc78ELc78ELb1ELb0ELb0EfKffEEviiiT16_PT17_ilS6_ilS4_S6_ilPT18_ili26rocblas_geam_ex_operation_
    .private_segment_fixed_size: 0
    .sgpr_count:     31
    .sgpr_spill_count: 0
    .symbol:         _ZN12_GLOBAL__N_120geam_min_plus_kernelIf15HIP_vector_typeIfLj2EES2_Li8ELi32ELi64ELi128ELi4ELi64ELi4ELi4ELi64ELc78ELc78ELb1ELb0ELb0EfKffEEviiiT16_PT17_ilS6_ilS4_S6_ilPT18_ili26rocblas_geam_ex_operation_.kd
    .uniform_work_group_size: 1
    .uses_dynamic_stack: false
    .vgpr_count:     117
    .vgpr_spill_count: 0
    .wavefront_size: 64
  - .agpr_count:     0
    .args:
      - .offset:         0
        .size:           4
        .value_kind:     by_value
      - .offset:         4
        .size:           4
        .value_kind:     by_value
      - .offset:         8
        .size:           4
        .value_kind:     by_value
      - .offset:         12
        .size:           4
        .value_kind:     by_value
      - .address_space:  global
        .offset:         16
        .size:           8
        .value_kind:     global_buffer
      - .offset:         24
        .size:           4
        .value_kind:     by_value
      - .offset:         32
        .size:           8
        .value_kind:     by_value
      - .address_space:  global
        .offset:         40
        .size:           8
        .value_kind:     global_buffer
      - .offset:         48
        .size:           4
        .value_kind:     by_value
      - .offset:         56
        .size:           8
        .value_kind:     by_value
      - .offset:         64
        .size:           4
        .value_kind:     by_value
      - .address_space:  global
        .offset:         72
        .size:           8
        .value_kind:     global_buffer
      - .offset:         80
        .size:           4
        .value_kind:     by_value
      - .offset:         88
        .size:           8
        .value_kind:     by_value
      - .address_space:  global
        .offset:         96
        .size:           8
        .value_kind:     global_buffer
      - .offset:         104
        .size:           4
        .value_kind:     by_value
      - .offset:         112
        .size:           8
        .value_kind:     by_value
      - .offset:         120
        .size:           4
        .value_kind:     by_value
      - .offset:         124
        .size:           4
        .value_kind:     by_value
    .group_segment_fixed_size: 6144
    .kernarg_segment_align: 8
    .kernarg_segment_size: 128
    .language:       OpenCL C
    .language_version:
      - 2
      - 0
    .max_flat_workgroup_size: 256
    .name:           _ZN12_GLOBAL__N_120geam_min_plus_kernelIf15HIP_vector_typeIfLj2EES2_Li8ELi32ELi64ELi128ELi4ELi64ELi4ELi4ELi64ELc78ELc78ELb0ELb0ELb0EfKffEEviiiT16_PT17_ilS6_ilS4_S6_ilPT18_ili26rocblas_geam_ex_operation_
    .private_segment_fixed_size: 0
    .sgpr_count:     35
    .sgpr_spill_count: 0
    .symbol:         _ZN12_GLOBAL__N_120geam_min_plus_kernelIf15HIP_vector_typeIfLj2EES2_Li8ELi32ELi64ELi128ELi4ELi64ELi4ELi4ELi64ELc78ELc78ELb0ELb0ELb0EfKffEEviiiT16_PT17_ilS6_ilS4_S6_ilPT18_ili26rocblas_geam_ex_operation_.kd
    .uniform_work_group_size: 1
    .uses_dynamic_stack: false
    .vgpr_count:     114
    .vgpr_spill_count: 0
    .wavefront_size: 64
  - .agpr_count:     0
    .args:
      - .offset:         0
        .size:           4
        .value_kind:     by_value
      - .offset:         4
        .size:           4
        .value_kind:     by_value
      - .offset:         8
        .size:           4
        .value_kind:     by_value
      - .address_space:  global
        .offset:         16
        .size:           8
        .value_kind:     global_buffer
      - .address_space:  global
        .offset:         24
        .size:           8
        .value_kind:     global_buffer
      - .offset:         32
        .size:           4
        .value_kind:     by_value
      - .offset:         40
        .size:           8
        .value_kind:     by_value
      - .address_space:  global
        .offset:         48
        .size:           8
        .value_kind:     global_buffer
      - .offset:         56
        .size:           4
        .value_kind:     by_value
      - .offset:         64
        .size:           8
        .value_kind:     by_value
      - .address_space:  global
        .offset:         72
        .size:           8
        .value_kind:     global_buffer
      - .address_space:  global
        .offset:         80
        .size:           8
        .value_kind:     global_buffer
      - .offset:         88
        .size:           4
        .value_kind:     by_value
      - .offset:         96
        .size:           8
        .value_kind:     by_value
      - .address_space:  global
        .offset:         104
        .size:           8
        .value_kind:     global_buffer
      - .offset:         112
        .size:           4
        .value_kind:     by_value
      - .offset:         120
        .size:           8
        .value_kind:     by_value
      - .offset:         128
        .size:           4
        .value_kind:     by_value
      - .offset:         132
        .size:           4
        .value_kind:     by_value
    .group_segment_fixed_size: 6144
    .kernarg_segment_align: 8
    .kernarg_segment_size: 136
    .language:       OpenCL C
    .language_version:
      - 2
      - 0
    .max_flat_workgroup_size: 256
    .name:           _ZN12_GLOBAL__N_120geam_min_plus_kernelIf15HIP_vector_typeIfLj2EES2_Li8ELi32ELi64ELi128ELi4ELi64ELi4ELi4ELi64ELc78ELc78ELb0ELb1ELb0EPKfS3_fEEviiiT16_PT17_ilS7_ilS5_S7_ilPT18_ili26rocblas_geam_ex_operation_
    .private_segment_fixed_size: 0
    .sgpr_count:     44
    .sgpr_spill_count: 0
    .symbol:         _ZN12_GLOBAL__N_120geam_min_plus_kernelIf15HIP_vector_typeIfLj2EES2_Li8ELi32ELi64ELi128ELi4ELi64ELi4ELi4ELi64ELc78ELc78ELb0ELb1ELb0EPKfS3_fEEviiiT16_PT17_ilS7_ilS5_S7_ilPT18_ili26rocblas_geam_ex_operation_.kd
    .uniform_work_group_size: 1
    .uses_dynamic_stack: false
    .vgpr_count:     112
    .vgpr_spill_count: 0
    .wavefront_size: 64
  - .agpr_count:     0
    .args:
      - .offset:         0
        .size:           4
        .value_kind:     by_value
      - .offset:         4
        .size:           4
        .value_kind:     by_value
      - .offset:         8
        .size:           4
        .value_kind:     by_value
      - .offset:         12
        .size:           4
        .value_kind:     by_value
      - .address_space:  global
        .offset:         16
        .size:           8
        .value_kind:     global_buffer
      - .offset:         24
        .size:           4
        .value_kind:     by_value
      - .offset:         32
        .size:           8
        .value_kind:     by_value
      - .address_space:  global
        .offset:         40
        .size:           8
        .value_kind:     global_buffer
      - .offset:         48
        .size:           4
        .value_kind:     by_value
      - .offset:         56
        .size:           8
        .value_kind:     by_value
      - .offset:         64
        .size:           4
        .value_kind:     by_value
      - .address_space:  global
        .offset:         72
        .size:           8
        .value_kind:     global_buffer
      - .offset:         80
        .size:           4
        .value_kind:     by_value
      - .offset:         88
        .size:           8
        .value_kind:     by_value
      - .address_space:  global
        .offset:         96
        .size:           8
        .value_kind:     global_buffer
      - .offset:         104
        .size:           4
        .value_kind:     by_value
      - .offset:         112
        .size:           8
        .value_kind:     by_value
      - .offset:         120
        .size:           4
        .value_kind:     by_value
      - .offset:         124
        .size:           4
        .value_kind:     by_value
    .group_segment_fixed_size: 6144
    .kernarg_segment_align: 8
    .kernarg_segment_size: 128
    .language:       OpenCL C
    .language_version:
      - 2
      - 0
    .max_flat_workgroup_size: 256
    .name:           _ZN12_GLOBAL__N_120geam_min_plus_kernelIf15HIP_vector_typeIfLj2EES2_Li8ELi32ELi64ELi128ELi4ELi64ELi4ELi4ELi64ELc78ELc78ELb1ELb1ELb0EfKffEEviiiT16_PT17_ilS6_ilS4_S6_ilPT18_ili26rocblas_geam_ex_operation_
    .private_segment_fixed_size: 0
    .sgpr_count:     42
    .sgpr_spill_count: 0
    .symbol:         _ZN12_GLOBAL__N_120geam_min_plus_kernelIf15HIP_vector_typeIfLj2EES2_Li8ELi32ELi64ELi128ELi4ELi64ELi4ELi4ELi64ELc78ELc78ELb1ELb1ELb0EfKffEEviiiT16_PT17_ilS6_ilS4_S6_ilPT18_ili26rocblas_geam_ex_operation_.kd
    .uniform_work_group_size: 1
    .uses_dynamic_stack: false
    .vgpr_count:     117
    .vgpr_spill_count: 0
    .wavefront_size: 64
  - .agpr_count:     0
    .args:
      - .offset:         0
        .size:           4
        .value_kind:     by_value
      - .offset:         4
        .size:           4
        .value_kind:     by_value
      - .offset:         8
        .size:           4
        .value_kind:     by_value
      - .offset:         12
        .size:           4
        .value_kind:     by_value
      - .address_space:  global
        .offset:         16
        .size:           8
        .value_kind:     global_buffer
      - .offset:         24
        .size:           4
        .value_kind:     by_value
      - .offset:         32
        .size:           8
        .value_kind:     by_value
      - .address_space:  global
        .offset:         40
        .size:           8
        .value_kind:     global_buffer
      - .offset:         48
        .size:           4
        .value_kind:     by_value
      - .offset:         56
        .size:           8
        .value_kind:     by_value
      - .offset:         64
        .size:           4
        .value_kind:     by_value
      - .address_space:  global
        .offset:         72
        .size:           8
        .value_kind:     global_buffer
      - .offset:         80
        .size:           4
        .value_kind:     by_value
      - .offset:         88
        .size:           8
        .value_kind:     by_value
      - .address_space:  global
        .offset:         96
        .size:           8
        .value_kind:     global_buffer
      - .offset:         104
        .size:           4
        .value_kind:     by_value
      - .offset:         112
        .size:           8
        .value_kind:     by_value
      - .offset:         120
        .size:           4
        .value_kind:     by_value
      - .offset:         124
        .size:           4
        .value_kind:     by_value
    .group_segment_fixed_size: 6144
    .kernarg_segment_align: 8
    .kernarg_segment_size: 128
    .language:       OpenCL C
    .language_version:
      - 2
      - 0
    .max_flat_workgroup_size: 256
    .name:           _ZN12_GLOBAL__N_120geam_min_plus_kernelIf15HIP_vector_typeIfLj2EES2_Li8ELi32ELi64ELi128ELi4ELi64ELi4ELi4ELi64ELc78ELc78ELb0ELb1ELb0EfKffEEviiiT16_PT17_ilS6_ilS4_S6_ilPT18_ili26rocblas_geam_ex_operation_
    .private_segment_fixed_size: 0
    .sgpr_count:     44
    .sgpr_spill_count: 0
    .symbol:         _ZN12_GLOBAL__N_120geam_min_plus_kernelIf15HIP_vector_typeIfLj2EES2_Li8ELi32ELi64ELi128ELi4ELi64ELi4ELi4ELi64ELc78ELc78ELb0ELb1ELb0EfKffEEviiiT16_PT17_ilS6_ilS4_S6_ilPT18_ili26rocblas_geam_ex_operation_.kd
    .uniform_work_group_size: 1
    .uses_dynamic_stack: false
    .vgpr_count:     112
    .vgpr_spill_count: 0
    .wavefront_size: 64
  - .agpr_count:     0
    .args:
      - .offset:         0
        .size:           4
        .value_kind:     by_value
      - .offset:         4
        .size:           4
        .value_kind:     by_value
      - .offset:         8
        .size:           4
        .value_kind:     by_value
      - .address_space:  global
        .offset:         16
        .size:           8
        .value_kind:     global_buffer
      - .address_space:  global
        .offset:         24
        .size:           8
        .value_kind:     global_buffer
      - .offset:         32
        .size:           4
        .value_kind:     by_value
      - .offset:         40
        .size:           8
        .value_kind:     by_value
      - .address_space:  global
        .offset:         48
        .size:           8
        .value_kind:     global_buffer
      - .offset:         56
        .size:           4
        .value_kind:     by_value
      - .offset:         64
        .size:           8
        .value_kind:     by_value
      - .address_space:  global
        .offset:         72
        .size:           8
        .value_kind:     global_buffer
      - .address_space:  global
        .offset:         80
        .size:           8
        .value_kind:     global_buffer
      - .offset:         88
        .size:           4
        .value_kind:     by_value
      - .offset:         96
        .size:           8
        .value_kind:     by_value
      - .address_space:  global
        .offset:         104
        .size:           8
        .value_kind:     global_buffer
      - .offset:         112
        .size:           4
        .value_kind:     by_value
      - .offset:         120
        .size:           8
        .value_kind:     by_value
      - .offset:         128
        .size:           4
        .value_kind:     by_value
      - .offset:         132
        .size:           4
        .value_kind:     by_value
    .group_segment_fixed_size: 6144
    .kernarg_segment_align: 8
    .kernarg_segment_size: 136
    .language:       OpenCL C
    .language_version:
      - 2
      - 0
    .max_flat_workgroup_size: 256
    .name:           _ZN12_GLOBAL__N_120geam_min_plus_kernelIf15HIP_vector_typeIfLj2EES2_Li8ELi32ELi64ELi128ELi4ELi4ELi64ELi4ELi64ELc84ELc78ELb0ELb0ELb0EPKfS3_fEEviiiT16_PT17_ilS7_ilS5_S7_ilPT18_ili26rocblas_geam_ex_operation_
    .private_segment_fixed_size: 0
    .sgpr_count:     34
    .sgpr_spill_count: 0
    .symbol:         _ZN12_GLOBAL__N_120geam_min_plus_kernelIf15HIP_vector_typeIfLj2EES2_Li8ELi32ELi64ELi128ELi4ELi4ELi64ELi4ELi64ELc84ELc78ELb0ELb0ELb0EPKfS3_fEEviiiT16_PT17_ilS7_ilS5_S7_ilPT18_ili26rocblas_geam_ex_operation_.kd
    .uniform_work_group_size: 1
    .uses_dynamic_stack: false
    .vgpr_count:     112
    .vgpr_spill_count: 0
    .wavefront_size: 64
  - .agpr_count:     0
    .args:
      - .offset:         0
        .size:           4
        .value_kind:     by_value
      - .offset:         4
        .size:           4
        .value_kind:     by_value
      - .offset:         8
        .size:           4
        .value_kind:     by_value
      - .offset:         12
        .size:           4
        .value_kind:     by_value
      - .address_space:  global
        .offset:         16
        .size:           8
        .value_kind:     global_buffer
      - .offset:         24
        .size:           4
        .value_kind:     by_value
      - .offset:         32
        .size:           8
        .value_kind:     by_value
      - .address_space:  global
        .offset:         40
        .size:           8
        .value_kind:     global_buffer
      - .offset:         48
        .size:           4
        .value_kind:     by_value
      - .offset:         56
        .size:           8
        .value_kind:     by_value
      - .offset:         64
        .size:           4
        .value_kind:     by_value
      - .address_space:  global
        .offset:         72
        .size:           8
        .value_kind:     global_buffer
      - .offset:         80
        .size:           4
        .value_kind:     by_value
      - .offset:         88
        .size:           8
        .value_kind:     by_value
      - .address_space:  global
        .offset:         96
        .size:           8
        .value_kind:     global_buffer
      - .offset:         104
        .size:           4
        .value_kind:     by_value
      - .offset:         112
        .size:           8
        .value_kind:     by_value
      - .offset:         120
        .size:           4
        .value_kind:     by_value
      - .offset:         124
        .size:           4
        .value_kind:     by_value
    .group_segment_fixed_size: 6144
    .kernarg_segment_align: 8
    .kernarg_segment_size: 128
    .language:       OpenCL C
    .language_version:
      - 2
      - 0
    .max_flat_workgroup_size: 256
    .name:           _ZN12_GLOBAL__N_120geam_min_plus_kernelIf15HIP_vector_typeIfLj2EES2_Li8ELi32ELi64ELi128ELi4ELi4ELi64ELi4ELi64ELc84ELc78ELb1ELb0ELb0EfKffEEviiiT16_PT17_ilS6_ilS4_S6_ilPT18_ili26rocblas_geam_ex_operation_
    .private_segment_fixed_size: 0
    .sgpr_count:     30
    .sgpr_spill_count: 0
    .symbol:         _ZN12_GLOBAL__N_120geam_min_plus_kernelIf15HIP_vector_typeIfLj2EES2_Li8ELi32ELi64ELi128ELi4ELi4ELi64ELi4ELi64ELc84ELc78ELb1ELb0ELb0EfKffEEviiiT16_PT17_ilS6_ilS4_S6_ilPT18_ili26rocblas_geam_ex_operation_.kd
    .uniform_work_group_size: 1
    .uses_dynamic_stack: false
    .vgpr_count:     117
    .vgpr_spill_count: 0
    .wavefront_size: 64
  - .agpr_count:     0
    .args:
      - .offset:         0
        .size:           4
        .value_kind:     by_value
      - .offset:         4
        .size:           4
        .value_kind:     by_value
      - .offset:         8
        .size:           4
        .value_kind:     by_value
      - .offset:         12
        .size:           4
        .value_kind:     by_value
      - .address_space:  global
        .offset:         16
        .size:           8
        .value_kind:     global_buffer
      - .offset:         24
        .size:           4
        .value_kind:     by_value
      - .offset:         32
        .size:           8
        .value_kind:     by_value
      - .address_space:  global
        .offset:         40
        .size:           8
        .value_kind:     global_buffer
      - .offset:         48
        .size:           4
        .value_kind:     by_value
      - .offset:         56
        .size:           8
        .value_kind:     by_value
      - .offset:         64
        .size:           4
        .value_kind:     by_value
      - .address_space:  global
        .offset:         72
        .size:           8
        .value_kind:     global_buffer
      - .offset:         80
        .size:           4
        .value_kind:     by_value
      - .offset:         88
        .size:           8
        .value_kind:     by_value
      - .address_space:  global
        .offset:         96
        .size:           8
        .value_kind:     global_buffer
      - .offset:         104
        .size:           4
        .value_kind:     by_value
      - .offset:         112
        .size:           8
        .value_kind:     by_value
      - .offset:         120
        .size:           4
        .value_kind:     by_value
      - .offset:         124
        .size:           4
        .value_kind:     by_value
    .group_segment_fixed_size: 6144
    .kernarg_segment_align: 8
    .kernarg_segment_size: 128
    .language:       OpenCL C
    .language_version:
      - 2
      - 0
    .max_flat_workgroup_size: 256
    .name:           _ZN12_GLOBAL__N_120geam_min_plus_kernelIf15HIP_vector_typeIfLj2EES2_Li8ELi32ELi64ELi128ELi4ELi4ELi64ELi4ELi64ELc84ELc78ELb0ELb0ELb0EfKffEEviiiT16_PT17_ilS6_ilS4_S6_ilPT18_ili26rocblas_geam_ex_operation_
    .private_segment_fixed_size: 0
    .sgpr_count:     34
    .sgpr_spill_count: 0
    .symbol:         _ZN12_GLOBAL__N_120geam_min_plus_kernelIf15HIP_vector_typeIfLj2EES2_Li8ELi32ELi64ELi128ELi4ELi4ELi64ELi4ELi64ELc84ELc78ELb0ELb0ELb0EfKffEEviiiT16_PT17_ilS6_ilS4_S6_ilPT18_ili26rocblas_geam_ex_operation_.kd
    .uniform_work_group_size: 1
    .uses_dynamic_stack: false
    .vgpr_count:     112
    .vgpr_spill_count: 0
    .wavefront_size: 64
  - .agpr_count:     0
    .args:
      - .offset:         0
        .size:           4
        .value_kind:     by_value
      - .offset:         4
        .size:           4
        .value_kind:     by_value
      - .offset:         8
        .size:           4
        .value_kind:     by_value
      - .address_space:  global
        .offset:         16
        .size:           8
        .value_kind:     global_buffer
      - .address_space:  global
        .offset:         24
        .size:           8
        .value_kind:     global_buffer
      - .offset:         32
        .size:           4
        .value_kind:     by_value
      - .offset:         40
        .size:           8
        .value_kind:     by_value
      - .address_space:  global
        .offset:         48
        .size:           8
        .value_kind:     global_buffer
      - .offset:         56
        .size:           4
        .value_kind:     by_value
      - .offset:         64
        .size:           8
        .value_kind:     by_value
      - .address_space:  global
        .offset:         72
        .size:           8
        .value_kind:     global_buffer
      - .address_space:  global
        .offset:         80
        .size:           8
        .value_kind:     global_buffer
      - .offset:         88
        .size:           4
        .value_kind:     by_value
      - .offset:         96
        .size:           8
        .value_kind:     by_value
      - .address_space:  global
        .offset:         104
        .size:           8
        .value_kind:     global_buffer
      - .offset:         112
        .size:           4
        .value_kind:     by_value
      - .offset:         120
        .size:           8
        .value_kind:     by_value
      - .offset:         128
        .size:           4
        .value_kind:     by_value
      - .offset:         132
        .size:           4
        .value_kind:     by_value
    .group_segment_fixed_size: 6144
    .kernarg_segment_align: 8
    .kernarg_segment_size: 136
    .language:       OpenCL C
    .language_version:
      - 2
      - 0
    .max_flat_workgroup_size: 256
    .name:           _ZN12_GLOBAL__N_120geam_min_plus_kernelIf15HIP_vector_typeIfLj2EES2_Li8ELi32ELi64ELi128ELi4ELi4ELi64ELi4ELi64ELc84ELc78ELb0ELb1ELb0EPKfS3_fEEviiiT16_PT17_ilS7_ilS5_S7_ilPT18_ili26rocblas_geam_ex_operation_
    .private_segment_fixed_size: 0
    .sgpr_count:     42
    .sgpr_spill_count: 0
    .symbol:         _ZN12_GLOBAL__N_120geam_min_plus_kernelIf15HIP_vector_typeIfLj2EES2_Li8ELi32ELi64ELi128ELi4ELi4ELi64ELi4ELi64ELc84ELc78ELb0ELb1ELb0EPKfS3_fEEviiiT16_PT17_ilS7_ilS5_S7_ilPT18_ili26rocblas_geam_ex_operation_.kd
    .uniform_work_group_size: 1
    .uses_dynamic_stack: false
    .vgpr_count:     112
    .vgpr_spill_count: 0
    .wavefront_size: 64
  - .agpr_count:     0
    .args:
      - .offset:         0
        .size:           4
        .value_kind:     by_value
      - .offset:         4
        .size:           4
        .value_kind:     by_value
      - .offset:         8
        .size:           4
        .value_kind:     by_value
      - .offset:         12
        .size:           4
        .value_kind:     by_value
      - .address_space:  global
        .offset:         16
        .size:           8
        .value_kind:     global_buffer
      - .offset:         24
        .size:           4
        .value_kind:     by_value
      - .offset:         32
        .size:           8
        .value_kind:     by_value
      - .address_space:  global
        .offset:         40
        .size:           8
        .value_kind:     global_buffer
      - .offset:         48
        .size:           4
        .value_kind:     by_value
      - .offset:         56
        .size:           8
        .value_kind:     by_value
      - .offset:         64
        .size:           4
        .value_kind:     by_value
      - .address_space:  global
        .offset:         72
        .size:           8
        .value_kind:     global_buffer
      - .offset:         80
        .size:           4
        .value_kind:     by_value
      - .offset:         88
        .size:           8
        .value_kind:     by_value
      - .address_space:  global
        .offset:         96
        .size:           8
        .value_kind:     global_buffer
      - .offset:         104
        .size:           4
        .value_kind:     by_value
      - .offset:         112
        .size:           8
        .value_kind:     by_value
      - .offset:         120
        .size:           4
        .value_kind:     by_value
      - .offset:         124
        .size:           4
        .value_kind:     by_value
    .group_segment_fixed_size: 6144
    .kernarg_segment_align: 8
    .kernarg_segment_size: 128
    .language:       OpenCL C
    .language_version:
      - 2
      - 0
    .max_flat_workgroup_size: 256
    .name:           _ZN12_GLOBAL__N_120geam_min_plus_kernelIf15HIP_vector_typeIfLj2EES2_Li8ELi32ELi64ELi128ELi4ELi4ELi64ELi4ELi64ELc84ELc78ELb1ELb1ELb0EfKffEEviiiT16_PT17_ilS6_ilS4_S6_ilPT18_ili26rocblas_geam_ex_operation_
    .private_segment_fixed_size: 0
    .sgpr_count:     42
    .sgpr_spill_count: 0
    .symbol:         _ZN12_GLOBAL__N_120geam_min_plus_kernelIf15HIP_vector_typeIfLj2EES2_Li8ELi32ELi64ELi128ELi4ELi4ELi64ELi4ELi64ELc84ELc78ELb1ELb1ELb0EfKffEEviiiT16_PT17_ilS6_ilS4_S6_ilPT18_ili26rocblas_geam_ex_operation_.kd
    .uniform_work_group_size: 1
    .uses_dynamic_stack: false
    .vgpr_count:     118
    .vgpr_spill_count: 0
    .wavefront_size: 64
  - .agpr_count:     0
    .args:
      - .offset:         0
        .size:           4
        .value_kind:     by_value
      - .offset:         4
        .size:           4
        .value_kind:     by_value
      - .offset:         8
        .size:           4
        .value_kind:     by_value
      - .offset:         12
        .size:           4
        .value_kind:     by_value
      - .address_space:  global
        .offset:         16
        .size:           8
        .value_kind:     global_buffer
      - .offset:         24
        .size:           4
        .value_kind:     by_value
      - .offset:         32
        .size:           8
        .value_kind:     by_value
      - .address_space:  global
        .offset:         40
        .size:           8
        .value_kind:     global_buffer
      - .offset:         48
        .size:           4
        .value_kind:     by_value
      - .offset:         56
        .size:           8
        .value_kind:     by_value
      - .offset:         64
        .size:           4
        .value_kind:     by_value
      - .address_space:  global
        .offset:         72
        .size:           8
        .value_kind:     global_buffer
      - .offset:         80
        .size:           4
        .value_kind:     by_value
      - .offset:         88
        .size:           8
        .value_kind:     by_value
      - .address_space:  global
        .offset:         96
        .size:           8
        .value_kind:     global_buffer
      - .offset:         104
        .size:           4
        .value_kind:     by_value
      - .offset:         112
        .size:           8
        .value_kind:     by_value
      - .offset:         120
        .size:           4
        .value_kind:     by_value
      - .offset:         124
        .size:           4
        .value_kind:     by_value
    .group_segment_fixed_size: 6144
    .kernarg_segment_align: 8
    .kernarg_segment_size: 128
    .language:       OpenCL C
    .language_version:
      - 2
      - 0
    .max_flat_workgroup_size: 256
    .name:           _ZN12_GLOBAL__N_120geam_min_plus_kernelIf15HIP_vector_typeIfLj2EES2_Li8ELi32ELi64ELi128ELi4ELi4ELi64ELi4ELi64ELc84ELc78ELb0ELb1ELb0EfKffEEviiiT16_PT17_ilS6_ilS4_S6_ilPT18_ili26rocblas_geam_ex_operation_
    .private_segment_fixed_size: 0
    .sgpr_count:     42
    .sgpr_spill_count: 0
    .symbol:         _ZN12_GLOBAL__N_120geam_min_plus_kernelIf15HIP_vector_typeIfLj2EES2_Li8ELi32ELi64ELi128ELi4ELi4ELi64ELi4ELi64ELc84ELc78ELb0ELb1ELb0EfKffEEviiiT16_PT17_ilS6_ilS4_S6_ilPT18_ili26rocblas_geam_ex_operation_.kd
    .uniform_work_group_size: 1
    .uses_dynamic_stack: false
    .vgpr_count:     112
    .vgpr_spill_count: 0
    .wavefront_size: 64
  - .agpr_count:     0
    .args:
      - .offset:         0
        .size:           4
        .value_kind:     by_value
      - .offset:         4
        .size:           4
        .value_kind:     by_value
      - .offset:         8
        .size:           4
        .value_kind:     by_value
      - .address_space:  global
        .offset:         16
        .size:           8
        .value_kind:     global_buffer
      - .address_space:  global
        .offset:         24
        .size:           8
        .value_kind:     global_buffer
      - .offset:         32
        .size:           4
        .value_kind:     by_value
      - .offset:         40
        .size:           8
        .value_kind:     by_value
      - .address_space:  global
        .offset:         48
        .size:           8
        .value_kind:     global_buffer
      - .offset:         56
        .size:           4
        .value_kind:     by_value
      - .offset:         64
        .size:           8
        .value_kind:     by_value
      - .address_space:  global
        .offset:         72
        .size:           8
        .value_kind:     global_buffer
      - .address_space:  global
        .offset:         80
        .size:           8
        .value_kind:     global_buffer
      - .offset:         88
        .size:           4
        .value_kind:     by_value
      - .offset:         96
        .size:           8
        .value_kind:     by_value
      - .address_space:  global
        .offset:         104
        .size:           8
        .value_kind:     global_buffer
      - .offset:         112
        .size:           4
        .value_kind:     by_value
      - .offset:         120
        .size:           8
        .value_kind:     by_value
      - .offset:         128
        .size:           4
        .value_kind:     by_value
      - .offset:         132
        .size:           4
        .value_kind:     by_value
    .group_segment_fixed_size: 6144
    .kernarg_segment_align: 8
    .kernarg_segment_size: 136
    .language:       OpenCL C
    .language_version:
      - 2
      - 0
    .max_flat_workgroup_size: 256
    .name:           _ZN12_GLOBAL__N_120geam_min_plus_kernelIf15HIP_vector_typeIfLj2EES2_Li8ELi32ELi64ELi128ELi4ELi64ELi4ELi64ELi4ELc78ELc84ELb0ELb0ELb0EPKfS3_fEEviiiT16_PT17_ilS7_ilS5_S7_ilPT18_ili26rocblas_geam_ex_operation_
    .private_segment_fixed_size: 0
    .sgpr_count:     35
    .sgpr_spill_count: 0
    .symbol:         _ZN12_GLOBAL__N_120geam_min_plus_kernelIf15HIP_vector_typeIfLj2EES2_Li8ELi32ELi64ELi128ELi4ELi64ELi4ELi64ELi4ELc78ELc84ELb0ELb0ELb0EPKfS3_fEEviiiT16_PT17_ilS7_ilS5_S7_ilPT18_ili26rocblas_geam_ex_operation_.kd
    .uniform_work_group_size: 1
    .uses_dynamic_stack: false
    .vgpr_count:     109
    .vgpr_spill_count: 0
    .wavefront_size: 64
  - .agpr_count:     0
    .args:
      - .offset:         0
        .size:           4
        .value_kind:     by_value
      - .offset:         4
        .size:           4
        .value_kind:     by_value
      - .offset:         8
        .size:           4
        .value_kind:     by_value
      - .offset:         12
        .size:           4
        .value_kind:     by_value
      - .address_space:  global
        .offset:         16
        .size:           8
        .value_kind:     global_buffer
      - .offset:         24
        .size:           4
        .value_kind:     by_value
      - .offset:         32
        .size:           8
        .value_kind:     by_value
      - .address_space:  global
        .offset:         40
        .size:           8
        .value_kind:     global_buffer
      - .offset:         48
        .size:           4
        .value_kind:     by_value
      - .offset:         56
        .size:           8
        .value_kind:     by_value
      - .offset:         64
        .size:           4
        .value_kind:     by_value
      - .address_space:  global
        .offset:         72
        .size:           8
        .value_kind:     global_buffer
      - .offset:         80
        .size:           4
        .value_kind:     by_value
      - .offset:         88
        .size:           8
        .value_kind:     by_value
      - .address_space:  global
        .offset:         96
        .size:           8
        .value_kind:     global_buffer
      - .offset:         104
        .size:           4
        .value_kind:     by_value
      - .offset:         112
        .size:           8
        .value_kind:     by_value
      - .offset:         120
        .size:           4
        .value_kind:     by_value
      - .offset:         124
        .size:           4
        .value_kind:     by_value
    .group_segment_fixed_size: 6144
    .kernarg_segment_align: 8
    .kernarg_segment_size: 128
    .language:       OpenCL C
    .language_version:
      - 2
      - 0
    .max_flat_workgroup_size: 256
    .name:           _ZN12_GLOBAL__N_120geam_min_plus_kernelIf15HIP_vector_typeIfLj2EES2_Li8ELi32ELi64ELi128ELi4ELi64ELi4ELi64ELi4ELc78ELc84ELb1ELb0ELb0EfKffEEviiiT16_PT17_ilS6_ilS4_S6_ilPT18_ili26rocblas_geam_ex_operation_
    .private_segment_fixed_size: 0
    .sgpr_count:     32
    .sgpr_spill_count: 0
    .symbol:         _ZN12_GLOBAL__N_120geam_min_plus_kernelIf15HIP_vector_typeIfLj2EES2_Li8ELi32ELi64ELi128ELi4ELi64ELi4ELi64ELi4ELc78ELc84ELb1ELb0ELb0EfKffEEviiiT16_PT17_ilS6_ilS4_S6_ilPT18_ili26rocblas_geam_ex_operation_.kd
    .uniform_work_group_size: 1
    .uses_dynamic_stack: false
    .vgpr_count:     109
    .vgpr_spill_count: 0
    .wavefront_size: 64
  - .agpr_count:     0
    .args:
      - .offset:         0
        .size:           4
        .value_kind:     by_value
      - .offset:         4
        .size:           4
        .value_kind:     by_value
      - .offset:         8
        .size:           4
        .value_kind:     by_value
      - .offset:         12
        .size:           4
        .value_kind:     by_value
      - .address_space:  global
        .offset:         16
        .size:           8
        .value_kind:     global_buffer
      - .offset:         24
        .size:           4
        .value_kind:     by_value
      - .offset:         32
        .size:           8
        .value_kind:     by_value
      - .address_space:  global
        .offset:         40
        .size:           8
        .value_kind:     global_buffer
      - .offset:         48
        .size:           4
        .value_kind:     by_value
      - .offset:         56
        .size:           8
        .value_kind:     by_value
      - .offset:         64
        .size:           4
        .value_kind:     by_value
      - .address_space:  global
        .offset:         72
        .size:           8
        .value_kind:     global_buffer
      - .offset:         80
        .size:           4
        .value_kind:     by_value
      - .offset:         88
        .size:           8
        .value_kind:     by_value
      - .address_space:  global
        .offset:         96
        .size:           8
        .value_kind:     global_buffer
      - .offset:         104
        .size:           4
        .value_kind:     by_value
      - .offset:         112
        .size:           8
        .value_kind:     by_value
      - .offset:         120
        .size:           4
        .value_kind:     by_value
      - .offset:         124
        .size:           4
        .value_kind:     by_value
    .group_segment_fixed_size: 6144
    .kernarg_segment_align: 8
    .kernarg_segment_size: 128
    .language:       OpenCL C
    .language_version:
      - 2
      - 0
    .max_flat_workgroup_size: 256
    .name:           _ZN12_GLOBAL__N_120geam_min_plus_kernelIf15HIP_vector_typeIfLj2EES2_Li8ELi32ELi64ELi128ELi4ELi64ELi4ELi64ELi4ELc78ELc84ELb0ELb0ELb0EfKffEEviiiT16_PT17_ilS6_ilS4_S6_ilPT18_ili26rocblas_geam_ex_operation_
    .private_segment_fixed_size: 0
    .sgpr_count:     36
    .sgpr_spill_count: 0
    .symbol:         _ZN12_GLOBAL__N_120geam_min_plus_kernelIf15HIP_vector_typeIfLj2EES2_Li8ELi32ELi64ELi128ELi4ELi64ELi4ELi64ELi4ELc78ELc84ELb0ELb0ELb0EfKffEEviiiT16_PT17_ilS6_ilS4_S6_ilPT18_ili26rocblas_geam_ex_operation_.kd
    .uniform_work_group_size: 1
    .uses_dynamic_stack: false
    .vgpr_count:     109
    .vgpr_spill_count: 0
    .wavefront_size: 64
  - .agpr_count:     0
    .args:
      - .offset:         0
        .size:           4
        .value_kind:     by_value
      - .offset:         4
        .size:           4
        .value_kind:     by_value
      - .offset:         8
        .size:           4
        .value_kind:     by_value
      - .address_space:  global
        .offset:         16
        .size:           8
        .value_kind:     global_buffer
      - .address_space:  global
        .offset:         24
        .size:           8
        .value_kind:     global_buffer
      - .offset:         32
        .size:           4
        .value_kind:     by_value
      - .offset:         40
        .size:           8
        .value_kind:     by_value
      - .address_space:  global
        .offset:         48
        .size:           8
        .value_kind:     global_buffer
      - .offset:         56
        .size:           4
        .value_kind:     by_value
      - .offset:         64
        .size:           8
        .value_kind:     by_value
      - .address_space:  global
        .offset:         72
        .size:           8
        .value_kind:     global_buffer
      - .address_space:  global
        .offset:         80
        .size:           8
        .value_kind:     global_buffer
      - .offset:         88
        .size:           4
        .value_kind:     by_value
      - .offset:         96
        .size:           8
        .value_kind:     by_value
      - .address_space:  global
        .offset:         104
        .size:           8
        .value_kind:     global_buffer
      - .offset:         112
        .size:           4
        .value_kind:     by_value
      - .offset:         120
        .size:           8
        .value_kind:     by_value
      - .offset:         128
        .size:           4
        .value_kind:     by_value
      - .offset:         132
        .size:           4
        .value_kind:     by_value
    .group_segment_fixed_size: 6144
    .kernarg_segment_align: 8
    .kernarg_segment_size: 136
    .language:       OpenCL C
    .language_version:
      - 2
      - 0
    .max_flat_workgroup_size: 256
    .name:           _ZN12_GLOBAL__N_120geam_min_plus_kernelIf15HIP_vector_typeIfLj2EES2_Li8ELi32ELi64ELi128ELi4ELi64ELi4ELi64ELi4ELc78ELc84ELb0ELb1ELb0EPKfS3_fEEviiiT16_PT17_ilS7_ilS5_S7_ilPT18_ili26rocblas_geam_ex_operation_
    .private_segment_fixed_size: 0
    .sgpr_count:     46
    .sgpr_spill_count: 0
    .symbol:         _ZN12_GLOBAL__N_120geam_min_plus_kernelIf15HIP_vector_typeIfLj2EES2_Li8ELi32ELi64ELi128ELi4ELi64ELi4ELi64ELi4ELc78ELc84ELb0ELb1ELb0EPKfS3_fEEviiiT16_PT17_ilS7_ilS5_S7_ilPT18_ili26rocblas_geam_ex_operation_.kd
    .uniform_work_group_size: 1
    .uses_dynamic_stack: false
    .vgpr_count:     108
    .vgpr_spill_count: 0
    .wavefront_size: 64
  - .agpr_count:     0
    .args:
      - .offset:         0
        .size:           4
        .value_kind:     by_value
      - .offset:         4
        .size:           4
        .value_kind:     by_value
      - .offset:         8
        .size:           4
        .value_kind:     by_value
      - .offset:         12
        .size:           4
        .value_kind:     by_value
      - .address_space:  global
        .offset:         16
        .size:           8
        .value_kind:     global_buffer
      - .offset:         24
        .size:           4
        .value_kind:     by_value
      - .offset:         32
        .size:           8
        .value_kind:     by_value
      - .address_space:  global
        .offset:         40
        .size:           8
        .value_kind:     global_buffer
      - .offset:         48
        .size:           4
        .value_kind:     by_value
      - .offset:         56
        .size:           8
        .value_kind:     by_value
      - .offset:         64
        .size:           4
        .value_kind:     by_value
      - .address_space:  global
        .offset:         72
        .size:           8
        .value_kind:     global_buffer
      - .offset:         80
        .size:           4
        .value_kind:     by_value
      - .offset:         88
        .size:           8
        .value_kind:     by_value
      - .address_space:  global
        .offset:         96
        .size:           8
        .value_kind:     global_buffer
      - .offset:         104
        .size:           4
        .value_kind:     by_value
      - .offset:         112
        .size:           8
        .value_kind:     by_value
      - .offset:         120
        .size:           4
        .value_kind:     by_value
      - .offset:         124
        .size:           4
        .value_kind:     by_value
    .group_segment_fixed_size: 6144
    .kernarg_segment_align: 8
    .kernarg_segment_size: 128
    .language:       OpenCL C
    .language_version:
      - 2
      - 0
    .max_flat_workgroup_size: 256
    .name:           _ZN12_GLOBAL__N_120geam_min_plus_kernelIf15HIP_vector_typeIfLj2EES2_Li8ELi32ELi64ELi128ELi4ELi64ELi4ELi64ELi4ELc78ELc84ELb1ELb1ELb0EfKffEEviiiT16_PT17_ilS6_ilS4_S6_ilPT18_ili26rocblas_geam_ex_operation_
    .private_segment_fixed_size: 0
    .sgpr_count:     42
    .sgpr_spill_count: 0
    .symbol:         _ZN12_GLOBAL__N_120geam_min_plus_kernelIf15HIP_vector_typeIfLj2EES2_Li8ELi32ELi64ELi128ELi4ELi64ELi4ELi64ELi4ELc78ELc84ELb1ELb1ELb0EfKffEEviiiT16_PT17_ilS6_ilS4_S6_ilPT18_ili26rocblas_geam_ex_operation_.kd
    .uniform_work_group_size: 1
    .uses_dynamic_stack: false
    .vgpr_count:     108
    .vgpr_spill_count: 0
    .wavefront_size: 64
  - .agpr_count:     0
    .args:
      - .offset:         0
        .size:           4
        .value_kind:     by_value
      - .offset:         4
        .size:           4
        .value_kind:     by_value
      - .offset:         8
        .size:           4
        .value_kind:     by_value
      - .offset:         12
        .size:           4
        .value_kind:     by_value
      - .address_space:  global
        .offset:         16
        .size:           8
        .value_kind:     global_buffer
      - .offset:         24
        .size:           4
        .value_kind:     by_value
      - .offset:         32
        .size:           8
        .value_kind:     by_value
      - .address_space:  global
        .offset:         40
        .size:           8
        .value_kind:     global_buffer
      - .offset:         48
        .size:           4
        .value_kind:     by_value
      - .offset:         56
        .size:           8
        .value_kind:     by_value
      - .offset:         64
        .size:           4
        .value_kind:     by_value
      - .address_space:  global
        .offset:         72
        .size:           8
        .value_kind:     global_buffer
      - .offset:         80
        .size:           4
        .value_kind:     by_value
      - .offset:         88
        .size:           8
        .value_kind:     by_value
      - .address_space:  global
        .offset:         96
        .size:           8
        .value_kind:     global_buffer
      - .offset:         104
        .size:           4
        .value_kind:     by_value
      - .offset:         112
        .size:           8
        .value_kind:     by_value
      - .offset:         120
        .size:           4
        .value_kind:     by_value
      - .offset:         124
        .size:           4
        .value_kind:     by_value
    .group_segment_fixed_size: 6144
    .kernarg_segment_align: 8
    .kernarg_segment_size: 128
    .language:       OpenCL C
    .language_version:
      - 2
      - 0
    .max_flat_workgroup_size: 256
    .name:           _ZN12_GLOBAL__N_120geam_min_plus_kernelIf15HIP_vector_typeIfLj2EES2_Li8ELi32ELi64ELi128ELi4ELi64ELi4ELi64ELi4ELc78ELc84ELb0ELb1ELb0EfKffEEviiiT16_PT17_ilS6_ilS4_S6_ilPT18_ili26rocblas_geam_ex_operation_
    .private_segment_fixed_size: 0
    .sgpr_count:     46
    .sgpr_spill_count: 0
    .symbol:         _ZN12_GLOBAL__N_120geam_min_plus_kernelIf15HIP_vector_typeIfLj2EES2_Li8ELi32ELi64ELi128ELi4ELi64ELi4ELi64ELi4ELc78ELc84ELb0ELb1ELb0EfKffEEviiiT16_PT17_ilS6_ilS4_S6_ilPT18_ili26rocblas_geam_ex_operation_.kd
    .uniform_work_group_size: 1
    .uses_dynamic_stack: false
    .vgpr_count:     108
    .vgpr_spill_count: 0
    .wavefront_size: 64
  - .agpr_count:     0
    .args:
      - .offset:         0
        .size:           4
        .value_kind:     by_value
      - .offset:         4
        .size:           4
        .value_kind:     by_value
      - .offset:         8
        .size:           4
        .value_kind:     by_value
      - .address_space:  global
        .offset:         16
        .size:           8
        .value_kind:     global_buffer
      - .address_space:  global
        .offset:         24
        .size:           8
        .value_kind:     global_buffer
      - .offset:         32
        .size:           4
        .value_kind:     by_value
      - .offset:         40
        .size:           8
        .value_kind:     by_value
      - .address_space:  global
        .offset:         48
        .size:           8
        .value_kind:     global_buffer
      - .offset:         56
        .size:           4
        .value_kind:     by_value
      - .offset:         64
        .size:           8
        .value_kind:     by_value
      - .address_space:  global
        .offset:         72
        .size:           8
        .value_kind:     global_buffer
      - .address_space:  global
        .offset:         80
        .size:           8
        .value_kind:     global_buffer
      - .offset:         88
        .size:           4
        .value_kind:     by_value
      - .offset:         96
        .size:           8
        .value_kind:     by_value
      - .address_space:  global
        .offset:         104
        .size:           8
        .value_kind:     global_buffer
      - .offset:         112
        .size:           4
        .value_kind:     by_value
      - .offset:         120
        .size:           8
        .value_kind:     by_value
      - .offset:         128
        .size:           4
        .value_kind:     by_value
      - .offset:         132
        .size:           4
        .value_kind:     by_value
    .group_segment_fixed_size: 6144
    .kernarg_segment_align: 8
    .kernarg_segment_size: 136
    .language:       OpenCL C
    .language_version:
      - 2
      - 0
    .max_flat_workgroup_size: 256
    .name:           _ZN12_GLOBAL__N_120geam_min_plus_kernelIf15HIP_vector_typeIfLj2EES2_Li8ELi32ELi64ELi128ELi4ELi4ELi64ELi64ELi4ELc84ELc84ELb0ELb0ELb0EPKfS3_fEEviiiT16_PT17_ilS7_ilS5_S7_ilPT18_ili26rocblas_geam_ex_operation_
    .private_segment_fixed_size: 0
    .sgpr_count:     34
    .sgpr_spill_count: 0
    .symbol:         _ZN12_GLOBAL__N_120geam_min_plus_kernelIf15HIP_vector_typeIfLj2EES2_Li8ELi32ELi64ELi128ELi4ELi4ELi64ELi64ELi4ELc84ELc84ELb0ELb0ELb0EPKfS3_fEEviiiT16_PT17_ilS7_ilS5_S7_ilPT18_ili26rocblas_geam_ex_operation_.kd
    .uniform_work_group_size: 1
    .uses_dynamic_stack: false
    .vgpr_count:     112
    .vgpr_spill_count: 0
    .wavefront_size: 64
  - .agpr_count:     0
    .args:
      - .offset:         0
        .size:           4
        .value_kind:     by_value
      - .offset:         4
        .size:           4
        .value_kind:     by_value
      - .offset:         8
        .size:           4
        .value_kind:     by_value
      - .offset:         12
        .size:           4
        .value_kind:     by_value
      - .address_space:  global
        .offset:         16
        .size:           8
        .value_kind:     global_buffer
      - .offset:         24
        .size:           4
        .value_kind:     by_value
      - .offset:         32
        .size:           8
        .value_kind:     by_value
      - .address_space:  global
        .offset:         40
        .size:           8
        .value_kind:     global_buffer
      - .offset:         48
        .size:           4
        .value_kind:     by_value
      - .offset:         56
        .size:           8
        .value_kind:     by_value
      - .offset:         64
        .size:           4
        .value_kind:     by_value
      - .address_space:  global
        .offset:         72
        .size:           8
        .value_kind:     global_buffer
      - .offset:         80
        .size:           4
        .value_kind:     by_value
      - .offset:         88
        .size:           8
        .value_kind:     by_value
      - .address_space:  global
        .offset:         96
        .size:           8
        .value_kind:     global_buffer
      - .offset:         104
        .size:           4
        .value_kind:     by_value
      - .offset:         112
        .size:           8
        .value_kind:     by_value
      - .offset:         120
        .size:           4
        .value_kind:     by_value
      - .offset:         124
        .size:           4
        .value_kind:     by_value
    .group_segment_fixed_size: 6144
    .kernarg_segment_align: 8
    .kernarg_segment_size: 128
    .language:       OpenCL C
    .language_version:
      - 2
      - 0
    .max_flat_workgroup_size: 256
    .name:           _ZN12_GLOBAL__N_120geam_min_plus_kernelIf15HIP_vector_typeIfLj2EES2_Li8ELi32ELi64ELi128ELi4ELi4ELi64ELi64ELi4ELc84ELc84ELb1ELb0ELb0EfKffEEviiiT16_PT17_ilS6_ilS4_S6_ilPT18_ili26rocblas_geam_ex_operation_
    .private_segment_fixed_size: 0
    .sgpr_count:     31
    .sgpr_spill_count: 0
    .symbol:         _ZN12_GLOBAL__N_120geam_min_plus_kernelIf15HIP_vector_typeIfLj2EES2_Li8ELi32ELi64ELi128ELi4ELi4ELi64ELi64ELi4ELc84ELc84ELb1ELb0ELb0EfKffEEviiiT16_PT17_ilS6_ilS4_S6_ilPT18_ili26rocblas_geam_ex_operation_.kd
    .uniform_work_group_size: 1
    .uses_dynamic_stack: false
    .vgpr_count:     113
    .vgpr_spill_count: 0
    .wavefront_size: 64
  - .agpr_count:     0
    .args:
      - .offset:         0
        .size:           4
        .value_kind:     by_value
      - .offset:         4
        .size:           4
        .value_kind:     by_value
      - .offset:         8
        .size:           4
        .value_kind:     by_value
      - .offset:         12
        .size:           4
        .value_kind:     by_value
      - .address_space:  global
        .offset:         16
        .size:           8
        .value_kind:     global_buffer
      - .offset:         24
        .size:           4
        .value_kind:     by_value
      - .offset:         32
        .size:           8
        .value_kind:     by_value
      - .address_space:  global
        .offset:         40
        .size:           8
        .value_kind:     global_buffer
      - .offset:         48
        .size:           4
        .value_kind:     by_value
      - .offset:         56
        .size:           8
        .value_kind:     by_value
      - .offset:         64
        .size:           4
        .value_kind:     by_value
      - .address_space:  global
        .offset:         72
        .size:           8
        .value_kind:     global_buffer
      - .offset:         80
        .size:           4
        .value_kind:     by_value
      - .offset:         88
        .size:           8
        .value_kind:     by_value
      - .address_space:  global
        .offset:         96
        .size:           8
        .value_kind:     global_buffer
      - .offset:         104
        .size:           4
        .value_kind:     by_value
      - .offset:         112
        .size:           8
        .value_kind:     by_value
      - .offset:         120
        .size:           4
        .value_kind:     by_value
      - .offset:         124
        .size:           4
        .value_kind:     by_value
    .group_segment_fixed_size: 6144
    .kernarg_segment_align: 8
    .kernarg_segment_size: 128
    .language:       OpenCL C
    .language_version:
      - 2
      - 0
    .max_flat_workgroup_size: 256
    .name:           _ZN12_GLOBAL__N_120geam_min_plus_kernelIf15HIP_vector_typeIfLj2EES2_Li8ELi32ELi64ELi128ELi4ELi4ELi64ELi64ELi4ELc84ELc84ELb0ELb0ELb0EfKffEEviiiT16_PT17_ilS6_ilS4_S6_ilPT18_ili26rocblas_geam_ex_operation_
    .private_segment_fixed_size: 0
    .sgpr_count:     35
    .sgpr_spill_count: 0
    .symbol:         _ZN12_GLOBAL__N_120geam_min_plus_kernelIf15HIP_vector_typeIfLj2EES2_Li8ELi32ELi64ELi128ELi4ELi4ELi64ELi64ELi4ELc84ELc84ELb0ELb0ELb0EfKffEEviiiT16_PT17_ilS6_ilS4_S6_ilPT18_ili26rocblas_geam_ex_operation_.kd
    .uniform_work_group_size: 1
    .uses_dynamic_stack: false
    .vgpr_count:     112
    .vgpr_spill_count: 0
    .wavefront_size: 64
  - .agpr_count:     0
    .args:
      - .offset:         0
        .size:           4
        .value_kind:     by_value
      - .offset:         4
        .size:           4
        .value_kind:     by_value
      - .offset:         8
        .size:           4
        .value_kind:     by_value
      - .address_space:  global
        .offset:         16
        .size:           8
        .value_kind:     global_buffer
      - .address_space:  global
        .offset:         24
        .size:           8
        .value_kind:     global_buffer
      - .offset:         32
        .size:           4
        .value_kind:     by_value
      - .offset:         40
        .size:           8
        .value_kind:     by_value
      - .address_space:  global
        .offset:         48
        .size:           8
        .value_kind:     global_buffer
      - .offset:         56
        .size:           4
        .value_kind:     by_value
      - .offset:         64
        .size:           8
        .value_kind:     by_value
      - .address_space:  global
        .offset:         72
        .size:           8
        .value_kind:     global_buffer
      - .address_space:  global
        .offset:         80
        .size:           8
        .value_kind:     global_buffer
      - .offset:         88
        .size:           4
        .value_kind:     by_value
      - .offset:         96
        .size:           8
        .value_kind:     by_value
      - .address_space:  global
        .offset:         104
        .size:           8
        .value_kind:     global_buffer
      - .offset:         112
        .size:           4
        .value_kind:     by_value
      - .offset:         120
        .size:           8
        .value_kind:     by_value
      - .offset:         128
        .size:           4
        .value_kind:     by_value
      - .offset:         132
        .size:           4
        .value_kind:     by_value
    .group_segment_fixed_size: 6144
    .kernarg_segment_align: 8
    .kernarg_segment_size: 136
    .language:       OpenCL C
    .language_version:
      - 2
      - 0
    .max_flat_workgroup_size: 256
    .name:           _ZN12_GLOBAL__N_120geam_min_plus_kernelIf15HIP_vector_typeIfLj2EES2_Li8ELi32ELi64ELi128ELi4ELi4ELi64ELi64ELi4ELc84ELc84ELb0ELb1ELb0EPKfS3_fEEviiiT16_PT17_ilS7_ilS5_S7_ilPT18_ili26rocblas_geam_ex_operation_
    .private_segment_fixed_size: 0
    .sgpr_count:     46
    .sgpr_spill_count: 0
    .symbol:         _ZN12_GLOBAL__N_120geam_min_plus_kernelIf15HIP_vector_typeIfLj2EES2_Li8ELi32ELi64ELi128ELi4ELi4ELi64ELi64ELi4ELc84ELc84ELb0ELb1ELb0EPKfS3_fEEviiiT16_PT17_ilS7_ilS5_S7_ilPT18_ili26rocblas_geam_ex_operation_.kd
    .uniform_work_group_size: 1
    .uses_dynamic_stack: false
    .vgpr_count:     111
    .vgpr_spill_count: 0
    .wavefront_size: 64
  - .agpr_count:     0
    .args:
      - .offset:         0
        .size:           4
        .value_kind:     by_value
      - .offset:         4
        .size:           4
        .value_kind:     by_value
      - .offset:         8
        .size:           4
        .value_kind:     by_value
      - .offset:         12
        .size:           4
        .value_kind:     by_value
      - .address_space:  global
        .offset:         16
        .size:           8
        .value_kind:     global_buffer
      - .offset:         24
        .size:           4
        .value_kind:     by_value
      - .offset:         32
        .size:           8
        .value_kind:     by_value
      - .address_space:  global
        .offset:         40
        .size:           8
        .value_kind:     global_buffer
      - .offset:         48
        .size:           4
        .value_kind:     by_value
      - .offset:         56
        .size:           8
        .value_kind:     by_value
      - .offset:         64
        .size:           4
        .value_kind:     by_value
      - .address_space:  global
        .offset:         72
        .size:           8
        .value_kind:     global_buffer
      - .offset:         80
        .size:           4
        .value_kind:     by_value
      - .offset:         88
        .size:           8
        .value_kind:     by_value
      - .address_space:  global
        .offset:         96
        .size:           8
        .value_kind:     global_buffer
      - .offset:         104
        .size:           4
        .value_kind:     by_value
      - .offset:         112
        .size:           8
        .value_kind:     by_value
      - .offset:         120
        .size:           4
        .value_kind:     by_value
      - .offset:         124
        .size:           4
        .value_kind:     by_value
    .group_segment_fixed_size: 6144
    .kernarg_segment_align: 8
    .kernarg_segment_size: 128
    .language:       OpenCL C
    .language_version:
      - 2
      - 0
    .max_flat_workgroup_size: 256
    .name:           _ZN12_GLOBAL__N_120geam_min_plus_kernelIf15HIP_vector_typeIfLj2EES2_Li8ELi32ELi64ELi128ELi4ELi4ELi64ELi64ELi4ELc84ELc84ELb1ELb1ELb0EfKffEEviiiT16_PT17_ilS6_ilS4_S6_ilPT18_ili26rocblas_geam_ex_operation_
    .private_segment_fixed_size: 0
    .sgpr_count:     42
    .sgpr_spill_count: 0
    .symbol:         _ZN12_GLOBAL__N_120geam_min_plus_kernelIf15HIP_vector_typeIfLj2EES2_Li8ELi32ELi64ELi128ELi4ELi4ELi64ELi64ELi4ELc84ELc84ELb1ELb1ELb0EfKffEEviiiT16_PT17_ilS6_ilS4_S6_ilPT18_ili26rocblas_geam_ex_operation_.kd
    .uniform_work_group_size: 1
    .uses_dynamic_stack: false
    .vgpr_count:     111
    .vgpr_spill_count: 0
    .wavefront_size: 64
  - .agpr_count:     0
    .args:
      - .offset:         0
        .size:           4
        .value_kind:     by_value
      - .offset:         4
        .size:           4
        .value_kind:     by_value
      - .offset:         8
        .size:           4
        .value_kind:     by_value
      - .offset:         12
        .size:           4
        .value_kind:     by_value
      - .address_space:  global
        .offset:         16
        .size:           8
        .value_kind:     global_buffer
      - .offset:         24
        .size:           4
        .value_kind:     by_value
      - .offset:         32
        .size:           8
        .value_kind:     by_value
      - .address_space:  global
        .offset:         40
        .size:           8
        .value_kind:     global_buffer
      - .offset:         48
        .size:           4
        .value_kind:     by_value
      - .offset:         56
        .size:           8
        .value_kind:     by_value
      - .offset:         64
        .size:           4
        .value_kind:     by_value
      - .address_space:  global
        .offset:         72
        .size:           8
        .value_kind:     global_buffer
      - .offset:         80
        .size:           4
        .value_kind:     by_value
      - .offset:         88
        .size:           8
        .value_kind:     by_value
      - .address_space:  global
        .offset:         96
        .size:           8
        .value_kind:     global_buffer
      - .offset:         104
        .size:           4
        .value_kind:     by_value
      - .offset:         112
        .size:           8
        .value_kind:     by_value
      - .offset:         120
        .size:           4
        .value_kind:     by_value
      - .offset:         124
        .size:           4
        .value_kind:     by_value
    .group_segment_fixed_size: 6144
    .kernarg_segment_align: 8
    .kernarg_segment_size: 128
    .language:       OpenCL C
    .language_version:
      - 2
      - 0
    .max_flat_workgroup_size: 256
    .name:           _ZN12_GLOBAL__N_120geam_min_plus_kernelIf15HIP_vector_typeIfLj2EES2_Li8ELi32ELi64ELi128ELi4ELi4ELi64ELi64ELi4ELc84ELc84ELb0ELb1ELb0EfKffEEviiiT16_PT17_ilS6_ilS4_S6_ilPT18_ili26rocblas_geam_ex_operation_
    .private_segment_fixed_size: 0
    .sgpr_count:     44
    .sgpr_spill_count: 0
    .symbol:         _ZN12_GLOBAL__N_120geam_min_plus_kernelIf15HIP_vector_typeIfLj2EES2_Li8ELi32ELi64ELi128ELi4ELi4ELi64ELi64ELi4ELc84ELc84ELb0ELb1ELb0EfKffEEviiiT16_PT17_ilS6_ilS4_S6_ilPT18_ili26rocblas_geam_ex_operation_.kd
    .uniform_work_group_size: 1
    .uses_dynamic_stack: false
    .vgpr_count:     111
    .vgpr_spill_count: 0
    .wavefront_size: 64
  - .agpr_count:     0
    .args:
      - .offset:         0
        .size:           4
        .value_kind:     by_value
      - .offset:         4
        .size:           4
        .value_kind:     by_value
      - .offset:         8
        .size:           8
        .value_kind:     by_value
      - .address_space:  global
        .offset:         16
        .size:           8
        .value_kind:     global_buffer
      - .offset:         24
        .size:           8
        .value_kind:     by_value
      - .offset:         32
        .size:           4
        .value_kind:     by_value
      - .offset:         40
        .size:           8
        .value_kind:     by_value
      - .address_space:  global
        .offset:         48
        .size:           8
        .value_kind:     global_buffer
      - .offset:         56
        .size:           8
        .value_kind:     by_value
      - .offset:         64
        .size:           4
        .value_kind:     by_value
      - .offset:         72
        .size:           8
        .value_kind:     by_value
    .group_segment_fixed_size: 0
    .kernarg_segment_align: 8
    .kernarg_segment_size: 80
    .language:       OpenCL C
    .language_version:
      - 2
      - 0
    .max_flat_workgroup_size: 1024
    .name:           _ZN12_GLOBAL__N_120geam_ex_scale_kernelILi32ELi32EddPKPKdPKPdEEviiT2_T3_lilT4_lil
    .private_segment_fixed_size: 0
    .sgpr_count:     24
    .sgpr_spill_count: 0
    .symbol:         _ZN12_GLOBAL__N_120geam_ex_scale_kernelILi32ELi32EddPKPKdPKPdEEviiT2_T3_lilT4_lil.kd
    .uniform_work_group_size: 1
    .uses_dynamic_stack: false
    .vgpr_count:     10
    .vgpr_spill_count: 0
    .wavefront_size: 64
  - .agpr_count:     0
    .args:
      - .offset:         0
        .size:           4
        .value_kind:     by_value
      - .offset:         4
        .size:           4
        .value_kind:     by_value
      - .address_space:  global
        .offset:         8
        .size:           8
        .value_kind:     global_buffer
      - .address_space:  global
        .offset:         16
        .size:           8
        .value_kind:     global_buffer
      - .offset:         24
        .size:           8
        .value_kind:     by_value
      - .offset:         32
        .size:           4
        .value_kind:     by_value
      - .offset:         40
        .size:           8
        .value_kind:     by_value
      - .address_space:  global
        .offset:         48
        .size:           8
        .value_kind:     global_buffer
      - .offset:         56
        .size:           8
        .value_kind:     by_value
      - .offset:         64
        .size:           4
        .value_kind:     by_value
      - .offset:         72
        .size:           8
        .value_kind:     by_value
    .group_segment_fixed_size: 0
    .kernarg_segment_align: 8
    .kernarg_segment_size: 80
    .language:       OpenCL C
    .language_version:
      - 2
      - 0
    .max_flat_workgroup_size: 1024
    .name:           _ZN12_GLOBAL__N_120geam_ex_scale_kernelILi32ELi32EdPKdPKS2_PKPdEEviiT2_T3_lilT4_lil
    .private_segment_fixed_size: 0
    .sgpr_count:     24
    .sgpr_spill_count: 0
    .symbol:         _ZN12_GLOBAL__N_120geam_ex_scale_kernelILi32ELi32EdPKdPKS2_PKPdEEviiT2_T3_lilT4_lil.kd
    .uniform_work_group_size: 1
    .uses_dynamic_stack: false
    .vgpr_count:     10
    .vgpr_spill_count: 0
    .wavefront_size: 64
  - .agpr_count:     0
    .args:
      - .offset:         0
        .size:           4
        .value_kind:     by_value
      - .offset:         4
        .size:           4
        .value_kind:     by_value
      - .offset:         8
        .size:           8
        .value_kind:     by_value
      - .address_space:  global
        .offset:         16
        .size:           8
        .value_kind:     global_buffer
      - .offset:         24
        .size:           8
        .value_kind:     by_value
      - .offset:         32
        .size:           4
        .value_kind:     by_value
      - .offset:         40
        .size:           8
        .value_kind:     by_value
      - .address_space:  global
        .offset:         48
        .size:           8
        .value_kind:     global_buffer
      - .offset:         56
        .size:           8
        .value_kind:     by_value
      - .offset:         64
        .size:           4
        .value_kind:     by_value
      - .offset:         72
        .size:           8
        .value_kind:     by_value
    .group_segment_fixed_size: 0
    .kernarg_segment_align: 8
    .kernarg_segment_size: 80
    .language:       OpenCL C
    .language_version:
      - 2
      - 0
    .max_flat_workgroup_size: 1024
    .name:           _ZN12_GLOBAL__N_120geam_ex_round_kernelILi32ELi32EddPKPKdPKPdEEviiT2_T3_lilT4_lil
    .private_segment_fixed_size: 0
    .sgpr_count:     24
    .sgpr_spill_count: 0
    .symbol:         _ZN12_GLOBAL__N_120geam_ex_round_kernelILi32ELi32EddPKPKdPKPdEEviiT2_T3_lilT4_lil.kd
    .uniform_work_group_size: 1
    .uses_dynamic_stack: false
    .vgpr_count:     10
    .vgpr_spill_count: 0
    .wavefront_size: 64
  - .agpr_count:     0
    .args:
      - .offset:         0
        .size:           4
        .value_kind:     by_value
      - .offset:         4
        .size:           4
        .value_kind:     by_value
      - .offset:         8
        .size:           4
        .value_kind:     by_value
      - .address_space:  global
        .offset:         16
        .size:           8
        .value_kind:     global_buffer
      - .address_space:  global
        .offset:         24
        .size:           8
        .value_kind:     global_buffer
      - .offset:         32
        .size:           4
        .value_kind:     by_value
      - .offset:         40
        .size:           8
        .value_kind:     by_value
      - .address_space:  global
        .offset:         48
        .size:           8
        .value_kind:     global_buffer
      - .offset:         56
        .size:           4
        .value_kind:     by_value
      - .offset:         64
        .size:           8
        .value_kind:     by_value
      - .address_space:  global
        .offset:         72
        .size:           8
        .value_kind:     global_buffer
      - .address_space:  global
        .offset:         80
        .size:           8
        .value_kind:     global_buffer
      - .offset:         88
        .size:           4
        .value_kind:     by_value
      - .offset:         96
        .size:           8
        .value_kind:     by_value
      - .address_space:  global
        .offset:         104
        .size:           8
        .value_kind:     global_buffer
      - .offset:         112
        .size:           4
        .value_kind:     by_value
      - .offset:         120
        .size:           8
        .value_kind:     by_value
      - .offset:         128
        .size:           4
        .value_kind:     by_value
      - .offset:         132
        .size:           4
        .value_kind:     by_value
    .group_segment_fixed_size: 20480
    .kernarg_segment_align: 8
    .kernarg_segment_size: 136
    .language:       OpenCL C
    .language_version:
      - 2
      - 0
    .max_flat_workgroup_size: 256
    .name:           _ZN12_GLOBAL__N_120geam_min_plus_kernelId15HIP_vector_typeIdLj2EEdLi32ELi8ELi256ELi64ELi4ELi64ELi4ELi4ELi64ELc78ELc78ELb0ELb0ELb1EPKdKS4_KPdEEviiiT16_PT17_ilSA_ilS8_SA_ilPT18_ili26rocblas_geam_ex_operation_
    .private_segment_fixed_size: 0
    .sgpr_count:     36
    .sgpr_spill_count: 0
    .symbol:         _ZN12_GLOBAL__N_120geam_min_plus_kernelId15HIP_vector_typeIdLj2EEdLi32ELi8ELi256ELi64ELi4ELi64ELi4ELi4ELi64ELc78ELc78ELb0ELb0ELb1EPKdKS4_KPdEEviiiT16_PT17_ilSA_ilS8_SA_ilPT18_ili26rocblas_geam_ex_operation_.kd
    .uniform_work_group_size: 1
    .uses_dynamic_stack: false
    .vgpr_count:     230
    .vgpr_spill_count: 0
    .wavefront_size: 64
  - .agpr_count:     0
    .args:
      - .offset:         0
        .size:           4
        .value_kind:     by_value
      - .offset:         4
        .size:           4
        .value_kind:     by_value
      - .offset:         8
        .size:           4
        .value_kind:     by_value
      - .offset:         16
        .size:           8
        .value_kind:     by_value
      - .address_space:  global
        .offset:         24
        .size:           8
        .value_kind:     global_buffer
      - .offset:         32
        .size:           4
        .value_kind:     by_value
      - .offset:         40
        .size:           8
        .value_kind:     by_value
      - .address_space:  global
        .offset:         48
        .size:           8
        .value_kind:     global_buffer
      - .offset:         56
        .size:           4
        .value_kind:     by_value
      - .offset:         64
        .size:           8
        .value_kind:     by_value
      - .offset:         72
        .size:           8
        .value_kind:     by_value
      - .address_space:  global
        .offset:         80
        .size:           8
        .value_kind:     global_buffer
      - .offset:         88
        .size:           4
        .value_kind:     by_value
      - .offset:         96
        .size:           8
        .value_kind:     by_value
      - .address_space:  global
        .offset:         104
        .size:           8
        .value_kind:     global_buffer
      - .offset:         112
        .size:           4
        .value_kind:     by_value
      - .offset:         120
        .size:           8
        .value_kind:     by_value
      - .offset:         128
        .size:           4
        .value_kind:     by_value
      - .offset:         132
        .size:           4
        .value_kind:     by_value
    .group_segment_fixed_size: 20480
    .kernarg_segment_align: 8
    .kernarg_segment_size: 136
    .language:       OpenCL C
    .language_version:
      - 2
      - 0
    .max_flat_workgroup_size: 256
    .name:           _ZN12_GLOBAL__N_120geam_min_plus_kernelId15HIP_vector_typeIdLj2EEdLi32ELi8ELi256ELi64ELi4ELi64ELi4ELi4ELi64ELc78ELc78ELb1ELb0ELb1EdKPKdKPdEEviiiT16_PT17_ilSA_ilS8_SA_ilPT18_ili26rocblas_geam_ex_operation_
    .private_segment_fixed_size: 0
    .sgpr_count:     29
    .sgpr_spill_count: 0
    .symbol:         _ZN12_GLOBAL__N_120geam_min_plus_kernelId15HIP_vector_typeIdLj2EEdLi32ELi8ELi256ELi64ELi4ELi64ELi4ELi4ELi64ELc78ELc78ELb1ELb0ELb1EdKPKdKPdEEviiiT16_PT17_ilSA_ilS8_SA_ilPT18_ili26rocblas_geam_ex_operation_.kd
    .uniform_work_group_size: 1
    .uses_dynamic_stack: false
    .vgpr_count:     220
    .vgpr_spill_count: 0
    .wavefront_size: 64
  - .agpr_count:     0
    .args:
      - .offset:         0
        .size:           4
        .value_kind:     by_value
      - .offset:         4
        .size:           4
        .value_kind:     by_value
      - .offset:         8
        .size:           4
        .value_kind:     by_value
      - .offset:         16
        .size:           8
        .value_kind:     by_value
      - .address_space:  global
        .offset:         24
        .size:           8
        .value_kind:     global_buffer
      - .offset:         32
        .size:           4
        .value_kind:     by_value
      - .offset:         40
        .size:           8
        .value_kind:     by_value
      - .address_space:  global
        .offset:         48
        .size:           8
        .value_kind:     global_buffer
      - .offset:         56
        .size:           4
        .value_kind:     by_value
      - .offset:         64
        .size:           8
        .value_kind:     by_value
      - .offset:         72
        .size:           8
        .value_kind:     by_value
      - .address_space:  global
        .offset:         80
        .size:           8
        .value_kind:     global_buffer
      - .offset:         88
        .size:           4
        .value_kind:     by_value
      - .offset:         96
        .size:           8
        .value_kind:     by_value
      - .address_space:  global
        .offset:         104
        .size:           8
        .value_kind:     global_buffer
      - .offset:         112
        .size:           4
        .value_kind:     by_value
      - .offset:         120
        .size:           8
        .value_kind:     by_value
      - .offset:         128
        .size:           4
        .value_kind:     by_value
      - .offset:         132
        .size:           4
        .value_kind:     by_value
    .group_segment_fixed_size: 20480
    .kernarg_segment_align: 8
    .kernarg_segment_size: 136
    .language:       OpenCL C
    .language_version:
      - 2
      - 0
    .max_flat_workgroup_size: 256
    .name:           _ZN12_GLOBAL__N_120geam_min_plus_kernelId15HIP_vector_typeIdLj2EEdLi32ELi8ELi256ELi64ELi4ELi64ELi4ELi4ELi64ELc78ELc78ELb0ELb0ELb1EdKPKdKPdEEviiiT16_PT17_ilSA_ilS8_SA_ilPT18_ili26rocblas_geam_ex_operation_
    .private_segment_fixed_size: 0
    .sgpr_count:     37
    .sgpr_spill_count: 0
    .symbol:         _ZN12_GLOBAL__N_120geam_min_plus_kernelId15HIP_vector_typeIdLj2EEdLi32ELi8ELi256ELi64ELi4ELi64ELi4ELi4ELi64ELc78ELc78ELb0ELb0ELb1EdKPKdKPdEEviiiT16_PT17_ilSA_ilS8_SA_ilPT18_ili26rocblas_geam_ex_operation_.kd
    .uniform_work_group_size: 1
    .uses_dynamic_stack: false
    .vgpr_count:     230
    .vgpr_spill_count: 0
    .wavefront_size: 64
  - .agpr_count:     0
    .args:
      - .offset:         0
        .size:           4
        .value_kind:     by_value
      - .offset:         4
        .size:           4
        .value_kind:     by_value
      - .offset:         8
        .size:           4
        .value_kind:     by_value
      - .address_space:  global
        .offset:         16
        .size:           8
        .value_kind:     global_buffer
      - .address_space:  global
        .offset:         24
        .size:           8
        .value_kind:     global_buffer
      - .offset:         32
        .size:           4
        .value_kind:     by_value
      - .offset:         40
        .size:           8
        .value_kind:     by_value
      - .address_space:  global
        .offset:         48
        .size:           8
        .value_kind:     global_buffer
      - .offset:         56
        .size:           4
        .value_kind:     by_value
      - .offset:         64
        .size:           8
        .value_kind:     by_value
      - .address_space:  global
        .offset:         72
        .size:           8
        .value_kind:     global_buffer
      - .address_space:  global
        .offset:         80
        .size:           8
        .value_kind:     global_buffer
      - .offset:         88
        .size:           4
        .value_kind:     by_value
      - .offset:         96
        .size:           8
        .value_kind:     by_value
      - .address_space:  global
        .offset:         104
        .size:           8
        .value_kind:     global_buffer
      - .offset:         112
        .size:           4
        .value_kind:     by_value
      - .offset:         120
        .size:           8
        .value_kind:     by_value
      - .offset:         128
        .size:           4
        .value_kind:     by_value
      - .offset:         132
        .size:           4
        .value_kind:     by_value
    .group_segment_fixed_size: 20480
    .kernarg_segment_align: 8
    .kernarg_segment_size: 136
    .language:       OpenCL C
    .language_version:
      - 2
      - 0
    .max_flat_workgroup_size: 256
    .name:           _ZN12_GLOBAL__N_120geam_min_plus_kernelId15HIP_vector_typeIdLj2EEdLi32ELi8ELi256ELi64ELi4ELi64ELi4ELi4ELi64ELc78ELc78ELb0ELb1ELb1EPKdKS4_KPdEEviiiT16_PT17_ilSA_ilS8_SA_ilPT18_ili26rocblas_geam_ex_operation_
    .private_segment_fixed_size: 0
    .sgpr_count:     48
    .sgpr_spill_count: 0
    .symbol:         _ZN12_GLOBAL__N_120geam_min_plus_kernelId15HIP_vector_typeIdLj2EEdLi32ELi8ELi256ELi64ELi4ELi64ELi4ELi4ELi64ELc78ELc78ELb0ELb1ELb1EPKdKS4_KPdEEviiiT16_PT17_ilSA_ilS8_SA_ilPT18_ili26rocblas_geam_ex_operation_.kd
    .uniform_work_group_size: 1
    .uses_dynamic_stack: false
    .vgpr_count:     225
    .vgpr_spill_count: 0
    .wavefront_size: 64
  - .agpr_count:     0
    .args:
      - .offset:         0
        .size:           4
        .value_kind:     by_value
      - .offset:         4
        .size:           4
        .value_kind:     by_value
      - .offset:         8
        .size:           4
        .value_kind:     by_value
      - .offset:         16
        .size:           8
        .value_kind:     by_value
      - .address_space:  global
        .offset:         24
        .size:           8
        .value_kind:     global_buffer
      - .offset:         32
        .size:           4
        .value_kind:     by_value
      - .offset:         40
        .size:           8
        .value_kind:     by_value
      - .address_space:  global
        .offset:         48
        .size:           8
        .value_kind:     global_buffer
      - .offset:         56
        .size:           4
        .value_kind:     by_value
      - .offset:         64
        .size:           8
        .value_kind:     by_value
      - .offset:         72
        .size:           8
        .value_kind:     by_value
      - .address_space:  global
        .offset:         80
        .size:           8
        .value_kind:     global_buffer
      - .offset:         88
        .size:           4
        .value_kind:     by_value
      - .offset:         96
        .size:           8
        .value_kind:     by_value
      - .address_space:  global
        .offset:         104
        .size:           8
        .value_kind:     global_buffer
      - .offset:         112
        .size:           4
        .value_kind:     by_value
      - .offset:         120
        .size:           8
        .value_kind:     by_value
      - .offset:         128
        .size:           4
        .value_kind:     by_value
      - .offset:         132
        .size:           4
        .value_kind:     by_value
    .group_segment_fixed_size: 20480
    .kernarg_segment_align: 8
    .kernarg_segment_size: 136
    .language:       OpenCL C
    .language_version:
      - 2
      - 0
    .max_flat_workgroup_size: 256
    .name:           _ZN12_GLOBAL__N_120geam_min_plus_kernelId15HIP_vector_typeIdLj2EEdLi32ELi8ELi256ELi64ELi4ELi64ELi4ELi4ELi64ELc78ELc78ELb1ELb1ELb1EdKPKdKPdEEviiiT16_PT17_ilSA_ilS8_SA_ilPT18_ili26rocblas_geam_ex_operation_
    .private_segment_fixed_size: 0
    .sgpr_count:     44
    .sgpr_spill_count: 0
    .symbol:         _ZN12_GLOBAL__N_120geam_min_plus_kernelId15HIP_vector_typeIdLj2EEdLi32ELi8ELi256ELi64ELi4ELi64ELi4ELi4ELi64ELc78ELc78ELb1ELb1ELb1EdKPKdKPdEEviiiT16_PT17_ilSA_ilS8_SA_ilPT18_ili26rocblas_geam_ex_operation_.kd
    .uniform_work_group_size: 1
    .uses_dynamic_stack: false
    .vgpr_count:     230
    .vgpr_spill_count: 0
    .wavefront_size: 64
  - .agpr_count:     0
    .args:
      - .offset:         0
        .size:           4
        .value_kind:     by_value
      - .offset:         4
        .size:           4
        .value_kind:     by_value
      - .offset:         8
        .size:           4
        .value_kind:     by_value
      - .offset:         16
        .size:           8
        .value_kind:     by_value
      - .address_space:  global
        .offset:         24
        .size:           8
        .value_kind:     global_buffer
      - .offset:         32
        .size:           4
        .value_kind:     by_value
      - .offset:         40
        .size:           8
        .value_kind:     by_value
      - .address_space:  global
        .offset:         48
        .size:           8
        .value_kind:     global_buffer
      - .offset:         56
        .size:           4
        .value_kind:     by_value
      - .offset:         64
        .size:           8
        .value_kind:     by_value
      - .offset:         72
        .size:           8
        .value_kind:     by_value
      - .address_space:  global
        .offset:         80
        .size:           8
        .value_kind:     global_buffer
      - .offset:         88
        .size:           4
        .value_kind:     by_value
      - .offset:         96
        .size:           8
        .value_kind:     by_value
      - .address_space:  global
        .offset:         104
        .size:           8
        .value_kind:     global_buffer
      - .offset:         112
        .size:           4
        .value_kind:     by_value
      - .offset:         120
        .size:           8
        .value_kind:     by_value
      - .offset:         128
        .size:           4
        .value_kind:     by_value
      - .offset:         132
        .size:           4
        .value_kind:     by_value
    .group_segment_fixed_size: 20480
    .kernarg_segment_align: 8
    .kernarg_segment_size: 136
    .language:       OpenCL C
    .language_version:
      - 2
      - 0
    .max_flat_workgroup_size: 256
    .name:           _ZN12_GLOBAL__N_120geam_min_plus_kernelId15HIP_vector_typeIdLj2EEdLi32ELi8ELi256ELi64ELi4ELi64ELi4ELi4ELi64ELc78ELc78ELb0ELb1ELb1EdKPKdKPdEEviiiT16_PT17_ilSA_ilS8_SA_ilPT18_ili26rocblas_geam_ex_operation_
    .private_segment_fixed_size: 0
    .sgpr_count:     48
    .sgpr_spill_count: 0
    .symbol:         _ZN12_GLOBAL__N_120geam_min_plus_kernelId15HIP_vector_typeIdLj2EEdLi32ELi8ELi256ELi64ELi4ELi64ELi4ELi4ELi64ELc78ELc78ELb0ELb1ELb1EdKPKdKPdEEviiiT16_PT17_ilSA_ilS8_SA_ilPT18_ili26rocblas_geam_ex_operation_.kd
    .uniform_work_group_size: 1
    .uses_dynamic_stack: false
    .vgpr_count:     225
    .vgpr_spill_count: 0
    .wavefront_size: 64
  - .agpr_count:     4
    .args:
      - .offset:         0
        .size:           4
        .value_kind:     by_value
      - .offset:         4
        .size:           4
        .value_kind:     by_value
      - .offset:         8
        .size:           4
        .value_kind:     by_value
      - .address_space:  global
        .offset:         16
        .size:           8
        .value_kind:     global_buffer
      - .address_space:  global
        .offset:         24
        .size:           8
        .value_kind:     global_buffer
      - .offset:         32
        .size:           4
        .value_kind:     by_value
      - .offset:         40
        .size:           8
        .value_kind:     by_value
      - .address_space:  global
        .offset:         48
        .size:           8
        .value_kind:     global_buffer
      - .offset:         56
        .size:           4
        .value_kind:     by_value
      - .offset:         64
        .size:           8
        .value_kind:     by_value
      - .address_space:  global
        .offset:         72
        .size:           8
        .value_kind:     global_buffer
      - .address_space:  global
        .offset:         80
        .size:           8
        .value_kind:     global_buffer
      - .offset:         88
        .size:           4
        .value_kind:     by_value
      - .offset:         96
        .size:           8
        .value_kind:     by_value
      - .address_space:  global
        .offset:         104
        .size:           8
        .value_kind:     global_buffer
      - .offset:         112
        .size:           4
        .value_kind:     by_value
      - .offset:         120
        .size:           8
        .value_kind:     by_value
      - .offset:         128
        .size:           4
        .value_kind:     by_value
      - .offset:         132
        .size:           4
        .value_kind:     by_value
    .group_segment_fixed_size: 16384
    .kernarg_segment_align: 8
    .kernarg_segment_size: 136
    .language:       OpenCL C
    .language_version:
      - 2
      - 0
    .max_flat_workgroup_size: 256
    .name:           _ZN12_GLOBAL__N_120geam_min_plus_kernelId15HIP_vector_typeIdLj2EEdLi32ELi8ELi128ELi128ELi4ELi4ELi64ELi4ELi64ELc84ELc78ELb0ELb0ELb1EPKdKS4_KPdEEviiiT16_PT17_ilSA_ilS8_SA_ilPT18_ili26rocblas_geam_ex_operation_
    .private_segment_fixed_size: 0
    .sgpr_count:     34
    .sgpr_spill_count: 0
    .symbol:         _ZN12_GLOBAL__N_120geam_min_plus_kernelId15HIP_vector_typeIdLj2EEdLi32ELi8ELi128ELi128ELi4ELi4ELi64ELi4ELi64ELc84ELc78ELb0ELb0ELb1EPKdKS4_KPdEEviiiT16_PT17_ilSA_ilS8_SA_ilPT18_ili26rocblas_geam_ex_operation_.kd
    .uniform_work_group_size: 1
    .uses_dynamic_stack: false
    .vgpr_count:     260
    .vgpr_spill_count: 0
    .wavefront_size: 64
  - .agpr_count:     0
    .args:
      - .offset:         0
        .size:           4
        .value_kind:     by_value
      - .offset:         4
        .size:           4
        .value_kind:     by_value
      - .offset:         8
        .size:           4
        .value_kind:     by_value
      - .offset:         16
        .size:           8
        .value_kind:     by_value
      - .address_space:  global
        .offset:         24
        .size:           8
        .value_kind:     global_buffer
      - .offset:         32
        .size:           4
        .value_kind:     by_value
      - .offset:         40
        .size:           8
        .value_kind:     by_value
      - .address_space:  global
        .offset:         48
        .size:           8
        .value_kind:     global_buffer
      - .offset:         56
        .size:           4
        .value_kind:     by_value
      - .offset:         64
        .size:           8
        .value_kind:     by_value
      - .offset:         72
        .size:           8
        .value_kind:     by_value
      - .address_space:  global
        .offset:         80
        .size:           8
        .value_kind:     global_buffer
      - .offset:         88
        .size:           4
        .value_kind:     by_value
      - .offset:         96
        .size:           8
        .value_kind:     by_value
      - .address_space:  global
        .offset:         104
        .size:           8
        .value_kind:     global_buffer
      - .offset:         112
        .size:           4
        .value_kind:     by_value
      - .offset:         120
        .size:           8
        .value_kind:     by_value
      - .offset:         128
        .size:           4
        .value_kind:     by_value
      - .offset:         132
        .size:           4
        .value_kind:     by_value
    .group_segment_fixed_size: 16384
    .kernarg_segment_align: 8
    .kernarg_segment_size: 136
    .language:       OpenCL C
    .language_version:
      - 2
      - 0
    .max_flat_workgroup_size: 256
    .name:           _ZN12_GLOBAL__N_120geam_min_plus_kernelId15HIP_vector_typeIdLj2EEdLi32ELi8ELi128ELi128ELi4ELi4ELi64ELi4ELi64ELc84ELc78ELb1ELb0ELb1EdKPKdKPdEEviiiT16_PT17_ilSA_ilS8_SA_ilPT18_ili26rocblas_geam_ex_operation_
    .private_segment_fixed_size: 0
    .sgpr_count:     29
    .sgpr_spill_count: 0
    .symbol:         _ZN12_GLOBAL__N_120geam_min_plus_kernelId15HIP_vector_typeIdLj2EEdLi32ELi8ELi128ELi128ELi4ELi4ELi64ELi4ELi64ELc84ELc78ELb1ELb0ELb1EdKPKdKPdEEviiiT16_PT17_ilSA_ilS8_SA_ilPT18_ili26rocblas_geam_ex_operation_.kd
    .uniform_work_group_size: 1
    .uses_dynamic_stack: false
    .vgpr_count:     244
    .vgpr_spill_count: 0
    .wavefront_size: 64
  - .agpr_count:     4
    .args:
      - .offset:         0
        .size:           4
        .value_kind:     by_value
      - .offset:         4
        .size:           4
        .value_kind:     by_value
      - .offset:         8
        .size:           4
        .value_kind:     by_value
      - .offset:         16
        .size:           8
        .value_kind:     by_value
      - .address_space:  global
        .offset:         24
        .size:           8
        .value_kind:     global_buffer
      - .offset:         32
        .size:           4
        .value_kind:     by_value
      - .offset:         40
        .size:           8
        .value_kind:     by_value
      - .address_space:  global
        .offset:         48
        .size:           8
        .value_kind:     global_buffer
      - .offset:         56
        .size:           4
        .value_kind:     by_value
      - .offset:         64
        .size:           8
        .value_kind:     by_value
      - .offset:         72
        .size:           8
        .value_kind:     by_value
      - .address_space:  global
        .offset:         80
        .size:           8
        .value_kind:     global_buffer
      - .offset:         88
        .size:           4
        .value_kind:     by_value
      - .offset:         96
        .size:           8
        .value_kind:     by_value
      - .address_space:  global
        .offset:         104
        .size:           8
        .value_kind:     global_buffer
      - .offset:         112
        .size:           4
        .value_kind:     by_value
      - .offset:         120
        .size:           8
        .value_kind:     by_value
      - .offset:         128
        .size:           4
        .value_kind:     by_value
      - .offset:         132
        .size:           4
        .value_kind:     by_value
    .group_segment_fixed_size: 16384
    .kernarg_segment_align: 8
    .kernarg_segment_size: 136
    .language:       OpenCL C
    .language_version:
      - 2
      - 0
    .max_flat_workgroup_size: 256
    .name:           _ZN12_GLOBAL__N_120geam_min_plus_kernelId15HIP_vector_typeIdLj2EEdLi32ELi8ELi128ELi128ELi4ELi4ELi64ELi4ELi64ELc84ELc78ELb0ELb0ELb1EdKPKdKPdEEviiiT16_PT17_ilSA_ilS8_SA_ilPT18_ili26rocblas_geam_ex_operation_
    .private_segment_fixed_size: 0
    .sgpr_count:     34
    .sgpr_spill_count: 0
    .symbol:         _ZN12_GLOBAL__N_120geam_min_plus_kernelId15HIP_vector_typeIdLj2EEdLi32ELi8ELi128ELi128ELi4ELi4ELi64ELi4ELi64ELc84ELc78ELb0ELb0ELb1EdKPKdKPdEEviiiT16_PT17_ilSA_ilS8_SA_ilPT18_ili26rocblas_geam_ex_operation_.kd
    .uniform_work_group_size: 1
    .uses_dynamic_stack: false
    .vgpr_count:     260
    .vgpr_spill_count: 0
    .wavefront_size: 64
  - .agpr_count:     0
    .args:
      - .offset:         0
        .size:           4
        .value_kind:     by_value
      - .offset:         4
        .size:           4
        .value_kind:     by_value
      - .offset:         8
        .size:           4
        .value_kind:     by_value
      - .address_space:  global
        .offset:         16
        .size:           8
        .value_kind:     global_buffer
      - .address_space:  global
        .offset:         24
        .size:           8
        .value_kind:     global_buffer
      - .offset:         32
        .size:           4
        .value_kind:     by_value
      - .offset:         40
        .size:           8
        .value_kind:     by_value
      - .address_space:  global
        .offset:         48
        .size:           8
        .value_kind:     global_buffer
      - .offset:         56
        .size:           4
        .value_kind:     by_value
      - .offset:         64
        .size:           8
        .value_kind:     by_value
      - .address_space:  global
        .offset:         72
        .size:           8
        .value_kind:     global_buffer
      - .address_space:  global
        .offset:         80
        .size:           8
        .value_kind:     global_buffer
      - .offset:         88
        .size:           4
        .value_kind:     by_value
      - .offset:         96
        .size:           8
        .value_kind:     by_value
      - .address_space:  global
        .offset:         104
        .size:           8
        .value_kind:     global_buffer
      - .offset:         112
        .size:           4
        .value_kind:     by_value
      - .offset:         120
        .size:           8
        .value_kind:     by_value
      - .offset:         128
        .size:           4
        .value_kind:     by_value
      - .offset:         132
        .size:           4
        .value_kind:     by_value
    .group_segment_fixed_size: 16384
    .kernarg_segment_align: 8
    .kernarg_segment_size: 136
    .language:       OpenCL C
    .language_version:
      - 2
      - 0
    .max_flat_workgroup_size: 256
    .name:           _ZN12_GLOBAL__N_120geam_min_plus_kernelId15HIP_vector_typeIdLj2EEdLi32ELi8ELi128ELi128ELi4ELi4ELi64ELi4ELi64ELc84ELc78ELb0ELb1ELb1EPKdKS4_KPdEEviiiT16_PT17_ilSA_ilS8_SA_ilPT18_ili26rocblas_geam_ex_operation_
    .private_segment_fixed_size: 0
    .sgpr_count:     46
    .sgpr_spill_count: 0
    .symbol:         _ZN12_GLOBAL__N_120geam_min_plus_kernelId15HIP_vector_typeIdLj2EEdLi32ELi8ELi128ELi128ELi4ELi4ELi64ELi4ELi64ELc84ELc78ELb0ELb1ELb1EPKdKS4_KPdEEviiiT16_PT17_ilSA_ilS8_SA_ilPT18_ili26rocblas_geam_ex_operation_.kd
    .uniform_work_group_size: 1
    .uses_dynamic_stack: false
    .vgpr_count:     256
    .vgpr_spill_count: 0
    .wavefront_size: 64
  - .agpr_count:     6
    .args:
      - .offset:         0
        .size:           4
        .value_kind:     by_value
      - .offset:         4
        .size:           4
        .value_kind:     by_value
      - .offset:         8
        .size:           4
        .value_kind:     by_value
      - .offset:         16
        .size:           8
        .value_kind:     by_value
      - .address_space:  global
        .offset:         24
        .size:           8
        .value_kind:     global_buffer
      - .offset:         32
        .size:           4
        .value_kind:     by_value
      - .offset:         40
        .size:           8
        .value_kind:     by_value
      - .address_space:  global
        .offset:         48
        .size:           8
        .value_kind:     global_buffer
      - .offset:         56
        .size:           4
        .value_kind:     by_value
      - .offset:         64
        .size:           8
        .value_kind:     by_value
      - .offset:         72
        .size:           8
        .value_kind:     by_value
      - .address_space:  global
        .offset:         80
        .size:           8
        .value_kind:     global_buffer
      - .offset:         88
        .size:           4
        .value_kind:     by_value
      - .offset:         96
        .size:           8
        .value_kind:     by_value
      - .address_space:  global
        .offset:         104
        .size:           8
        .value_kind:     global_buffer
      - .offset:         112
        .size:           4
        .value_kind:     by_value
      - .offset:         120
        .size:           8
        .value_kind:     by_value
      - .offset:         128
        .size:           4
        .value_kind:     by_value
      - .offset:         132
        .size:           4
        .value_kind:     by_value
    .group_segment_fixed_size: 16384
    .kernarg_segment_align: 8
    .kernarg_segment_size: 136
    .language:       OpenCL C
    .language_version:
      - 2
      - 0
    .max_flat_workgroup_size: 256
    .name:           _ZN12_GLOBAL__N_120geam_min_plus_kernelId15HIP_vector_typeIdLj2EEdLi32ELi8ELi128ELi128ELi4ELi4ELi64ELi4ELi64ELc84ELc78ELb1ELb1ELb1EdKPKdKPdEEviiiT16_PT17_ilSA_ilS8_SA_ilPT18_ili26rocblas_geam_ex_operation_
    .private_segment_fixed_size: 0
    .sgpr_count:     42
    .sgpr_spill_count: 0
    .symbol:         _ZN12_GLOBAL__N_120geam_min_plus_kernelId15HIP_vector_typeIdLj2EEdLi32ELi8ELi128ELi128ELi4ELi4ELi64ELi4ELi64ELc84ELc78ELb1ELb1ELb1EdKPKdKPdEEviiiT16_PT17_ilSA_ilS8_SA_ilPT18_ili26rocblas_geam_ex_operation_.kd
    .uniform_work_group_size: 1
    .uses_dynamic_stack: false
    .vgpr_count:     262
    .vgpr_spill_count: 0
    .wavefront_size: 64
  - .agpr_count:     0
    .args:
      - .offset:         0
        .size:           4
        .value_kind:     by_value
      - .offset:         4
        .size:           4
        .value_kind:     by_value
      - .offset:         8
        .size:           4
        .value_kind:     by_value
      - .offset:         16
        .size:           8
        .value_kind:     by_value
      - .address_space:  global
        .offset:         24
        .size:           8
        .value_kind:     global_buffer
      - .offset:         32
        .size:           4
        .value_kind:     by_value
      - .offset:         40
        .size:           8
        .value_kind:     by_value
      - .address_space:  global
        .offset:         48
        .size:           8
        .value_kind:     global_buffer
      - .offset:         56
        .size:           4
        .value_kind:     by_value
      - .offset:         64
        .size:           8
        .value_kind:     by_value
      - .offset:         72
        .size:           8
        .value_kind:     by_value
      - .address_space:  global
        .offset:         80
        .size:           8
        .value_kind:     global_buffer
      - .offset:         88
        .size:           4
        .value_kind:     by_value
      - .offset:         96
        .size:           8
        .value_kind:     by_value
      - .address_space:  global
        .offset:         104
        .size:           8
        .value_kind:     global_buffer
      - .offset:         112
        .size:           4
        .value_kind:     by_value
      - .offset:         120
        .size:           8
        .value_kind:     by_value
      - .offset:         128
        .size:           4
        .value_kind:     by_value
      - .offset:         132
        .size:           4
        .value_kind:     by_value
    .group_segment_fixed_size: 16384
    .kernarg_segment_align: 8
    .kernarg_segment_size: 136
    .language:       OpenCL C
    .language_version:
      - 2
      - 0
    .max_flat_workgroup_size: 256
    .name:           _ZN12_GLOBAL__N_120geam_min_plus_kernelId15HIP_vector_typeIdLj2EEdLi32ELi8ELi128ELi128ELi4ELi4ELi64ELi4ELi64ELc84ELc78ELb0ELb1ELb1EdKPKdKPdEEviiiT16_PT17_ilSA_ilS8_SA_ilPT18_ili26rocblas_geam_ex_operation_
    .private_segment_fixed_size: 0
    .sgpr_count:     46
    .sgpr_spill_count: 0
    .symbol:         _ZN12_GLOBAL__N_120geam_min_plus_kernelId15HIP_vector_typeIdLj2EEdLi32ELi8ELi128ELi128ELi4ELi4ELi64ELi4ELi64ELc84ELc78ELb0ELb1ELb1EdKPKdKPdEEviiiT16_PT17_ilSA_ilS8_SA_ilPT18_ili26rocblas_geam_ex_operation_.kd
    .uniform_work_group_size: 1
    .uses_dynamic_stack: false
    .vgpr_count:     256
    .vgpr_spill_count: 0
    .wavefront_size: 64
  - .agpr_count:     0
    .args:
      - .offset:         0
        .size:           4
        .value_kind:     by_value
      - .offset:         4
        .size:           4
        .value_kind:     by_value
      - .offset:         8
        .size:           4
        .value_kind:     by_value
      - .address_space:  global
        .offset:         16
        .size:           8
        .value_kind:     global_buffer
      - .address_space:  global
        .offset:         24
        .size:           8
        .value_kind:     global_buffer
      - .offset:         32
        .size:           4
        .value_kind:     by_value
      - .offset:         40
        .size:           8
        .value_kind:     by_value
      - .address_space:  global
        .offset:         48
        .size:           8
        .value_kind:     global_buffer
      - .offset:         56
        .size:           4
        .value_kind:     by_value
      - .offset:         64
        .size:           8
        .value_kind:     by_value
      - .address_space:  global
        .offset:         72
        .size:           8
        .value_kind:     global_buffer
      - .address_space:  global
        .offset:         80
        .size:           8
        .value_kind:     global_buffer
      - .offset:         88
        .size:           4
        .value_kind:     by_value
      - .offset:         96
        .size:           8
        .value_kind:     by_value
      - .address_space:  global
        .offset:         104
        .size:           8
        .value_kind:     global_buffer
      - .offset:         112
        .size:           4
        .value_kind:     by_value
      - .offset:         120
        .size:           8
        .value_kind:     by_value
      - .offset:         128
        .size:           4
        .value_kind:     by_value
      - .offset:         132
        .size:           4
        .value_kind:     by_value
    .group_segment_fixed_size: 20480
    .kernarg_segment_align: 8
    .kernarg_segment_size: 136
    .language:       OpenCL C
    .language_version:
      - 2
      - 0
    .max_flat_workgroup_size: 256
    .name:           _ZN12_GLOBAL__N_120geam_min_plus_kernelId15HIP_vector_typeIdLj2EEdLi8ELi32ELi64ELi256ELi4ELi64ELi4ELi64ELi4ELc78ELc84ELb0ELb0ELb1EPKdKS4_KPdEEviiiT16_PT17_ilSA_ilS8_SA_ilPT18_ili26rocblas_geam_ex_operation_
    .private_segment_fixed_size: 0
    .sgpr_count:     38
    .sgpr_spill_count: 0
    .symbol:         _ZN12_GLOBAL__N_120geam_min_plus_kernelId15HIP_vector_typeIdLj2EEdLi8ELi32ELi64ELi256ELi4ELi64ELi4ELi64ELi4ELc78ELc84ELb0ELb0ELb1EPKdKS4_KPdEEviiiT16_PT17_ilSA_ilS8_SA_ilPT18_ili26rocblas_geam_ex_operation_.kd
    .uniform_work_group_size: 1
    .uses_dynamic_stack: false
    .vgpr_count:     234
    .vgpr_spill_count: 0
    .wavefront_size: 64
  - .agpr_count:     0
    .args:
      - .offset:         0
        .size:           4
        .value_kind:     by_value
      - .offset:         4
        .size:           4
        .value_kind:     by_value
      - .offset:         8
        .size:           4
        .value_kind:     by_value
      - .offset:         16
        .size:           8
        .value_kind:     by_value
      - .address_space:  global
        .offset:         24
        .size:           8
        .value_kind:     global_buffer
      - .offset:         32
        .size:           4
        .value_kind:     by_value
      - .offset:         40
        .size:           8
        .value_kind:     by_value
      - .address_space:  global
        .offset:         48
        .size:           8
        .value_kind:     global_buffer
      - .offset:         56
        .size:           4
        .value_kind:     by_value
      - .offset:         64
        .size:           8
        .value_kind:     by_value
      - .offset:         72
        .size:           8
        .value_kind:     by_value
      - .address_space:  global
        .offset:         80
        .size:           8
        .value_kind:     global_buffer
      - .offset:         88
        .size:           4
        .value_kind:     by_value
      - .offset:         96
        .size:           8
        .value_kind:     by_value
      - .address_space:  global
        .offset:         104
        .size:           8
        .value_kind:     global_buffer
      - .offset:         112
        .size:           4
        .value_kind:     by_value
      - .offset:         120
        .size:           8
        .value_kind:     by_value
      - .offset:         128
        .size:           4
        .value_kind:     by_value
      - .offset:         132
        .size:           4
        .value_kind:     by_value
    .group_segment_fixed_size: 20480
    .kernarg_segment_align: 8
    .kernarg_segment_size: 136
    .language:       OpenCL C
    .language_version:
      - 2
      - 0
    .max_flat_workgroup_size: 256
    .name:           _ZN12_GLOBAL__N_120geam_min_plus_kernelId15HIP_vector_typeIdLj2EEdLi8ELi32ELi64ELi256ELi4ELi64ELi4ELi64ELi4ELc78ELc84ELb1ELb0ELb1EdKPKdKPdEEviiiT16_PT17_ilSA_ilS8_SA_ilPT18_ili26rocblas_geam_ex_operation_
    .private_segment_fixed_size: 0
    .sgpr_count:     31
    .sgpr_spill_count: 0
    .symbol:         _ZN12_GLOBAL__N_120geam_min_plus_kernelId15HIP_vector_typeIdLj2EEdLi8ELi32ELi64ELi256ELi4ELi64ELi4ELi64ELi4ELc78ELc84ELb1ELb0ELb1EdKPKdKPdEEviiiT16_PT17_ilSA_ilS8_SA_ilPT18_ili26rocblas_geam_ex_operation_.kd
    .uniform_work_group_size: 1
    .uses_dynamic_stack: false
    .vgpr_count:     220
    .vgpr_spill_count: 0
    .wavefront_size: 64
  - .agpr_count:     0
    .args:
      - .offset:         0
        .size:           4
        .value_kind:     by_value
      - .offset:         4
        .size:           4
        .value_kind:     by_value
      - .offset:         8
        .size:           4
        .value_kind:     by_value
      - .offset:         16
        .size:           8
        .value_kind:     by_value
      - .address_space:  global
        .offset:         24
        .size:           8
        .value_kind:     global_buffer
      - .offset:         32
        .size:           4
        .value_kind:     by_value
      - .offset:         40
        .size:           8
        .value_kind:     by_value
      - .address_space:  global
        .offset:         48
        .size:           8
        .value_kind:     global_buffer
      - .offset:         56
        .size:           4
        .value_kind:     by_value
      - .offset:         64
        .size:           8
        .value_kind:     by_value
      - .offset:         72
        .size:           8
        .value_kind:     by_value
      - .address_space:  global
        .offset:         80
        .size:           8
        .value_kind:     global_buffer
      - .offset:         88
        .size:           4
        .value_kind:     by_value
      - .offset:         96
        .size:           8
        .value_kind:     by_value
      - .address_space:  global
        .offset:         104
        .size:           8
        .value_kind:     global_buffer
      - .offset:         112
        .size:           4
        .value_kind:     by_value
      - .offset:         120
        .size:           8
        .value_kind:     by_value
      - .offset:         128
        .size:           4
        .value_kind:     by_value
      - .offset:         132
        .size:           4
        .value_kind:     by_value
    .group_segment_fixed_size: 20480
    .kernarg_segment_align: 8
    .kernarg_segment_size: 136
    .language:       OpenCL C
    .language_version:
      - 2
      - 0
    .max_flat_workgroup_size: 256
    .name:           _ZN12_GLOBAL__N_120geam_min_plus_kernelId15HIP_vector_typeIdLj2EEdLi8ELi32ELi64ELi256ELi4ELi64ELi4ELi64ELi4ELc78ELc84ELb0ELb0ELb1EdKPKdKPdEEviiiT16_PT17_ilSA_ilS8_SA_ilPT18_ili26rocblas_geam_ex_operation_
    .private_segment_fixed_size: 0
    .sgpr_count:     42
    .sgpr_spill_count: 0
    .symbol:         _ZN12_GLOBAL__N_120geam_min_plus_kernelId15HIP_vector_typeIdLj2EEdLi8ELi32ELi64ELi256ELi4ELi64ELi4ELi64ELi4ELc78ELc84ELb0ELb0ELb1EdKPKdKPdEEviiiT16_PT17_ilSA_ilS8_SA_ilPT18_ili26rocblas_geam_ex_operation_.kd
    .uniform_work_group_size: 1
    .uses_dynamic_stack: false
    .vgpr_count:     234
    .vgpr_spill_count: 0
    .wavefront_size: 64
  - .agpr_count:     0
    .args:
      - .offset:         0
        .size:           4
        .value_kind:     by_value
      - .offset:         4
        .size:           4
        .value_kind:     by_value
      - .offset:         8
        .size:           4
        .value_kind:     by_value
      - .address_space:  global
        .offset:         16
        .size:           8
        .value_kind:     global_buffer
      - .address_space:  global
        .offset:         24
        .size:           8
        .value_kind:     global_buffer
      - .offset:         32
        .size:           4
        .value_kind:     by_value
      - .offset:         40
        .size:           8
        .value_kind:     by_value
      - .address_space:  global
        .offset:         48
        .size:           8
        .value_kind:     global_buffer
      - .offset:         56
        .size:           4
        .value_kind:     by_value
      - .offset:         64
        .size:           8
        .value_kind:     by_value
      - .address_space:  global
        .offset:         72
        .size:           8
        .value_kind:     global_buffer
      - .address_space:  global
        .offset:         80
        .size:           8
        .value_kind:     global_buffer
      - .offset:         88
        .size:           4
        .value_kind:     by_value
      - .offset:         96
        .size:           8
        .value_kind:     by_value
      - .address_space:  global
        .offset:         104
        .size:           8
        .value_kind:     global_buffer
      - .offset:         112
        .size:           4
        .value_kind:     by_value
      - .offset:         120
        .size:           8
        .value_kind:     by_value
      - .offset:         128
        .size:           4
        .value_kind:     by_value
      - .offset:         132
        .size:           4
        .value_kind:     by_value
    .group_segment_fixed_size: 20480
    .kernarg_segment_align: 8
    .kernarg_segment_size: 136
    .language:       OpenCL C
    .language_version:
      - 2
      - 0
    .max_flat_workgroup_size: 256
    .name:           _ZN12_GLOBAL__N_120geam_min_plus_kernelId15HIP_vector_typeIdLj2EEdLi8ELi32ELi64ELi256ELi4ELi64ELi4ELi64ELi4ELc78ELc84ELb0ELb1ELb1EPKdKS4_KPdEEviiiT16_PT17_ilSA_ilS8_SA_ilPT18_ili26rocblas_geam_ex_operation_
    .private_segment_fixed_size: 0
    .sgpr_count:     50
    .sgpr_spill_count: 0
    .symbol:         _ZN12_GLOBAL__N_120geam_min_plus_kernelId15HIP_vector_typeIdLj2EEdLi8ELi32ELi64ELi256ELi4ELi64ELi4ELi64ELi4ELc78ELc84ELb0ELb1ELb1EPKdKS4_KPdEEviiiT16_PT17_ilSA_ilS8_SA_ilPT18_ili26rocblas_geam_ex_operation_.kd
    .uniform_work_group_size: 1
    .uses_dynamic_stack: false
    .vgpr_count:     228
    .vgpr_spill_count: 0
    .wavefront_size: 64
  - .agpr_count:     0
    .args:
      - .offset:         0
        .size:           4
        .value_kind:     by_value
      - .offset:         4
        .size:           4
        .value_kind:     by_value
      - .offset:         8
        .size:           4
        .value_kind:     by_value
      - .offset:         16
        .size:           8
        .value_kind:     by_value
      - .address_space:  global
        .offset:         24
        .size:           8
        .value_kind:     global_buffer
      - .offset:         32
        .size:           4
        .value_kind:     by_value
      - .offset:         40
        .size:           8
        .value_kind:     by_value
      - .address_space:  global
        .offset:         48
        .size:           8
        .value_kind:     global_buffer
      - .offset:         56
        .size:           4
        .value_kind:     by_value
      - .offset:         64
        .size:           8
        .value_kind:     by_value
      - .offset:         72
        .size:           8
        .value_kind:     by_value
      - .address_space:  global
        .offset:         80
        .size:           8
        .value_kind:     global_buffer
      - .offset:         88
        .size:           4
        .value_kind:     by_value
      - .offset:         96
        .size:           8
        .value_kind:     by_value
      - .address_space:  global
        .offset:         104
        .size:           8
        .value_kind:     global_buffer
      - .offset:         112
        .size:           4
        .value_kind:     by_value
      - .offset:         120
        .size:           8
        .value_kind:     by_value
      - .offset:         128
        .size:           4
        .value_kind:     by_value
      - .offset:         132
        .size:           4
        .value_kind:     by_value
    .group_segment_fixed_size: 20480
    .kernarg_segment_align: 8
    .kernarg_segment_size: 136
    .language:       OpenCL C
    .language_version:
      - 2
      - 0
    .max_flat_workgroup_size: 256
    .name:           _ZN12_GLOBAL__N_120geam_min_plus_kernelId15HIP_vector_typeIdLj2EEdLi8ELi32ELi64ELi256ELi4ELi64ELi4ELi64ELi4ELc78ELc84ELb1ELb1ELb1EdKPKdKPdEEviiiT16_PT17_ilSA_ilS8_SA_ilPT18_ili26rocblas_geam_ex_operation_
    .private_segment_fixed_size: 0
    .sgpr_count:     44
    .sgpr_spill_count: 0
    .symbol:         _ZN12_GLOBAL__N_120geam_min_plus_kernelId15HIP_vector_typeIdLj2EEdLi8ELi32ELi64ELi256ELi4ELi64ELi4ELi64ELi4ELc78ELc84ELb1ELb1ELb1EdKPKdKPdEEviiiT16_PT17_ilSA_ilS8_SA_ilPT18_ili26rocblas_geam_ex_operation_.kd
    .uniform_work_group_size: 1
    .uses_dynamic_stack: false
    .vgpr_count:     233
    .vgpr_spill_count: 0
    .wavefront_size: 64
  - .agpr_count:     0
    .args:
      - .offset:         0
        .size:           4
        .value_kind:     by_value
      - .offset:         4
        .size:           4
        .value_kind:     by_value
      - .offset:         8
        .size:           4
        .value_kind:     by_value
      - .offset:         16
        .size:           8
        .value_kind:     by_value
      - .address_space:  global
        .offset:         24
        .size:           8
        .value_kind:     global_buffer
      - .offset:         32
        .size:           4
        .value_kind:     by_value
      - .offset:         40
        .size:           8
        .value_kind:     by_value
      - .address_space:  global
        .offset:         48
        .size:           8
        .value_kind:     global_buffer
      - .offset:         56
        .size:           4
        .value_kind:     by_value
      - .offset:         64
        .size:           8
        .value_kind:     by_value
      - .offset:         72
        .size:           8
        .value_kind:     by_value
      - .address_space:  global
        .offset:         80
        .size:           8
        .value_kind:     global_buffer
      - .offset:         88
        .size:           4
        .value_kind:     by_value
      - .offset:         96
        .size:           8
        .value_kind:     by_value
      - .address_space:  global
        .offset:         104
        .size:           8
        .value_kind:     global_buffer
      - .offset:         112
        .size:           4
        .value_kind:     by_value
      - .offset:         120
        .size:           8
        .value_kind:     by_value
      - .offset:         128
        .size:           4
        .value_kind:     by_value
      - .offset:         132
        .size:           4
        .value_kind:     by_value
    .group_segment_fixed_size: 20480
    .kernarg_segment_align: 8
    .kernarg_segment_size: 136
    .language:       OpenCL C
    .language_version:
      - 2
      - 0
    .max_flat_workgroup_size: 256
    .name:           _ZN12_GLOBAL__N_120geam_min_plus_kernelId15HIP_vector_typeIdLj2EEdLi8ELi32ELi64ELi256ELi4ELi64ELi4ELi64ELi4ELc78ELc84ELb0ELb1ELb1EdKPKdKPdEEviiiT16_PT17_ilSA_ilS8_SA_ilPT18_ili26rocblas_geam_ex_operation_
    .private_segment_fixed_size: 0
    .sgpr_count:     50
    .sgpr_spill_count: 0
    .symbol:         _ZN12_GLOBAL__N_120geam_min_plus_kernelId15HIP_vector_typeIdLj2EEdLi8ELi32ELi64ELi256ELi4ELi64ELi4ELi64ELi4ELc78ELc84ELb0ELb1ELb1EdKPKdKPdEEviiiT16_PT17_ilSA_ilS8_SA_ilPT18_ili26rocblas_geam_ex_operation_.kd
    .uniform_work_group_size: 1
    .uses_dynamic_stack: false
    .vgpr_count:     228
    .vgpr_spill_count: 0
    .wavefront_size: 64
  - .agpr_count:     0
    .args:
      - .offset:         0
        .size:           4
        .value_kind:     by_value
      - .offset:         4
        .size:           4
        .value_kind:     by_value
      - .offset:         8
        .size:           4
        .value_kind:     by_value
      - .address_space:  global
        .offset:         16
        .size:           8
        .value_kind:     global_buffer
      - .address_space:  global
        .offset:         24
        .size:           8
        .value_kind:     global_buffer
      - .offset:         32
        .size:           4
        .value_kind:     by_value
      - .offset:         40
        .size:           8
        .value_kind:     by_value
      - .address_space:  global
        .offset:         48
        .size:           8
        .value_kind:     global_buffer
      - .offset:         56
        .size:           4
        .value_kind:     by_value
      - .offset:         64
        .size:           8
        .value_kind:     by_value
      - .address_space:  global
        .offset:         72
        .size:           8
        .value_kind:     global_buffer
      - .address_space:  global
        .offset:         80
        .size:           8
        .value_kind:     global_buffer
      - .offset:         88
        .size:           4
        .value_kind:     by_value
      - .offset:         96
        .size:           8
        .value_kind:     by_value
      - .address_space:  global
        .offset:         104
        .size:           8
        .value_kind:     global_buffer
      - .offset:         112
        .size:           4
        .value_kind:     by_value
      - .offset:         120
        .size:           8
        .value_kind:     by_value
      - .offset:         128
        .size:           4
        .value_kind:     by_value
      - .offset:         132
        .size:           4
        .value_kind:     by_value
    .group_segment_fixed_size: 20480
    .kernarg_segment_align: 8
    .kernarg_segment_size: 136
    .language:       OpenCL C
    .language_version:
      - 2
      - 0
    .max_flat_workgroup_size: 256
    .name:           _ZN12_GLOBAL__N_120geam_min_plus_kernelId15HIP_vector_typeIdLj2EEdLi8ELi32ELi64ELi256ELi4ELi4ELi64ELi64ELi4ELc84ELc84ELb0ELb0ELb1EPKdKS4_KPdEEviiiT16_PT17_ilSA_ilS8_SA_ilPT18_ili26rocblas_geam_ex_operation_
    .private_segment_fixed_size: 0
    .sgpr_count:     36
    .sgpr_spill_count: 0
    .symbol:         _ZN12_GLOBAL__N_120geam_min_plus_kernelId15HIP_vector_typeIdLj2EEdLi8ELi32ELi64ELi256ELi4ELi4ELi64ELi64ELi4ELc84ELc84ELb0ELb0ELb1EPKdKS4_KPdEEviiiT16_PT17_ilSA_ilS8_SA_ilPT18_ili26rocblas_geam_ex_operation_.kd
    .uniform_work_group_size: 1
    .uses_dynamic_stack: false
    .vgpr_count:     230
    .vgpr_spill_count: 0
    .wavefront_size: 64
  - .agpr_count:     0
    .args:
      - .offset:         0
        .size:           4
        .value_kind:     by_value
      - .offset:         4
        .size:           4
        .value_kind:     by_value
      - .offset:         8
        .size:           4
        .value_kind:     by_value
      - .offset:         16
        .size:           8
        .value_kind:     by_value
      - .address_space:  global
        .offset:         24
        .size:           8
        .value_kind:     global_buffer
      - .offset:         32
        .size:           4
        .value_kind:     by_value
      - .offset:         40
        .size:           8
        .value_kind:     by_value
      - .address_space:  global
        .offset:         48
        .size:           8
        .value_kind:     global_buffer
      - .offset:         56
        .size:           4
        .value_kind:     by_value
      - .offset:         64
        .size:           8
        .value_kind:     by_value
      - .offset:         72
        .size:           8
        .value_kind:     by_value
      - .address_space:  global
        .offset:         80
        .size:           8
        .value_kind:     global_buffer
      - .offset:         88
        .size:           4
        .value_kind:     by_value
      - .offset:         96
        .size:           8
        .value_kind:     by_value
      - .address_space:  global
        .offset:         104
        .size:           8
        .value_kind:     global_buffer
      - .offset:         112
        .size:           4
        .value_kind:     by_value
      - .offset:         120
        .size:           8
        .value_kind:     by_value
      - .offset:         128
        .size:           4
        .value_kind:     by_value
      - .offset:         132
        .size:           4
        .value_kind:     by_value
    .group_segment_fixed_size: 20480
    .kernarg_segment_align: 8
    .kernarg_segment_size: 136
    .language:       OpenCL C
    .language_version:
      - 2
      - 0
    .max_flat_workgroup_size: 256
    .name:           _ZN12_GLOBAL__N_120geam_min_plus_kernelId15HIP_vector_typeIdLj2EEdLi8ELi32ELi64ELi256ELi4ELi4ELi64ELi64ELi4ELc84ELc84ELb1ELb0ELb1EdKPKdKPdEEviiiT16_PT17_ilSA_ilS8_SA_ilPT18_ili26rocblas_geam_ex_operation_
    .private_segment_fixed_size: 0
    .sgpr_count:     29
    .sgpr_spill_count: 0
    .symbol:         _ZN12_GLOBAL__N_120geam_min_plus_kernelId15HIP_vector_typeIdLj2EEdLi8ELi32ELi64ELi256ELi4ELi4ELi64ELi64ELi4ELc84ELc84ELb1ELb0ELb1EdKPKdKPdEEviiiT16_PT17_ilSA_ilS8_SA_ilPT18_ili26rocblas_geam_ex_operation_.kd
    .uniform_work_group_size: 1
    .uses_dynamic_stack: false
    .vgpr_count:     220
    .vgpr_spill_count: 0
    .wavefront_size: 64
  - .agpr_count:     0
    .args:
      - .offset:         0
        .size:           4
        .value_kind:     by_value
      - .offset:         4
        .size:           4
        .value_kind:     by_value
      - .offset:         8
        .size:           4
        .value_kind:     by_value
      - .offset:         16
        .size:           8
        .value_kind:     by_value
      - .address_space:  global
        .offset:         24
        .size:           8
        .value_kind:     global_buffer
      - .offset:         32
        .size:           4
        .value_kind:     by_value
      - .offset:         40
        .size:           8
        .value_kind:     by_value
      - .address_space:  global
        .offset:         48
        .size:           8
        .value_kind:     global_buffer
      - .offset:         56
        .size:           4
        .value_kind:     by_value
      - .offset:         64
        .size:           8
        .value_kind:     by_value
      - .offset:         72
        .size:           8
        .value_kind:     by_value
      - .address_space:  global
        .offset:         80
        .size:           8
        .value_kind:     global_buffer
      - .offset:         88
        .size:           4
        .value_kind:     by_value
      - .offset:         96
        .size:           8
        .value_kind:     by_value
      - .address_space:  global
        .offset:         104
        .size:           8
        .value_kind:     global_buffer
      - .offset:         112
        .size:           4
        .value_kind:     by_value
      - .offset:         120
        .size:           8
        .value_kind:     by_value
      - .offset:         128
        .size:           4
        .value_kind:     by_value
      - .offset:         132
        .size:           4
        .value_kind:     by_value
    .group_segment_fixed_size: 20480
    .kernarg_segment_align: 8
    .kernarg_segment_size: 136
    .language:       OpenCL C
    .language_version:
      - 2
      - 0
    .max_flat_workgroup_size: 256
    .name:           _ZN12_GLOBAL__N_120geam_min_plus_kernelId15HIP_vector_typeIdLj2EEdLi8ELi32ELi64ELi256ELi4ELi4ELi64ELi64ELi4ELc84ELc84ELb0ELb0ELb1EdKPKdKPdEEviiiT16_PT17_ilSA_ilS8_SA_ilPT18_ili26rocblas_geam_ex_operation_
    .private_segment_fixed_size: 0
    .sgpr_count:     36
    .sgpr_spill_count: 0
    .symbol:         _ZN12_GLOBAL__N_120geam_min_plus_kernelId15HIP_vector_typeIdLj2EEdLi8ELi32ELi64ELi256ELi4ELi4ELi64ELi64ELi4ELc84ELc84ELb0ELb0ELb1EdKPKdKPdEEviiiT16_PT17_ilSA_ilS8_SA_ilPT18_ili26rocblas_geam_ex_operation_.kd
    .uniform_work_group_size: 1
    .uses_dynamic_stack: false
    .vgpr_count:     230
    .vgpr_spill_count: 0
    .wavefront_size: 64
  - .agpr_count:     0
    .args:
      - .offset:         0
        .size:           4
        .value_kind:     by_value
      - .offset:         4
        .size:           4
        .value_kind:     by_value
      - .offset:         8
        .size:           4
        .value_kind:     by_value
      - .address_space:  global
        .offset:         16
        .size:           8
        .value_kind:     global_buffer
      - .address_space:  global
        .offset:         24
        .size:           8
        .value_kind:     global_buffer
      - .offset:         32
        .size:           4
        .value_kind:     by_value
      - .offset:         40
        .size:           8
        .value_kind:     by_value
      - .address_space:  global
        .offset:         48
        .size:           8
        .value_kind:     global_buffer
      - .offset:         56
        .size:           4
        .value_kind:     by_value
      - .offset:         64
        .size:           8
        .value_kind:     by_value
      - .address_space:  global
        .offset:         72
        .size:           8
        .value_kind:     global_buffer
      - .address_space:  global
        .offset:         80
        .size:           8
        .value_kind:     global_buffer
      - .offset:         88
        .size:           4
        .value_kind:     by_value
      - .offset:         96
        .size:           8
        .value_kind:     by_value
      - .address_space:  global
        .offset:         104
        .size:           8
        .value_kind:     global_buffer
      - .offset:         112
        .size:           4
        .value_kind:     by_value
      - .offset:         120
        .size:           8
        .value_kind:     by_value
      - .offset:         128
        .size:           4
        .value_kind:     by_value
      - .offset:         132
        .size:           4
        .value_kind:     by_value
    .group_segment_fixed_size: 20480
    .kernarg_segment_align: 8
    .kernarg_segment_size: 136
    .language:       OpenCL C
    .language_version:
      - 2
      - 0
    .max_flat_workgroup_size: 256
    .name:           _ZN12_GLOBAL__N_120geam_min_plus_kernelId15HIP_vector_typeIdLj2EEdLi8ELi32ELi64ELi256ELi4ELi4ELi64ELi64ELi4ELc84ELc84ELb0ELb1ELb1EPKdKS4_KPdEEviiiT16_PT17_ilSA_ilS8_SA_ilPT18_ili26rocblas_geam_ex_operation_
    .private_segment_fixed_size: 0
    .sgpr_count:     48
    .sgpr_spill_count: 0
    .symbol:         _ZN12_GLOBAL__N_120geam_min_plus_kernelId15HIP_vector_typeIdLj2EEdLi8ELi32ELi64ELi256ELi4ELi4ELi64ELi64ELi4ELc84ELc84ELb0ELb1ELb1EPKdKS4_KPdEEviiiT16_PT17_ilSA_ilS8_SA_ilPT18_ili26rocblas_geam_ex_operation_.kd
    .uniform_work_group_size: 1
    .uses_dynamic_stack: false
    .vgpr_count:     225
    .vgpr_spill_count: 0
    .wavefront_size: 64
  - .agpr_count:     0
    .args:
      - .offset:         0
        .size:           4
        .value_kind:     by_value
      - .offset:         4
        .size:           4
        .value_kind:     by_value
      - .offset:         8
        .size:           4
        .value_kind:     by_value
      - .offset:         16
        .size:           8
        .value_kind:     by_value
      - .address_space:  global
        .offset:         24
        .size:           8
        .value_kind:     global_buffer
      - .offset:         32
        .size:           4
        .value_kind:     by_value
      - .offset:         40
        .size:           8
        .value_kind:     by_value
      - .address_space:  global
        .offset:         48
        .size:           8
        .value_kind:     global_buffer
      - .offset:         56
        .size:           4
        .value_kind:     by_value
      - .offset:         64
        .size:           8
        .value_kind:     by_value
      - .offset:         72
        .size:           8
        .value_kind:     by_value
      - .address_space:  global
        .offset:         80
        .size:           8
        .value_kind:     global_buffer
      - .offset:         88
        .size:           4
        .value_kind:     by_value
      - .offset:         96
        .size:           8
        .value_kind:     by_value
      - .address_space:  global
        .offset:         104
        .size:           8
        .value_kind:     global_buffer
      - .offset:         112
        .size:           4
        .value_kind:     by_value
      - .offset:         120
        .size:           8
        .value_kind:     by_value
      - .offset:         128
        .size:           4
        .value_kind:     by_value
      - .offset:         132
        .size:           4
        .value_kind:     by_value
    .group_segment_fixed_size: 20480
    .kernarg_segment_align: 8
    .kernarg_segment_size: 136
    .language:       OpenCL C
    .language_version:
      - 2
      - 0
    .max_flat_workgroup_size: 256
    .name:           _ZN12_GLOBAL__N_120geam_min_plus_kernelId15HIP_vector_typeIdLj2EEdLi8ELi32ELi64ELi256ELi4ELi4ELi64ELi64ELi4ELc84ELc84ELb1ELb1ELb1EdKPKdKPdEEviiiT16_PT17_ilSA_ilS8_SA_ilPT18_ili26rocblas_geam_ex_operation_
    .private_segment_fixed_size: 0
    .sgpr_count:     46
    .sgpr_spill_count: 0
    .symbol:         _ZN12_GLOBAL__N_120geam_min_plus_kernelId15HIP_vector_typeIdLj2EEdLi8ELi32ELi64ELi256ELi4ELi4ELi64ELi64ELi4ELc84ELc84ELb1ELb1ELb1EdKPKdKPdEEviiiT16_PT17_ilSA_ilS8_SA_ilPT18_ili26rocblas_geam_ex_operation_.kd
    .uniform_work_group_size: 1
    .uses_dynamic_stack: false
    .vgpr_count:     230
    .vgpr_spill_count: 0
    .wavefront_size: 64
  - .agpr_count:     0
    .args:
      - .offset:         0
        .size:           4
        .value_kind:     by_value
      - .offset:         4
        .size:           4
        .value_kind:     by_value
      - .offset:         8
        .size:           4
        .value_kind:     by_value
      - .offset:         16
        .size:           8
        .value_kind:     by_value
      - .address_space:  global
        .offset:         24
        .size:           8
        .value_kind:     global_buffer
      - .offset:         32
        .size:           4
        .value_kind:     by_value
      - .offset:         40
        .size:           8
        .value_kind:     by_value
      - .address_space:  global
        .offset:         48
        .size:           8
        .value_kind:     global_buffer
      - .offset:         56
        .size:           4
        .value_kind:     by_value
      - .offset:         64
        .size:           8
        .value_kind:     by_value
      - .offset:         72
        .size:           8
        .value_kind:     by_value
      - .address_space:  global
        .offset:         80
        .size:           8
        .value_kind:     global_buffer
      - .offset:         88
        .size:           4
        .value_kind:     by_value
      - .offset:         96
        .size:           8
        .value_kind:     by_value
      - .address_space:  global
        .offset:         104
        .size:           8
        .value_kind:     global_buffer
      - .offset:         112
        .size:           4
        .value_kind:     by_value
      - .offset:         120
        .size:           8
        .value_kind:     by_value
      - .offset:         128
        .size:           4
        .value_kind:     by_value
      - .offset:         132
        .size:           4
        .value_kind:     by_value
    .group_segment_fixed_size: 20480
    .kernarg_segment_align: 8
    .kernarg_segment_size: 136
    .language:       OpenCL C
    .language_version:
      - 2
      - 0
    .max_flat_workgroup_size: 256
    .name:           _ZN12_GLOBAL__N_120geam_min_plus_kernelId15HIP_vector_typeIdLj2EEdLi8ELi32ELi64ELi256ELi4ELi4ELi64ELi64ELi4ELc84ELc84ELb0ELb1ELb1EdKPKdKPdEEviiiT16_PT17_ilSA_ilS8_SA_ilPT18_ili26rocblas_geam_ex_operation_
    .private_segment_fixed_size: 0
    .sgpr_count:     48
    .sgpr_spill_count: 0
    .symbol:         _ZN12_GLOBAL__N_120geam_min_plus_kernelId15HIP_vector_typeIdLj2EEdLi8ELi32ELi64ELi256ELi4ELi4ELi64ELi64ELi4ELc84ELc84ELb0ELb1ELb1EdKPKdKPdEEviiiT16_PT17_ilSA_ilS8_SA_ilPT18_ili26rocblas_geam_ex_operation_.kd
    .uniform_work_group_size: 1
    .uses_dynamic_stack: false
    .vgpr_count:     225
    .vgpr_spill_count: 0
    .wavefront_size: 64
  - .agpr_count:     0
    .args:
      - .offset:         0
        .size:           4
        .value_kind:     by_value
      - .offset:         4
        .size:           4
        .value_kind:     by_value
      - .offset:         8
        .size:           4
        .value_kind:     by_value
      - .address_space:  global
        .offset:         16
        .size:           8
        .value_kind:     global_buffer
      - .address_space:  global
        .offset:         24
        .size:           8
        .value_kind:     global_buffer
      - .offset:         32
        .size:           4
        .value_kind:     by_value
      - .offset:         40
        .size:           8
        .value_kind:     by_value
      - .address_space:  global
        .offset:         48
        .size:           8
        .value_kind:     global_buffer
      - .offset:         56
        .size:           4
        .value_kind:     by_value
      - .offset:         64
        .size:           8
        .value_kind:     by_value
      - .address_space:  global
        .offset:         72
        .size:           8
        .value_kind:     global_buffer
      - .address_space:  global
        .offset:         80
        .size:           8
        .value_kind:     global_buffer
      - .offset:         88
        .size:           4
        .value_kind:     by_value
      - .offset:         96
        .size:           8
        .value_kind:     by_value
      - .address_space:  global
        .offset:         104
        .size:           8
        .value_kind:     global_buffer
      - .offset:         112
        .size:           4
        .value_kind:     by_value
      - .offset:         120
        .size:           8
        .value_kind:     by_value
      - .offset:         128
        .size:           4
        .value_kind:     by_value
      - .offset:         132
        .size:           4
        .value_kind:     by_value
    .group_segment_fixed_size: 16384
    .kernarg_segment_align: 8
    .kernarg_segment_size: 136
    .language:       OpenCL C
    .language_version:
      - 2
      - 0
    .max_flat_workgroup_size: 256
    .name:           _ZN12_GLOBAL__N_120geam_min_plus_kernelIdddLi4ELi64ELi128ELi128ELi4ELi64ELi4ELi4ELi64ELc78ELc78ELb0ELb0ELb0EPKdKS2_KPdEEviiiT16_PT17_ilS8_ilS6_S8_ilPT18_ili26rocblas_geam_ex_operation_
    .private_segment_fixed_size: 0
    .sgpr_count:     34
    .sgpr_spill_count: 0
    .symbol:         _ZN12_GLOBAL__N_120geam_min_plus_kernelIdddLi4ELi64ELi128ELi128ELi4ELi64ELi4ELi4ELi64ELc78ELc78ELb0ELb0ELb0EPKdKS2_KPdEEviiiT16_PT17_ilS8_ilS6_S8_ilPT18_ili26rocblas_geam_ex_operation_.kd
    .uniform_work_group_size: 1
    .uses_dynamic_stack: false
    .vgpr_count:     254
    .vgpr_spill_count: 0
    .wavefront_size: 64
  - .agpr_count:     0
    .args:
      - .offset:         0
        .size:           4
        .value_kind:     by_value
      - .offset:         4
        .size:           4
        .value_kind:     by_value
      - .offset:         8
        .size:           4
        .value_kind:     by_value
      - .offset:         16
        .size:           8
        .value_kind:     by_value
      - .address_space:  global
        .offset:         24
        .size:           8
        .value_kind:     global_buffer
      - .offset:         32
        .size:           4
        .value_kind:     by_value
      - .offset:         40
        .size:           8
        .value_kind:     by_value
      - .address_space:  global
        .offset:         48
        .size:           8
        .value_kind:     global_buffer
      - .offset:         56
        .size:           4
        .value_kind:     by_value
      - .offset:         64
        .size:           8
        .value_kind:     by_value
      - .offset:         72
        .size:           8
        .value_kind:     by_value
      - .address_space:  global
        .offset:         80
        .size:           8
        .value_kind:     global_buffer
      - .offset:         88
        .size:           4
        .value_kind:     by_value
      - .offset:         96
        .size:           8
        .value_kind:     by_value
      - .address_space:  global
        .offset:         104
        .size:           8
        .value_kind:     global_buffer
      - .offset:         112
        .size:           4
        .value_kind:     by_value
      - .offset:         120
        .size:           8
        .value_kind:     by_value
      - .offset:         128
        .size:           4
        .value_kind:     by_value
      - .offset:         132
        .size:           4
        .value_kind:     by_value
    .group_segment_fixed_size: 16384
    .kernarg_segment_align: 8
    .kernarg_segment_size: 136
    .language:       OpenCL C
    .language_version:
      - 2
      - 0
    .max_flat_workgroup_size: 256
    .name:           _ZN12_GLOBAL__N_120geam_min_plus_kernelIdddLi4ELi64ELi128ELi128ELi4ELi64ELi4ELi4ELi64ELc78ELc78ELb1ELb0ELb0EdKPKdKPdEEviiiT16_PT17_ilS8_ilS6_S8_ilPT18_ili26rocblas_geam_ex_operation_
    .private_segment_fixed_size: 0
    .sgpr_count:     30
    .sgpr_spill_count: 0
    .symbol:         _ZN12_GLOBAL__N_120geam_min_plus_kernelIdddLi4ELi64ELi128ELi128ELi4ELi64ELi4ELi4ELi64ELc78ELc78ELb1ELb0ELb0EdKPKdKPdEEviiiT16_PT17_ilS8_ilS6_S8_ilPT18_ili26rocblas_geam_ex_operation_.kd
    .uniform_work_group_size: 1
    .uses_dynamic_stack: false
    .vgpr_count:     256
    .vgpr_spill_count: 0
    .wavefront_size: 64
  - .agpr_count:     0
    .args:
      - .offset:         0
        .size:           4
        .value_kind:     by_value
      - .offset:         4
        .size:           4
        .value_kind:     by_value
      - .offset:         8
        .size:           4
        .value_kind:     by_value
      - .offset:         16
        .size:           8
        .value_kind:     by_value
      - .address_space:  global
        .offset:         24
        .size:           8
        .value_kind:     global_buffer
      - .offset:         32
        .size:           4
        .value_kind:     by_value
      - .offset:         40
        .size:           8
        .value_kind:     by_value
      - .address_space:  global
        .offset:         48
        .size:           8
        .value_kind:     global_buffer
      - .offset:         56
        .size:           4
        .value_kind:     by_value
      - .offset:         64
        .size:           8
        .value_kind:     by_value
      - .offset:         72
        .size:           8
        .value_kind:     by_value
      - .address_space:  global
        .offset:         80
        .size:           8
        .value_kind:     global_buffer
      - .offset:         88
        .size:           4
        .value_kind:     by_value
      - .offset:         96
        .size:           8
        .value_kind:     by_value
      - .address_space:  global
        .offset:         104
        .size:           8
        .value_kind:     global_buffer
      - .offset:         112
        .size:           4
        .value_kind:     by_value
      - .offset:         120
        .size:           8
        .value_kind:     by_value
      - .offset:         128
        .size:           4
        .value_kind:     by_value
      - .offset:         132
        .size:           4
        .value_kind:     by_value
    .group_segment_fixed_size: 16384
    .kernarg_segment_align: 8
    .kernarg_segment_size: 136
    .language:       OpenCL C
    .language_version:
      - 2
      - 0
    .max_flat_workgroup_size: 256
    .name:           _ZN12_GLOBAL__N_120geam_min_plus_kernelIdddLi4ELi64ELi128ELi128ELi4ELi64ELi4ELi4ELi64ELc78ELc78ELb0ELb0ELb0EdKPKdKPdEEviiiT16_PT17_ilS8_ilS6_S8_ilPT18_ili26rocblas_geam_ex_operation_
    .private_segment_fixed_size: 0
    .sgpr_count:     34
    .sgpr_spill_count: 0
    .symbol:         _ZN12_GLOBAL__N_120geam_min_plus_kernelIdddLi4ELi64ELi128ELi128ELi4ELi64ELi4ELi4ELi64ELc78ELc78ELb0ELb0ELb0EdKPKdKPdEEviiiT16_PT17_ilS8_ilS6_S8_ilPT18_ili26rocblas_geam_ex_operation_.kd
    .uniform_work_group_size: 1
    .uses_dynamic_stack: false
    .vgpr_count:     254
    .vgpr_spill_count: 0
    .wavefront_size: 64
  - .agpr_count:     0
    .args:
      - .offset:         0
        .size:           4
        .value_kind:     by_value
      - .offset:         4
        .size:           4
        .value_kind:     by_value
      - .offset:         8
        .size:           4
        .value_kind:     by_value
      - .address_space:  global
        .offset:         16
        .size:           8
        .value_kind:     global_buffer
      - .address_space:  global
        .offset:         24
        .size:           8
        .value_kind:     global_buffer
      - .offset:         32
        .size:           4
        .value_kind:     by_value
      - .offset:         40
        .size:           8
        .value_kind:     by_value
      - .address_space:  global
        .offset:         48
        .size:           8
        .value_kind:     global_buffer
      - .offset:         56
        .size:           4
        .value_kind:     by_value
      - .offset:         64
        .size:           8
        .value_kind:     by_value
      - .address_space:  global
        .offset:         72
        .size:           8
        .value_kind:     global_buffer
      - .address_space:  global
        .offset:         80
        .size:           8
        .value_kind:     global_buffer
      - .offset:         88
        .size:           4
        .value_kind:     by_value
      - .offset:         96
        .size:           8
        .value_kind:     by_value
      - .address_space:  global
        .offset:         104
        .size:           8
        .value_kind:     global_buffer
      - .offset:         112
        .size:           4
        .value_kind:     by_value
      - .offset:         120
        .size:           8
        .value_kind:     by_value
      - .offset:         128
        .size:           4
        .value_kind:     by_value
      - .offset:         132
        .size:           4
        .value_kind:     by_value
    .group_segment_fixed_size: 16384
    .kernarg_segment_align: 8
    .kernarg_segment_size: 136
    .language:       OpenCL C
    .language_version:
      - 2
      - 0
    .max_flat_workgroup_size: 256
    .name:           _ZN12_GLOBAL__N_120geam_min_plus_kernelIdddLi4ELi64ELi128ELi128ELi4ELi64ELi4ELi4ELi64ELc78ELc78ELb0ELb1ELb0EPKdKS2_KPdEEviiiT16_PT17_ilS8_ilS6_S8_ilPT18_ili26rocblas_geam_ex_operation_
    .private_segment_fixed_size: 0
    .sgpr_count:     88
    .sgpr_spill_count: 0
    .symbol:         _ZN12_GLOBAL__N_120geam_min_plus_kernelIdddLi4ELi64ELi128ELi128ELi4ELi64ELi4ELi4ELi64ELc78ELc78ELb0ELb1ELb0EPKdKS2_KPdEEviiiT16_PT17_ilS8_ilS6_S8_ilPT18_ili26rocblas_geam_ex_operation_.kd
    .uniform_work_group_size: 1
    .uses_dynamic_stack: false
    .vgpr_count:     254
    .vgpr_spill_count: 0
    .wavefront_size: 64
  - .agpr_count:     0
    .args:
      - .offset:         0
        .size:           4
        .value_kind:     by_value
      - .offset:         4
        .size:           4
        .value_kind:     by_value
      - .offset:         8
        .size:           4
        .value_kind:     by_value
      - .offset:         16
        .size:           8
        .value_kind:     by_value
      - .address_space:  global
        .offset:         24
        .size:           8
        .value_kind:     global_buffer
      - .offset:         32
        .size:           4
        .value_kind:     by_value
      - .offset:         40
        .size:           8
        .value_kind:     by_value
      - .address_space:  global
        .offset:         48
        .size:           8
        .value_kind:     global_buffer
      - .offset:         56
        .size:           4
        .value_kind:     by_value
      - .offset:         64
        .size:           8
        .value_kind:     by_value
      - .offset:         72
        .size:           8
        .value_kind:     by_value
      - .address_space:  global
        .offset:         80
        .size:           8
        .value_kind:     global_buffer
      - .offset:         88
        .size:           4
        .value_kind:     by_value
      - .offset:         96
        .size:           8
        .value_kind:     by_value
      - .address_space:  global
        .offset:         104
        .size:           8
        .value_kind:     global_buffer
      - .offset:         112
        .size:           4
        .value_kind:     by_value
      - .offset:         120
        .size:           8
        .value_kind:     by_value
      - .offset:         128
        .size:           4
        .value_kind:     by_value
      - .offset:         132
        .size:           4
        .value_kind:     by_value
    .group_segment_fixed_size: 16384
    .kernarg_segment_align: 8
    .kernarg_segment_size: 136
    .language:       OpenCL C
    .language_version:
      - 2
      - 0
    .max_flat_workgroup_size: 256
    .name:           _ZN12_GLOBAL__N_120geam_min_plus_kernelIdddLi4ELi64ELi128ELi128ELi4ELi64ELi4ELi4ELi64ELc78ELc78ELb1ELb1ELb0EdKPKdKPdEEviiiT16_PT17_ilS8_ilS6_S8_ilPT18_ili26rocblas_geam_ex_operation_
    .private_segment_fixed_size: 0
    .sgpr_count:     88
    .sgpr_spill_count: 0
    .symbol:         _ZN12_GLOBAL__N_120geam_min_plus_kernelIdddLi4ELi64ELi128ELi128ELi4ELi64ELi4ELi4ELi64ELc78ELc78ELb1ELb1ELb0EdKPKdKPdEEviiiT16_PT17_ilS8_ilS6_S8_ilPT18_ili26rocblas_geam_ex_operation_.kd
    .uniform_work_group_size: 1
    .uses_dynamic_stack: false
    .vgpr_count:     254
    .vgpr_spill_count: 0
    .wavefront_size: 64
  - .agpr_count:     0
    .args:
      - .offset:         0
        .size:           4
        .value_kind:     by_value
      - .offset:         4
        .size:           4
        .value_kind:     by_value
      - .offset:         8
        .size:           4
        .value_kind:     by_value
      - .offset:         16
        .size:           8
        .value_kind:     by_value
      - .address_space:  global
        .offset:         24
        .size:           8
        .value_kind:     global_buffer
      - .offset:         32
        .size:           4
        .value_kind:     by_value
      - .offset:         40
        .size:           8
        .value_kind:     by_value
      - .address_space:  global
        .offset:         48
        .size:           8
        .value_kind:     global_buffer
      - .offset:         56
        .size:           4
        .value_kind:     by_value
      - .offset:         64
        .size:           8
        .value_kind:     by_value
      - .offset:         72
        .size:           8
        .value_kind:     by_value
      - .address_space:  global
        .offset:         80
        .size:           8
        .value_kind:     global_buffer
      - .offset:         88
        .size:           4
        .value_kind:     by_value
      - .offset:         96
        .size:           8
        .value_kind:     by_value
      - .address_space:  global
        .offset:         104
        .size:           8
        .value_kind:     global_buffer
      - .offset:         112
        .size:           4
        .value_kind:     by_value
      - .offset:         120
        .size:           8
        .value_kind:     by_value
      - .offset:         128
        .size:           4
        .value_kind:     by_value
      - .offset:         132
        .size:           4
        .value_kind:     by_value
    .group_segment_fixed_size: 16384
    .kernarg_segment_align: 8
    .kernarg_segment_size: 136
    .language:       OpenCL C
    .language_version:
      - 2
      - 0
    .max_flat_workgroup_size: 256
    .name:           _ZN12_GLOBAL__N_120geam_min_plus_kernelIdddLi4ELi64ELi128ELi128ELi4ELi64ELi4ELi4ELi64ELc78ELc78ELb0ELb1ELb0EdKPKdKPdEEviiiT16_PT17_ilS8_ilS6_S8_ilPT18_ili26rocblas_geam_ex_operation_
    .private_segment_fixed_size: 0
    .sgpr_count:     88
    .sgpr_spill_count: 0
    .symbol:         _ZN12_GLOBAL__N_120geam_min_plus_kernelIdddLi4ELi64ELi128ELi128ELi4ELi64ELi4ELi4ELi64ELc78ELc78ELb0ELb1ELb0EdKPKdKPdEEviiiT16_PT17_ilS8_ilS6_S8_ilPT18_ili26rocblas_geam_ex_operation_.kd
    .uniform_work_group_size: 1
    .uses_dynamic_stack: false
    .vgpr_count:     254
    .vgpr_spill_count: 0
    .wavefront_size: 64
  - .agpr_count:     0
    .args:
      - .offset:         0
        .size:           4
        .value_kind:     by_value
      - .offset:         4
        .size:           4
        .value_kind:     by_value
      - .offset:         8
        .size:           4
        .value_kind:     by_value
      - .address_space:  global
        .offset:         16
        .size:           8
        .value_kind:     global_buffer
      - .address_space:  global
        .offset:         24
        .size:           8
        .value_kind:     global_buffer
      - .offset:         32
        .size:           4
        .value_kind:     by_value
      - .offset:         40
        .size:           8
        .value_kind:     by_value
      - .address_space:  global
        .offset:         48
        .size:           8
        .value_kind:     global_buffer
      - .offset:         56
        .size:           4
        .value_kind:     by_value
      - .offset:         64
        .size:           8
        .value_kind:     by_value
      - .address_space:  global
        .offset:         72
        .size:           8
        .value_kind:     global_buffer
      - .address_space:  global
        .offset:         80
        .size:           8
        .value_kind:     global_buffer
      - .offset:         88
        .size:           4
        .value_kind:     by_value
      - .offset:         96
        .size:           8
        .value_kind:     by_value
      - .address_space:  global
        .offset:         104
        .size:           8
        .value_kind:     global_buffer
      - .offset:         112
        .size:           4
        .value_kind:     by_value
      - .offset:         120
        .size:           8
        .value_kind:     by_value
      - .offset:         128
        .size:           4
        .value_kind:     by_value
      - .offset:         132
        .size:           4
        .value_kind:     by_value
    .group_segment_fixed_size: 16384
    .kernarg_segment_align: 8
    .kernarg_segment_size: 136
    .language:       OpenCL C
    .language_version:
      - 2
      - 0
    .max_flat_workgroup_size: 256
    .name:           _ZN12_GLOBAL__N_120geam_min_plus_kernelIdddLi4ELi64ELi128ELi128ELi4ELi4ELi64ELi4ELi64ELc84ELc78ELb0ELb0ELb0EPKdKS2_KPdEEviiiT16_PT17_ilS8_ilS6_S8_ilPT18_ili26rocblas_geam_ex_operation_
    .private_segment_fixed_size: 0
    .sgpr_count:     34
    .sgpr_spill_count: 0
    .symbol:         _ZN12_GLOBAL__N_120geam_min_plus_kernelIdddLi4ELi64ELi128ELi128ELi4ELi4ELi64ELi4ELi64ELc84ELc78ELb0ELb0ELb0EPKdKS2_KPdEEviiiT16_PT17_ilS8_ilS6_S8_ilPT18_ili26rocblas_geam_ex_operation_.kd
    .uniform_work_group_size: 1
    .uses_dynamic_stack: false
    .vgpr_count:     252
    .vgpr_spill_count: 0
    .wavefront_size: 64
  - .agpr_count:     0
    .args:
      - .offset:         0
        .size:           4
        .value_kind:     by_value
      - .offset:         4
        .size:           4
        .value_kind:     by_value
      - .offset:         8
        .size:           4
        .value_kind:     by_value
      - .offset:         16
        .size:           8
        .value_kind:     by_value
      - .address_space:  global
        .offset:         24
        .size:           8
        .value_kind:     global_buffer
      - .offset:         32
        .size:           4
        .value_kind:     by_value
      - .offset:         40
        .size:           8
        .value_kind:     by_value
      - .address_space:  global
        .offset:         48
        .size:           8
        .value_kind:     global_buffer
      - .offset:         56
        .size:           4
        .value_kind:     by_value
      - .offset:         64
        .size:           8
        .value_kind:     by_value
      - .offset:         72
        .size:           8
        .value_kind:     by_value
      - .address_space:  global
        .offset:         80
        .size:           8
        .value_kind:     global_buffer
      - .offset:         88
        .size:           4
        .value_kind:     by_value
      - .offset:         96
        .size:           8
        .value_kind:     by_value
      - .address_space:  global
        .offset:         104
        .size:           8
        .value_kind:     global_buffer
      - .offset:         112
        .size:           4
        .value_kind:     by_value
      - .offset:         120
        .size:           8
        .value_kind:     by_value
      - .offset:         128
        .size:           4
        .value_kind:     by_value
      - .offset:         132
        .size:           4
        .value_kind:     by_value
    .group_segment_fixed_size: 16384
    .kernarg_segment_align: 8
    .kernarg_segment_size: 136
    .language:       OpenCL C
    .language_version:
      - 2
      - 0
    .max_flat_workgroup_size: 256
    .name:           _ZN12_GLOBAL__N_120geam_min_plus_kernelIdddLi4ELi64ELi128ELi128ELi4ELi4ELi64ELi4ELi64ELc84ELc78ELb1ELb0ELb0EdKPKdKPdEEviiiT16_PT17_ilS8_ilS6_S8_ilPT18_ili26rocblas_geam_ex_operation_
    .private_segment_fixed_size: 0
    .sgpr_count:     28
    .sgpr_spill_count: 0
    .symbol:         _ZN12_GLOBAL__N_120geam_min_plus_kernelIdddLi4ELi64ELi128ELi128ELi4ELi4ELi64ELi4ELi64ELc84ELc78ELb1ELb0ELb0EdKPKdKPdEEviiiT16_PT17_ilS8_ilS6_S8_ilPT18_ili26rocblas_geam_ex_operation_.kd
    .uniform_work_group_size: 1
    .uses_dynamic_stack: false
    .vgpr_count:     254
    .vgpr_spill_count: 0
    .wavefront_size: 64
  - .agpr_count:     0
    .args:
      - .offset:         0
        .size:           4
        .value_kind:     by_value
      - .offset:         4
        .size:           4
        .value_kind:     by_value
      - .offset:         8
        .size:           4
        .value_kind:     by_value
      - .offset:         16
        .size:           8
        .value_kind:     by_value
      - .address_space:  global
        .offset:         24
        .size:           8
        .value_kind:     global_buffer
      - .offset:         32
        .size:           4
        .value_kind:     by_value
      - .offset:         40
        .size:           8
        .value_kind:     by_value
      - .address_space:  global
        .offset:         48
        .size:           8
        .value_kind:     global_buffer
      - .offset:         56
        .size:           4
        .value_kind:     by_value
      - .offset:         64
        .size:           8
        .value_kind:     by_value
      - .offset:         72
        .size:           8
        .value_kind:     by_value
      - .address_space:  global
        .offset:         80
        .size:           8
        .value_kind:     global_buffer
      - .offset:         88
        .size:           4
        .value_kind:     by_value
      - .offset:         96
        .size:           8
        .value_kind:     by_value
      - .address_space:  global
        .offset:         104
        .size:           8
        .value_kind:     global_buffer
      - .offset:         112
        .size:           4
        .value_kind:     by_value
      - .offset:         120
        .size:           8
        .value_kind:     by_value
      - .offset:         128
        .size:           4
        .value_kind:     by_value
      - .offset:         132
        .size:           4
        .value_kind:     by_value
    .group_segment_fixed_size: 16384
    .kernarg_segment_align: 8
    .kernarg_segment_size: 136
    .language:       OpenCL C
    .language_version:
      - 2
      - 0
    .max_flat_workgroup_size: 256
    .name:           _ZN12_GLOBAL__N_120geam_min_plus_kernelIdddLi4ELi64ELi128ELi128ELi4ELi4ELi64ELi4ELi64ELc84ELc78ELb0ELb0ELb0EdKPKdKPdEEviiiT16_PT17_ilS8_ilS6_S8_ilPT18_ili26rocblas_geam_ex_operation_
    .private_segment_fixed_size: 0
    .sgpr_count:     34
    .sgpr_spill_count: 0
    .symbol:         _ZN12_GLOBAL__N_120geam_min_plus_kernelIdddLi4ELi64ELi128ELi128ELi4ELi4ELi64ELi4ELi64ELc84ELc78ELb0ELb0ELb0EdKPKdKPdEEviiiT16_PT17_ilS8_ilS6_S8_ilPT18_ili26rocblas_geam_ex_operation_.kd
    .uniform_work_group_size: 1
    .uses_dynamic_stack: false
    .vgpr_count:     252
    .vgpr_spill_count: 0
    .wavefront_size: 64
  - .agpr_count:     0
    .args:
      - .offset:         0
        .size:           4
        .value_kind:     by_value
      - .offset:         4
        .size:           4
        .value_kind:     by_value
      - .offset:         8
        .size:           4
        .value_kind:     by_value
      - .address_space:  global
        .offset:         16
        .size:           8
        .value_kind:     global_buffer
      - .address_space:  global
        .offset:         24
        .size:           8
        .value_kind:     global_buffer
      - .offset:         32
        .size:           4
        .value_kind:     by_value
      - .offset:         40
        .size:           8
        .value_kind:     by_value
      - .address_space:  global
        .offset:         48
        .size:           8
        .value_kind:     global_buffer
      - .offset:         56
        .size:           4
        .value_kind:     by_value
      - .offset:         64
        .size:           8
        .value_kind:     by_value
      - .address_space:  global
        .offset:         72
        .size:           8
        .value_kind:     global_buffer
      - .address_space:  global
        .offset:         80
        .size:           8
        .value_kind:     global_buffer
      - .offset:         88
        .size:           4
        .value_kind:     by_value
      - .offset:         96
        .size:           8
        .value_kind:     by_value
      - .address_space:  global
        .offset:         104
        .size:           8
        .value_kind:     global_buffer
      - .offset:         112
        .size:           4
        .value_kind:     by_value
      - .offset:         120
        .size:           8
        .value_kind:     by_value
      - .offset:         128
        .size:           4
        .value_kind:     by_value
      - .offset:         132
        .size:           4
        .value_kind:     by_value
    .group_segment_fixed_size: 16384
    .kernarg_segment_align: 8
    .kernarg_segment_size: 136
    .language:       OpenCL C
    .language_version:
      - 2
      - 0
    .max_flat_workgroup_size: 256
    .name:           _ZN12_GLOBAL__N_120geam_min_plus_kernelIdddLi4ELi64ELi128ELi128ELi4ELi4ELi64ELi4ELi64ELc84ELc78ELb0ELb1ELb0EPKdKS2_KPdEEviiiT16_PT17_ilS8_ilS6_S8_ilPT18_ili26rocblas_geam_ex_operation_
    .private_segment_fixed_size: 0
    .sgpr_count:     88
    .sgpr_spill_count: 0
    .symbol:         _ZN12_GLOBAL__N_120geam_min_plus_kernelIdddLi4ELi64ELi128ELi128ELi4ELi4ELi64ELi4ELi64ELc84ELc78ELb0ELb1ELb0EPKdKS2_KPdEEviiiT16_PT17_ilS8_ilS6_S8_ilPT18_ili26rocblas_geam_ex_operation_.kd
    .uniform_work_group_size: 1
    .uses_dynamic_stack: false
    .vgpr_count:     250
    .vgpr_spill_count: 0
    .wavefront_size: 64
  - .agpr_count:     0
    .args:
      - .offset:         0
        .size:           4
        .value_kind:     by_value
      - .offset:         4
        .size:           4
        .value_kind:     by_value
      - .offset:         8
        .size:           4
        .value_kind:     by_value
      - .offset:         16
        .size:           8
        .value_kind:     by_value
      - .address_space:  global
        .offset:         24
        .size:           8
        .value_kind:     global_buffer
      - .offset:         32
        .size:           4
        .value_kind:     by_value
      - .offset:         40
        .size:           8
        .value_kind:     by_value
      - .address_space:  global
        .offset:         48
        .size:           8
        .value_kind:     global_buffer
      - .offset:         56
        .size:           4
        .value_kind:     by_value
      - .offset:         64
        .size:           8
        .value_kind:     by_value
      - .offset:         72
        .size:           8
        .value_kind:     by_value
      - .address_space:  global
        .offset:         80
        .size:           8
        .value_kind:     global_buffer
      - .offset:         88
        .size:           4
        .value_kind:     by_value
      - .offset:         96
        .size:           8
        .value_kind:     by_value
      - .address_space:  global
        .offset:         104
        .size:           8
        .value_kind:     global_buffer
      - .offset:         112
        .size:           4
        .value_kind:     by_value
      - .offset:         120
        .size:           8
        .value_kind:     by_value
      - .offset:         128
        .size:           4
        .value_kind:     by_value
      - .offset:         132
        .size:           4
        .value_kind:     by_value
    .group_segment_fixed_size: 16384
    .kernarg_segment_align: 8
    .kernarg_segment_size: 136
    .language:       OpenCL C
    .language_version:
      - 2
      - 0
    .max_flat_workgroup_size: 256
    .name:           _ZN12_GLOBAL__N_120geam_min_plus_kernelIdddLi4ELi64ELi128ELi128ELi4ELi4ELi64ELi4ELi64ELc84ELc78ELb1ELb1ELb0EdKPKdKPdEEviiiT16_PT17_ilS8_ilS6_S8_ilPT18_ili26rocblas_geam_ex_operation_
    .private_segment_fixed_size: 0
    .sgpr_count:     88
    .sgpr_spill_count: 0
    .symbol:         _ZN12_GLOBAL__N_120geam_min_plus_kernelIdddLi4ELi64ELi128ELi128ELi4ELi4ELi64ELi4ELi64ELc84ELc78ELb1ELb1ELb0EdKPKdKPdEEviiiT16_PT17_ilS8_ilS6_S8_ilPT18_ili26rocblas_geam_ex_operation_.kd
    .uniform_work_group_size: 1
    .uses_dynamic_stack: false
    .vgpr_count:     252
    .vgpr_spill_count: 0
    .wavefront_size: 64
  - .agpr_count:     0
    .args:
      - .offset:         0
        .size:           4
        .value_kind:     by_value
      - .offset:         4
        .size:           4
        .value_kind:     by_value
      - .offset:         8
        .size:           4
        .value_kind:     by_value
      - .offset:         16
        .size:           8
        .value_kind:     by_value
      - .address_space:  global
        .offset:         24
        .size:           8
        .value_kind:     global_buffer
      - .offset:         32
        .size:           4
        .value_kind:     by_value
      - .offset:         40
        .size:           8
        .value_kind:     by_value
      - .address_space:  global
        .offset:         48
        .size:           8
        .value_kind:     global_buffer
      - .offset:         56
        .size:           4
        .value_kind:     by_value
      - .offset:         64
        .size:           8
        .value_kind:     by_value
      - .offset:         72
        .size:           8
        .value_kind:     by_value
      - .address_space:  global
        .offset:         80
        .size:           8
        .value_kind:     global_buffer
      - .offset:         88
        .size:           4
        .value_kind:     by_value
      - .offset:         96
        .size:           8
        .value_kind:     by_value
      - .address_space:  global
        .offset:         104
        .size:           8
        .value_kind:     global_buffer
      - .offset:         112
        .size:           4
        .value_kind:     by_value
      - .offset:         120
        .size:           8
        .value_kind:     by_value
      - .offset:         128
        .size:           4
        .value_kind:     by_value
      - .offset:         132
        .size:           4
        .value_kind:     by_value
    .group_segment_fixed_size: 16384
    .kernarg_segment_align: 8
    .kernarg_segment_size: 136
    .language:       OpenCL C
    .language_version:
      - 2
      - 0
    .max_flat_workgroup_size: 256
    .name:           _ZN12_GLOBAL__N_120geam_min_plus_kernelIdddLi4ELi64ELi128ELi128ELi4ELi4ELi64ELi4ELi64ELc84ELc78ELb0ELb1ELb0EdKPKdKPdEEviiiT16_PT17_ilS8_ilS6_S8_ilPT18_ili26rocblas_geam_ex_operation_
    .private_segment_fixed_size: 0
    .sgpr_count:     88
    .sgpr_spill_count: 0
    .symbol:         _ZN12_GLOBAL__N_120geam_min_plus_kernelIdddLi4ELi64ELi128ELi128ELi4ELi4ELi64ELi4ELi64ELc84ELc78ELb0ELb1ELb0EdKPKdKPdEEviiiT16_PT17_ilS8_ilS6_S8_ilPT18_ili26rocblas_geam_ex_operation_.kd
    .uniform_work_group_size: 1
    .uses_dynamic_stack: false
    .vgpr_count:     250
    .vgpr_spill_count: 0
    .wavefront_size: 64
  - .agpr_count:     0
    .args:
      - .offset:         0
        .size:           4
        .value_kind:     by_value
      - .offset:         4
        .size:           4
        .value_kind:     by_value
      - .offset:         8
        .size:           4
        .value_kind:     by_value
      - .address_space:  global
        .offset:         16
        .size:           8
        .value_kind:     global_buffer
      - .address_space:  global
        .offset:         24
        .size:           8
        .value_kind:     global_buffer
      - .offset:         32
        .size:           4
        .value_kind:     by_value
      - .offset:         40
        .size:           8
        .value_kind:     by_value
      - .address_space:  global
        .offset:         48
        .size:           8
        .value_kind:     global_buffer
      - .offset:         56
        .size:           4
        .value_kind:     by_value
      - .offset:         64
        .size:           8
        .value_kind:     by_value
      - .address_space:  global
        .offset:         72
        .size:           8
        .value_kind:     global_buffer
      - .address_space:  global
        .offset:         80
        .size:           8
        .value_kind:     global_buffer
      - .offset:         88
        .size:           4
        .value_kind:     by_value
      - .offset:         96
        .size:           8
        .value_kind:     by_value
      - .address_space:  global
        .offset:         104
        .size:           8
        .value_kind:     global_buffer
      - .offset:         112
        .size:           4
        .value_kind:     by_value
      - .offset:         120
        .size:           8
        .value_kind:     by_value
      - .offset:         128
        .size:           4
        .value_kind:     by_value
      - .offset:         132
        .size:           4
        .value_kind:     by_value
    .group_segment_fixed_size: 16384
    .kernarg_segment_align: 8
    .kernarg_segment_size: 136
    .language:       OpenCL C
    .language_version:
      - 2
      - 0
    .max_flat_workgroup_size: 256
    .name:           _ZN12_GLOBAL__N_120geam_min_plus_kernelIdddLi4ELi64ELi128ELi128ELi4ELi64ELi4ELi64ELi4ELc78ELc84ELb0ELb0ELb0EPKdKS2_KPdEEviiiT16_PT17_ilS8_ilS6_S8_ilPT18_ili26rocblas_geam_ex_operation_
    .private_segment_fixed_size: 0
    .sgpr_count:     34
    .sgpr_spill_count: 0
    .symbol:         _ZN12_GLOBAL__N_120geam_min_plus_kernelIdddLi4ELi64ELi128ELi128ELi4ELi64ELi4ELi64ELi4ELc78ELc84ELb0ELb0ELb0EPKdKS2_KPdEEviiiT16_PT17_ilS8_ilS6_S8_ilPT18_ili26rocblas_geam_ex_operation_.kd
    .uniform_work_group_size: 1
    .uses_dynamic_stack: false
    .vgpr_count:     252
    .vgpr_spill_count: 0
    .wavefront_size: 64
  - .agpr_count:     0
    .args:
      - .offset:         0
        .size:           4
        .value_kind:     by_value
      - .offset:         4
        .size:           4
        .value_kind:     by_value
      - .offset:         8
        .size:           4
        .value_kind:     by_value
      - .offset:         16
        .size:           8
        .value_kind:     by_value
      - .address_space:  global
        .offset:         24
        .size:           8
        .value_kind:     global_buffer
      - .offset:         32
        .size:           4
        .value_kind:     by_value
      - .offset:         40
        .size:           8
        .value_kind:     by_value
      - .address_space:  global
        .offset:         48
        .size:           8
        .value_kind:     global_buffer
      - .offset:         56
        .size:           4
        .value_kind:     by_value
      - .offset:         64
        .size:           8
        .value_kind:     by_value
      - .offset:         72
        .size:           8
        .value_kind:     by_value
      - .address_space:  global
        .offset:         80
        .size:           8
        .value_kind:     global_buffer
      - .offset:         88
        .size:           4
        .value_kind:     by_value
      - .offset:         96
        .size:           8
        .value_kind:     by_value
      - .address_space:  global
        .offset:         104
        .size:           8
        .value_kind:     global_buffer
      - .offset:         112
        .size:           4
        .value_kind:     by_value
      - .offset:         120
        .size:           8
        .value_kind:     by_value
      - .offset:         128
        .size:           4
        .value_kind:     by_value
      - .offset:         132
        .size:           4
        .value_kind:     by_value
    .group_segment_fixed_size: 16384
    .kernarg_segment_align: 8
    .kernarg_segment_size: 136
    .language:       OpenCL C
    .language_version:
      - 2
      - 0
    .max_flat_workgroup_size: 256
    .name:           _ZN12_GLOBAL__N_120geam_min_plus_kernelIdddLi4ELi64ELi128ELi128ELi4ELi64ELi4ELi64ELi4ELc78ELc84ELb1ELb0ELb0EdKPKdKPdEEviiiT16_PT17_ilS8_ilS6_S8_ilPT18_ili26rocblas_geam_ex_operation_
    .private_segment_fixed_size: 0
    .sgpr_count:     30
    .sgpr_spill_count: 0
    .symbol:         _ZN12_GLOBAL__N_120geam_min_plus_kernelIdddLi4ELi64ELi128ELi128ELi4ELi64ELi4ELi64ELi4ELc78ELc84ELb1ELb0ELb0EdKPKdKPdEEviiiT16_PT17_ilS8_ilS6_S8_ilPT18_ili26rocblas_geam_ex_operation_.kd
    .uniform_work_group_size: 1
    .uses_dynamic_stack: false
    .vgpr_count:     252
    .vgpr_spill_count: 0
    .wavefront_size: 64
  - .agpr_count:     0
    .args:
      - .offset:         0
        .size:           4
        .value_kind:     by_value
      - .offset:         4
        .size:           4
        .value_kind:     by_value
      - .offset:         8
        .size:           4
        .value_kind:     by_value
      - .offset:         16
        .size:           8
        .value_kind:     by_value
      - .address_space:  global
        .offset:         24
        .size:           8
        .value_kind:     global_buffer
      - .offset:         32
        .size:           4
        .value_kind:     by_value
      - .offset:         40
        .size:           8
        .value_kind:     by_value
      - .address_space:  global
        .offset:         48
        .size:           8
        .value_kind:     global_buffer
      - .offset:         56
        .size:           4
        .value_kind:     by_value
      - .offset:         64
        .size:           8
        .value_kind:     by_value
      - .offset:         72
        .size:           8
        .value_kind:     by_value
      - .address_space:  global
        .offset:         80
        .size:           8
        .value_kind:     global_buffer
      - .offset:         88
        .size:           4
        .value_kind:     by_value
      - .offset:         96
        .size:           8
        .value_kind:     by_value
      - .address_space:  global
        .offset:         104
        .size:           8
        .value_kind:     global_buffer
      - .offset:         112
        .size:           4
        .value_kind:     by_value
      - .offset:         120
        .size:           8
        .value_kind:     by_value
      - .offset:         128
        .size:           4
        .value_kind:     by_value
      - .offset:         132
        .size:           4
        .value_kind:     by_value
    .group_segment_fixed_size: 16384
    .kernarg_segment_align: 8
    .kernarg_segment_size: 136
    .language:       OpenCL C
    .language_version:
      - 2
      - 0
    .max_flat_workgroup_size: 256
    .name:           _ZN12_GLOBAL__N_120geam_min_plus_kernelIdddLi4ELi64ELi128ELi128ELi4ELi64ELi4ELi64ELi4ELc78ELc84ELb0ELb0ELb0EdKPKdKPdEEviiiT16_PT17_ilS8_ilS6_S8_ilPT18_ili26rocblas_geam_ex_operation_
    .private_segment_fixed_size: 0
    .sgpr_count:     34
    .sgpr_spill_count: 0
    .symbol:         _ZN12_GLOBAL__N_120geam_min_plus_kernelIdddLi4ELi64ELi128ELi128ELi4ELi64ELi4ELi64ELi4ELc78ELc84ELb0ELb0ELb0EdKPKdKPdEEviiiT16_PT17_ilS8_ilS6_S8_ilPT18_ili26rocblas_geam_ex_operation_.kd
    .uniform_work_group_size: 1
    .uses_dynamic_stack: false
    .vgpr_count:     252
    .vgpr_spill_count: 0
    .wavefront_size: 64
  - .agpr_count:     0
    .args:
      - .offset:         0
        .size:           4
        .value_kind:     by_value
      - .offset:         4
        .size:           4
        .value_kind:     by_value
      - .offset:         8
        .size:           4
        .value_kind:     by_value
      - .address_space:  global
        .offset:         16
        .size:           8
        .value_kind:     global_buffer
      - .address_space:  global
        .offset:         24
        .size:           8
        .value_kind:     global_buffer
      - .offset:         32
        .size:           4
        .value_kind:     by_value
      - .offset:         40
        .size:           8
        .value_kind:     by_value
      - .address_space:  global
        .offset:         48
        .size:           8
        .value_kind:     global_buffer
      - .offset:         56
        .size:           4
        .value_kind:     by_value
      - .offset:         64
        .size:           8
        .value_kind:     by_value
      - .address_space:  global
        .offset:         72
        .size:           8
        .value_kind:     global_buffer
      - .address_space:  global
        .offset:         80
        .size:           8
        .value_kind:     global_buffer
      - .offset:         88
        .size:           4
        .value_kind:     by_value
      - .offset:         96
        .size:           8
        .value_kind:     by_value
      - .address_space:  global
        .offset:         104
        .size:           8
        .value_kind:     global_buffer
      - .offset:         112
        .size:           4
        .value_kind:     by_value
      - .offset:         120
        .size:           8
        .value_kind:     by_value
      - .offset:         128
        .size:           4
        .value_kind:     by_value
      - .offset:         132
        .size:           4
        .value_kind:     by_value
    .group_segment_fixed_size: 16384
    .kernarg_segment_align: 8
    .kernarg_segment_size: 136
    .language:       OpenCL C
    .language_version:
      - 2
      - 0
    .max_flat_workgroup_size: 256
    .name:           _ZN12_GLOBAL__N_120geam_min_plus_kernelIdddLi4ELi64ELi128ELi128ELi4ELi64ELi4ELi64ELi4ELc78ELc84ELb0ELb1ELb0EPKdKS2_KPdEEviiiT16_PT17_ilS8_ilS6_S8_ilPT18_ili26rocblas_geam_ex_operation_
    .private_segment_fixed_size: 0
    .sgpr_count:     88
    .sgpr_spill_count: 0
    .symbol:         _ZN12_GLOBAL__N_120geam_min_plus_kernelIdddLi4ELi64ELi128ELi128ELi4ELi64ELi4ELi64ELi4ELc78ELc84ELb0ELb1ELb0EPKdKS2_KPdEEviiiT16_PT17_ilS8_ilS6_S8_ilPT18_ili26rocblas_geam_ex_operation_.kd
    .uniform_work_group_size: 1
    .uses_dynamic_stack: false
    .vgpr_count:     252
    .vgpr_spill_count: 0
    .wavefront_size: 64
  - .agpr_count:     0
    .args:
      - .offset:         0
        .size:           4
        .value_kind:     by_value
      - .offset:         4
        .size:           4
        .value_kind:     by_value
      - .offset:         8
        .size:           4
        .value_kind:     by_value
      - .offset:         16
        .size:           8
        .value_kind:     by_value
      - .address_space:  global
        .offset:         24
        .size:           8
        .value_kind:     global_buffer
      - .offset:         32
        .size:           4
        .value_kind:     by_value
      - .offset:         40
        .size:           8
        .value_kind:     by_value
      - .address_space:  global
        .offset:         48
        .size:           8
        .value_kind:     global_buffer
      - .offset:         56
        .size:           4
        .value_kind:     by_value
      - .offset:         64
        .size:           8
        .value_kind:     by_value
      - .offset:         72
        .size:           8
        .value_kind:     by_value
      - .address_space:  global
        .offset:         80
        .size:           8
        .value_kind:     global_buffer
      - .offset:         88
        .size:           4
        .value_kind:     by_value
      - .offset:         96
        .size:           8
        .value_kind:     by_value
      - .address_space:  global
        .offset:         104
        .size:           8
        .value_kind:     global_buffer
      - .offset:         112
        .size:           4
        .value_kind:     by_value
      - .offset:         120
        .size:           8
        .value_kind:     by_value
      - .offset:         128
        .size:           4
        .value_kind:     by_value
      - .offset:         132
        .size:           4
        .value_kind:     by_value
    .group_segment_fixed_size: 16384
    .kernarg_segment_align: 8
    .kernarg_segment_size: 136
    .language:       OpenCL C
    .language_version:
      - 2
      - 0
    .max_flat_workgroup_size: 256
    .name:           _ZN12_GLOBAL__N_120geam_min_plus_kernelIdddLi4ELi64ELi128ELi128ELi4ELi64ELi4ELi64ELi4ELc78ELc84ELb1ELb1ELb0EdKPKdKPdEEviiiT16_PT17_ilS8_ilS6_S8_ilPT18_ili26rocblas_geam_ex_operation_
    .private_segment_fixed_size: 0
    .sgpr_count:     88
    .sgpr_spill_count: 0
    .symbol:         _ZN12_GLOBAL__N_120geam_min_plus_kernelIdddLi4ELi64ELi128ELi128ELi4ELi64ELi4ELi64ELi4ELc78ELc84ELb1ELb1ELb0EdKPKdKPdEEviiiT16_PT17_ilS8_ilS6_S8_ilPT18_ili26rocblas_geam_ex_operation_.kd
    .uniform_work_group_size: 1
    .uses_dynamic_stack: false
    .vgpr_count:     252
    .vgpr_spill_count: 0
    .wavefront_size: 64
  - .agpr_count:     0
    .args:
      - .offset:         0
        .size:           4
        .value_kind:     by_value
      - .offset:         4
        .size:           4
        .value_kind:     by_value
      - .offset:         8
        .size:           4
        .value_kind:     by_value
      - .offset:         16
        .size:           8
        .value_kind:     by_value
      - .address_space:  global
        .offset:         24
        .size:           8
        .value_kind:     global_buffer
      - .offset:         32
        .size:           4
        .value_kind:     by_value
      - .offset:         40
        .size:           8
        .value_kind:     by_value
      - .address_space:  global
        .offset:         48
        .size:           8
        .value_kind:     global_buffer
      - .offset:         56
        .size:           4
        .value_kind:     by_value
      - .offset:         64
        .size:           8
        .value_kind:     by_value
      - .offset:         72
        .size:           8
        .value_kind:     by_value
      - .address_space:  global
        .offset:         80
        .size:           8
        .value_kind:     global_buffer
      - .offset:         88
        .size:           4
        .value_kind:     by_value
      - .offset:         96
        .size:           8
        .value_kind:     by_value
      - .address_space:  global
        .offset:         104
        .size:           8
        .value_kind:     global_buffer
      - .offset:         112
        .size:           4
        .value_kind:     by_value
      - .offset:         120
        .size:           8
        .value_kind:     by_value
      - .offset:         128
        .size:           4
        .value_kind:     by_value
      - .offset:         132
        .size:           4
        .value_kind:     by_value
    .group_segment_fixed_size: 16384
    .kernarg_segment_align: 8
    .kernarg_segment_size: 136
    .language:       OpenCL C
    .language_version:
      - 2
      - 0
    .max_flat_workgroup_size: 256
    .name:           _ZN12_GLOBAL__N_120geam_min_plus_kernelIdddLi4ELi64ELi128ELi128ELi4ELi64ELi4ELi64ELi4ELc78ELc84ELb0ELb1ELb0EdKPKdKPdEEviiiT16_PT17_ilS8_ilS6_S8_ilPT18_ili26rocblas_geam_ex_operation_
    .private_segment_fixed_size: 0
    .sgpr_count:     88
    .sgpr_spill_count: 0
    .symbol:         _ZN12_GLOBAL__N_120geam_min_plus_kernelIdddLi4ELi64ELi128ELi128ELi4ELi64ELi4ELi64ELi4ELc78ELc84ELb0ELb1ELb0EdKPKdKPdEEviiiT16_PT17_ilS8_ilS6_S8_ilPT18_ili26rocblas_geam_ex_operation_.kd
    .uniform_work_group_size: 1
    .uses_dynamic_stack: false
    .vgpr_count:     252
    .vgpr_spill_count: 0
    .wavefront_size: 64
  - .agpr_count:     0
    .args:
      - .offset:         0
        .size:           4
        .value_kind:     by_value
      - .offset:         4
        .size:           4
        .value_kind:     by_value
      - .offset:         8
        .size:           4
        .value_kind:     by_value
      - .address_space:  global
        .offset:         16
        .size:           8
        .value_kind:     global_buffer
      - .address_space:  global
        .offset:         24
        .size:           8
        .value_kind:     global_buffer
      - .offset:         32
        .size:           4
        .value_kind:     by_value
      - .offset:         40
        .size:           8
        .value_kind:     by_value
      - .address_space:  global
        .offset:         48
        .size:           8
        .value_kind:     global_buffer
      - .offset:         56
        .size:           4
        .value_kind:     by_value
      - .offset:         64
        .size:           8
        .value_kind:     by_value
      - .address_space:  global
        .offset:         72
        .size:           8
        .value_kind:     global_buffer
      - .address_space:  global
        .offset:         80
        .size:           8
        .value_kind:     global_buffer
      - .offset:         88
        .size:           4
        .value_kind:     by_value
      - .offset:         96
        .size:           8
        .value_kind:     by_value
      - .address_space:  global
        .offset:         104
        .size:           8
        .value_kind:     global_buffer
      - .offset:         112
        .size:           4
        .value_kind:     by_value
      - .offset:         120
        .size:           8
        .value_kind:     by_value
      - .offset:         128
        .size:           4
        .value_kind:     by_value
      - .offset:         132
        .size:           4
        .value_kind:     by_value
    .group_segment_fixed_size: 16384
    .kernarg_segment_align: 8
    .kernarg_segment_size: 136
    .language:       OpenCL C
    .language_version:
      - 2
      - 0
    .max_flat_workgroup_size: 256
    .name:           _ZN12_GLOBAL__N_120geam_min_plus_kernelIdddLi4ELi64ELi128ELi128ELi4ELi4ELi64ELi64ELi4ELc84ELc84ELb0ELb0ELb0EPKdKS2_KPdEEviiiT16_PT17_ilS8_ilS6_S8_ilPT18_ili26rocblas_geam_ex_operation_
    .private_segment_fixed_size: 0
    .sgpr_count:     35
    .sgpr_spill_count: 0
    .symbol:         _ZN12_GLOBAL__N_120geam_min_plus_kernelIdddLi4ELi64ELi128ELi128ELi4ELi4ELi64ELi64ELi4ELc84ELc84ELb0ELb0ELb0EPKdKS2_KPdEEviiiT16_PT17_ilS8_ilS6_S8_ilPT18_ili26rocblas_geam_ex_operation_.kd
    .uniform_work_group_size: 1
    .uses_dynamic_stack: false
    .vgpr_count:     254
    .vgpr_spill_count: 0
    .wavefront_size: 64
  - .agpr_count:     0
    .args:
      - .offset:         0
        .size:           4
        .value_kind:     by_value
      - .offset:         4
        .size:           4
        .value_kind:     by_value
      - .offset:         8
        .size:           4
        .value_kind:     by_value
      - .offset:         16
        .size:           8
        .value_kind:     by_value
      - .address_space:  global
        .offset:         24
        .size:           8
        .value_kind:     global_buffer
      - .offset:         32
        .size:           4
        .value_kind:     by_value
      - .offset:         40
        .size:           8
        .value_kind:     by_value
      - .address_space:  global
        .offset:         48
        .size:           8
        .value_kind:     global_buffer
      - .offset:         56
        .size:           4
        .value_kind:     by_value
      - .offset:         64
        .size:           8
        .value_kind:     by_value
      - .offset:         72
        .size:           8
        .value_kind:     by_value
      - .address_space:  global
        .offset:         80
        .size:           8
        .value_kind:     global_buffer
      - .offset:         88
        .size:           4
        .value_kind:     by_value
      - .offset:         96
        .size:           8
        .value_kind:     by_value
      - .address_space:  global
        .offset:         104
        .size:           8
        .value_kind:     global_buffer
      - .offset:         112
        .size:           4
        .value_kind:     by_value
      - .offset:         120
        .size:           8
        .value_kind:     by_value
      - .offset:         128
        .size:           4
        .value_kind:     by_value
      - .offset:         132
        .size:           4
        .value_kind:     by_value
    .group_segment_fixed_size: 16384
    .kernarg_segment_align: 8
    .kernarg_segment_size: 136
    .language:       OpenCL C
    .language_version:
      - 2
      - 0
    .max_flat_workgroup_size: 256
    .name:           _ZN12_GLOBAL__N_120geam_min_plus_kernelIdddLi4ELi64ELi128ELi128ELi4ELi4ELi64ELi64ELi4ELc84ELc84ELb1ELb0ELb0EdKPKdKPdEEviiiT16_PT17_ilS8_ilS6_S8_ilPT18_ili26rocblas_geam_ex_operation_
    .private_segment_fixed_size: 0
    .sgpr_count:     30
    .sgpr_spill_count: 0
    .symbol:         _ZN12_GLOBAL__N_120geam_min_plus_kernelIdddLi4ELi64ELi128ELi128ELi4ELi4ELi64ELi64ELi4ELc84ELc84ELb1ELb0ELb0EdKPKdKPdEEviiiT16_PT17_ilS8_ilS6_S8_ilPT18_ili26rocblas_geam_ex_operation_.kd
    .uniform_work_group_size: 1
    .uses_dynamic_stack: false
    .vgpr_count:     254
    .vgpr_spill_count: 0
    .wavefront_size: 64
  - .agpr_count:     0
    .args:
      - .offset:         0
        .size:           4
        .value_kind:     by_value
      - .offset:         4
        .size:           4
        .value_kind:     by_value
      - .offset:         8
        .size:           4
        .value_kind:     by_value
      - .offset:         16
        .size:           8
        .value_kind:     by_value
      - .address_space:  global
        .offset:         24
        .size:           8
        .value_kind:     global_buffer
      - .offset:         32
        .size:           4
        .value_kind:     by_value
      - .offset:         40
        .size:           8
        .value_kind:     by_value
      - .address_space:  global
        .offset:         48
        .size:           8
        .value_kind:     global_buffer
      - .offset:         56
        .size:           4
        .value_kind:     by_value
      - .offset:         64
        .size:           8
        .value_kind:     by_value
      - .offset:         72
        .size:           8
        .value_kind:     by_value
      - .address_space:  global
        .offset:         80
        .size:           8
        .value_kind:     global_buffer
      - .offset:         88
        .size:           4
        .value_kind:     by_value
      - .offset:         96
        .size:           8
        .value_kind:     by_value
      - .address_space:  global
        .offset:         104
        .size:           8
        .value_kind:     global_buffer
      - .offset:         112
        .size:           4
        .value_kind:     by_value
      - .offset:         120
        .size:           8
        .value_kind:     by_value
      - .offset:         128
        .size:           4
        .value_kind:     by_value
      - .offset:         132
        .size:           4
        .value_kind:     by_value
    .group_segment_fixed_size: 16384
    .kernarg_segment_align: 8
    .kernarg_segment_size: 136
    .language:       OpenCL C
    .language_version:
      - 2
      - 0
    .max_flat_workgroup_size: 256
    .name:           _ZN12_GLOBAL__N_120geam_min_plus_kernelIdddLi4ELi64ELi128ELi128ELi4ELi4ELi64ELi64ELi4ELc84ELc84ELb0ELb0ELb0EdKPKdKPdEEviiiT16_PT17_ilS8_ilS6_S8_ilPT18_ili26rocblas_geam_ex_operation_
    .private_segment_fixed_size: 0
    .sgpr_count:     35
    .sgpr_spill_count: 0
    .symbol:         _ZN12_GLOBAL__N_120geam_min_plus_kernelIdddLi4ELi64ELi128ELi128ELi4ELi4ELi64ELi64ELi4ELc84ELc84ELb0ELb0ELb0EdKPKdKPdEEviiiT16_PT17_ilS8_ilS6_S8_ilPT18_ili26rocblas_geam_ex_operation_.kd
    .uniform_work_group_size: 1
    .uses_dynamic_stack: false
    .vgpr_count:     254
    .vgpr_spill_count: 0
    .wavefront_size: 64
  - .agpr_count:     0
    .args:
      - .offset:         0
        .size:           4
        .value_kind:     by_value
      - .offset:         4
        .size:           4
        .value_kind:     by_value
      - .offset:         8
        .size:           4
        .value_kind:     by_value
      - .address_space:  global
        .offset:         16
        .size:           8
        .value_kind:     global_buffer
      - .address_space:  global
        .offset:         24
        .size:           8
        .value_kind:     global_buffer
      - .offset:         32
        .size:           4
        .value_kind:     by_value
      - .offset:         40
        .size:           8
        .value_kind:     by_value
      - .address_space:  global
        .offset:         48
        .size:           8
        .value_kind:     global_buffer
      - .offset:         56
        .size:           4
        .value_kind:     by_value
      - .offset:         64
        .size:           8
        .value_kind:     by_value
      - .address_space:  global
        .offset:         72
        .size:           8
        .value_kind:     global_buffer
      - .address_space:  global
        .offset:         80
        .size:           8
        .value_kind:     global_buffer
      - .offset:         88
        .size:           4
        .value_kind:     by_value
      - .offset:         96
        .size:           8
        .value_kind:     by_value
      - .address_space:  global
        .offset:         104
        .size:           8
        .value_kind:     global_buffer
      - .offset:         112
        .size:           4
        .value_kind:     by_value
      - .offset:         120
        .size:           8
        .value_kind:     by_value
      - .offset:         128
        .size:           4
        .value_kind:     by_value
      - .offset:         132
        .size:           4
        .value_kind:     by_value
    .group_segment_fixed_size: 16384
    .kernarg_segment_align: 8
    .kernarg_segment_size: 136
    .language:       OpenCL C
    .language_version:
      - 2
      - 0
    .max_flat_workgroup_size: 256
    .name:           _ZN12_GLOBAL__N_120geam_min_plus_kernelIdddLi4ELi64ELi128ELi128ELi4ELi4ELi64ELi64ELi4ELc84ELc84ELb0ELb1ELb0EPKdKS2_KPdEEviiiT16_PT17_ilS8_ilS6_S8_ilPT18_ili26rocblas_geam_ex_operation_
    .private_segment_fixed_size: 0
    .sgpr_count:     88
    .sgpr_spill_count: 0
    .symbol:         _ZN12_GLOBAL__N_120geam_min_plus_kernelIdddLi4ELi64ELi128ELi128ELi4ELi4ELi64ELi64ELi4ELc84ELc84ELb0ELb1ELb0EPKdKS2_KPdEEviiiT16_PT17_ilS8_ilS6_S8_ilPT18_ili26rocblas_geam_ex_operation_.kd
    .uniform_work_group_size: 1
    .uses_dynamic_stack: false
    .vgpr_count:     254
    .vgpr_spill_count: 0
    .wavefront_size: 64
  - .agpr_count:     0
    .args:
      - .offset:         0
        .size:           4
        .value_kind:     by_value
      - .offset:         4
        .size:           4
        .value_kind:     by_value
      - .offset:         8
        .size:           4
        .value_kind:     by_value
      - .offset:         16
        .size:           8
        .value_kind:     by_value
      - .address_space:  global
        .offset:         24
        .size:           8
        .value_kind:     global_buffer
      - .offset:         32
        .size:           4
        .value_kind:     by_value
      - .offset:         40
        .size:           8
        .value_kind:     by_value
      - .address_space:  global
        .offset:         48
        .size:           8
        .value_kind:     global_buffer
      - .offset:         56
        .size:           4
        .value_kind:     by_value
      - .offset:         64
        .size:           8
        .value_kind:     by_value
      - .offset:         72
        .size:           8
        .value_kind:     by_value
      - .address_space:  global
        .offset:         80
        .size:           8
        .value_kind:     global_buffer
      - .offset:         88
        .size:           4
        .value_kind:     by_value
      - .offset:         96
        .size:           8
        .value_kind:     by_value
      - .address_space:  global
        .offset:         104
        .size:           8
        .value_kind:     global_buffer
      - .offset:         112
        .size:           4
        .value_kind:     by_value
      - .offset:         120
        .size:           8
        .value_kind:     by_value
      - .offset:         128
        .size:           4
        .value_kind:     by_value
      - .offset:         132
        .size:           4
        .value_kind:     by_value
    .group_segment_fixed_size: 16384
    .kernarg_segment_align: 8
    .kernarg_segment_size: 136
    .language:       OpenCL C
    .language_version:
      - 2
      - 0
    .max_flat_workgroup_size: 256
    .name:           _ZN12_GLOBAL__N_120geam_min_plus_kernelIdddLi4ELi64ELi128ELi128ELi4ELi4ELi64ELi64ELi4ELc84ELc84ELb1ELb1ELb0EdKPKdKPdEEviiiT16_PT17_ilS8_ilS6_S8_ilPT18_ili26rocblas_geam_ex_operation_
    .private_segment_fixed_size: 0
    .sgpr_count:     88
    .sgpr_spill_count: 0
    .symbol:         _ZN12_GLOBAL__N_120geam_min_plus_kernelIdddLi4ELi64ELi128ELi128ELi4ELi4ELi64ELi64ELi4ELc84ELc84ELb1ELb1ELb0EdKPKdKPdEEviiiT16_PT17_ilS8_ilS6_S8_ilPT18_ili26rocblas_geam_ex_operation_.kd
    .uniform_work_group_size: 1
    .uses_dynamic_stack: false
    .vgpr_count:     254
    .vgpr_spill_count: 0
    .wavefront_size: 64
  - .agpr_count:     0
    .args:
      - .offset:         0
        .size:           4
        .value_kind:     by_value
      - .offset:         4
        .size:           4
        .value_kind:     by_value
      - .offset:         8
        .size:           4
        .value_kind:     by_value
      - .offset:         16
        .size:           8
        .value_kind:     by_value
      - .address_space:  global
        .offset:         24
        .size:           8
        .value_kind:     global_buffer
      - .offset:         32
        .size:           4
        .value_kind:     by_value
      - .offset:         40
        .size:           8
        .value_kind:     by_value
      - .address_space:  global
        .offset:         48
        .size:           8
        .value_kind:     global_buffer
      - .offset:         56
        .size:           4
        .value_kind:     by_value
      - .offset:         64
        .size:           8
        .value_kind:     by_value
      - .offset:         72
        .size:           8
        .value_kind:     by_value
      - .address_space:  global
        .offset:         80
        .size:           8
        .value_kind:     global_buffer
      - .offset:         88
        .size:           4
        .value_kind:     by_value
      - .offset:         96
        .size:           8
        .value_kind:     by_value
      - .address_space:  global
        .offset:         104
        .size:           8
        .value_kind:     global_buffer
      - .offset:         112
        .size:           4
        .value_kind:     by_value
      - .offset:         120
        .size:           8
        .value_kind:     by_value
      - .offset:         128
        .size:           4
        .value_kind:     by_value
      - .offset:         132
        .size:           4
        .value_kind:     by_value
    .group_segment_fixed_size: 16384
    .kernarg_segment_align: 8
    .kernarg_segment_size: 136
    .language:       OpenCL C
    .language_version:
      - 2
      - 0
    .max_flat_workgroup_size: 256
    .name:           _ZN12_GLOBAL__N_120geam_min_plus_kernelIdddLi4ELi64ELi128ELi128ELi4ELi4ELi64ELi64ELi4ELc84ELc84ELb0ELb1ELb0EdKPKdKPdEEviiiT16_PT17_ilS8_ilS6_S8_ilPT18_ili26rocblas_geam_ex_operation_
    .private_segment_fixed_size: 0
    .sgpr_count:     88
    .sgpr_spill_count: 0
    .symbol:         _ZN12_GLOBAL__N_120geam_min_plus_kernelIdddLi4ELi64ELi128ELi128ELi4ELi4ELi64ELi64ELi4ELc84ELc84ELb0ELb1ELb0EdKPKdKPdEEviiiT16_PT17_ilS8_ilS6_S8_ilPT18_ili26rocblas_geam_ex_operation_.kd
    .uniform_work_group_size: 1
    .uses_dynamic_stack: false
    .vgpr_count:     254
    .vgpr_spill_count: 0
    .wavefront_size: 64
  - .agpr_count:     0
    .args:
      - .offset:         0
        .size:           4
        .value_kind:     by_value
      - .offset:         4
        .size:           4
        .value_kind:     by_value
      - .offset:         8
        .size:           8
        .value_kind:     by_value
      - .address_space:  global
        .offset:         16
        .size:           8
        .value_kind:     global_buffer
      - .offset:         24
        .size:           8
        .value_kind:     by_value
      - .offset:         32
        .size:           4
        .value_kind:     by_value
      - .offset:         40
        .size:           8
        .value_kind:     by_value
      - .address_space:  global
        .offset:         48
        .size:           8
        .value_kind:     global_buffer
      - .offset:         56
        .size:           8
        .value_kind:     by_value
      - .offset:         64
        .size:           4
        .value_kind:     by_value
      - .offset:         72
        .size:           8
        .value_kind:     by_value
    .group_segment_fixed_size: 0
    .kernarg_segment_align: 8
    .kernarg_segment_size: 80
    .language:       OpenCL C
    .language_version:
      - 2
      - 0
    .max_flat_workgroup_size: 1024
    .name:           _ZN12_GLOBAL__N_120geam_ex_scale_kernelILi32ELi32EddPKdPdEEviiT2_T3_lilT4_lil
    .private_segment_fixed_size: 0
    .sgpr_count:     27
    .sgpr_spill_count: 0
    .symbol:         _ZN12_GLOBAL__N_120geam_ex_scale_kernelILi32ELi32EddPKdPdEEviiT2_T3_lilT4_lil.kd
    .uniform_work_group_size: 1
    .uses_dynamic_stack: false
    .vgpr_count:     10
    .vgpr_spill_count: 0
    .wavefront_size: 64
  - .agpr_count:     0
    .args:
      - .offset:         0
        .size:           4
        .value_kind:     by_value
      - .offset:         4
        .size:           4
        .value_kind:     by_value
      - .address_space:  global
        .offset:         8
        .size:           8
        .value_kind:     global_buffer
      - .address_space:  global
        .offset:         16
        .size:           8
        .value_kind:     global_buffer
      - .offset:         24
        .size:           8
        .value_kind:     by_value
      - .offset:         32
        .size:           4
        .value_kind:     by_value
      - .offset:         40
        .size:           8
        .value_kind:     by_value
      - .address_space:  global
        .offset:         48
        .size:           8
        .value_kind:     global_buffer
      - .offset:         56
        .size:           8
        .value_kind:     by_value
      - .offset:         64
        .size:           4
        .value_kind:     by_value
      - .offset:         72
        .size:           8
        .value_kind:     by_value
    .group_segment_fixed_size: 0
    .kernarg_segment_align: 8
    .kernarg_segment_size: 80
    .language:       OpenCL C
    .language_version:
      - 2
      - 0
    .max_flat_workgroup_size: 1024
    .name:           _ZN12_GLOBAL__N_120geam_ex_scale_kernelILi32ELi32EdPKdS2_PdEEviiT2_T3_lilT4_lil
    .private_segment_fixed_size: 0
    .sgpr_count:     27
    .sgpr_spill_count: 0
    .symbol:         _ZN12_GLOBAL__N_120geam_ex_scale_kernelILi32ELi32EdPKdS2_PdEEviiT2_T3_lilT4_lil.kd
    .uniform_work_group_size: 1
    .uses_dynamic_stack: false
    .vgpr_count:     10
    .vgpr_spill_count: 0
    .wavefront_size: 64
  - .agpr_count:     0
    .args:
      - .offset:         0
        .size:           4
        .value_kind:     by_value
      - .offset:         4
        .size:           4
        .value_kind:     by_value
      - .offset:         8
        .size:           8
        .value_kind:     by_value
      - .address_space:  global
        .offset:         16
        .size:           8
        .value_kind:     global_buffer
      - .offset:         24
        .size:           8
        .value_kind:     by_value
      - .offset:         32
        .size:           4
        .value_kind:     by_value
      - .offset:         40
        .size:           8
        .value_kind:     by_value
      - .address_space:  global
        .offset:         48
        .size:           8
        .value_kind:     global_buffer
      - .offset:         56
        .size:           8
        .value_kind:     by_value
      - .offset:         64
        .size:           4
        .value_kind:     by_value
      - .offset:         72
        .size:           8
        .value_kind:     by_value
    .group_segment_fixed_size: 0
    .kernarg_segment_align: 8
    .kernarg_segment_size: 80
    .language:       OpenCL C
    .language_version:
      - 2
      - 0
    .max_flat_workgroup_size: 1024
    .name:           _ZN12_GLOBAL__N_120geam_ex_round_kernelILi32ELi32EddPKdPdEEviiT2_T3_lilT4_lil
    .private_segment_fixed_size: 0
    .sgpr_count:     27
    .sgpr_spill_count: 0
    .symbol:         _ZN12_GLOBAL__N_120geam_ex_round_kernelILi32ELi32EddPKdPdEEviiT2_T3_lilT4_lil.kd
    .uniform_work_group_size: 1
    .uses_dynamic_stack: false
    .vgpr_count:     10
    .vgpr_spill_count: 0
    .wavefront_size: 64
  - .agpr_count:     0
    .args:
      - .offset:         0
        .size:           4
        .value_kind:     by_value
      - .offset:         4
        .size:           4
        .value_kind:     by_value
      - .offset:         8
        .size:           4
        .value_kind:     by_value
      - .address_space:  global
        .offset:         16
        .size:           8
        .value_kind:     global_buffer
      - .address_space:  global
        .offset:         24
        .size:           8
        .value_kind:     global_buffer
      - .offset:         32
        .size:           4
        .value_kind:     by_value
      - .offset:         40
        .size:           8
        .value_kind:     by_value
      - .address_space:  global
        .offset:         48
        .size:           8
        .value_kind:     global_buffer
      - .offset:         56
        .size:           4
        .value_kind:     by_value
      - .offset:         64
        .size:           8
        .value_kind:     by_value
      - .address_space:  global
        .offset:         72
        .size:           8
        .value_kind:     global_buffer
      - .address_space:  global
        .offset:         80
        .size:           8
        .value_kind:     global_buffer
      - .offset:         88
        .size:           4
        .value_kind:     by_value
      - .offset:         96
        .size:           8
        .value_kind:     by_value
      - .address_space:  global
        .offset:         104
        .size:           8
        .value_kind:     global_buffer
      - .offset:         112
        .size:           4
        .value_kind:     by_value
      - .offset:         120
        .size:           8
        .value_kind:     by_value
      - .offset:         128
        .size:           4
        .value_kind:     by_value
      - .offset:         132
        .size:           4
        .value_kind:     by_value
    .group_segment_fixed_size: 20480
    .kernarg_segment_align: 8
    .kernarg_segment_size: 136
    .language:       OpenCL C
    .language_version:
      - 2
      - 0
    .max_flat_workgroup_size: 256
    .name:           _ZN12_GLOBAL__N_120geam_min_plus_kernelId15HIP_vector_typeIdLj2EEdLi32ELi8ELi256ELi64ELi4ELi64ELi4ELi4ELi64ELc78ELc78ELb0ELb0ELb1EPKdS3_dEEviiiT16_PT17_ilS7_ilS5_S7_ilPT18_ili26rocblas_geam_ex_operation_
    .private_segment_fixed_size: 0
    .sgpr_count:     38
    .sgpr_spill_count: 0
    .symbol:         _ZN12_GLOBAL__N_120geam_min_plus_kernelId15HIP_vector_typeIdLj2EEdLi32ELi8ELi256ELi64ELi4ELi64ELi4ELi4ELi64ELc78ELc78ELb0ELb0ELb1EPKdS3_dEEviiiT16_PT17_ilS7_ilS5_S7_ilPT18_ili26rocblas_geam_ex_operation_.kd
    .uniform_work_group_size: 1
    .uses_dynamic_stack: false
    .vgpr_count:     230
    .vgpr_spill_count: 0
    .wavefront_size: 64
  - .agpr_count:     0
    .args:
      - .offset:         0
        .size:           4
        .value_kind:     by_value
      - .offset:         4
        .size:           4
        .value_kind:     by_value
      - .offset:         8
        .size:           4
        .value_kind:     by_value
      - .offset:         16
        .size:           8
        .value_kind:     by_value
      - .address_space:  global
        .offset:         24
        .size:           8
        .value_kind:     global_buffer
      - .offset:         32
        .size:           4
        .value_kind:     by_value
      - .offset:         40
        .size:           8
        .value_kind:     by_value
      - .address_space:  global
        .offset:         48
        .size:           8
        .value_kind:     global_buffer
      - .offset:         56
        .size:           4
        .value_kind:     by_value
      - .offset:         64
        .size:           8
        .value_kind:     by_value
      - .offset:         72
        .size:           8
        .value_kind:     by_value
      - .address_space:  global
        .offset:         80
        .size:           8
        .value_kind:     global_buffer
      - .offset:         88
        .size:           4
        .value_kind:     by_value
      - .offset:         96
        .size:           8
        .value_kind:     by_value
      - .address_space:  global
        .offset:         104
        .size:           8
        .value_kind:     global_buffer
      - .offset:         112
        .size:           4
        .value_kind:     by_value
      - .offset:         120
        .size:           8
        .value_kind:     by_value
      - .offset:         128
        .size:           4
        .value_kind:     by_value
      - .offset:         132
        .size:           4
        .value_kind:     by_value
    .group_segment_fixed_size: 20480
    .kernarg_segment_align: 8
    .kernarg_segment_size: 136
    .language:       OpenCL C
    .language_version:
      - 2
      - 0
    .max_flat_workgroup_size: 256
    .name:           _ZN12_GLOBAL__N_120geam_min_plus_kernelId15HIP_vector_typeIdLj2EEdLi32ELi8ELi256ELi64ELi4ELi64ELi4ELi4ELi64ELc78ELc78ELb1ELb0ELb1EdKddEEviiiT16_PT17_ilS6_ilS4_S6_ilPT18_ili26rocblas_geam_ex_operation_
    .private_segment_fixed_size: 0
    .sgpr_count:     30
    .sgpr_spill_count: 0
    .symbol:         _ZN12_GLOBAL__N_120geam_min_plus_kernelId15HIP_vector_typeIdLj2EEdLi32ELi8ELi256ELi64ELi4ELi64ELi4ELi4ELi64ELc78ELc78ELb1ELb0ELb1EdKddEEviiiT16_PT17_ilS6_ilS4_S6_ilPT18_ili26rocblas_geam_ex_operation_.kd
    .uniform_work_group_size: 1
    .uses_dynamic_stack: false
    .vgpr_count:     220
    .vgpr_spill_count: 0
    .wavefront_size: 64
  - .agpr_count:     0
    .args:
      - .offset:         0
        .size:           4
        .value_kind:     by_value
      - .offset:         4
        .size:           4
        .value_kind:     by_value
      - .offset:         8
        .size:           4
        .value_kind:     by_value
      - .offset:         16
        .size:           8
        .value_kind:     by_value
      - .address_space:  global
        .offset:         24
        .size:           8
        .value_kind:     global_buffer
      - .offset:         32
        .size:           4
        .value_kind:     by_value
      - .offset:         40
        .size:           8
        .value_kind:     by_value
      - .address_space:  global
        .offset:         48
        .size:           8
        .value_kind:     global_buffer
      - .offset:         56
        .size:           4
        .value_kind:     by_value
      - .offset:         64
        .size:           8
        .value_kind:     by_value
      - .offset:         72
        .size:           8
        .value_kind:     by_value
      - .address_space:  global
        .offset:         80
        .size:           8
        .value_kind:     global_buffer
      - .offset:         88
        .size:           4
        .value_kind:     by_value
      - .offset:         96
        .size:           8
        .value_kind:     by_value
      - .address_space:  global
        .offset:         104
        .size:           8
        .value_kind:     global_buffer
      - .offset:         112
        .size:           4
        .value_kind:     by_value
      - .offset:         120
        .size:           8
        .value_kind:     by_value
      - .offset:         128
        .size:           4
        .value_kind:     by_value
      - .offset:         132
        .size:           4
        .value_kind:     by_value
    .group_segment_fixed_size: 20480
    .kernarg_segment_align: 8
    .kernarg_segment_size: 136
    .language:       OpenCL C
    .language_version:
      - 2
      - 0
    .max_flat_workgroup_size: 256
    .name:           _ZN12_GLOBAL__N_120geam_min_plus_kernelId15HIP_vector_typeIdLj2EEdLi32ELi8ELi256ELi64ELi4ELi64ELi4ELi4ELi64ELc78ELc78ELb0ELb0ELb1EdKddEEviiiT16_PT17_ilS6_ilS4_S6_ilPT18_ili26rocblas_geam_ex_operation_
    .private_segment_fixed_size: 0
    .sgpr_count:     38
    .sgpr_spill_count: 0
    .symbol:         _ZN12_GLOBAL__N_120geam_min_plus_kernelId15HIP_vector_typeIdLj2EEdLi32ELi8ELi256ELi64ELi4ELi64ELi4ELi4ELi64ELc78ELc78ELb0ELb0ELb1EdKddEEviiiT16_PT17_ilS6_ilS4_S6_ilPT18_ili26rocblas_geam_ex_operation_.kd
    .uniform_work_group_size: 1
    .uses_dynamic_stack: false
    .vgpr_count:     230
    .vgpr_spill_count: 0
    .wavefront_size: 64
  - .agpr_count:     0
    .args:
      - .offset:         0
        .size:           4
        .value_kind:     by_value
      - .offset:         4
        .size:           4
        .value_kind:     by_value
      - .offset:         8
        .size:           4
        .value_kind:     by_value
      - .address_space:  global
        .offset:         16
        .size:           8
        .value_kind:     global_buffer
      - .address_space:  global
        .offset:         24
        .size:           8
        .value_kind:     global_buffer
      - .offset:         32
        .size:           4
        .value_kind:     by_value
      - .offset:         40
        .size:           8
        .value_kind:     by_value
      - .address_space:  global
        .offset:         48
        .size:           8
        .value_kind:     global_buffer
      - .offset:         56
        .size:           4
        .value_kind:     by_value
      - .offset:         64
        .size:           8
        .value_kind:     by_value
      - .address_space:  global
        .offset:         72
        .size:           8
        .value_kind:     global_buffer
      - .address_space:  global
        .offset:         80
        .size:           8
        .value_kind:     global_buffer
      - .offset:         88
        .size:           4
        .value_kind:     by_value
      - .offset:         96
        .size:           8
        .value_kind:     by_value
      - .address_space:  global
        .offset:         104
        .size:           8
        .value_kind:     global_buffer
      - .offset:         112
        .size:           4
        .value_kind:     by_value
      - .offset:         120
        .size:           8
        .value_kind:     by_value
      - .offset:         128
        .size:           4
        .value_kind:     by_value
      - .offset:         132
        .size:           4
        .value_kind:     by_value
    .group_segment_fixed_size: 20480
    .kernarg_segment_align: 8
    .kernarg_segment_size: 136
    .language:       OpenCL C
    .language_version:
      - 2
      - 0
    .max_flat_workgroup_size: 256
    .name:           _ZN12_GLOBAL__N_120geam_min_plus_kernelId15HIP_vector_typeIdLj2EEdLi32ELi8ELi256ELi64ELi4ELi64ELi4ELi4ELi64ELc78ELc78ELb0ELb1ELb1EPKdS3_dEEviiiT16_PT17_ilS7_ilS5_S7_ilPT18_ili26rocblas_geam_ex_operation_
    .private_segment_fixed_size: 0
    .sgpr_count:     50
    .sgpr_spill_count: 0
    .symbol:         _ZN12_GLOBAL__N_120geam_min_plus_kernelId15HIP_vector_typeIdLj2EEdLi32ELi8ELi256ELi64ELi4ELi64ELi4ELi4ELi64ELc78ELc78ELb0ELb1ELb1EPKdS3_dEEviiiT16_PT17_ilS7_ilS5_S7_ilPT18_ili26rocblas_geam_ex_operation_.kd
    .uniform_work_group_size: 1
    .uses_dynamic_stack: false
    .vgpr_count:     225
    .vgpr_spill_count: 0
    .wavefront_size: 64
  - .agpr_count:     0
    .args:
      - .offset:         0
        .size:           4
        .value_kind:     by_value
      - .offset:         4
        .size:           4
        .value_kind:     by_value
      - .offset:         8
        .size:           4
        .value_kind:     by_value
      - .offset:         16
        .size:           8
        .value_kind:     by_value
      - .address_space:  global
        .offset:         24
        .size:           8
        .value_kind:     global_buffer
      - .offset:         32
        .size:           4
        .value_kind:     by_value
      - .offset:         40
        .size:           8
        .value_kind:     by_value
      - .address_space:  global
        .offset:         48
        .size:           8
        .value_kind:     global_buffer
      - .offset:         56
        .size:           4
        .value_kind:     by_value
      - .offset:         64
        .size:           8
        .value_kind:     by_value
      - .offset:         72
        .size:           8
        .value_kind:     by_value
      - .address_space:  global
        .offset:         80
        .size:           8
        .value_kind:     global_buffer
      - .offset:         88
        .size:           4
        .value_kind:     by_value
      - .offset:         96
        .size:           8
        .value_kind:     by_value
      - .address_space:  global
        .offset:         104
        .size:           8
        .value_kind:     global_buffer
      - .offset:         112
        .size:           4
        .value_kind:     by_value
      - .offset:         120
        .size:           8
        .value_kind:     by_value
      - .offset:         128
        .size:           4
        .value_kind:     by_value
      - .offset:         132
        .size:           4
        .value_kind:     by_value
    .group_segment_fixed_size: 20480
    .kernarg_segment_align: 8
    .kernarg_segment_size: 136
    .language:       OpenCL C
    .language_version:
      - 2
      - 0
    .max_flat_workgroup_size: 256
    .name:           _ZN12_GLOBAL__N_120geam_min_plus_kernelId15HIP_vector_typeIdLj2EEdLi32ELi8ELi256ELi64ELi4ELi64ELi4ELi4ELi64ELc78ELc78ELb1ELb1ELb1EdKddEEviiiT16_PT17_ilS6_ilS4_S6_ilPT18_ili26rocblas_geam_ex_operation_
    .private_segment_fixed_size: 0
    .sgpr_count:     46
    .sgpr_spill_count: 0
    .symbol:         _ZN12_GLOBAL__N_120geam_min_plus_kernelId15HIP_vector_typeIdLj2EEdLi32ELi8ELi256ELi64ELi4ELi64ELi4ELi4ELi64ELc78ELc78ELb1ELb1ELb1EdKddEEviiiT16_PT17_ilS6_ilS4_S6_ilPT18_ili26rocblas_geam_ex_operation_.kd
    .uniform_work_group_size: 1
    .uses_dynamic_stack: false
    .vgpr_count:     230
    .vgpr_spill_count: 0
    .wavefront_size: 64
  - .agpr_count:     0
    .args:
      - .offset:         0
        .size:           4
        .value_kind:     by_value
      - .offset:         4
        .size:           4
        .value_kind:     by_value
      - .offset:         8
        .size:           4
        .value_kind:     by_value
      - .offset:         16
        .size:           8
        .value_kind:     by_value
      - .address_space:  global
        .offset:         24
        .size:           8
        .value_kind:     global_buffer
      - .offset:         32
        .size:           4
        .value_kind:     by_value
      - .offset:         40
        .size:           8
        .value_kind:     by_value
      - .address_space:  global
        .offset:         48
        .size:           8
        .value_kind:     global_buffer
      - .offset:         56
        .size:           4
        .value_kind:     by_value
      - .offset:         64
        .size:           8
        .value_kind:     by_value
      - .offset:         72
        .size:           8
        .value_kind:     by_value
      - .address_space:  global
        .offset:         80
        .size:           8
        .value_kind:     global_buffer
      - .offset:         88
        .size:           4
        .value_kind:     by_value
      - .offset:         96
        .size:           8
        .value_kind:     by_value
      - .address_space:  global
        .offset:         104
        .size:           8
        .value_kind:     global_buffer
      - .offset:         112
        .size:           4
        .value_kind:     by_value
      - .offset:         120
        .size:           8
        .value_kind:     by_value
      - .offset:         128
        .size:           4
        .value_kind:     by_value
      - .offset:         132
        .size:           4
        .value_kind:     by_value
    .group_segment_fixed_size: 20480
    .kernarg_segment_align: 8
    .kernarg_segment_size: 136
    .language:       OpenCL C
    .language_version:
      - 2
      - 0
    .max_flat_workgroup_size: 256
    .name:           _ZN12_GLOBAL__N_120geam_min_plus_kernelId15HIP_vector_typeIdLj2EEdLi32ELi8ELi256ELi64ELi4ELi64ELi4ELi4ELi64ELc78ELc78ELb0ELb1ELb1EdKddEEviiiT16_PT17_ilS6_ilS4_S6_ilPT18_ili26rocblas_geam_ex_operation_
    .private_segment_fixed_size: 0
    .sgpr_count:     50
    .sgpr_spill_count: 0
    .symbol:         _ZN12_GLOBAL__N_120geam_min_plus_kernelId15HIP_vector_typeIdLj2EEdLi32ELi8ELi256ELi64ELi4ELi64ELi4ELi4ELi64ELc78ELc78ELb0ELb1ELb1EdKddEEviiiT16_PT17_ilS6_ilS4_S6_ilPT18_ili26rocblas_geam_ex_operation_.kd
    .uniform_work_group_size: 1
    .uses_dynamic_stack: false
    .vgpr_count:     225
    .vgpr_spill_count: 0
    .wavefront_size: 64
  - .agpr_count:     2
    .args:
      - .offset:         0
        .size:           4
        .value_kind:     by_value
      - .offset:         4
        .size:           4
        .value_kind:     by_value
      - .offset:         8
        .size:           4
        .value_kind:     by_value
      - .address_space:  global
        .offset:         16
        .size:           8
        .value_kind:     global_buffer
      - .address_space:  global
        .offset:         24
        .size:           8
        .value_kind:     global_buffer
      - .offset:         32
        .size:           4
        .value_kind:     by_value
      - .offset:         40
        .size:           8
        .value_kind:     by_value
      - .address_space:  global
        .offset:         48
        .size:           8
        .value_kind:     global_buffer
      - .offset:         56
        .size:           4
        .value_kind:     by_value
      - .offset:         64
        .size:           8
        .value_kind:     by_value
      - .address_space:  global
        .offset:         72
        .size:           8
        .value_kind:     global_buffer
      - .address_space:  global
        .offset:         80
        .size:           8
        .value_kind:     global_buffer
      - .offset:         88
        .size:           4
        .value_kind:     by_value
      - .offset:         96
        .size:           8
        .value_kind:     by_value
      - .address_space:  global
        .offset:         104
        .size:           8
        .value_kind:     global_buffer
      - .offset:         112
        .size:           4
        .value_kind:     by_value
      - .offset:         120
        .size:           8
        .value_kind:     by_value
      - .offset:         128
        .size:           4
        .value_kind:     by_value
      - .offset:         132
        .size:           4
        .value_kind:     by_value
    .group_segment_fixed_size: 16384
    .kernarg_segment_align: 8
    .kernarg_segment_size: 136
    .language:       OpenCL C
    .language_version:
      - 2
      - 0
    .max_flat_workgroup_size: 256
    .name:           _ZN12_GLOBAL__N_120geam_min_plus_kernelId15HIP_vector_typeIdLj2EEdLi32ELi8ELi128ELi128ELi4ELi4ELi64ELi4ELi64ELc84ELc78ELb0ELb0ELb1EPKdS3_dEEviiiT16_PT17_ilS7_ilS5_S7_ilPT18_ili26rocblas_geam_ex_operation_
    .private_segment_fixed_size: 0
    .sgpr_count:     36
    .sgpr_spill_count: 0
    .symbol:         _ZN12_GLOBAL__N_120geam_min_plus_kernelId15HIP_vector_typeIdLj2EEdLi32ELi8ELi128ELi128ELi4ELi4ELi64ELi4ELi64ELc84ELc78ELb0ELb0ELb1EPKdS3_dEEviiiT16_PT17_ilS7_ilS5_S7_ilPT18_ili26rocblas_geam_ex_operation_.kd
    .uniform_work_group_size: 1
    .uses_dynamic_stack: false
    .vgpr_count:     258
    .vgpr_spill_count: 0
    .wavefront_size: 64
  - .agpr_count:     0
    .args:
      - .offset:         0
        .size:           4
        .value_kind:     by_value
      - .offset:         4
        .size:           4
        .value_kind:     by_value
      - .offset:         8
        .size:           4
        .value_kind:     by_value
      - .offset:         16
        .size:           8
        .value_kind:     by_value
      - .address_space:  global
        .offset:         24
        .size:           8
        .value_kind:     global_buffer
      - .offset:         32
        .size:           4
        .value_kind:     by_value
      - .offset:         40
        .size:           8
        .value_kind:     by_value
      - .address_space:  global
        .offset:         48
        .size:           8
        .value_kind:     global_buffer
      - .offset:         56
        .size:           4
        .value_kind:     by_value
      - .offset:         64
        .size:           8
        .value_kind:     by_value
      - .offset:         72
        .size:           8
        .value_kind:     by_value
      - .address_space:  global
        .offset:         80
        .size:           8
        .value_kind:     global_buffer
      - .offset:         88
        .size:           4
        .value_kind:     by_value
      - .offset:         96
        .size:           8
        .value_kind:     by_value
      - .address_space:  global
        .offset:         104
        .size:           8
        .value_kind:     global_buffer
      - .offset:         112
        .size:           4
        .value_kind:     by_value
      - .offset:         120
        .size:           8
        .value_kind:     by_value
      - .offset:         128
        .size:           4
        .value_kind:     by_value
      - .offset:         132
        .size:           4
        .value_kind:     by_value
    .group_segment_fixed_size: 16384
    .kernarg_segment_align: 8
    .kernarg_segment_size: 136
    .language:       OpenCL C
    .language_version:
      - 2
      - 0
    .max_flat_workgroup_size: 256
    .name:           _ZN12_GLOBAL__N_120geam_min_plus_kernelId15HIP_vector_typeIdLj2EEdLi32ELi8ELi128ELi128ELi4ELi4ELi64ELi4ELi64ELc84ELc78ELb1ELb0ELb1EdKddEEviiiT16_PT17_ilS6_ilS4_S6_ilPT18_ili26rocblas_geam_ex_operation_
    .private_segment_fixed_size: 0
    .sgpr_count:     30
    .sgpr_spill_count: 0
    .symbol:         _ZN12_GLOBAL__N_120geam_min_plus_kernelId15HIP_vector_typeIdLj2EEdLi32ELi8ELi128ELi128ELi4ELi4ELi64ELi4ELi64ELc84ELc78ELb1ELb0ELb1EdKddEEviiiT16_PT17_ilS6_ilS4_S6_ilPT18_ili26rocblas_geam_ex_operation_.kd
    .uniform_work_group_size: 1
    .uses_dynamic_stack: false
    .vgpr_count:     244
    .vgpr_spill_count: 0
    .wavefront_size: 64
  - .agpr_count:     2
    .args:
      - .offset:         0
        .size:           4
        .value_kind:     by_value
      - .offset:         4
        .size:           4
        .value_kind:     by_value
      - .offset:         8
        .size:           4
        .value_kind:     by_value
      - .offset:         16
        .size:           8
        .value_kind:     by_value
      - .address_space:  global
        .offset:         24
        .size:           8
        .value_kind:     global_buffer
      - .offset:         32
        .size:           4
        .value_kind:     by_value
      - .offset:         40
        .size:           8
        .value_kind:     by_value
      - .address_space:  global
        .offset:         48
        .size:           8
        .value_kind:     global_buffer
      - .offset:         56
        .size:           4
        .value_kind:     by_value
      - .offset:         64
        .size:           8
        .value_kind:     by_value
      - .offset:         72
        .size:           8
        .value_kind:     by_value
      - .address_space:  global
        .offset:         80
        .size:           8
        .value_kind:     global_buffer
      - .offset:         88
        .size:           4
        .value_kind:     by_value
      - .offset:         96
        .size:           8
        .value_kind:     by_value
      - .address_space:  global
        .offset:         104
        .size:           8
        .value_kind:     global_buffer
      - .offset:         112
        .size:           4
        .value_kind:     by_value
      - .offset:         120
        .size:           8
        .value_kind:     by_value
      - .offset:         128
        .size:           4
        .value_kind:     by_value
      - .offset:         132
        .size:           4
        .value_kind:     by_value
    .group_segment_fixed_size: 16384
    .kernarg_segment_align: 8
    .kernarg_segment_size: 136
    .language:       OpenCL C
    .language_version:
      - 2
      - 0
    .max_flat_workgroup_size: 256
    .name:           _ZN12_GLOBAL__N_120geam_min_plus_kernelId15HIP_vector_typeIdLj2EEdLi32ELi8ELi128ELi128ELi4ELi4ELi64ELi4ELi64ELc84ELc78ELb0ELb0ELb1EdKddEEviiiT16_PT17_ilS6_ilS4_S6_ilPT18_ili26rocblas_geam_ex_operation_
    .private_segment_fixed_size: 0
    .sgpr_count:     36
    .sgpr_spill_count: 0
    .symbol:         _ZN12_GLOBAL__N_120geam_min_plus_kernelId15HIP_vector_typeIdLj2EEdLi32ELi8ELi128ELi128ELi4ELi4ELi64ELi4ELi64ELc84ELc78ELb0ELb0ELb1EdKddEEviiiT16_PT17_ilS6_ilS4_S6_ilPT18_ili26rocblas_geam_ex_operation_.kd
    .uniform_work_group_size: 1
    .uses_dynamic_stack: false
    .vgpr_count:     258
    .vgpr_spill_count: 0
    .wavefront_size: 64
  - .agpr_count:     0
    .args:
      - .offset:         0
        .size:           4
        .value_kind:     by_value
      - .offset:         4
        .size:           4
        .value_kind:     by_value
      - .offset:         8
        .size:           4
        .value_kind:     by_value
      - .address_space:  global
        .offset:         16
        .size:           8
        .value_kind:     global_buffer
      - .address_space:  global
        .offset:         24
        .size:           8
        .value_kind:     global_buffer
      - .offset:         32
        .size:           4
        .value_kind:     by_value
      - .offset:         40
        .size:           8
        .value_kind:     by_value
      - .address_space:  global
        .offset:         48
        .size:           8
        .value_kind:     global_buffer
      - .offset:         56
        .size:           4
        .value_kind:     by_value
      - .offset:         64
        .size:           8
        .value_kind:     by_value
      - .address_space:  global
        .offset:         72
        .size:           8
        .value_kind:     global_buffer
      - .address_space:  global
        .offset:         80
        .size:           8
        .value_kind:     global_buffer
      - .offset:         88
        .size:           4
        .value_kind:     by_value
      - .offset:         96
        .size:           8
        .value_kind:     by_value
      - .address_space:  global
        .offset:         104
        .size:           8
        .value_kind:     global_buffer
      - .offset:         112
        .size:           4
        .value_kind:     by_value
      - .offset:         120
        .size:           8
        .value_kind:     by_value
      - .offset:         128
        .size:           4
        .value_kind:     by_value
      - .offset:         132
        .size:           4
        .value_kind:     by_value
    .group_segment_fixed_size: 16384
    .kernarg_segment_align: 8
    .kernarg_segment_size: 136
    .language:       OpenCL C
    .language_version:
      - 2
      - 0
    .max_flat_workgroup_size: 256
    .name:           _ZN12_GLOBAL__N_120geam_min_plus_kernelId15HIP_vector_typeIdLj2EEdLi32ELi8ELi128ELi128ELi4ELi4ELi64ELi4ELi64ELc84ELc78ELb0ELb1ELb1EPKdS3_dEEviiiT16_PT17_ilS7_ilS5_S7_ilPT18_ili26rocblas_geam_ex_operation_
    .private_segment_fixed_size: 0
    .sgpr_count:     48
    .sgpr_spill_count: 0
    .symbol:         _ZN12_GLOBAL__N_120geam_min_plus_kernelId15HIP_vector_typeIdLj2EEdLi32ELi8ELi128ELi128ELi4ELi4ELi64ELi4ELi64ELc84ELc78ELb0ELb1ELb1EPKdS3_dEEviiiT16_PT17_ilS7_ilS5_S7_ilPT18_ili26rocblas_geam_ex_operation_.kd
    .uniform_work_group_size: 1
    .uses_dynamic_stack: false
    .vgpr_count:     256
    .vgpr_spill_count: 0
    .wavefront_size: 64
  - .agpr_count:     6
    .args:
      - .offset:         0
        .size:           4
        .value_kind:     by_value
      - .offset:         4
        .size:           4
        .value_kind:     by_value
      - .offset:         8
        .size:           4
        .value_kind:     by_value
      - .offset:         16
        .size:           8
        .value_kind:     by_value
      - .address_space:  global
        .offset:         24
        .size:           8
        .value_kind:     global_buffer
      - .offset:         32
        .size:           4
        .value_kind:     by_value
      - .offset:         40
        .size:           8
        .value_kind:     by_value
      - .address_space:  global
        .offset:         48
        .size:           8
        .value_kind:     global_buffer
      - .offset:         56
        .size:           4
        .value_kind:     by_value
      - .offset:         64
        .size:           8
        .value_kind:     by_value
      - .offset:         72
        .size:           8
        .value_kind:     by_value
      - .address_space:  global
        .offset:         80
        .size:           8
        .value_kind:     global_buffer
      - .offset:         88
        .size:           4
        .value_kind:     by_value
      - .offset:         96
        .size:           8
        .value_kind:     by_value
      - .address_space:  global
        .offset:         104
        .size:           8
        .value_kind:     global_buffer
      - .offset:         112
        .size:           4
        .value_kind:     by_value
      - .offset:         120
        .size:           8
        .value_kind:     by_value
      - .offset:         128
        .size:           4
        .value_kind:     by_value
      - .offset:         132
        .size:           4
        .value_kind:     by_value
    .group_segment_fixed_size: 16384
    .kernarg_segment_align: 8
    .kernarg_segment_size: 136
    .language:       OpenCL C
    .language_version:
      - 2
      - 0
    .max_flat_workgroup_size: 256
    .name:           _ZN12_GLOBAL__N_120geam_min_plus_kernelId15HIP_vector_typeIdLj2EEdLi32ELi8ELi128ELi128ELi4ELi4ELi64ELi4ELi64ELc84ELc78ELb1ELb1ELb1EdKddEEviiiT16_PT17_ilS6_ilS4_S6_ilPT18_ili26rocblas_geam_ex_operation_
    .private_segment_fixed_size: 0
    .sgpr_count:     42
    .sgpr_spill_count: 0
    .symbol:         _ZN12_GLOBAL__N_120geam_min_plus_kernelId15HIP_vector_typeIdLj2EEdLi32ELi8ELi128ELi128ELi4ELi4ELi64ELi4ELi64ELc84ELc78ELb1ELb1ELb1EdKddEEviiiT16_PT17_ilS6_ilS4_S6_ilPT18_ili26rocblas_geam_ex_operation_.kd
    .uniform_work_group_size: 1
    .uses_dynamic_stack: false
    .vgpr_count:     262
    .vgpr_spill_count: 0
    .wavefront_size: 64
  - .agpr_count:     0
    .args:
      - .offset:         0
        .size:           4
        .value_kind:     by_value
      - .offset:         4
        .size:           4
        .value_kind:     by_value
      - .offset:         8
        .size:           4
        .value_kind:     by_value
      - .offset:         16
        .size:           8
        .value_kind:     by_value
      - .address_space:  global
        .offset:         24
        .size:           8
        .value_kind:     global_buffer
      - .offset:         32
        .size:           4
        .value_kind:     by_value
      - .offset:         40
        .size:           8
        .value_kind:     by_value
      - .address_space:  global
        .offset:         48
        .size:           8
        .value_kind:     global_buffer
      - .offset:         56
        .size:           4
        .value_kind:     by_value
      - .offset:         64
        .size:           8
        .value_kind:     by_value
      - .offset:         72
        .size:           8
        .value_kind:     by_value
      - .address_space:  global
        .offset:         80
        .size:           8
        .value_kind:     global_buffer
      - .offset:         88
        .size:           4
        .value_kind:     by_value
      - .offset:         96
        .size:           8
        .value_kind:     by_value
      - .address_space:  global
        .offset:         104
        .size:           8
        .value_kind:     global_buffer
      - .offset:         112
        .size:           4
        .value_kind:     by_value
      - .offset:         120
        .size:           8
        .value_kind:     by_value
      - .offset:         128
        .size:           4
        .value_kind:     by_value
      - .offset:         132
        .size:           4
        .value_kind:     by_value
    .group_segment_fixed_size: 16384
    .kernarg_segment_align: 8
    .kernarg_segment_size: 136
    .language:       OpenCL C
    .language_version:
      - 2
      - 0
    .max_flat_workgroup_size: 256
    .name:           _ZN12_GLOBAL__N_120geam_min_plus_kernelId15HIP_vector_typeIdLj2EEdLi32ELi8ELi128ELi128ELi4ELi4ELi64ELi4ELi64ELc84ELc78ELb0ELb1ELb1EdKddEEviiiT16_PT17_ilS6_ilS4_S6_ilPT18_ili26rocblas_geam_ex_operation_
    .private_segment_fixed_size: 0
    .sgpr_count:     48
    .sgpr_spill_count: 0
    .symbol:         _ZN12_GLOBAL__N_120geam_min_plus_kernelId15HIP_vector_typeIdLj2EEdLi32ELi8ELi128ELi128ELi4ELi4ELi64ELi4ELi64ELc84ELc78ELb0ELb1ELb1EdKddEEviiiT16_PT17_ilS6_ilS4_S6_ilPT18_ili26rocblas_geam_ex_operation_.kd
    .uniform_work_group_size: 1
    .uses_dynamic_stack: false
    .vgpr_count:     256
    .vgpr_spill_count: 0
    .wavefront_size: 64
  - .agpr_count:     0
    .args:
      - .offset:         0
        .size:           4
        .value_kind:     by_value
      - .offset:         4
        .size:           4
        .value_kind:     by_value
      - .offset:         8
        .size:           4
        .value_kind:     by_value
      - .address_space:  global
        .offset:         16
        .size:           8
        .value_kind:     global_buffer
      - .address_space:  global
        .offset:         24
        .size:           8
        .value_kind:     global_buffer
      - .offset:         32
        .size:           4
        .value_kind:     by_value
      - .offset:         40
        .size:           8
        .value_kind:     by_value
      - .address_space:  global
        .offset:         48
        .size:           8
        .value_kind:     global_buffer
      - .offset:         56
        .size:           4
        .value_kind:     by_value
      - .offset:         64
        .size:           8
        .value_kind:     by_value
      - .address_space:  global
        .offset:         72
        .size:           8
        .value_kind:     global_buffer
      - .address_space:  global
        .offset:         80
        .size:           8
        .value_kind:     global_buffer
      - .offset:         88
        .size:           4
        .value_kind:     by_value
      - .offset:         96
        .size:           8
        .value_kind:     by_value
      - .address_space:  global
        .offset:         104
        .size:           8
        .value_kind:     global_buffer
      - .offset:         112
        .size:           4
        .value_kind:     by_value
      - .offset:         120
        .size:           8
        .value_kind:     by_value
      - .offset:         128
        .size:           4
        .value_kind:     by_value
      - .offset:         132
        .size:           4
        .value_kind:     by_value
    .group_segment_fixed_size: 20480
    .kernarg_segment_align: 8
    .kernarg_segment_size: 136
    .language:       OpenCL C
    .language_version:
      - 2
      - 0
    .max_flat_workgroup_size: 256
    .name:           _ZN12_GLOBAL__N_120geam_min_plus_kernelId15HIP_vector_typeIdLj2EEdLi8ELi32ELi64ELi256ELi4ELi64ELi4ELi64ELi4ELc78ELc84ELb0ELb0ELb1EPKdS3_dEEviiiT16_PT17_ilS7_ilS5_S7_ilPT18_ili26rocblas_geam_ex_operation_
    .private_segment_fixed_size: 0
    .sgpr_count:     42
    .sgpr_spill_count: 0
    .symbol:         _ZN12_GLOBAL__N_120geam_min_plus_kernelId15HIP_vector_typeIdLj2EEdLi8ELi32ELi64ELi256ELi4ELi64ELi4ELi64ELi4ELc78ELc84ELb0ELb0ELb1EPKdS3_dEEviiiT16_PT17_ilS7_ilS5_S7_ilPT18_ili26rocblas_geam_ex_operation_.kd
    .uniform_work_group_size: 1
    .uses_dynamic_stack: false
    .vgpr_count:     234
    .vgpr_spill_count: 0
    .wavefront_size: 64
  - .agpr_count:     0
    .args:
      - .offset:         0
        .size:           4
        .value_kind:     by_value
      - .offset:         4
        .size:           4
        .value_kind:     by_value
      - .offset:         8
        .size:           4
        .value_kind:     by_value
      - .offset:         16
        .size:           8
        .value_kind:     by_value
      - .address_space:  global
        .offset:         24
        .size:           8
        .value_kind:     global_buffer
      - .offset:         32
        .size:           4
        .value_kind:     by_value
      - .offset:         40
        .size:           8
        .value_kind:     by_value
      - .address_space:  global
        .offset:         48
        .size:           8
        .value_kind:     global_buffer
      - .offset:         56
        .size:           4
        .value_kind:     by_value
      - .offset:         64
        .size:           8
        .value_kind:     by_value
      - .offset:         72
        .size:           8
        .value_kind:     by_value
      - .address_space:  global
        .offset:         80
        .size:           8
        .value_kind:     global_buffer
      - .offset:         88
        .size:           4
        .value_kind:     by_value
      - .offset:         96
        .size:           8
        .value_kind:     by_value
      - .address_space:  global
        .offset:         104
        .size:           8
        .value_kind:     global_buffer
      - .offset:         112
        .size:           4
        .value_kind:     by_value
      - .offset:         120
        .size:           8
        .value_kind:     by_value
      - .offset:         128
        .size:           4
        .value_kind:     by_value
      - .offset:         132
        .size:           4
        .value_kind:     by_value
    .group_segment_fixed_size: 20480
    .kernarg_segment_align: 8
    .kernarg_segment_size: 136
    .language:       OpenCL C
    .language_version:
      - 2
      - 0
    .max_flat_workgroup_size: 256
    .name:           _ZN12_GLOBAL__N_120geam_min_plus_kernelId15HIP_vector_typeIdLj2EEdLi8ELi32ELi64ELi256ELi4ELi64ELi4ELi64ELi4ELc78ELc84ELb1ELb0ELb1EdKddEEviiiT16_PT17_ilS6_ilS4_S6_ilPT18_ili26rocblas_geam_ex_operation_
    .private_segment_fixed_size: 0
    .sgpr_count:     32
    .sgpr_spill_count: 0
    .symbol:         _ZN12_GLOBAL__N_120geam_min_plus_kernelId15HIP_vector_typeIdLj2EEdLi8ELi32ELi64ELi256ELi4ELi64ELi4ELi64ELi4ELc78ELc84ELb1ELb0ELb1EdKddEEviiiT16_PT17_ilS6_ilS4_S6_ilPT18_ili26rocblas_geam_ex_operation_.kd
    .uniform_work_group_size: 1
    .uses_dynamic_stack: false
    .vgpr_count:     220
    .vgpr_spill_count: 0
    .wavefront_size: 64
  - .agpr_count:     0
    .args:
      - .offset:         0
        .size:           4
        .value_kind:     by_value
      - .offset:         4
        .size:           4
        .value_kind:     by_value
      - .offset:         8
        .size:           4
        .value_kind:     by_value
      - .offset:         16
        .size:           8
        .value_kind:     by_value
      - .address_space:  global
        .offset:         24
        .size:           8
        .value_kind:     global_buffer
      - .offset:         32
        .size:           4
        .value_kind:     by_value
      - .offset:         40
        .size:           8
        .value_kind:     by_value
      - .address_space:  global
        .offset:         48
        .size:           8
        .value_kind:     global_buffer
      - .offset:         56
        .size:           4
        .value_kind:     by_value
      - .offset:         64
        .size:           8
        .value_kind:     by_value
      - .offset:         72
        .size:           8
        .value_kind:     by_value
      - .address_space:  global
        .offset:         80
        .size:           8
        .value_kind:     global_buffer
      - .offset:         88
        .size:           4
        .value_kind:     by_value
      - .offset:         96
        .size:           8
        .value_kind:     by_value
      - .address_space:  global
        .offset:         104
        .size:           8
        .value_kind:     global_buffer
      - .offset:         112
        .size:           4
        .value_kind:     by_value
      - .offset:         120
        .size:           8
        .value_kind:     by_value
      - .offset:         128
        .size:           4
        .value_kind:     by_value
      - .offset:         132
        .size:           4
        .value_kind:     by_value
    .group_segment_fixed_size: 20480
    .kernarg_segment_align: 8
    .kernarg_segment_size: 136
    .language:       OpenCL C
    .language_version:
      - 2
      - 0
    .max_flat_workgroup_size: 256
    .name:           _ZN12_GLOBAL__N_120geam_min_plus_kernelId15HIP_vector_typeIdLj2EEdLi8ELi32ELi64ELi256ELi4ELi64ELi4ELi64ELi4ELc78ELc84ELb0ELb0ELb1EdKddEEviiiT16_PT17_ilS6_ilS4_S6_ilPT18_ili26rocblas_geam_ex_operation_
    .private_segment_fixed_size: 0
    .sgpr_count:     38
    .sgpr_spill_count: 0
    .symbol:         _ZN12_GLOBAL__N_120geam_min_plus_kernelId15HIP_vector_typeIdLj2EEdLi8ELi32ELi64ELi256ELi4ELi64ELi4ELi64ELi4ELc78ELc84ELb0ELb0ELb1EdKddEEviiiT16_PT17_ilS6_ilS4_S6_ilPT18_ili26rocblas_geam_ex_operation_.kd
    .uniform_work_group_size: 1
    .uses_dynamic_stack: false
    .vgpr_count:     234
    .vgpr_spill_count: 0
    .wavefront_size: 64
  - .agpr_count:     0
    .args:
      - .offset:         0
        .size:           4
        .value_kind:     by_value
      - .offset:         4
        .size:           4
        .value_kind:     by_value
      - .offset:         8
        .size:           4
        .value_kind:     by_value
      - .address_space:  global
        .offset:         16
        .size:           8
        .value_kind:     global_buffer
      - .address_space:  global
        .offset:         24
        .size:           8
        .value_kind:     global_buffer
      - .offset:         32
        .size:           4
        .value_kind:     by_value
      - .offset:         40
        .size:           8
        .value_kind:     by_value
      - .address_space:  global
        .offset:         48
        .size:           8
        .value_kind:     global_buffer
      - .offset:         56
        .size:           4
        .value_kind:     by_value
      - .offset:         64
        .size:           8
        .value_kind:     by_value
      - .address_space:  global
        .offset:         72
        .size:           8
        .value_kind:     global_buffer
      - .address_space:  global
        .offset:         80
        .size:           8
        .value_kind:     global_buffer
      - .offset:         88
        .size:           4
        .value_kind:     by_value
      - .offset:         96
        .size:           8
        .value_kind:     by_value
      - .address_space:  global
        .offset:         104
        .size:           8
        .value_kind:     global_buffer
      - .offset:         112
        .size:           4
        .value_kind:     by_value
      - .offset:         120
        .size:           8
        .value_kind:     by_value
      - .offset:         128
        .size:           4
        .value_kind:     by_value
      - .offset:         132
        .size:           4
        .value_kind:     by_value
    .group_segment_fixed_size: 20480
    .kernarg_segment_align: 8
    .kernarg_segment_size: 136
    .language:       OpenCL C
    .language_version:
      - 2
      - 0
    .max_flat_workgroup_size: 256
    .name:           _ZN12_GLOBAL__N_120geam_min_plus_kernelId15HIP_vector_typeIdLj2EEdLi8ELi32ELi64ELi256ELi4ELi64ELi4ELi64ELi4ELc78ELc84ELb0ELb1ELb1EPKdS3_dEEviiiT16_PT17_ilS7_ilS5_S7_ilPT18_ili26rocblas_geam_ex_operation_
    .private_segment_fixed_size: 0
    .sgpr_count:     52
    .sgpr_spill_count: 0
    .symbol:         _ZN12_GLOBAL__N_120geam_min_plus_kernelId15HIP_vector_typeIdLj2EEdLi8ELi32ELi64ELi256ELi4ELi64ELi4ELi64ELi4ELc78ELc84ELb0ELb1ELb1EPKdS3_dEEviiiT16_PT17_ilS7_ilS5_S7_ilPT18_ili26rocblas_geam_ex_operation_.kd
    .uniform_work_group_size: 1
    .uses_dynamic_stack: false
    .vgpr_count:     228
    .vgpr_spill_count: 0
    .wavefront_size: 64
  - .agpr_count:     0
    .args:
      - .offset:         0
        .size:           4
        .value_kind:     by_value
      - .offset:         4
        .size:           4
        .value_kind:     by_value
      - .offset:         8
        .size:           4
        .value_kind:     by_value
      - .offset:         16
        .size:           8
        .value_kind:     by_value
      - .address_space:  global
        .offset:         24
        .size:           8
        .value_kind:     global_buffer
      - .offset:         32
        .size:           4
        .value_kind:     by_value
      - .offset:         40
        .size:           8
        .value_kind:     by_value
      - .address_space:  global
        .offset:         48
        .size:           8
        .value_kind:     global_buffer
      - .offset:         56
        .size:           4
        .value_kind:     by_value
      - .offset:         64
        .size:           8
        .value_kind:     by_value
      - .offset:         72
        .size:           8
        .value_kind:     by_value
      - .address_space:  global
        .offset:         80
        .size:           8
        .value_kind:     global_buffer
      - .offset:         88
        .size:           4
        .value_kind:     by_value
      - .offset:         96
        .size:           8
        .value_kind:     by_value
      - .address_space:  global
        .offset:         104
        .size:           8
        .value_kind:     global_buffer
      - .offset:         112
        .size:           4
        .value_kind:     by_value
      - .offset:         120
        .size:           8
        .value_kind:     by_value
      - .offset:         128
        .size:           4
        .value_kind:     by_value
      - .offset:         132
        .size:           4
        .value_kind:     by_value
    .group_segment_fixed_size: 20480
    .kernarg_segment_align: 8
    .kernarg_segment_size: 136
    .language:       OpenCL C
    .language_version:
      - 2
      - 0
    .max_flat_workgroup_size: 256
    .name:           _ZN12_GLOBAL__N_120geam_min_plus_kernelId15HIP_vector_typeIdLj2EEdLi8ELi32ELi64ELi256ELi4ELi64ELi4ELi64ELi4ELc78ELc84ELb1ELb1ELb1EdKddEEviiiT16_PT17_ilS6_ilS4_S6_ilPT18_ili26rocblas_geam_ex_operation_
    .private_segment_fixed_size: 0
    .sgpr_count:     46
    .sgpr_spill_count: 0
    .symbol:         _ZN12_GLOBAL__N_120geam_min_plus_kernelId15HIP_vector_typeIdLj2EEdLi8ELi32ELi64ELi256ELi4ELi64ELi4ELi64ELi4ELc78ELc84ELb1ELb1ELb1EdKddEEviiiT16_PT17_ilS6_ilS4_S6_ilPT18_ili26rocblas_geam_ex_operation_.kd
    .uniform_work_group_size: 1
    .uses_dynamic_stack: false
    .vgpr_count:     233
    .vgpr_spill_count: 0
    .wavefront_size: 64
  - .agpr_count:     0
    .args:
      - .offset:         0
        .size:           4
        .value_kind:     by_value
      - .offset:         4
        .size:           4
        .value_kind:     by_value
      - .offset:         8
        .size:           4
        .value_kind:     by_value
      - .offset:         16
        .size:           8
        .value_kind:     by_value
      - .address_space:  global
        .offset:         24
        .size:           8
        .value_kind:     global_buffer
      - .offset:         32
        .size:           4
        .value_kind:     by_value
      - .offset:         40
        .size:           8
        .value_kind:     by_value
      - .address_space:  global
        .offset:         48
        .size:           8
        .value_kind:     global_buffer
      - .offset:         56
        .size:           4
        .value_kind:     by_value
      - .offset:         64
        .size:           8
        .value_kind:     by_value
      - .offset:         72
        .size:           8
        .value_kind:     by_value
      - .address_space:  global
        .offset:         80
        .size:           8
        .value_kind:     global_buffer
      - .offset:         88
        .size:           4
        .value_kind:     by_value
      - .offset:         96
        .size:           8
        .value_kind:     by_value
      - .address_space:  global
        .offset:         104
        .size:           8
        .value_kind:     global_buffer
      - .offset:         112
        .size:           4
        .value_kind:     by_value
      - .offset:         120
        .size:           8
        .value_kind:     by_value
      - .offset:         128
        .size:           4
        .value_kind:     by_value
      - .offset:         132
        .size:           4
        .value_kind:     by_value
    .group_segment_fixed_size: 20480
    .kernarg_segment_align: 8
    .kernarg_segment_size: 136
    .language:       OpenCL C
    .language_version:
      - 2
      - 0
    .max_flat_workgroup_size: 256
    .name:           _ZN12_GLOBAL__N_120geam_min_plus_kernelId15HIP_vector_typeIdLj2EEdLi8ELi32ELi64ELi256ELi4ELi64ELi4ELi64ELi4ELc78ELc84ELb0ELb1ELb1EdKddEEviiiT16_PT17_ilS6_ilS4_S6_ilPT18_ili26rocblas_geam_ex_operation_
    .private_segment_fixed_size: 0
    .sgpr_count:     52
    .sgpr_spill_count: 0
    .symbol:         _ZN12_GLOBAL__N_120geam_min_plus_kernelId15HIP_vector_typeIdLj2EEdLi8ELi32ELi64ELi256ELi4ELi64ELi4ELi64ELi4ELc78ELc84ELb0ELb1ELb1EdKddEEviiiT16_PT17_ilS6_ilS4_S6_ilPT18_ili26rocblas_geam_ex_operation_.kd
    .uniform_work_group_size: 1
    .uses_dynamic_stack: false
    .vgpr_count:     228
    .vgpr_spill_count: 0
    .wavefront_size: 64
  - .agpr_count:     0
    .args:
      - .offset:         0
        .size:           4
        .value_kind:     by_value
      - .offset:         4
        .size:           4
        .value_kind:     by_value
      - .offset:         8
        .size:           4
        .value_kind:     by_value
      - .address_space:  global
        .offset:         16
        .size:           8
        .value_kind:     global_buffer
      - .address_space:  global
        .offset:         24
        .size:           8
        .value_kind:     global_buffer
      - .offset:         32
        .size:           4
        .value_kind:     by_value
      - .offset:         40
        .size:           8
        .value_kind:     by_value
      - .address_space:  global
        .offset:         48
        .size:           8
        .value_kind:     global_buffer
      - .offset:         56
        .size:           4
        .value_kind:     by_value
      - .offset:         64
        .size:           8
        .value_kind:     by_value
      - .address_space:  global
        .offset:         72
        .size:           8
        .value_kind:     global_buffer
      - .address_space:  global
        .offset:         80
        .size:           8
        .value_kind:     global_buffer
      - .offset:         88
        .size:           4
        .value_kind:     by_value
      - .offset:         96
        .size:           8
        .value_kind:     by_value
      - .address_space:  global
        .offset:         104
        .size:           8
        .value_kind:     global_buffer
      - .offset:         112
        .size:           4
        .value_kind:     by_value
      - .offset:         120
        .size:           8
        .value_kind:     by_value
      - .offset:         128
        .size:           4
        .value_kind:     by_value
      - .offset:         132
        .size:           4
        .value_kind:     by_value
    .group_segment_fixed_size: 20480
    .kernarg_segment_align: 8
    .kernarg_segment_size: 136
    .language:       OpenCL C
    .language_version:
      - 2
      - 0
    .max_flat_workgroup_size: 256
    .name:           _ZN12_GLOBAL__N_120geam_min_plus_kernelId15HIP_vector_typeIdLj2EEdLi8ELi32ELi64ELi256ELi4ELi4ELi64ELi64ELi4ELc84ELc84ELb0ELb0ELb1EPKdS3_dEEviiiT16_PT17_ilS7_ilS5_S7_ilPT18_ili26rocblas_geam_ex_operation_
    .private_segment_fixed_size: 0
    .sgpr_count:     36
    .sgpr_spill_count: 0
    .symbol:         _ZN12_GLOBAL__N_120geam_min_plus_kernelId15HIP_vector_typeIdLj2EEdLi8ELi32ELi64ELi256ELi4ELi4ELi64ELi64ELi4ELc84ELc84ELb0ELb0ELb1EPKdS3_dEEviiiT16_PT17_ilS7_ilS5_S7_ilPT18_ili26rocblas_geam_ex_operation_.kd
    .uniform_work_group_size: 1
    .uses_dynamic_stack: false
    .vgpr_count:     230
    .vgpr_spill_count: 0
    .wavefront_size: 64
  - .agpr_count:     0
    .args:
      - .offset:         0
        .size:           4
        .value_kind:     by_value
      - .offset:         4
        .size:           4
        .value_kind:     by_value
      - .offset:         8
        .size:           4
        .value_kind:     by_value
      - .offset:         16
        .size:           8
        .value_kind:     by_value
      - .address_space:  global
        .offset:         24
        .size:           8
        .value_kind:     global_buffer
      - .offset:         32
        .size:           4
        .value_kind:     by_value
      - .offset:         40
        .size:           8
        .value_kind:     by_value
      - .address_space:  global
        .offset:         48
        .size:           8
        .value_kind:     global_buffer
      - .offset:         56
        .size:           4
        .value_kind:     by_value
      - .offset:         64
        .size:           8
        .value_kind:     by_value
      - .offset:         72
        .size:           8
        .value_kind:     by_value
      - .address_space:  global
        .offset:         80
        .size:           8
        .value_kind:     global_buffer
      - .offset:         88
        .size:           4
        .value_kind:     by_value
      - .offset:         96
        .size:           8
        .value_kind:     by_value
      - .address_space:  global
        .offset:         104
        .size:           8
        .value_kind:     global_buffer
      - .offset:         112
        .size:           4
        .value_kind:     by_value
      - .offset:         120
        .size:           8
        .value_kind:     by_value
      - .offset:         128
        .size:           4
        .value_kind:     by_value
      - .offset:         132
        .size:           4
        .value_kind:     by_value
    .group_segment_fixed_size: 20480
    .kernarg_segment_align: 8
    .kernarg_segment_size: 136
    .language:       OpenCL C
    .language_version:
      - 2
      - 0
    .max_flat_workgroup_size: 256
    .name:           _ZN12_GLOBAL__N_120geam_min_plus_kernelId15HIP_vector_typeIdLj2EEdLi8ELi32ELi64ELi256ELi4ELi4ELi64ELi64ELi4ELc84ELc84ELb1ELb0ELb1EdKddEEviiiT16_PT17_ilS6_ilS4_S6_ilPT18_ili26rocblas_geam_ex_operation_
    .private_segment_fixed_size: 0
    .sgpr_count:     30
    .sgpr_spill_count: 0
    .symbol:         _ZN12_GLOBAL__N_120geam_min_plus_kernelId15HIP_vector_typeIdLj2EEdLi8ELi32ELi64ELi256ELi4ELi4ELi64ELi64ELi4ELc84ELc84ELb1ELb0ELb1EdKddEEviiiT16_PT17_ilS6_ilS4_S6_ilPT18_ili26rocblas_geam_ex_operation_.kd
    .uniform_work_group_size: 1
    .uses_dynamic_stack: false
    .vgpr_count:     220
    .vgpr_spill_count: 0
    .wavefront_size: 64
  - .agpr_count:     0
    .args:
      - .offset:         0
        .size:           4
        .value_kind:     by_value
      - .offset:         4
        .size:           4
        .value_kind:     by_value
      - .offset:         8
        .size:           4
        .value_kind:     by_value
      - .offset:         16
        .size:           8
        .value_kind:     by_value
      - .address_space:  global
        .offset:         24
        .size:           8
        .value_kind:     global_buffer
      - .offset:         32
        .size:           4
        .value_kind:     by_value
      - .offset:         40
        .size:           8
        .value_kind:     by_value
      - .address_space:  global
        .offset:         48
        .size:           8
        .value_kind:     global_buffer
      - .offset:         56
        .size:           4
        .value_kind:     by_value
      - .offset:         64
        .size:           8
        .value_kind:     by_value
      - .offset:         72
        .size:           8
        .value_kind:     by_value
      - .address_space:  global
        .offset:         80
        .size:           8
        .value_kind:     global_buffer
      - .offset:         88
        .size:           4
        .value_kind:     by_value
      - .offset:         96
        .size:           8
        .value_kind:     by_value
      - .address_space:  global
        .offset:         104
        .size:           8
        .value_kind:     global_buffer
      - .offset:         112
        .size:           4
        .value_kind:     by_value
      - .offset:         120
        .size:           8
        .value_kind:     by_value
      - .offset:         128
        .size:           4
        .value_kind:     by_value
      - .offset:         132
        .size:           4
        .value_kind:     by_value
    .group_segment_fixed_size: 20480
    .kernarg_segment_align: 8
    .kernarg_segment_size: 136
    .language:       OpenCL C
    .language_version:
      - 2
      - 0
    .max_flat_workgroup_size: 256
    .name:           _ZN12_GLOBAL__N_120geam_min_plus_kernelId15HIP_vector_typeIdLj2EEdLi8ELi32ELi64ELi256ELi4ELi4ELi64ELi64ELi4ELc84ELc84ELb0ELb0ELb1EdKddEEviiiT16_PT17_ilS6_ilS4_S6_ilPT18_ili26rocblas_geam_ex_operation_
    .private_segment_fixed_size: 0
    .sgpr_count:     36
    .sgpr_spill_count: 0
    .symbol:         _ZN12_GLOBAL__N_120geam_min_plus_kernelId15HIP_vector_typeIdLj2EEdLi8ELi32ELi64ELi256ELi4ELi4ELi64ELi64ELi4ELc84ELc84ELb0ELb0ELb1EdKddEEviiiT16_PT17_ilS6_ilS4_S6_ilPT18_ili26rocblas_geam_ex_operation_.kd
    .uniform_work_group_size: 1
    .uses_dynamic_stack: false
    .vgpr_count:     230
    .vgpr_spill_count: 0
    .wavefront_size: 64
  - .agpr_count:     0
    .args:
      - .offset:         0
        .size:           4
        .value_kind:     by_value
      - .offset:         4
        .size:           4
        .value_kind:     by_value
      - .offset:         8
        .size:           4
        .value_kind:     by_value
      - .address_space:  global
        .offset:         16
        .size:           8
        .value_kind:     global_buffer
      - .address_space:  global
        .offset:         24
        .size:           8
        .value_kind:     global_buffer
      - .offset:         32
        .size:           4
        .value_kind:     by_value
      - .offset:         40
        .size:           8
        .value_kind:     by_value
      - .address_space:  global
        .offset:         48
        .size:           8
        .value_kind:     global_buffer
      - .offset:         56
        .size:           4
        .value_kind:     by_value
      - .offset:         64
        .size:           8
        .value_kind:     by_value
      - .address_space:  global
        .offset:         72
        .size:           8
        .value_kind:     global_buffer
      - .address_space:  global
        .offset:         80
        .size:           8
        .value_kind:     global_buffer
      - .offset:         88
        .size:           4
        .value_kind:     by_value
      - .offset:         96
        .size:           8
        .value_kind:     by_value
      - .address_space:  global
        .offset:         104
        .size:           8
        .value_kind:     global_buffer
      - .offset:         112
        .size:           4
        .value_kind:     by_value
      - .offset:         120
        .size:           8
        .value_kind:     by_value
      - .offset:         128
        .size:           4
        .value_kind:     by_value
      - .offset:         132
        .size:           4
        .value_kind:     by_value
    .group_segment_fixed_size: 20480
    .kernarg_segment_align: 8
    .kernarg_segment_size: 136
    .language:       OpenCL C
    .language_version:
      - 2
      - 0
    .max_flat_workgroup_size: 256
    .name:           _ZN12_GLOBAL__N_120geam_min_plus_kernelId15HIP_vector_typeIdLj2EEdLi8ELi32ELi64ELi256ELi4ELi4ELi64ELi64ELi4ELc84ELc84ELb0ELb1ELb1EPKdS3_dEEviiiT16_PT17_ilS7_ilS5_S7_ilPT18_ili26rocblas_geam_ex_operation_
    .private_segment_fixed_size: 0
    .sgpr_count:     50
    .sgpr_spill_count: 0
    .symbol:         _ZN12_GLOBAL__N_120geam_min_plus_kernelId15HIP_vector_typeIdLj2EEdLi8ELi32ELi64ELi256ELi4ELi4ELi64ELi64ELi4ELc84ELc84ELb0ELb1ELb1EPKdS3_dEEviiiT16_PT17_ilS7_ilS5_S7_ilPT18_ili26rocblas_geam_ex_operation_.kd
    .uniform_work_group_size: 1
    .uses_dynamic_stack: false
    .vgpr_count:     225
    .vgpr_spill_count: 0
    .wavefront_size: 64
  - .agpr_count:     0
    .args:
      - .offset:         0
        .size:           4
        .value_kind:     by_value
      - .offset:         4
        .size:           4
        .value_kind:     by_value
      - .offset:         8
        .size:           4
        .value_kind:     by_value
      - .offset:         16
        .size:           8
        .value_kind:     by_value
      - .address_space:  global
        .offset:         24
        .size:           8
        .value_kind:     global_buffer
      - .offset:         32
        .size:           4
        .value_kind:     by_value
      - .offset:         40
        .size:           8
        .value_kind:     by_value
      - .address_space:  global
        .offset:         48
        .size:           8
        .value_kind:     global_buffer
      - .offset:         56
        .size:           4
        .value_kind:     by_value
      - .offset:         64
        .size:           8
        .value_kind:     by_value
      - .offset:         72
        .size:           8
        .value_kind:     by_value
      - .address_space:  global
        .offset:         80
        .size:           8
        .value_kind:     global_buffer
      - .offset:         88
        .size:           4
        .value_kind:     by_value
      - .offset:         96
        .size:           8
        .value_kind:     by_value
      - .address_space:  global
        .offset:         104
        .size:           8
        .value_kind:     global_buffer
      - .offset:         112
        .size:           4
        .value_kind:     by_value
      - .offset:         120
        .size:           8
        .value_kind:     by_value
      - .offset:         128
        .size:           4
        .value_kind:     by_value
      - .offset:         132
        .size:           4
        .value_kind:     by_value
    .group_segment_fixed_size: 20480
    .kernarg_segment_align: 8
    .kernarg_segment_size: 136
    .language:       OpenCL C
    .language_version:
      - 2
      - 0
    .max_flat_workgroup_size: 256
    .name:           _ZN12_GLOBAL__N_120geam_min_plus_kernelId15HIP_vector_typeIdLj2EEdLi8ELi32ELi64ELi256ELi4ELi4ELi64ELi64ELi4ELc84ELc84ELb1ELb1ELb1EdKddEEviiiT16_PT17_ilS6_ilS4_S6_ilPT18_ili26rocblas_geam_ex_operation_
    .private_segment_fixed_size: 0
    .sgpr_count:     46
    .sgpr_spill_count: 0
    .symbol:         _ZN12_GLOBAL__N_120geam_min_plus_kernelId15HIP_vector_typeIdLj2EEdLi8ELi32ELi64ELi256ELi4ELi4ELi64ELi64ELi4ELc84ELc84ELb1ELb1ELb1EdKddEEviiiT16_PT17_ilS6_ilS4_S6_ilPT18_ili26rocblas_geam_ex_operation_.kd
    .uniform_work_group_size: 1
    .uses_dynamic_stack: false
    .vgpr_count:     230
    .vgpr_spill_count: 0
    .wavefront_size: 64
  - .agpr_count:     0
    .args:
      - .offset:         0
        .size:           4
        .value_kind:     by_value
      - .offset:         4
        .size:           4
        .value_kind:     by_value
      - .offset:         8
        .size:           4
        .value_kind:     by_value
      - .offset:         16
        .size:           8
        .value_kind:     by_value
      - .address_space:  global
        .offset:         24
        .size:           8
        .value_kind:     global_buffer
      - .offset:         32
        .size:           4
        .value_kind:     by_value
      - .offset:         40
        .size:           8
        .value_kind:     by_value
      - .address_space:  global
        .offset:         48
        .size:           8
        .value_kind:     global_buffer
      - .offset:         56
        .size:           4
        .value_kind:     by_value
      - .offset:         64
        .size:           8
        .value_kind:     by_value
      - .offset:         72
        .size:           8
        .value_kind:     by_value
      - .address_space:  global
        .offset:         80
        .size:           8
        .value_kind:     global_buffer
      - .offset:         88
        .size:           4
        .value_kind:     by_value
      - .offset:         96
        .size:           8
        .value_kind:     by_value
      - .address_space:  global
        .offset:         104
        .size:           8
        .value_kind:     global_buffer
      - .offset:         112
        .size:           4
        .value_kind:     by_value
      - .offset:         120
        .size:           8
        .value_kind:     by_value
      - .offset:         128
        .size:           4
        .value_kind:     by_value
      - .offset:         132
        .size:           4
        .value_kind:     by_value
    .group_segment_fixed_size: 20480
    .kernarg_segment_align: 8
    .kernarg_segment_size: 136
    .language:       OpenCL C
    .language_version:
      - 2
      - 0
    .max_flat_workgroup_size: 256
    .name:           _ZN12_GLOBAL__N_120geam_min_plus_kernelId15HIP_vector_typeIdLj2EEdLi8ELi32ELi64ELi256ELi4ELi4ELi64ELi64ELi4ELc84ELc84ELb0ELb1ELb1EdKddEEviiiT16_PT17_ilS6_ilS4_S6_ilPT18_ili26rocblas_geam_ex_operation_
    .private_segment_fixed_size: 0
    .sgpr_count:     50
    .sgpr_spill_count: 0
    .symbol:         _ZN12_GLOBAL__N_120geam_min_plus_kernelId15HIP_vector_typeIdLj2EEdLi8ELi32ELi64ELi256ELi4ELi4ELi64ELi64ELi4ELc84ELc84ELb0ELb1ELb1EdKddEEviiiT16_PT17_ilS6_ilS4_S6_ilPT18_ili26rocblas_geam_ex_operation_.kd
    .uniform_work_group_size: 1
    .uses_dynamic_stack: false
    .vgpr_count:     225
    .vgpr_spill_count: 0
    .wavefront_size: 64
  - .agpr_count:     0
    .args:
      - .offset:         0
        .size:           4
        .value_kind:     by_value
      - .offset:         4
        .size:           4
        .value_kind:     by_value
      - .offset:         8
        .size:           4
        .value_kind:     by_value
      - .address_space:  global
        .offset:         16
        .size:           8
        .value_kind:     global_buffer
      - .address_space:  global
        .offset:         24
        .size:           8
        .value_kind:     global_buffer
      - .offset:         32
        .size:           4
        .value_kind:     by_value
      - .offset:         40
        .size:           8
        .value_kind:     by_value
      - .address_space:  global
        .offset:         48
        .size:           8
        .value_kind:     global_buffer
      - .offset:         56
        .size:           4
        .value_kind:     by_value
      - .offset:         64
        .size:           8
        .value_kind:     by_value
      - .address_space:  global
        .offset:         72
        .size:           8
        .value_kind:     global_buffer
      - .address_space:  global
        .offset:         80
        .size:           8
        .value_kind:     global_buffer
      - .offset:         88
        .size:           4
        .value_kind:     by_value
      - .offset:         96
        .size:           8
        .value_kind:     by_value
      - .address_space:  global
        .offset:         104
        .size:           8
        .value_kind:     global_buffer
      - .offset:         112
        .size:           4
        .value_kind:     by_value
      - .offset:         120
        .size:           8
        .value_kind:     by_value
      - .offset:         128
        .size:           4
        .value_kind:     by_value
      - .offset:         132
        .size:           4
        .value_kind:     by_value
    .group_segment_fixed_size: 16384
    .kernarg_segment_align: 8
    .kernarg_segment_size: 136
    .language:       OpenCL C
    .language_version:
      - 2
      - 0
    .max_flat_workgroup_size: 256
    .name:           _ZN12_GLOBAL__N_120geam_min_plus_kernelIdddLi4ELi64ELi128ELi128ELi4ELi64ELi4ELi4ELi64ELc78ELc78ELb0ELb0ELb0EPKdS1_dEEviiiT16_PT17_ilS5_ilS3_S5_ilPT18_ili26rocblas_geam_ex_operation_
    .private_segment_fixed_size: 0
    .sgpr_count:     36
    .sgpr_spill_count: 0
    .symbol:         _ZN12_GLOBAL__N_120geam_min_plus_kernelIdddLi4ELi64ELi128ELi128ELi4ELi64ELi4ELi4ELi64ELc78ELc78ELb0ELb0ELb0EPKdS1_dEEviiiT16_PT17_ilS5_ilS3_S5_ilPT18_ili26rocblas_geam_ex_operation_.kd
    .uniform_work_group_size: 1
    .uses_dynamic_stack: false
    .vgpr_count:     254
    .vgpr_spill_count: 0
    .wavefront_size: 64
  - .agpr_count:     0
    .args:
      - .offset:         0
        .size:           4
        .value_kind:     by_value
      - .offset:         4
        .size:           4
        .value_kind:     by_value
      - .offset:         8
        .size:           4
        .value_kind:     by_value
      - .offset:         16
        .size:           8
        .value_kind:     by_value
      - .address_space:  global
        .offset:         24
        .size:           8
        .value_kind:     global_buffer
      - .offset:         32
        .size:           4
        .value_kind:     by_value
      - .offset:         40
        .size:           8
        .value_kind:     by_value
      - .address_space:  global
        .offset:         48
        .size:           8
        .value_kind:     global_buffer
      - .offset:         56
        .size:           4
        .value_kind:     by_value
      - .offset:         64
        .size:           8
        .value_kind:     by_value
      - .offset:         72
        .size:           8
        .value_kind:     by_value
      - .address_space:  global
        .offset:         80
        .size:           8
        .value_kind:     global_buffer
      - .offset:         88
        .size:           4
        .value_kind:     by_value
      - .offset:         96
        .size:           8
        .value_kind:     by_value
      - .address_space:  global
        .offset:         104
        .size:           8
        .value_kind:     global_buffer
      - .offset:         112
        .size:           4
        .value_kind:     by_value
      - .offset:         120
        .size:           8
        .value_kind:     by_value
      - .offset:         128
        .size:           4
        .value_kind:     by_value
      - .offset:         132
        .size:           4
        .value_kind:     by_value
    .group_segment_fixed_size: 16384
    .kernarg_segment_align: 8
    .kernarg_segment_size: 136
    .language:       OpenCL C
    .language_version:
      - 2
      - 0
    .max_flat_workgroup_size: 256
    .name:           _ZN12_GLOBAL__N_120geam_min_plus_kernelIdddLi4ELi64ELi128ELi128ELi4ELi64ELi4ELi4ELi64ELc78ELc78ELb1ELb0ELb0EdKddEEviiiT16_PT17_ilS4_ilS2_S4_ilPT18_ili26rocblas_geam_ex_operation_
    .private_segment_fixed_size: 0
    .sgpr_count:     30
    .sgpr_spill_count: 0
    .symbol:         _ZN12_GLOBAL__N_120geam_min_plus_kernelIdddLi4ELi64ELi128ELi128ELi4ELi64ELi4ELi4ELi64ELc78ELc78ELb1ELb0ELb0EdKddEEviiiT16_PT17_ilS4_ilS2_S4_ilPT18_ili26rocblas_geam_ex_operation_.kd
    .uniform_work_group_size: 1
    .uses_dynamic_stack: false
    .vgpr_count:     256
    .vgpr_spill_count: 0
    .wavefront_size: 64
  - .agpr_count:     0
    .args:
      - .offset:         0
        .size:           4
        .value_kind:     by_value
      - .offset:         4
        .size:           4
        .value_kind:     by_value
      - .offset:         8
        .size:           4
        .value_kind:     by_value
      - .offset:         16
        .size:           8
        .value_kind:     by_value
      - .address_space:  global
        .offset:         24
        .size:           8
        .value_kind:     global_buffer
      - .offset:         32
        .size:           4
        .value_kind:     by_value
      - .offset:         40
        .size:           8
        .value_kind:     by_value
      - .address_space:  global
        .offset:         48
        .size:           8
        .value_kind:     global_buffer
      - .offset:         56
        .size:           4
        .value_kind:     by_value
      - .offset:         64
        .size:           8
        .value_kind:     by_value
      - .offset:         72
        .size:           8
        .value_kind:     by_value
      - .address_space:  global
        .offset:         80
        .size:           8
        .value_kind:     global_buffer
      - .offset:         88
        .size:           4
        .value_kind:     by_value
      - .offset:         96
        .size:           8
        .value_kind:     by_value
      - .address_space:  global
        .offset:         104
        .size:           8
        .value_kind:     global_buffer
      - .offset:         112
        .size:           4
        .value_kind:     by_value
      - .offset:         120
        .size:           8
        .value_kind:     by_value
      - .offset:         128
        .size:           4
        .value_kind:     by_value
      - .offset:         132
        .size:           4
        .value_kind:     by_value
    .group_segment_fixed_size: 16384
    .kernarg_segment_align: 8
    .kernarg_segment_size: 136
    .language:       OpenCL C
    .language_version:
      - 2
      - 0
    .max_flat_workgroup_size: 256
    .name:           _ZN12_GLOBAL__N_120geam_min_plus_kernelIdddLi4ELi64ELi128ELi128ELi4ELi64ELi4ELi4ELi64ELc78ELc78ELb0ELb0ELb0EdKddEEviiiT16_PT17_ilS4_ilS2_S4_ilPT18_ili26rocblas_geam_ex_operation_
    .private_segment_fixed_size: 0
    .sgpr_count:     36
    .sgpr_spill_count: 0
    .symbol:         _ZN12_GLOBAL__N_120geam_min_plus_kernelIdddLi4ELi64ELi128ELi128ELi4ELi64ELi4ELi4ELi64ELc78ELc78ELb0ELb0ELb0EdKddEEviiiT16_PT17_ilS4_ilS2_S4_ilPT18_ili26rocblas_geam_ex_operation_.kd
    .uniform_work_group_size: 1
    .uses_dynamic_stack: false
    .vgpr_count:     254
    .vgpr_spill_count: 0
    .wavefront_size: 64
  - .agpr_count:     0
    .args:
      - .offset:         0
        .size:           4
        .value_kind:     by_value
      - .offset:         4
        .size:           4
        .value_kind:     by_value
      - .offset:         8
        .size:           4
        .value_kind:     by_value
      - .address_space:  global
        .offset:         16
        .size:           8
        .value_kind:     global_buffer
      - .address_space:  global
        .offset:         24
        .size:           8
        .value_kind:     global_buffer
      - .offset:         32
        .size:           4
        .value_kind:     by_value
      - .offset:         40
        .size:           8
        .value_kind:     by_value
      - .address_space:  global
        .offset:         48
        .size:           8
        .value_kind:     global_buffer
      - .offset:         56
        .size:           4
        .value_kind:     by_value
      - .offset:         64
        .size:           8
        .value_kind:     by_value
      - .address_space:  global
        .offset:         72
        .size:           8
        .value_kind:     global_buffer
      - .address_space:  global
        .offset:         80
        .size:           8
        .value_kind:     global_buffer
      - .offset:         88
        .size:           4
        .value_kind:     by_value
      - .offset:         96
        .size:           8
        .value_kind:     by_value
      - .address_space:  global
        .offset:         104
        .size:           8
        .value_kind:     global_buffer
      - .offset:         112
        .size:           4
        .value_kind:     by_value
      - .offset:         120
        .size:           8
        .value_kind:     by_value
      - .offset:         128
        .size:           4
        .value_kind:     by_value
      - .offset:         132
        .size:           4
        .value_kind:     by_value
    .group_segment_fixed_size: 16384
    .kernarg_segment_align: 8
    .kernarg_segment_size: 136
    .language:       OpenCL C
    .language_version:
      - 2
      - 0
    .max_flat_workgroup_size: 256
    .name:           _ZN12_GLOBAL__N_120geam_min_plus_kernelIdddLi4ELi64ELi128ELi128ELi4ELi64ELi4ELi4ELi64ELc78ELc78ELb0ELb1ELb0EPKdS1_dEEviiiT16_PT17_ilS5_ilS3_S5_ilPT18_ili26rocblas_geam_ex_operation_
    .private_segment_fixed_size: 0
    .sgpr_count:     88
    .sgpr_spill_count: 0
    .symbol:         _ZN12_GLOBAL__N_120geam_min_plus_kernelIdddLi4ELi64ELi128ELi128ELi4ELi64ELi4ELi4ELi64ELc78ELc78ELb0ELb1ELb0EPKdS1_dEEviiiT16_PT17_ilS5_ilS3_S5_ilPT18_ili26rocblas_geam_ex_operation_.kd
    .uniform_work_group_size: 1
    .uses_dynamic_stack: false
    .vgpr_count:     254
    .vgpr_spill_count: 0
    .wavefront_size: 64
  - .agpr_count:     0
    .args:
      - .offset:         0
        .size:           4
        .value_kind:     by_value
      - .offset:         4
        .size:           4
        .value_kind:     by_value
      - .offset:         8
        .size:           4
        .value_kind:     by_value
      - .offset:         16
        .size:           8
        .value_kind:     by_value
      - .address_space:  global
        .offset:         24
        .size:           8
        .value_kind:     global_buffer
      - .offset:         32
        .size:           4
        .value_kind:     by_value
      - .offset:         40
        .size:           8
        .value_kind:     by_value
      - .address_space:  global
        .offset:         48
        .size:           8
        .value_kind:     global_buffer
      - .offset:         56
        .size:           4
        .value_kind:     by_value
      - .offset:         64
        .size:           8
        .value_kind:     by_value
      - .offset:         72
        .size:           8
        .value_kind:     by_value
      - .address_space:  global
        .offset:         80
        .size:           8
        .value_kind:     global_buffer
      - .offset:         88
        .size:           4
        .value_kind:     by_value
      - .offset:         96
        .size:           8
        .value_kind:     by_value
      - .address_space:  global
        .offset:         104
        .size:           8
        .value_kind:     global_buffer
      - .offset:         112
        .size:           4
        .value_kind:     by_value
      - .offset:         120
        .size:           8
        .value_kind:     by_value
      - .offset:         128
        .size:           4
        .value_kind:     by_value
      - .offset:         132
        .size:           4
        .value_kind:     by_value
    .group_segment_fixed_size: 16384
    .kernarg_segment_align: 8
    .kernarg_segment_size: 136
    .language:       OpenCL C
    .language_version:
      - 2
      - 0
    .max_flat_workgroup_size: 256
    .name:           _ZN12_GLOBAL__N_120geam_min_plus_kernelIdddLi4ELi64ELi128ELi128ELi4ELi64ELi4ELi4ELi64ELc78ELc78ELb1ELb1ELb0EdKddEEviiiT16_PT17_ilS4_ilS2_S4_ilPT18_ili26rocblas_geam_ex_operation_
    .private_segment_fixed_size: 0
    .sgpr_count:     88
    .sgpr_spill_count: 0
    .symbol:         _ZN12_GLOBAL__N_120geam_min_plus_kernelIdddLi4ELi64ELi128ELi128ELi4ELi64ELi4ELi4ELi64ELc78ELc78ELb1ELb1ELb0EdKddEEviiiT16_PT17_ilS4_ilS2_S4_ilPT18_ili26rocblas_geam_ex_operation_.kd
    .uniform_work_group_size: 1
    .uses_dynamic_stack: false
    .vgpr_count:     254
    .vgpr_spill_count: 0
    .wavefront_size: 64
  - .agpr_count:     0
    .args:
      - .offset:         0
        .size:           4
        .value_kind:     by_value
      - .offset:         4
        .size:           4
        .value_kind:     by_value
      - .offset:         8
        .size:           4
        .value_kind:     by_value
      - .offset:         16
        .size:           8
        .value_kind:     by_value
      - .address_space:  global
        .offset:         24
        .size:           8
        .value_kind:     global_buffer
      - .offset:         32
        .size:           4
        .value_kind:     by_value
      - .offset:         40
        .size:           8
        .value_kind:     by_value
      - .address_space:  global
        .offset:         48
        .size:           8
        .value_kind:     global_buffer
      - .offset:         56
        .size:           4
        .value_kind:     by_value
      - .offset:         64
        .size:           8
        .value_kind:     by_value
      - .offset:         72
        .size:           8
        .value_kind:     by_value
      - .address_space:  global
        .offset:         80
        .size:           8
        .value_kind:     global_buffer
      - .offset:         88
        .size:           4
        .value_kind:     by_value
      - .offset:         96
        .size:           8
        .value_kind:     by_value
      - .address_space:  global
        .offset:         104
        .size:           8
        .value_kind:     global_buffer
      - .offset:         112
        .size:           4
        .value_kind:     by_value
      - .offset:         120
        .size:           8
        .value_kind:     by_value
      - .offset:         128
        .size:           4
        .value_kind:     by_value
      - .offset:         132
        .size:           4
        .value_kind:     by_value
    .group_segment_fixed_size: 16384
    .kernarg_segment_align: 8
    .kernarg_segment_size: 136
    .language:       OpenCL C
    .language_version:
      - 2
      - 0
    .max_flat_workgroup_size: 256
    .name:           _ZN12_GLOBAL__N_120geam_min_plus_kernelIdddLi4ELi64ELi128ELi128ELi4ELi64ELi4ELi4ELi64ELc78ELc78ELb0ELb1ELb0EdKddEEviiiT16_PT17_ilS4_ilS2_S4_ilPT18_ili26rocblas_geam_ex_operation_
    .private_segment_fixed_size: 0
    .sgpr_count:     88
    .sgpr_spill_count: 0
    .symbol:         _ZN12_GLOBAL__N_120geam_min_plus_kernelIdddLi4ELi64ELi128ELi128ELi4ELi64ELi4ELi4ELi64ELc78ELc78ELb0ELb1ELb0EdKddEEviiiT16_PT17_ilS4_ilS2_S4_ilPT18_ili26rocblas_geam_ex_operation_.kd
    .uniform_work_group_size: 1
    .uses_dynamic_stack: false
    .vgpr_count:     254
    .vgpr_spill_count: 0
    .wavefront_size: 64
  - .agpr_count:     0
    .args:
      - .offset:         0
        .size:           4
        .value_kind:     by_value
      - .offset:         4
        .size:           4
        .value_kind:     by_value
      - .offset:         8
        .size:           4
        .value_kind:     by_value
      - .address_space:  global
        .offset:         16
        .size:           8
        .value_kind:     global_buffer
      - .address_space:  global
        .offset:         24
        .size:           8
        .value_kind:     global_buffer
      - .offset:         32
        .size:           4
        .value_kind:     by_value
      - .offset:         40
        .size:           8
        .value_kind:     by_value
      - .address_space:  global
        .offset:         48
        .size:           8
        .value_kind:     global_buffer
      - .offset:         56
        .size:           4
        .value_kind:     by_value
      - .offset:         64
        .size:           8
        .value_kind:     by_value
      - .address_space:  global
        .offset:         72
        .size:           8
        .value_kind:     global_buffer
      - .address_space:  global
        .offset:         80
        .size:           8
        .value_kind:     global_buffer
      - .offset:         88
        .size:           4
        .value_kind:     by_value
      - .offset:         96
        .size:           8
        .value_kind:     by_value
      - .address_space:  global
        .offset:         104
        .size:           8
        .value_kind:     global_buffer
      - .offset:         112
        .size:           4
        .value_kind:     by_value
      - .offset:         120
        .size:           8
        .value_kind:     by_value
      - .offset:         128
        .size:           4
        .value_kind:     by_value
      - .offset:         132
        .size:           4
        .value_kind:     by_value
    .group_segment_fixed_size: 16384
    .kernarg_segment_align: 8
    .kernarg_segment_size: 136
    .language:       OpenCL C
    .language_version:
      - 2
      - 0
    .max_flat_workgroup_size: 256
    .name:           _ZN12_GLOBAL__N_120geam_min_plus_kernelIdddLi4ELi64ELi128ELi128ELi4ELi4ELi64ELi4ELi64ELc84ELc78ELb0ELb0ELb0EPKdS1_dEEviiiT16_PT17_ilS5_ilS3_S5_ilPT18_ili26rocblas_geam_ex_operation_
    .private_segment_fixed_size: 0
    .sgpr_count:     36
    .sgpr_spill_count: 0
    .symbol:         _ZN12_GLOBAL__N_120geam_min_plus_kernelIdddLi4ELi64ELi128ELi128ELi4ELi4ELi64ELi4ELi64ELc84ELc78ELb0ELb0ELb0EPKdS1_dEEviiiT16_PT17_ilS5_ilS3_S5_ilPT18_ili26rocblas_geam_ex_operation_.kd
    .uniform_work_group_size: 1
    .uses_dynamic_stack: false
    .vgpr_count:     252
    .vgpr_spill_count: 0
    .wavefront_size: 64
  - .agpr_count:     0
    .args:
      - .offset:         0
        .size:           4
        .value_kind:     by_value
      - .offset:         4
        .size:           4
        .value_kind:     by_value
      - .offset:         8
        .size:           4
        .value_kind:     by_value
      - .offset:         16
        .size:           8
        .value_kind:     by_value
      - .address_space:  global
        .offset:         24
        .size:           8
        .value_kind:     global_buffer
      - .offset:         32
        .size:           4
        .value_kind:     by_value
      - .offset:         40
        .size:           8
        .value_kind:     by_value
      - .address_space:  global
        .offset:         48
        .size:           8
        .value_kind:     global_buffer
      - .offset:         56
        .size:           4
        .value_kind:     by_value
      - .offset:         64
        .size:           8
        .value_kind:     by_value
      - .offset:         72
        .size:           8
        .value_kind:     by_value
      - .address_space:  global
        .offset:         80
        .size:           8
        .value_kind:     global_buffer
      - .offset:         88
        .size:           4
        .value_kind:     by_value
      - .offset:         96
        .size:           8
        .value_kind:     by_value
      - .address_space:  global
        .offset:         104
        .size:           8
        .value_kind:     global_buffer
      - .offset:         112
        .size:           4
        .value_kind:     by_value
      - .offset:         120
        .size:           8
        .value_kind:     by_value
      - .offset:         128
        .size:           4
        .value_kind:     by_value
      - .offset:         132
        .size:           4
        .value_kind:     by_value
    .group_segment_fixed_size: 16384
    .kernarg_segment_align: 8
    .kernarg_segment_size: 136
    .language:       OpenCL C
    .language_version:
      - 2
      - 0
    .max_flat_workgroup_size: 256
    .name:           _ZN12_GLOBAL__N_120geam_min_plus_kernelIdddLi4ELi64ELi128ELi128ELi4ELi4ELi64ELi4ELi64ELc84ELc78ELb1ELb0ELb0EdKddEEviiiT16_PT17_ilS4_ilS2_S4_ilPT18_ili26rocblas_geam_ex_operation_
    .private_segment_fixed_size: 0
    .sgpr_count:     29
    .sgpr_spill_count: 0
    .symbol:         _ZN12_GLOBAL__N_120geam_min_plus_kernelIdddLi4ELi64ELi128ELi128ELi4ELi4ELi64ELi4ELi64ELc84ELc78ELb1ELb0ELb0EdKddEEviiiT16_PT17_ilS4_ilS2_S4_ilPT18_ili26rocblas_geam_ex_operation_.kd
    .uniform_work_group_size: 1
    .uses_dynamic_stack: false
    .vgpr_count:     254
    .vgpr_spill_count: 0
    .wavefront_size: 64
  - .agpr_count:     0
    .args:
      - .offset:         0
        .size:           4
        .value_kind:     by_value
      - .offset:         4
        .size:           4
        .value_kind:     by_value
      - .offset:         8
        .size:           4
        .value_kind:     by_value
      - .offset:         16
        .size:           8
        .value_kind:     by_value
      - .address_space:  global
        .offset:         24
        .size:           8
        .value_kind:     global_buffer
      - .offset:         32
        .size:           4
        .value_kind:     by_value
      - .offset:         40
        .size:           8
        .value_kind:     by_value
      - .address_space:  global
        .offset:         48
        .size:           8
        .value_kind:     global_buffer
      - .offset:         56
        .size:           4
        .value_kind:     by_value
      - .offset:         64
        .size:           8
        .value_kind:     by_value
      - .offset:         72
        .size:           8
        .value_kind:     by_value
      - .address_space:  global
        .offset:         80
        .size:           8
        .value_kind:     global_buffer
      - .offset:         88
        .size:           4
        .value_kind:     by_value
      - .offset:         96
        .size:           8
        .value_kind:     by_value
      - .address_space:  global
        .offset:         104
        .size:           8
        .value_kind:     global_buffer
      - .offset:         112
        .size:           4
        .value_kind:     by_value
      - .offset:         120
        .size:           8
        .value_kind:     by_value
      - .offset:         128
        .size:           4
        .value_kind:     by_value
      - .offset:         132
        .size:           4
        .value_kind:     by_value
    .group_segment_fixed_size: 16384
    .kernarg_segment_align: 8
    .kernarg_segment_size: 136
    .language:       OpenCL C
    .language_version:
      - 2
      - 0
    .max_flat_workgroup_size: 256
    .name:           _ZN12_GLOBAL__N_120geam_min_plus_kernelIdddLi4ELi64ELi128ELi128ELi4ELi4ELi64ELi4ELi64ELc84ELc78ELb0ELb0ELb0EdKddEEviiiT16_PT17_ilS4_ilS2_S4_ilPT18_ili26rocblas_geam_ex_operation_
    .private_segment_fixed_size: 0
    .sgpr_count:     36
    .sgpr_spill_count: 0
    .symbol:         _ZN12_GLOBAL__N_120geam_min_plus_kernelIdddLi4ELi64ELi128ELi128ELi4ELi4ELi64ELi4ELi64ELc84ELc78ELb0ELb0ELb0EdKddEEviiiT16_PT17_ilS4_ilS2_S4_ilPT18_ili26rocblas_geam_ex_operation_.kd
    .uniform_work_group_size: 1
    .uses_dynamic_stack: false
    .vgpr_count:     252
    .vgpr_spill_count: 0
    .wavefront_size: 64
  - .agpr_count:     0
    .args:
      - .offset:         0
        .size:           4
        .value_kind:     by_value
      - .offset:         4
        .size:           4
        .value_kind:     by_value
      - .offset:         8
        .size:           4
        .value_kind:     by_value
      - .address_space:  global
        .offset:         16
        .size:           8
        .value_kind:     global_buffer
      - .address_space:  global
        .offset:         24
        .size:           8
        .value_kind:     global_buffer
      - .offset:         32
        .size:           4
        .value_kind:     by_value
      - .offset:         40
        .size:           8
        .value_kind:     by_value
      - .address_space:  global
        .offset:         48
        .size:           8
        .value_kind:     global_buffer
      - .offset:         56
        .size:           4
        .value_kind:     by_value
      - .offset:         64
        .size:           8
        .value_kind:     by_value
      - .address_space:  global
        .offset:         72
        .size:           8
        .value_kind:     global_buffer
      - .address_space:  global
        .offset:         80
        .size:           8
        .value_kind:     global_buffer
      - .offset:         88
        .size:           4
        .value_kind:     by_value
      - .offset:         96
        .size:           8
        .value_kind:     by_value
      - .address_space:  global
        .offset:         104
        .size:           8
        .value_kind:     global_buffer
      - .offset:         112
        .size:           4
        .value_kind:     by_value
      - .offset:         120
        .size:           8
        .value_kind:     by_value
      - .offset:         128
        .size:           4
        .value_kind:     by_value
      - .offset:         132
        .size:           4
        .value_kind:     by_value
    .group_segment_fixed_size: 16384
    .kernarg_segment_align: 8
    .kernarg_segment_size: 136
    .language:       OpenCL C
    .language_version:
      - 2
      - 0
    .max_flat_workgroup_size: 256
    .name:           _ZN12_GLOBAL__N_120geam_min_plus_kernelIdddLi4ELi64ELi128ELi128ELi4ELi4ELi64ELi4ELi64ELc84ELc78ELb0ELb1ELb0EPKdS1_dEEviiiT16_PT17_ilS5_ilS3_S5_ilPT18_ili26rocblas_geam_ex_operation_
    .private_segment_fixed_size: 0
    .sgpr_count:     88
    .sgpr_spill_count: 0
    .symbol:         _ZN12_GLOBAL__N_120geam_min_plus_kernelIdddLi4ELi64ELi128ELi128ELi4ELi4ELi64ELi4ELi64ELc84ELc78ELb0ELb1ELb0EPKdS1_dEEviiiT16_PT17_ilS5_ilS3_S5_ilPT18_ili26rocblas_geam_ex_operation_.kd
    .uniform_work_group_size: 1
    .uses_dynamic_stack: false
    .vgpr_count:     250
    .vgpr_spill_count: 0
    .wavefront_size: 64
  - .agpr_count:     0
    .args:
      - .offset:         0
        .size:           4
        .value_kind:     by_value
      - .offset:         4
        .size:           4
        .value_kind:     by_value
      - .offset:         8
        .size:           4
        .value_kind:     by_value
      - .offset:         16
        .size:           8
        .value_kind:     by_value
      - .address_space:  global
        .offset:         24
        .size:           8
        .value_kind:     global_buffer
      - .offset:         32
        .size:           4
        .value_kind:     by_value
      - .offset:         40
        .size:           8
        .value_kind:     by_value
      - .address_space:  global
        .offset:         48
        .size:           8
        .value_kind:     global_buffer
      - .offset:         56
        .size:           4
        .value_kind:     by_value
      - .offset:         64
        .size:           8
        .value_kind:     by_value
      - .offset:         72
        .size:           8
        .value_kind:     by_value
      - .address_space:  global
        .offset:         80
        .size:           8
        .value_kind:     global_buffer
      - .offset:         88
        .size:           4
        .value_kind:     by_value
      - .offset:         96
        .size:           8
        .value_kind:     by_value
      - .address_space:  global
        .offset:         104
        .size:           8
        .value_kind:     global_buffer
      - .offset:         112
        .size:           4
        .value_kind:     by_value
      - .offset:         120
        .size:           8
        .value_kind:     by_value
      - .offset:         128
        .size:           4
        .value_kind:     by_value
      - .offset:         132
        .size:           4
        .value_kind:     by_value
    .group_segment_fixed_size: 16384
    .kernarg_segment_align: 8
    .kernarg_segment_size: 136
    .language:       OpenCL C
    .language_version:
      - 2
      - 0
    .max_flat_workgroup_size: 256
    .name:           _ZN12_GLOBAL__N_120geam_min_plus_kernelIdddLi4ELi64ELi128ELi128ELi4ELi4ELi64ELi4ELi64ELc84ELc78ELb1ELb1ELb0EdKddEEviiiT16_PT17_ilS4_ilS2_S4_ilPT18_ili26rocblas_geam_ex_operation_
    .private_segment_fixed_size: 0
    .sgpr_count:     88
    .sgpr_spill_count: 0
    .symbol:         _ZN12_GLOBAL__N_120geam_min_plus_kernelIdddLi4ELi64ELi128ELi128ELi4ELi4ELi64ELi4ELi64ELc84ELc78ELb1ELb1ELb0EdKddEEviiiT16_PT17_ilS4_ilS2_S4_ilPT18_ili26rocblas_geam_ex_operation_.kd
    .uniform_work_group_size: 1
    .uses_dynamic_stack: false
    .vgpr_count:     252
    .vgpr_spill_count: 0
    .wavefront_size: 64
  - .agpr_count:     0
    .args:
      - .offset:         0
        .size:           4
        .value_kind:     by_value
      - .offset:         4
        .size:           4
        .value_kind:     by_value
      - .offset:         8
        .size:           4
        .value_kind:     by_value
      - .offset:         16
        .size:           8
        .value_kind:     by_value
      - .address_space:  global
        .offset:         24
        .size:           8
        .value_kind:     global_buffer
      - .offset:         32
        .size:           4
        .value_kind:     by_value
      - .offset:         40
        .size:           8
        .value_kind:     by_value
      - .address_space:  global
        .offset:         48
        .size:           8
        .value_kind:     global_buffer
      - .offset:         56
        .size:           4
        .value_kind:     by_value
      - .offset:         64
        .size:           8
        .value_kind:     by_value
      - .offset:         72
        .size:           8
        .value_kind:     by_value
      - .address_space:  global
        .offset:         80
        .size:           8
        .value_kind:     global_buffer
      - .offset:         88
        .size:           4
        .value_kind:     by_value
      - .offset:         96
        .size:           8
        .value_kind:     by_value
      - .address_space:  global
        .offset:         104
        .size:           8
        .value_kind:     global_buffer
      - .offset:         112
        .size:           4
        .value_kind:     by_value
      - .offset:         120
        .size:           8
        .value_kind:     by_value
      - .offset:         128
        .size:           4
        .value_kind:     by_value
      - .offset:         132
        .size:           4
        .value_kind:     by_value
    .group_segment_fixed_size: 16384
    .kernarg_segment_align: 8
    .kernarg_segment_size: 136
    .language:       OpenCL C
    .language_version:
      - 2
      - 0
    .max_flat_workgroup_size: 256
    .name:           _ZN12_GLOBAL__N_120geam_min_plus_kernelIdddLi4ELi64ELi128ELi128ELi4ELi4ELi64ELi4ELi64ELc84ELc78ELb0ELb1ELb0EdKddEEviiiT16_PT17_ilS4_ilS2_S4_ilPT18_ili26rocblas_geam_ex_operation_
    .private_segment_fixed_size: 0
    .sgpr_count:     88
    .sgpr_spill_count: 0
    .symbol:         _ZN12_GLOBAL__N_120geam_min_plus_kernelIdddLi4ELi64ELi128ELi128ELi4ELi4ELi64ELi4ELi64ELc84ELc78ELb0ELb1ELb0EdKddEEviiiT16_PT17_ilS4_ilS2_S4_ilPT18_ili26rocblas_geam_ex_operation_.kd
    .uniform_work_group_size: 1
    .uses_dynamic_stack: false
    .vgpr_count:     250
    .vgpr_spill_count: 0
    .wavefront_size: 64
  - .agpr_count:     0
    .args:
      - .offset:         0
        .size:           4
        .value_kind:     by_value
      - .offset:         4
        .size:           4
        .value_kind:     by_value
      - .offset:         8
        .size:           4
        .value_kind:     by_value
      - .address_space:  global
        .offset:         16
        .size:           8
        .value_kind:     global_buffer
      - .address_space:  global
        .offset:         24
        .size:           8
        .value_kind:     global_buffer
      - .offset:         32
        .size:           4
        .value_kind:     by_value
      - .offset:         40
        .size:           8
        .value_kind:     by_value
      - .address_space:  global
        .offset:         48
        .size:           8
        .value_kind:     global_buffer
      - .offset:         56
        .size:           4
        .value_kind:     by_value
      - .offset:         64
        .size:           8
        .value_kind:     by_value
      - .address_space:  global
        .offset:         72
        .size:           8
        .value_kind:     global_buffer
      - .address_space:  global
        .offset:         80
        .size:           8
        .value_kind:     global_buffer
      - .offset:         88
        .size:           4
        .value_kind:     by_value
      - .offset:         96
        .size:           8
        .value_kind:     by_value
      - .address_space:  global
        .offset:         104
        .size:           8
        .value_kind:     global_buffer
      - .offset:         112
        .size:           4
        .value_kind:     by_value
      - .offset:         120
        .size:           8
        .value_kind:     by_value
      - .offset:         128
        .size:           4
        .value_kind:     by_value
      - .offset:         132
        .size:           4
        .value_kind:     by_value
    .group_segment_fixed_size: 16384
    .kernarg_segment_align: 8
    .kernarg_segment_size: 136
    .language:       OpenCL C
    .language_version:
      - 2
      - 0
    .max_flat_workgroup_size: 256
    .name:           _ZN12_GLOBAL__N_120geam_min_plus_kernelIdddLi4ELi64ELi128ELi128ELi4ELi64ELi4ELi64ELi4ELc78ELc84ELb0ELb0ELb0EPKdS1_dEEviiiT16_PT17_ilS5_ilS3_S5_ilPT18_ili26rocblas_geam_ex_operation_
    .private_segment_fixed_size: 0
    .sgpr_count:     36
    .sgpr_spill_count: 0
    .symbol:         _ZN12_GLOBAL__N_120geam_min_plus_kernelIdddLi4ELi64ELi128ELi128ELi4ELi64ELi4ELi64ELi4ELc78ELc84ELb0ELb0ELb0EPKdS1_dEEviiiT16_PT17_ilS5_ilS3_S5_ilPT18_ili26rocblas_geam_ex_operation_.kd
    .uniform_work_group_size: 1
    .uses_dynamic_stack: false
    .vgpr_count:     252
    .vgpr_spill_count: 0
    .wavefront_size: 64
  - .agpr_count:     0
    .args:
      - .offset:         0
        .size:           4
        .value_kind:     by_value
      - .offset:         4
        .size:           4
        .value_kind:     by_value
      - .offset:         8
        .size:           4
        .value_kind:     by_value
      - .offset:         16
        .size:           8
        .value_kind:     by_value
      - .address_space:  global
        .offset:         24
        .size:           8
        .value_kind:     global_buffer
      - .offset:         32
        .size:           4
        .value_kind:     by_value
      - .offset:         40
        .size:           8
        .value_kind:     by_value
      - .address_space:  global
        .offset:         48
        .size:           8
        .value_kind:     global_buffer
      - .offset:         56
        .size:           4
        .value_kind:     by_value
      - .offset:         64
        .size:           8
        .value_kind:     by_value
      - .offset:         72
        .size:           8
        .value_kind:     by_value
      - .address_space:  global
        .offset:         80
        .size:           8
        .value_kind:     global_buffer
      - .offset:         88
        .size:           4
        .value_kind:     by_value
      - .offset:         96
        .size:           8
        .value_kind:     by_value
      - .address_space:  global
        .offset:         104
        .size:           8
        .value_kind:     global_buffer
      - .offset:         112
        .size:           4
        .value_kind:     by_value
      - .offset:         120
        .size:           8
        .value_kind:     by_value
      - .offset:         128
        .size:           4
        .value_kind:     by_value
      - .offset:         132
        .size:           4
        .value_kind:     by_value
    .group_segment_fixed_size: 16384
    .kernarg_segment_align: 8
    .kernarg_segment_size: 136
    .language:       OpenCL C
    .language_version:
      - 2
      - 0
    .max_flat_workgroup_size: 256
    .name:           _ZN12_GLOBAL__N_120geam_min_plus_kernelIdddLi4ELi64ELi128ELi128ELi4ELi64ELi4ELi64ELi4ELc78ELc84ELb1ELb0ELb0EdKddEEviiiT16_PT17_ilS4_ilS2_S4_ilPT18_ili26rocblas_geam_ex_operation_
    .private_segment_fixed_size: 0
    .sgpr_count:     32
    .sgpr_spill_count: 0
    .symbol:         _ZN12_GLOBAL__N_120geam_min_plus_kernelIdddLi4ELi64ELi128ELi128ELi4ELi64ELi4ELi64ELi4ELc78ELc84ELb1ELb0ELb0EdKddEEviiiT16_PT17_ilS4_ilS2_S4_ilPT18_ili26rocblas_geam_ex_operation_.kd
    .uniform_work_group_size: 1
    .uses_dynamic_stack: false
    .vgpr_count:     252
    .vgpr_spill_count: 0
    .wavefront_size: 64
  - .agpr_count:     0
    .args:
      - .offset:         0
        .size:           4
        .value_kind:     by_value
      - .offset:         4
        .size:           4
        .value_kind:     by_value
      - .offset:         8
        .size:           4
        .value_kind:     by_value
      - .offset:         16
        .size:           8
        .value_kind:     by_value
      - .address_space:  global
        .offset:         24
        .size:           8
        .value_kind:     global_buffer
      - .offset:         32
        .size:           4
        .value_kind:     by_value
      - .offset:         40
        .size:           8
        .value_kind:     by_value
      - .address_space:  global
        .offset:         48
        .size:           8
        .value_kind:     global_buffer
      - .offset:         56
        .size:           4
        .value_kind:     by_value
      - .offset:         64
        .size:           8
        .value_kind:     by_value
      - .offset:         72
        .size:           8
        .value_kind:     by_value
      - .address_space:  global
        .offset:         80
        .size:           8
        .value_kind:     global_buffer
      - .offset:         88
        .size:           4
        .value_kind:     by_value
      - .offset:         96
        .size:           8
        .value_kind:     by_value
      - .address_space:  global
        .offset:         104
        .size:           8
        .value_kind:     global_buffer
      - .offset:         112
        .size:           4
        .value_kind:     by_value
      - .offset:         120
        .size:           8
        .value_kind:     by_value
      - .offset:         128
        .size:           4
        .value_kind:     by_value
      - .offset:         132
        .size:           4
        .value_kind:     by_value
    .group_segment_fixed_size: 16384
    .kernarg_segment_align: 8
    .kernarg_segment_size: 136
    .language:       OpenCL C
    .language_version:
      - 2
      - 0
    .max_flat_workgroup_size: 256
    .name:           _ZN12_GLOBAL__N_120geam_min_plus_kernelIdddLi4ELi64ELi128ELi128ELi4ELi64ELi4ELi64ELi4ELc78ELc84ELb0ELb0ELb0EdKddEEviiiT16_PT17_ilS4_ilS2_S4_ilPT18_ili26rocblas_geam_ex_operation_
    .private_segment_fixed_size: 0
    .sgpr_count:     36
    .sgpr_spill_count: 0
    .symbol:         _ZN12_GLOBAL__N_120geam_min_plus_kernelIdddLi4ELi64ELi128ELi128ELi4ELi64ELi4ELi64ELi4ELc78ELc84ELb0ELb0ELb0EdKddEEviiiT16_PT17_ilS4_ilS2_S4_ilPT18_ili26rocblas_geam_ex_operation_.kd
    .uniform_work_group_size: 1
    .uses_dynamic_stack: false
    .vgpr_count:     252
    .vgpr_spill_count: 0
    .wavefront_size: 64
  - .agpr_count:     0
    .args:
      - .offset:         0
        .size:           4
        .value_kind:     by_value
      - .offset:         4
        .size:           4
        .value_kind:     by_value
      - .offset:         8
        .size:           4
        .value_kind:     by_value
      - .address_space:  global
        .offset:         16
        .size:           8
        .value_kind:     global_buffer
      - .address_space:  global
        .offset:         24
        .size:           8
        .value_kind:     global_buffer
      - .offset:         32
        .size:           4
        .value_kind:     by_value
      - .offset:         40
        .size:           8
        .value_kind:     by_value
      - .address_space:  global
        .offset:         48
        .size:           8
        .value_kind:     global_buffer
      - .offset:         56
        .size:           4
        .value_kind:     by_value
      - .offset:         64
        .size:           8
        .value_kind:     by_value
      - .address_space:  global
        .offset:         72
        .size:           8
        .value_kind:     global_buffer
      - .address_space:  global
        .offset:         80
        .size:           8
        .value_kind:     global_buffer
      - .offset:         88
        .size:           4
        .value_kind:     by_value
      - .offset:         96
        .size:           8
        .value_kind:     by_value
      - .address_space:  global
        .offset:         104
        .size:           8
        .value_kind:     global_buffer
      - .offset:         112
        .size:           4
        .value_kind:     by_value
      - .offset:         120
        .size:           8
        .value_kind:     by_value
      - .offset:         128
        .size:           4
        .value_kind:     by_value
      - .offset:         132
        .size:           4
        .value_kind:     by_value
    .group_segment_fixed_size: 16384
    .kernarg_segment_align: 8
    .kernarg_segment_size: 136
    .language:       OpenCL C
    .language_version:
      - 2
      - 0
    .max_flat_workgroup_size: 256
    .name:           _ZN12_GLOBAL__N_120geam_min_plus_kernelIdddLi4ELi64ELi128ELi128ELi4ELi64ELi4ELi64ELi4ELc78ELc84ELb0ELb1ELb0EPKdS1_dEEviiiT16_PT17_ilS5_ilS3_S5_ilPT18_ili26rocblas_geam_ex_operation_
    .private_segment_fixed_size: 0
    .sgpr_count:     88
    .sgpr_spill_count: 0
    .symbol:         _ZN12_GLOBAL__N_120geam_min_plus_kernelIdddLi4ELi64ELi128ELi128ELi4ELi64ELi4ELi64ELi4ELc78ELc84ELb0ELb1ELb0EPKdS1_dEEviiiT16_PT17_ilS5_ilS3_S5_ilPT18_ili26rocblas_geam_ex_operation_.kd
    .uniform_work_group_size: 1
    .uses_dynamic_stack: false
    .vgpr_count:     252
    .vgpr_spill_count: 0
    .wavefront_size: 64
  - .agpr_count:     0
    .args:
      - .offset:         0
        .size:           4
        .value_kind:     by_value
      - .offset:         4
        .size:           4
        .value_kind:     by_value
      - .offset:         8
        .size:           4
        .value_kind:     by_value
      - .offset:         16
        .size:           8
        .value_kind:     by_value
      - .address_space:  global
        .offset:         24
        .size:           8
        .value_kind:     global_buffer
      - .offset:         32
        .size:           4
        .value_kind:     by_value
      - .offset:         40
        .size:           8
        .value_kind:     by_value
      - .address_space:  global
        .offset:         48
        .size:           8
        .value_kind:     global_buffer
      - .offset:         56
        .size:           4
        .value_kind:     by_value
      - .offset:         64
        .size:           8
        .value_kind:     by_value
      - .offset:         72
        .size:           8
        .value_kind:     by_value
      - .address_space:  global
        .offset:         80
        .size:           8
        .value_kind:     global_buffer
      - .offset:         88
        .size:           4
        .value_kind:     by_value
      - .offset:         96
        .size:           8
        .value_kind:     by_value
      - .address_space:  global
        .offset:         104
        .size:           8
        .value_kind:     global_buffer
      - .offset:         112
        .size:           4
        .value_kind:     by_value
      - .offset:         120
        .size:           8
        .value_kind:     by_value
      - .offset:         128
        .size:           4
        .value_kind:     by_value
      - .offset:         132
        .size:           4
        .value_kind:     by_value
    .group_segment_fixed_size: 16384
    .kernarg_segment_align: 8
    .kernarg_segment_size: 136
    .language:       OpenCL C
    .language_version:
      - 2
      - 0
    .max_flat_workgroup_size: 256
    .name:           _ZN12_GLOBAL__N_120geam_min_plus_kernelIdddLi4ELi64ELi128ELi128ELi4ELi64ELi4ELi64ELi4ELc78ELc84ELb1ELb1ELb0EdKddEEviiiT16_PT17_ilS4_ilS2_S4_ilPT18_ili26rocblas_geam_ex_operation_
    .private_segment_fixed_size: 0
    .sgpr_count:     88
    .sgpr_spill_count: 0
    .symbol:         _ZN12_GLOBAL__N_120geam_min_plus_kernelIdddLi4ELi64ELi128ELi128ELi4ELi64ELi4ELi64ELi4ELc78ELc84ELb1ELb1ELb0EdKddEEviiiT16_PT17_ilS4_ilS2_S4_ilPT18_ili26rocblas_geam_ex_operation_.kd
    .uniform_work_group_size: 1
    .uses_dynamic_stack: false
    .vgpr_count:     252
    .vgpr_spill_count: 0
    .wavefront_size: 64
  - .agpr_count:     0
    .args:
      - .offset:         0
        .size:           4
        .value_kind:     by_value
      - .offset:         4
        .size:           4
        .value_kind:     by_value
      - .offset:         8
        .size:           4
        .value_kind:     by_value
      - .offset:         16
        .size:           8
        .value_kind:     by_value
      - .address_space:  global
        .offset:         24
        .size:           8
        .value_kind:     global_buffer
      - .offset:         32
        .size:           4
        .value_kind:     by_value
      - .offset:         40
        .size:           8
        .value_kind:     by_value
      - .address_space:  global
        .offset:         48
        .size:           8
        .value_kind:     global_buffer
      - .offset:         56
        .size:           4
        .value_kind:     by_value
      - .offset:         64
        .size:           8
        .value_kind:     by_value
      - .offset:         72
        .size:           8
        .value_kind:     by_value
      - .address_space:  global
        .offset:         80
        .size:           8
        .value_kind:     global_buffer
      - .offset:         88
        .size:           4
        .value_kind:     by_value
      - .offset:         96
        .size:           8
        .value_kind:     by_value
      - .address_space:  global
        .offset:         104
        .size:           8
        .value_kind:     global_buffer
      - .offset:         112
        .size:           4
        .value_kind:     by_value
      - .offset:         120
        .size:           8
        .value_kind:     by_value
      - .offset:         128
        .size:           4
        .value_kind:     by_value
      - .offset:         132
        .size:           4
        .value_kind:     by_value
    .group_segment_fixed_size: 16384
    .kernarg_segment_align: 8
    .kernarg_segment_size: 136
    .language:       OpenCL C
    .language_version:
      - 2
      - 0
    .max_flat_workgroup_size: 256
    .name:           _ZN12_GLOBAL__N_120geam_min_plus_kernelIdddLi4ELi64ELi128ELi128ELi4ELi64ELi4ELi64ELi4ELc78ELc84ELb0ELb1ELb0EdKddEEviiiT16_PT17_ilS4_ilS2_S4_ilPT18_ili26rocblas_geam_ex_operation_
    .private_segment_fixed_size: 0
    .sgpr_count:     88
    .sgpr_spill_count: 0
    .symbol:         _ZN12_GLOBAL__N_120geam_min_plus_kernelIdddLi4ELi64ELi128ELi128ELi4ELi64ELi4ELi64ELi4ELc78ELc84ELb0ELb1ELb0EdKddEEviiiT16_PT17_ilS4_ilS2_S4_ilPT18_ili26rocblas_geam_ex_operation_.kd
    .uniform_work_group_size: 1
    .uses_dynamic_stack: false
    .vgpr_count:     252
    .vgpr_spill_count: 0
    .wavefront_size: 64
  - .agpr_count:     0
    .args:
      - .offset:         0
        .size:           4
        .value_kind:     by_value
      - .offset:         4
        .size:           4
        .value_kind:     by_value
      - .offset:         8
        .size:           4
        .value_kind:     by_value
      - .address_space:  global
        .offset:         16
        .size:           8
        .value_kind:     global_buffer
      - .address_space:  global
        .offset:         24
        .size:           8
        .value_kind:     global_buffer
      - .offset:         32
        .size:           4
        .value_kind:     by_value
      - .offset:         40
        .size:           8
        .value_kind:     by_value
      - .address_space:  global
        .offset:         48
        .size:           8
        .value_kind:     global_buffer
      - .offset:         56
        .size:           4
        .value_kind:     by_value
      - .offset:         64
        .size:           8
        .value_kind:     by_value
      - .address_space:  global
        .offset:         72
        .size:           8
        .value_kind:     global_buffer
      - .address_space:  global
        .offset:         80
        .size:           8
        .value_kind:     global_buffer
      - .offset:         88
        .size:           4
        .value_kind:     by_value
      - .offset:         96
        .size:           8
        .value_kind:     by_value
      - .address_space:  global
        .offset:         104
        .size:           8
        .value_kind:     global_buffer
      - .offset:         112
        .size:           4
        .value_kind:     by_value
      - .offset:         120
        .size:           8
        .value_kind:     by_value
      - .offset:         128
        .size:           4
        .value_kind:     by_value
      - .offset:         132
        .size:           4
        .value_kind:     by_value
    .group_segment_fixed_size: 16384
    .kernarg_segment_align: 8
    .kernarg_segment_size: 136
    .language:       OpenCL C
    .language_version:
      - 2
      - 0
    .max_flat_workgroup_size: 256
    .name:           _ZN12_GLOBAL__N_120geam_min_plus_kernelIdddLi4ELi64ELi128ELi128ELi4ELi4ELi64ELi64ELi4ELc84ELc84ELb0ELb0ELb0EPKdS1_dEEviiiT16_PT17_ilS5_ilS3_S5_ilPT18_ili26rocblas_geam_ex_operation_
    .private_segment_fixed_size: 0
    .sgpr_count:     36
    .sgpr_spill_count: 0
    .symbol:         _ZN12_GLOBAL__N_120geam_min_plus_kernelIdddLi4ELi64ELi128ELi128ELi4ELi4ELi64ELi64ELi4ELc84ELc84ELb0ELb0ELb0EPKdS1_dEEviiiT16_PT17_ilS5_ilS3_S5_ilPT18_ili26rocblas_geam_ex_operation_.kd
    .uniform_work_group_size: 1
    .uses_dynamic_stack: false
    .vgpr_count:     254
    .vgpr_spill_count: 0
    .wavefront_size: 64
  - .agpr_count:     0
    .args:
      - .offset:         0
        .size:           4
        .value_kind:     by_value
      - .offset:         4
        .size:           4
        .value_kind:     by_value
      - .offset:         8
        .size:           4
        .value_kind:     by_value
      - .offset:         16
        .size:           8
        .value_kind:     by_value
      - .address_space:  global
        .offset:         24
        .size:           8
        .value_kind:     global_buffer
      - .offset:         32
        .size:           4
        .value_kind:     by_value
      - .offset:         40
        .size:           8
        .value_kind:     by_value
      - .address_space:  global
        .offset:         48
        .size:           8
        .value_kind:     global_buffer
      - .offset:         56
        .size:           4
        .value_kind:     by_value
      - .offset:         64
        .size:           8
        .value_kind:     by_value
      - .offset:         72
        .size:           8
        .value_kind:     by_value
      - .address_space:  global
        .offset:         80
        .size:           8
        .value_kind:     global_buffer
      - .offset:         88
        .size:           4
        .value_kind:     by_value
      - .offset:         96
        .size:           8
        .value_kind:     by_value
      - .address_space:  global
        .offset:         104
        .size:           8
        .value_kind:     global_buffer
      - .offset:         112
        .size:           4
        .value_kind:     by_value
      - .offset:         120
        .size:           8
        .value_kind:     by_value
      - .offset:         128
        .size:           4
        .value_kind:     by_value
      - .offset:         132
        .size:           4
        .value_kind:     by_value
    .group_segment_fixed_size: 16384
    .kernarg_segment_align: 8
    .kernarg_segment_size: 136
    .language:       OpenCL C
    .language_version:
      - 2
      - 0
    .max_flat_workgroup_size: 256
    .name:           _ZN12_GLOBAL__N_120geam_min_plus_kernelIdddLi4ELi64ELi128ELi128ELi4ELi4ELi64ELi64ELi4ELc84ELc84ELb1ELb0ELb0EdKddEEviiiT16_PT17_ilS4_ilS2_S4_ilPT18_ili26rocblas_geam_ex_operation_
    .private_segment_fixed_size: 0
    .sgpr_count:     30
    .sgpr_spill_count: 0
    .symbol:         _ZN12_GLOBAL__N_120geam_min_plus_kernelIdddLi4ELi64ELi128ELi128ELi4ELi4ELi64ELi64ELi4ELc84ELc84ELb1ELb0ELb0EdKddEEviiiT16_PT17_ilS4_ilS2_S4_ilPT18_ili26rocblas_geam_ex_operation_.kd
    .uniform_work_group_size: 1
    .uses_dynamic_stack: false
    .vgpr_count:     254
    .vgpr_spill_count: 0
    .wavefront_size: 64
  - .agpr_count:     0
    .args:
      - .offset:         0
        .size:           4
        .value_kind:     by_value
      - .offset:         4
        .size:           4
        .value_kind:     by_value
      - .offset:         8
        .size:           4
        .value_kind:     by_value
      - .offset:         16
        .size:           8
        .value_kind:     by_value
      - .address_space:  global
        .offset:         24
        .size:           8
        .value_kind:     global_buffer
      - .offset:         32
        .size:           4
        .value_kind:     by_value
      - .offset:         40
        .size:           8
        .value_kind:     by_value
      - .address_space:  global
        .offset:         48
        .size:           8
        .value_kind:     global_buffer
      - .offset:         56
        .size:           4
        .value_kind:     by_value
      - .offset:         64
        .size:           8
        .value_kind:     by_value
      - .offset:         72
        .size:           8
        .value_kind:     by_value
      - .address_space:  global
        .offset:         80
        .size:           8
        .value_kind:     global_buffer
      - .offset:         88
        .size:           4
        .value_kind:     by_value
      - .offset:         96
        .size:           8
        .value_kind:     by_value
      - .address_space:  global
        .offset:         104
        .size:           8
        .value_kind:     global_buffer
      - .offset:         112
        .size:           4
        .value_kind:     by_value
      - .offset:         120
        .size:           8
        .value_kind:     by_value
      - .offset:         128
        .size:           4
        .value_kind:     by_value
      - .offset:         132
        .size:           4
        .value_kind:     by_value
    .group_segment_fixed_size: 16384
    .kernarg_segment_align: 8
    .kernarg_segment_size: 136
    .language:       OpenCL C
    .language_version:
      - 2
      - 0
    .max_flat_workgroup_size: 256
    .name:           _ZN12_GLOBAL__N_120geam_min_plus_kernelIdddLi4ELi64ELi128ELi128ELi4ELi4ELi64ELi64ELi4ELc84ELc84ELb0ELb0ELb0EdKddEEviiiT16_PT17_ilS4_ilS2_S4_ilPT18_ili26rocblas_geam_ex_operation_
    .private_segment_fixed_size: 0
    .sgpr_count:     36
    .sgpr_spill_count: 0
    .symbol:         _ZN12_GLOBAL__N_120geam_min_plus_kernelIdddLi4ELi64ELi128ELi128ELi4ELi4ELi64ELi64ELi4ELc84ELc84ELb0ELb0ELb0EdKddEEviiiT16_PT17_ilS4_ilS2_S4_ilPT18_ili26rocblas_geam_ex_operation_.kd
    .uniform_work_group_size: 1
    .uses_dynamic_stack: false
    .vgpr_count:     254
    .vgpr_spill_count: 0
    .wavefront_size: 64
  - .agpr_count:     0
    .args:
      - .offset:         0
        .size:           4
        .value_kind:     by_value
      - .offset:         4
        .size:           4
        .value_kind:     by_value
      - .offset:         8
        .size:           4
        .value_kind:     by_value
      - .address_space:  global
        .offset:         16
        .size:           8
        .value_kind:     global_buffer
      - .address_space:  global
        .offset:         24
        .size:           8
        .value_kind:     global_buffer
      - .offset:         32
        .size:           4
        .value_kind:     by_value
      - .offset:         40
        .size:           8
        .value_kind:     by_value
      - .address_space:  global
        .offset:         48
        .size:           8
        .value_kind:     global_buffer
      - .offset:         56
        .size:           4
        .value_kind:     by_value
      - .offset:         64
        .size:           8
        .value_kind:     by_value
      - .address_space:  global
        .offset:         72
        .size:           8
        .value_kind:     global_buffer
      - .address_space:  global
        .offset:         80
        .size:           8
        .value_kind:     global_buffer
      - .offset:         88
        .size:           4
        .value_kind:     by_value
      - .offset:         96
        .size:           8
        .value_kind:     by_value
      - .address_space:  global
        .offset:         104
        .size:           8
        .value_kind:     global_buffer
      - .offset:         112
        .size:           4
        .value_kind:     by_value
      - .offset:         120
        .size:           8
        .value_kind:     by_value
      - .offset:         128
        .size:           4
        .value_kind:     by_value
      - .offset:         132
        .size:           4
        .value_kind:     by_value
    .group_segment_fixed_size: 16384
    .kernarg_segment_align: 8
    .kernarg_segment_size: 136
    .language:       OpenCL C
    .language_version:
      - 2
      - 0
    .max_flat_workgroup_size: 256
    .name:           _ZN12_GLOBAL__N_120geam_min_plus_kernelIdddLi4ELi64ELi128ELi128ELi4ELi4ELi64ELi64ELi4ELc84ELc84ELb0ELb1ELb0EPKdS1_dEEviiiT16_PT17_ilS5_ilS3_S5_ilPT18_ili26rocblas_geam_ex_operation_
    .private_segment_fixed_size: 0
    .sgpr_count:     88
    .sgpr_spill_count: 0
    .symbol:         _ZN12_GLOBAL__N_120geam_min_plus_kernelIdddLi4ELi64ELi128ELi128ELi4ELi4ELi64ELi64ELi4ELc84ELc84ELb0ELb1ELb0EPKdS1_dEEviiiT16_PT17_ilS5_ilS3_S5_ilPT18_ili26rocblas_geam_ex_operation_.kd
    .uniform_work_group_size: 1
    .uses_dynamic_stack: false
    .vgpr_count:     254
    .vgpr_spill_count: 0
    .wavefront_size: 64
  - .agpr_count:     0
    .args:
      - .offset:         0
        .size:           4
        .value_kind:     by_value
      - .offset:         4
        .size:           4
        .value_kind:     by_value
      - .offset:         8
        .size:           4
        .value_kind:     by_value
      - .offset:         16
        .size:           8
        .value_kind:     by_value
      - .address_space:  global
        .offset:         24
        .size:           8
        .value_kind:     global_buffer
      - .offset:         32
        .size:           4
        .value_kind:     by_value
      - .offset:         40
        .size:           8
        .value_kind:     by_value
      - .address_space:  global
        .offset:         48
        .size:           8
        .value_kind:     global_buffer
      - .offset:         56
        .size:           4
        .value_kind:     by_value
      - .offset:         64
        .size:           8
        .value_kind:     by_value
      - .offset:         72
        .size:           8
        .value_kind:     by_value
      - .address_space:  global
        .offset:         80
        .size:           8
        .value_kind:     global_buffer
      - .offset:         88
        .size:           4
        .value_kind:     by_value
      - .offset:         96
        .size:           8
        .value_kind:     by_value
      - .address_space:  global
        .offset:         104
        .size:           8
        .value_kind:     global_buffer
      - .offset:         112
        .size:           4
        .value_kind:     by_value
      - .offset:         120
        .size:           8
        .value_kind:     by_value
      - .offset:         128
        .size:           4
        .value_kind:     by_value
      - .offset:         132
        .size:           4
        .value_kind:     by_value
    .group_segment_fixed_size: 16384
    .kernarg_segment_align: 8
    .kernarg_segment_size: 136
    .language:       OpenCL C
    .language_version:
      - 2
      - 0
    .max_flat_workgroup_size: 256
    .name:           _ZN12_GLOBAL__N_120geam_min_plus_kernelIdddLi4ELi64ELi128ELi128ELi4ELi4ELi64ELi64ELi4ELc84ELc84ELb1ELb1ELb0EdKddEEviiiT16_PT17_ilS4_ilS2_S4_ilPT18_ili26rocblas_geam_ex_operation_
    .private_segment_fixed_size: 0
    .sgpr_count:     88
    .sgpr_spill_count: 0
    .symbol:         _ZN12_GLOBAL__N_120geam_min_plus_kernelIdddLi4ELi64ELi128ELi128ELi4ELi4ELi64ELi64ELi4ELc84ELc84ELb1ELb1ELb0EdKddEEviiiT16_PT17_ilS4_ilS2_S4_ilPT18_ili26rocblas_geam_ex_operation_.kd
    .uniform_work_group_size: 1
    .uses_dynamic_stack: false
    .vgpr_count:     254
    .vgpr_spill_count: 0
    .wavefront_size: 64
  - .agpr_count:     0
    .args:
      - .offset:         0
        .size:           4
        .value_kind:     by_value
      - .offset:         4
        .size:           4
        .value_kind:     by_value
      - .offset:         8
        .size:           4
        .value_kind:     by_value
      - .offset:         16
        .size:           8
        .value_kind:     by_value
      - .address_space:  global
        .offset:         24
        .size:           8
        .value_kind:     global_buffer
      - .offset:         32
        .size:           4
        .value_kind:     by_value
      - .offset:         40
        .size:           8
        .value_kind:     by_value
      - .address_space:  global
        .offset:         48
        .size:           8
        .value_kind:     global_buffer
      - .offset:         56
        .size:           4
        .value_kind:     by_value
      - .offset:         64
        .size:           8
        .value_kind:     by_value
      - .offset:         72
        .size:           8
        .value_kind:     by_value
      - .address_space:  global
        .offset:         80
        .size:           8
        .value_kind:     global_buffer
      - .offset:         88
        .size:           4
        .value_kind:     by_value
      - .offset:         96
        .size:           8
        .value_kind:     by_value
      - .address_space:  global
        .offset:         104
        .size:           8
        .value_kind:     global_buffer
      - .offset:         112
        .size:           4
        .value_kind:     by_value
      - .offset:         120
        .size:           8
        .value_kind:     by_value
      - .offset:         128
        .size:           4
        .value_kind:     by_value
      - .offset:         132
        .size:           4
        .value_kind:     by_value
    .group_segment_fixed_size: 16384
    .kernarg_segment_align: 8
    .kernarg_segment_size: 136
    .language:       OpenCL C
    .language_version:
      - 2
      - 0
    .max_flat_workgroup_size: 256
    .name:           _ZN12_GLOBAL__N_120geam_min_plus_kernelIdddLi4ELi64ELi128ELi128ELi4ELi4ELi64ELi64ELi4ELc84ELc84ELb0ELb1ELb0EdKddEEviiiT16_PT17_ilS4_ilS2_S4_ilPT18_ili26rocblas_geam_ex_operation_
    .private_segment_fixed_size: 0
    .sgpr_count:     88
    .sgpr_spill_count: 0
    .symbol:         _ZN12_GLOBAL__N_120geam_min_plus_kernelIdddLi4ELi64ELi128ELi128ELi4ELi4ELi64ELi64ELi4ELc84ELc84ELb0ELb1ELb0EdKddEEviiiT16_PT17_ilS4_ilS2_S4_ilPT18_ili26rocblas_geam_ex_operation_.kd
    .uniform_work_group_size: 1
    .uses_dynamic_stack: false
    .vgpr_count:     254
    .vgpr_spill_count: 0
    .wavefront_size: 64
  - .agpr_count:     0
    .args:
      - .offset:         0
        .size:           4
        .value_kind:     by_value
      - .offset:         4
        .size:           4
        .value_kind:     by_value
      - .offset:         8
        .size:           2
        .value_kind:     by_value
      - .address_space:  global
        .offset:         16
        .size:           8
        .value_kind:     global_buffer
      - .offset:         24
        .size:           8
        .value_kind:     by_value
      - .offset:         32
        .size:           4
        .value_kind:     by_value
      - .offset:         40
        .size:           8
        .value_kind:     by_value
      - .address_space:  global
        .offset:         48
        .size:           8
        .value_kind:     global_buffer
      - .offset:         56
        .size:           8
        .value_kind:     by_value
      - .offset:         64
        .size:           4
        .value_kind:     by_value
      - .offset:         72
        .size:           8
        .value_kind:     by_value
    .group_segment_fixed_size: 0
    .kernarg_segment_align: 8
    .kernarg_segment_size: 80
    .language:       OpenCL C
    .language_version:
      - 2
      - 0
    .max_flat_workgroup_size: 1024
    .name:           _ZN12_GLOBAL__N_120geam_ex_scale_kernelILi32ELi32EDF16_DF16_PKPKDF16_PKPDF16_EEviiT2_T3_lilT4_lil
    .private_segment_fixed_size: 0
    .sgpr_count:     24
    .sgpr_spill_count: 0
    .symbol:         _ZN12_GLOBAL__N_120geam_ex_scale_kernelILi32ELi32EDF16_DF16_PKPKDF16_PKPDF16_EEviiT2_T3_lilT4_lil.kd
    .uniform_work_group_size: 1
    .uses_dynamic_stack: false
    .vgpr_count:     10
    .vgpr_spill_count: 0
    .wavefront_size: 64
  - .agpr_count:     0
    .args:
      - .offset:         0
        .size:           4
        .value_kind:     by_value
      - .offset:         4
        .size:           4
        .value_kind:     by_value
      - .address_space:  global
        .offset:         8
        .size:           8
        .value_kind:     global_buffer
      - .address_space:  global
        .offset:         16
        .size:           8
        .value_kind:     global_buffer
      - .offset:         24
        .size:           8
        .value_kind:     by_value
      - .offset:         32
        .size:           4
        .value_kind:     by_value
      - .offset:         40
        .size:           8
        .value_kind:     by_value
      - .address_space:  global
        .offset:         48
        .size:           8
        .value_kind:     global_buffer
      - .offset:         56
        .size:           8
        .value_kind:     by_value
      - .offset:         64
        .size:           4
        .value_kind:     by_value
      - .offset:         72
        .size:           8
        .value_kind:     by_value
    .group_segment_fixed_size: 0
    .kernarg_segment_align: 8
    .kernarg_segment_size: 80
    .language:       OpenCL C
    .language_version:
      - 2
      - 0
    .max_flat_workgroup_size: 1024
    .name:           _ZN12_GLOBAL__N_120geam_ex_scale_kernelILi32ELi32EDF16_PKDF16_PKS2_PKPDF16_EEviiT2_T3_lilT4_lil
    .private_segment_fixed_size: 0
    .sgpr_count:     22
    .sgpr_spill_count: 0
    .symbol:         _ZN12_GLOBAL__N_120geam_ex_scale_kernelILi32ELi32EDF16_PKDF16_PKS2_PKPDF16_EEviiT2_T3_lilT4_lil.kd
    .uniform_work_group_size: 1
    .uses_dynamic_stack: false
    .vgpr_count:     10
    .vgpr_spill_count: 0
    .wavefront_size: 64
  - .agpr_count:     0
    .args:
      - .offset:         0
        .size:           4
        .value_kind:     by_value
      - .offset:         4
        .size:           4
        .value_kind:     by_value
      - .offset:         8
        .size:           2
        .value_kind:     by_value
      - .address_space:  global
        .offset:         16
        .size:           8
        .value_kind:     global_buffer
      - .offset:         24
        .size:           8
        .value_kind:     by_value
      - .offset:         32
        .size:           4
        .value_kind:     by_value
      - .offset:         40
        .size:           8
        .value_kind:     by_value
      - .address_space:  global
        .offset:         48
        .size:           8
        .value_kind:     global_buffer
      - .offset:         56
        .size:           8
        .value_kind:     by_value
      - .offset:         64
        .size:           4
        .value_kind:     by_value
      - .offset:         72
        .size:           8
        .value_kind:     by_value
    .group_segment_fixed_size: 0
    .kernarg_segment_align: 8
    .kernarg_segment_size: 80
    .language:       OpenCL C
    .language_version:
      - 2
      - 0
    .max_flat_workgroup_size: 1024
    .name:           _ZN12_GLOBAL__N_120geam_ex_round_kernelILi32ELi32EDF16_DF16_PKPKDF16_PKPDF16_EEviiT2_T3_lilT4_lil
    .private_segment_fixed_size: 0
    .sgpr_count:     24
    .sgpr_spill_count: 0
    .symbol:         _ZN12_GLOBAL__N_120geam_ex_round_kernelILi32ELi32EDF16_DF16_PKPKDF16_PKPDF16_EEviiT2_T3_lilT4_lil.kd
    .uniform_work_group_size: 1
    .uses_dynamic_stack: false
    .vgpr_count:     10
    .vgpr_spill_count: 0
    .wavefront_size: 64
  - .agpr_count:     0
    .args:
      - .offset:         0
        .size:           4
        .value_kind:     by_value
      - .offset:         4
        .size:           4
        .value_kind:     by_value
      - .offset:         8
        .size:           4
        .value_kind:     by_value
      - .address_space:  global
        .offset:         16
        .size:           8
        .value_kind:     global_buffer
      - .address_space:  global
        .offset:         24
        .size:           8
        .value_kind:     global_buffer
      - .offset:         32
        .size:           4
        .value_kind:     by_value
      - .offset:         40
        .size:           8
        .value_kind:     by_value
      - .address_space:  global
        .offset:         48
        .size:           8
        .value_kind:     global_buffer
      - .offset:         56
        .size:           4
        .value_kind:     by_value
      - .offset:         64
        .size:           8
        .value_kind:     by_value
      - .address_space:  global
        .offset:         72
        .size:           8
        .value_kind:     global_buffer
      - .address_space:  global
        .offset:         80
        .size:           8
        .value_kind:     global_buffer
      - .offset:         88
        .size:           4
        .value_kind:     by_value
      - .offset:         96
        .size:           8
        .value_kind:     by_value
      - .address_space:  global
        .offset:         104
        .size:           8
        .value_kind:     global_buffer
      - .offset:         112
        .size:           4
        .value_kind:     by_value
      - .offset:         120
        .size:           8
        .value_kind:     by_value
      - .offset:         128
        .size:           4
        .value_kind:     by_value
      - .offset:         132
        .size:           4
        .value_kind:     by_value
    .group_segment_fixed_size: 5120
    .kernarg_segment_align: 8
    .kernarg_segment_size: 136
    .language:       OpenCL C
    .language_version:
      - 2
      - 0
    .max_flat_workgroup_size: 256
    .name:           _ZN12_GLOBAL__N_120geam_min_plus_kernelIDF16_Dv2_DF16_S1_Li32ELi8ELi256ELi64ELi4ELi64ELi4ELi4ELi64ELc78ELc78ELb0ELb0ELb1EPKDF16_KS3_KPDF16_EEviiiT16_PT17_ilS9_ilS7_S9_ilPT18_ili26rocblas_geam_ex_operation_
    .private_segment_fixed_size: 0
    .sgpr_count:     33
    .sgpr_spill_count: 0
    .symbol:         _ZN12_GLOBAL__N_120geam_min_plus_kernelIDF16_Dv2_DF16_S1_Li32ELi8ELi256ELi64ELi4ELi64ELi4ELi4ELi64ELc78ELc78ELb0ELb0ELb1EPKDF16_KS3_KPDF16_EEviiiT16_PT17_ilS9_ilS7_S9_ilPT18_ili26rocblas_geam_ex_operation_.kd
    .uniform_work_group_size: 1
    .uses_dynamic_stack: false
    .vgpr_count:     139
    .vgpr_spill_count: 0
    .wavefront_size: 64
  - .agpr_count:     0
    .args:
      - .offset:         0
        .size:           4
        .value_kind:     by_value
      - .offset:         4
        .size:           4
        .value_kind:     by_value
      - .offset:         8
        .size:           4
        .value_kind:     by_value
      - .offset:         12
        .size:           2
        .value_kind:     by_value
      - .address_space:  global
        .offset:         16
        .size:           8
        .value_kind:     global_buffer
      - .offset:         24
        .size:           4
        .value_kind:     by_value
      - .offset:         32
        .size:           8
        .value_kind:     by_value
      - .address_space:  global
        .offset:         40
        .size:           8
        .value_kind:     global_buffer
      - .offset:         48
        .size:           4
        .value_kind:     by_value
      - .offset:         56
        .size:           8
        .value_kind:     by_value
      - .offset:         64
        .size:           2
        .value_kind:     by_value
      - .address_space:  global
        .offset:         72
        .size:           8
        .value_kind:     global_buffer
      - .offset:         80
        .size:           4
        .value_kind:     by_value
      - .offset:         88
        .size:           8
        .value_kind:     by_value
      - .address_space:  global
        .offset:         96
        .size:           8
        .value_kind:     global_buffer
      - .offset:         104
        .size:           4
        .value_kind:     by_value
      - .offset:         112
        .size:           8
        .value_kind:     by_value
      - .offset:         120
        .size:           4
        .value_kind:     by_value
      - .offset:         124
        .size:           4
        .value_kind:     by_value
    .group_segment_fixed_size: 5120
    .kernarg_segment_align: 8
    .kernarg_segment_size: 128
    .language:       OpenCL C
    .language_version:
      - 2
      - 0
    .max_flat_workgroup_size: 256
    .name:           _ZN12_GLOBAL__N_120geam_min_plus_kernelIDF16_Dv2_DF16_S1_Li32ELi8ELi256ELi64ELi4ELi64ELi4ELi4ELi64ELc78ELc78ELb1ELb0ELb1EDF16_KPKDF16_KPDF16_EEviiiT16_PT17_ilS9_ilS7_S9_ilPT18_ili26rocblas_geam_ex_operation_
    .private_segment_fixed_size: 0
    .sgpr_count:     28
    .sgpr_spill_count: 0
    .symbol:         _ZN12_GLOBAL__N_120geam_min_plus_kernelIDF16_Dv2_DF16_S1_Li32ELi8ELi256ELi64ELi4ELi64ELi4ELi4ELi64ELc78ELc78ELb1ELb0ELb1EDF16_KPKDF16_KPDF16_EEviiiT16_PT17_ilS9_ilS7_S9_ilPT18_ili26rocblas_geam_ex_operation_.kd
    .uniform_work_group_size: 1
    .uses_dynamic_stack: false
    .vgpr_count:     219
    .vgpr_spill_count: 0
    .wavefront_size: 64
  - .agpr_count:     0
    .args:
      - .offset:         0
        .size:           4
        .value_kind:     by_value
      - .offset:         4
        .size:           4
        .value_kind:     by_value
      - .offset:         8
        .size:           4
        .value_kind:     by_value
      - .offset:         12
        .size:           2
        .value_kind:     by_value
      - .address_space:  global
        .offset:         16
        .size:           8
        .value_kind:     global_buffer
      - .offset:         24
        .size:           4
        .value_kind:     by_value
      - .offset:         32
        .size:           8
        .value_kind:     by_value
      - .address_space:  global
        .offset:         40
        .size:           8
        .value_kind:     global_buffer
      - .offset:         48
        .size:           4
        .value_kind:     by_value
      - .offset:         56
        .size:           8
        .value_kind:     by_value
      - .offset:         64
        .size:           2
        .value_kind:     by_value
      - .address_space:  global
        .offset:         72
        .size:           8
        .value_kind:     global_buffer
      - .offset:         80
        .size:           4
        .value_kind:     by_value
      - .offset:         88
        .size:           8
        .value_kind:     by_value
      - .address_space:  global
        .offset:         96
        .size:           8
        .value_kind:     global_buffer
      - .offset:         104
        .size:           4
        .value_kind:     by_value
      - .offset:         112
        .size:           8
        .value_kind:     by_value
      - .offset:         120
        .size:           4
        .value_kind:     by_value
      - .offset:         124
        .size:           4
        .value_kind:     by_value
    .group_segment_fixed_size: 5120
    .kernarg_segment_align: 8
    .kernarg_segment_size: 128
    .language:       OpenCL C
    .language_version:
      - 2
      - 0
    .max_flat_workgroup_size: 256
    .name:           _ZN12_GLOBAL__N_120geam_min_plus_kernelIDF16_Dv2_DF16_S1_Li32ELi8ELi256ELi64ELi4ELi64ELi4ELi4ELi64ELc78ELc78ELb0ELb0ELb1EDF16_KPKDF16_KPDF16_EEviiiT16_PT17_ilS9_ilS7_S9_ilPT18_ili26rocblas_geam_ex_operation_
    .private_segment_fixed_size: 0
    .sgpr_count:     38
    .sgpr_spill_count: 0
    .symbol:         _ZN12_GLOBAL__N_120geam_min_plus_kernelIDF16_Dv2_DF16_S1_Li32ELi8ELi256ELi64ELi4ELi64ELi4ELi4ELi64ELc78ELc78ELb0ELb0ELb1EDF16_KPKDF16_KPDF16_EEviiiT16_PT17_ilS9_ilS7_S9_ilPT18_ili26rocblas_geam_ex_operation_.kd
    .uniform_work_group_size: 1
    .uses_dynamic_stack: false
    .vgpr_count:     137
    .vgpr_spill_count: 0
    .wavefront_size: 64
  - .agpr_count:     0
    .args:
      - .offset:         0
        .size:           4
        .value_kind:     by_value
      - .offset:         4
        .size:           4
        .value_kind:     by_value
      - .offset:         8
        .size:           4
        .value_kind:     by_value
      - .address_space:  global
        .offset:         16
        .size:           8
        .value_kind:     global_buffer
      - .address_space:  global
        .offset:         24
        .size:           8
        .value_kind:     global_buffer
      - .offset:         32
        .size:           4
        .value_kind:     by_value
      - .offset:         40
        .size:           8
        .value_kind:     by_value
      - .address_space:  global
        .offset:         48
        .size:           8
        .value_kind:     global_buffer
      - .offset:         56
        .size:           4
        .value_kind:     by_value
      - .offset:         64
        .size:           8
        .value_kind:     by_value
      - .address_space:  global
        .offset:         72
        .size:           8
        .value_kind:     global_buffer
      - .address_space:  global
        .offset:         80
        .size:           8
        .value_kind:     global_buffer
      - .offset:         88
        .size:           4
        .value_kind:     by_value
      - .offset:         96
        .size:           8
        .value_kind:     by_value
      - .address_space:  global
        .offset:         104
        .size:           8
        .value_kind:     global_buffer
      - .offset:         112
        .size:           4
        .value_kind:     by_value
      - .offset:         120
        .size:           8
        .value_kind:     by_value
      - .offset:         128
        .size:           4
        .value_kind:     by_value
      - .offset:         132
        .size:           4
        .value_kind:     by_value
    .group_segment_fixed_size: 5120
    .kernarg_segment_align: 8
    .kernarg_segment_size: 136
    .language:       OpenCL C
    .language_version:
      - 2
      - 0
    .max_flat_workgroup_size: 256
    .name:           _ZN12_GLOBAL__N_120geam_min_plus_kernelIDF16_Dv2_DF16_S1_Li32ELi8ELi256ELi64ELi4ELi64ELi4ELi4ELi64ELc78ELc78ELb0ELb1ELb1EPKDF16_KS3_KPDF16_EEviiiT16_PT17_ilS9_ilS7_S9_ilPT18_ili26rocblas_geam_ex_operation_
    .private_segment_fixed_size: 0
    .sgpr_count:     44
    .sgpr_spill_count: 0
    .symbol:         _ZN12_GLOBAL__N_120geam_min_plus_kernelIDF16_Dv2_DF16_S1_Li32ELi8ELi256ELi64ELi4ELi64ELi4ELi4ELi64ELc78ELc78ELb0ELb1ELb1EPKDF16_KS3_KPDF16_EEviiiT16_PT17_ilS9_ilS7_S9_ilPT18_ili26rocblas_geam_ex_operation_.kd
    .uniform_work_group_size: 1
    .uses_dynamic_stack: false
    .vgpr_count:     179
    .vgpr_spill_count: 0
    .wavefront_size: 64
  - .agpr_count:     0
    .args:
      - .offset:         0
        .size:           4
        .value_kind:     by_value
      - .offset:         4
        .size:           4
        .value_kind:     by_value
      - .offset:         8
        .size:           4
        .value_kind:     by_value
      - .offset:         12
        .size:           2
        .value_kind:     by_value
      - .address_space:  global
        .offset:         16
        .size:           8
        .value_kind:     global_buffer
      - .offset:         24
        .size:           4
        .value_kind:     by_value
      - .offset:         32
        .size:           8
        .value_kind:     by_value
      - .address_space:  global
        .offset:         40
        .size:           8
        .value_kind:     global_buffer
      - .offset:         48
        .size:           4
        .value_kind:     by_value
      - .offset:         56
        .size:           8
        .value_kind:     by_value
      - .offset:         64
        .size:           2
        .value_kind:     by_value
      - .address_space:  global
        .offset:         72
        .size:           8
        .value_kind:     global_buffer
      - .offset:         80
        .size:           4
        .value_kind:     by_value
      - .offset:         88
        .size:           8
        .value_kind:     by_value
      - .address_space:  global
        .offset:         96
        .size:           8
        .value_kind:     global_buffer
      - .offset:         104
        .size:           4
        .value_kind:     by_value
      - .offset:         112
        .size:           8
        .value_kind:     by_value
      - .offset:         120
        .size:           4
        .value_kind:     by_value
      - .offset:         124
        .size:           4
        .value_kind:     by_value
    .group_segment_fixed_size: 5120
    .kernarg_segment_align: 8
    .kernarg_segment_size: 128
    .language:       OpenCL C
    .language_version:
      - 2
      - 0
    .max_flat_workgroup_size: 256
    .name:           _ZN12_GLOBAL__N_120geam_min_plus_kernelIDF16_Dv2_DF16_S1_Li32ELi8ELi256ELi64ELi4ELi64ELi4ELi4ELi64ELc78ELc78ELb1ELb1ELb1EDF16_KPKDF16_KPDF16_EEviiiT16_PT17_ilS9_ilS7_S9_ilPT18_ili26rocblas_geam_ex_operation_
    .private_segment_fixed_size: 0
    .sgpr_count:     44
    .sgpr_spill_count: 0
    .symbol:         _ZN12_GLOBAL__N_120geam_min_plus_kernelIDF16_Dv2_DF16_S1_Li32ELi8ELi256ELi64ELi4ELi64ELi4ELi4ELi64ELc78ELc78ELb1ELb1ELb1EDF16_KPKDF16_KPDF16_EEviiiT16_PT17_ilS9_ilS7_S9_ilPT18_ili26rocblas_geam_ex_operation_.kd
    .uniform_work_group_size: 1
    .uses_dynamic_stack: false
    .vgpr_count:     148
    .vgpr_spill_count: 0
    .wavefront_size: 64
  - .agpr_count:     0
    .args:
      - .offset:         0
        .size:           4
        .value_kind:     by_value
      - .offset:         4
        .size:           4
        .value_kind:     by_value
      - .offset:         8
        .size:           4
        .value_kind:     by_value
      - .offset:         12
        .size:           2
        .value_kind:     by_value
      - .address_space:  global
        .offset:         16
        .size:           8
        .value_kind:     global_buffer
      - .offset:         24
        .size:           4
        .value_kind:     by_value
      - .offset:         32
        .size:           8
        .value_kind:     by_value
      - .address_space:  global
        .offset:         40
        .size:           8
        .value_kind:     global_buffer
      - .offset:         48
        .size:           4
        .value_kind:     by_value
      - .offset:         56
        .size:           8
        .value_kind:     by_value
      - .offset:         64
        .size:           2
        .value_kind:     by_value
      - .address_space:  global
        .offset:         72
        .size:           8
        .value_kind:     global_buffer
      - .offset:         80
        .size:           4
        .value_kind:     by_value
      - .offset:         88
        .size:           8
        .value_kind:     by_value
      - .address_space:  global
        .offset:         96
        .size:           8
        .value_kind:     global_buffer
      - .offset:         104
        .size:           4
        .value_kind:     by_value
      - .offset:         112
        .size:           8
        .value_kind:     by_value
      - .offset:         120
        .size:           4
        .value_kind:     by_value
      - .offset:         124
        .size:           4
        .value_kind:     by_value
    .group_segment_fixed_size: 5120
    .kernarg_segment_align: 8
    .kernarg_segment_size: 128
    .language:       OpenCL C
    .language_version:
      - 2
      - 0
    .max_flat_workgroup_size: 256
    .name:           _ZN12_GLOBAL__N_120geam_min_plus_kernelIDF16_Dv2_DF16_S1_Li32ELi8ELi256ELi64ELi4ELi64ELi4ELi4ELi64ELc78ELc78ELb0ELb1ELb1EDF16_KPKDF16_KPDF16_EEviiiT16_PT17_ilS9_ilS7_S9_ilPT18_ili26rocblas_geam_ex_operation_
    .private_segment_fixed_size: 0
    .sgpr_count:     46
    .sgpr_spill_count: 0
    .symbol:         _ZN12_GLOBAL__N_120geam_min_plus_kernelIDF16_Dv2_DF16_S1_Li32ELi8ELi256ELi64ELi4ELi64ELi4ELi4ELi64ELc78ELc78ELb0ELb1ELb1EDF16_KPKDF16_KPDF16_EEviiiT16_PT17_ilS9_ilS7_S9_ilPT18_ili26rocblas_geam_ex_operation_.kd
    .uniform_work_group_size: 1
    .uses_dynamic_stack: false
    .vgpr_count:     153
    .vgpr_spill_count: 0
    .wavefront_size: 64
  - .agpr_count:     0
    .args:
      - .offset:         0
        .size:           4
        .value_kind:     by_value
      - .offset:         4
        .size:           4
        .value_kind:     by_value
      - .offset:         8
        .size:           4
        .value_kind:     by_value
      - .address_space:  global
        .offset:         16
        .size:           8
        .value_kind:     global_buffer
      - .address_space:  global
        .offset:         24
        .size:           8
        .value_kind:     global_buffer
      - .offset:         32
        .size:           4
        .value_kind:     by_value
      - .offset:         40
        .size:           8
        .value_kind:     by_value
      - .address_space:  global
        .offset:         48
        .size:           8
        .value_kind:     global_buffer
      - .offset:         56
        .size:           4
        .value_kind:     by_value
      - .offset:         64
        .size:           8
        .value_kind:     by_value
      - .address_space:  global
        .offset:         72
        .size:           8
        .value_kind:     global_buffer
      - .address_space:  global
        .offset:         80
        .size:           8
        .value_kind:     global_buffer
      - .offset:         88
        .size:           4
        .value_kind:     by_value
      - .offset:         96
        .size:           8
        .value_kind:     by_value
      - .address_space:  global
        .offset:         104
        .size:           8
        .value_kind:     global_buffer
      - .offset:         112
        .size:           4
        .value_kind:     by_value
      - .offset:         120
        .size:           8
        .value_kind:     by_value
      - .offset:         128
        .size:           4
        .value_kind:     by_value
      - .offset:         132
        .size:           4
        .value_kind:     by_value
    .group_segment_fixed_size: 4096
    .kernarg_segment_align: 8
    .kernarg_segment_size: 136
    .language:       OpenCL C
    .language_version:
      - 2
      - 0
    .max_flat_workgroup_size: 256
    .name:           _ZN12_GLOBAL__N_120geam_min_plus_kernelIDF16_Dv2_DF16_S1_Li32ELi8ELi128ELi128ELi4ELi4ELi64ELi4ELi64ELc84ELc78ELb0ELb0ELb1EPKDF16_KS3_KPDF16_EEviiiT16_PT17_ilS9_ilS7_S9_ilPT18_ili26rocblas_geam_ex_operation_
    .private_segment_fixed_size: 0
    .sgpr_count:     32
    .sgpr_spill_count: 0
    .symbol:         _ZN12_GLOBAL__N_120geam_min_plus_kernelIDF16_Dv2_DF16_S1_Li32ELi8ELi128ELi128ELi4ELi4ELi64ELi4ELi64ELc84ELc78ELb0ELb0ELb1EPKDF16_KS3_KPDF16_EEviiiT16_PT17_ilS9_ilS7_S9_ilPT18_ili26rocblas_geam_ex_operation_.kd
    .uniform_work_group_size: 1
    .uses_dynamic_stack: false
    .vgpr_count:     173
    .vgpr_spill_count: 0
    .wavefront_size: 64
  - .agpr_count:     0
    .args:
      - .offset:         0
        .size:           4
        .value_kind:     by_value
      - .offset:         4
        .size:           4
        .value_kind:     by_value
      - .offset:         8
        .size:           4
        .value_kind:     by_value
      - .offset:         12
        .size:           2
        .value_kind:     by_value
      - .address_space:  global
        .offset:         16
        .size:           8
        .value_kind:     global_buffer
      - .offset:         24
        .size:           4
        .value_kind:     by_value
      - .offset:         32
        .size:           8
        .value_kind:     by_value
      - .address_space:  global
        .offset:         40
        .size:           8
        .value_kind:     global_buffer
      - .offset:         48
        .size:           4
        .value_kind:     by_value
      - .offset:         56
        .size:           8
        .value_kind:     by_value
      - .offset:         64
        .size:           2
        .value_kind:     by_value
      - .address_space:  global
        .offset:         72
        .size:           8
        .value_kind:     global_buffer
      - .offset:         80
        .size:           4
        .value_kind:     by_value
      - .offset:         88
        .size:           8
        .value_kind:     by_value
      - .address_space:  global
        .offset:         96
        .size:           8
        .value_kind:     global_buffer
      - .offset:         104
        .size:           4
        .value_kind:     by_value
      - .offset:         112
        .size:           8
        .value_kind:     by_value
      - .offset:         120
        .size:           4
        .value_kind:     by_value
      - .offset:         124
        .size:           4
        .value_kind:     by_value
    .group_segment_fixed_size: 4096
    .kernarg_segment_align: 8
    .kernarg_segment_size: 128
    .language:       OpenCL C
    .language_version:
      - 2
      - 0
    .max_flat_workgroup_size: 256
    .name:           _ZN12_GLOBAL__N_120geam_min_plus_kernelIDF16_Dv2_DF16_S1_Li32ELi8ELi128ELi128ELi4ELi4ELi64ELi4ELi64ELc84ELc78ELb1ELb0ELb1EDF16_KPKDF16_KPDF16_EEviiiT16_PT17_ilS9_ilS7_S9_ilPT18_ili26rocblas_geam_ex_operation_
    .private_segment_fixed_size: 0
    .sgpr_count:     30
    .sgpr_spill_count: 0
    .symbol:         _ZN12_GLOBAL__N_120geam_min_plus_kernelIDF16_Dv2_DF16_S1_Li32ELi8ELi128ELi128ELi4ELi4ELi64ELi4ELi64ELc84ELc78ELb1ELb0ELb1EDF16_KPKDF16_KPDF16_EEviiiT16_PT17_ilS9_ilS7_S9_ilPT18_ili26rocblas_geam_ex_operation_.kd
    .uniform_work_group_size: 1
    .uses_dynamic_stack: false
    .vgpr_count:     226
    .vgpr_spill_count: 0
    .wavefront_size: 64
  - .agpr_count:     0
    .args:
      - .offset:         0
        .size:           4
        .value_kind:     by_value
      - .offset:         4
        .size:           4
        .value_kind:     by_value
      - .offset:         8
        .size:           4
        .value_kind:     by_value
      - .offset:         12
        .size:           2
        .value_kind:     by_value
      - .address_space:  global
        .offset:         16
        .size:           8
        .value_kind:     global_buffer
      - .offset:         24
        .size:           4
        .value_kind:     by_value
      - .offset:         32
        .size:           8
        .value_kind:     by_value
      - .address_space:  global
        .offset:         40
        .size:           8
        .value_kind:     global_buffer
      - .offset:         48
        .size:           4
        .value_kind:     by_value
      - .offset:         56
        .size:           8
        .value_kind:     by_value
      - .offset:         64
        .size:           2
        .value_kind:     by_value
      - .address_space:  global
        .offset:         72
        .size:           8
        .value_kind:     global_buffer
      - .offset:         80
        .size:           4
        .value_kind:     by_value
      - .offset:         88
        .size:           8
        .value_kind:     by_value
      - .address_space:  global
        .offset:         96
        .size:           8
        .value_kind:     global_buffer
      - .offset:         104
        .size:           4
        .value_kind:     by_value
      - .offset:         112
        .size:           8
        .value_kind:     by_value
      - .offset:         120
        .size:           4
        .value_kind:     by_value
      - .offset:         124
        .size:           4
        .value_kind:     by_value
    .group_segment_fixed_size: 4096
    .kernarg_segment_align: 8
    .kernarg_segment_size: 128
    .language:       OpenCL C
    .language_version:
      - 2
      - 0
    .max_flat_workgroup_size: 256
    .name:           _ZN12_GLOBAL__N_120geam_min_plus_kernelIDF16_Dv2_DF16_S1_Li32ELi8ELi128ELi128ELi4ELi4ELi64ELi4ELi64ELc84ELc78ELb0ELb0ELb1EDF16_KPKDF16_KPDF16_EEviiiT16_PT17_ilS9_ilS7_S9_ilPT18_ili26rocblas_geam_ex_operation_
    .private_segment_fixed_size: 0
    .sgpr_count:     36
    .sgpr_spill_count: 0
    .symbol:         _ZN12_GLOBAL__N_120geam_min_plus_kernelIDF16_Dv2_DF16_S1_Li32ELi8ELi128ELi128ELi4ELi4ELi64ELi4ELi64ELc84ELc78ELb0ELb0ELb1EDF16_KPKDF16_KPDF16_EEviiiT16_PT17_ilS9_ilS7_S9_ilPT18_ili26rocblas_geam_ex_operation_.kd
    .uniform_work_group_size: 1
    .uses_dynamic_stack: false
    .vgpr_count:     171
    .vgpr_spill_count: 0
    .wavefront_size: 64
  - .agpr_count:     0
    .args:
      - .offset:         0
        .size:           4
        .value_kind:     by_value
      - .offset:         4
        .size:           4
        .value_kind:     by_value
      - .offset:         8
        .size:           4
        .value_kind:     by_value
      - .address_space:  global
        .offset:         16
        .size:           8
        .value_kind:     global_buffer
      - .address_space:  global
        .offset:         24
        .size:           8
        .value_kind:     global_buffer
      - .offset:         32
        .size:           4
        .value_kind:     by_value
      - .offset:         40
        .size:           8
        .value_kind:     by_value
      - .address_space:  global
        .offset:         48
        .size:           8
        .value_kind:     global_buffer
      - .offset:         56
        .size:           4
        .value_kind:     by_value
      - .offset:         64
        .size:           8
        .value_kind:     by_value
      - .address_space:  global
        .offset:         72
        .size:           8
        .value_kind:     global_buffer
      - .address_space:  global
        .offset:         80
        .size:           8
        .value_kind:     global_buffer
      - .offset:         88
        .size:           4
        .value_kind:     by_value
      - .offset:         96
        .size:           8
        .value_kind:     by_value
      - .address_space:  global
        .offset:         104
        .size:           8
        .value_kind:     global_buffer
      - .offset:         112
        .size:           4
        .value_kind:     by_value
      - .offset:         120
        .size:           8
        .value_kind:     by_value
      - .offset:         128
        .size:           4
        .value_kind:     by_value
      - .offset:         132
        .size:           4
        .value_kind:     by_value
    .group_segment_fixed_size: 4096
    .kernarg_segment_align: 8
    .kernarg_segment_size: 136
    .language:       OpenCL C
    .language_version:
      - 2
      - 0
    .max_flat_workgroup_size: 256
    .name:           _ZN12_GLOBAL__N_120geam_min_plus_kernelIDF16_Dv2_DF16_S1_Li32ELi8ELi128ELi128ELi4ELi4ELi64ELi4ELi64ELc84ELc78ELb0ELb1ELb1EPKDF16_KS3_KPDF16_EEviiiT16_PT17_ilS9_ilS7_S9_ilPT18_ili26rocblas_geam_ex_operation_
    .private_segment_fixed_size: 0
    .sgpr_count:     42
    .sgpr_spill_count: 0
    .symbol:         _ZN12_GLOBAL__N_120geam_min_plus_kernelIDF16_Dv2_DF16_S1_Li32ELi8ELi128ELi128ELi4ELi4ELi64ELi4ELi64ELc84ELc78ELb0ELb1ELb1EPKDF16_KS3_KPDF16_EEviiiT16_PT17_ilS9_ilS7_S9_ilPT18_ili26rocblas_geam_ex_operation_.kd
    .uniform_work_group_size: 1
    .uses_dynamic_stack: false
    .vgpr_count:     175
    .vgpr_spill_count: 0
    .wavefront_size: 64
  - .agpr_count:     0
    .args:
      - .offset:         0
        .size:           4
        .value_kind:     by_value
      - .offset:         4
        .size:           4
        .value_kind:     by_value
      - .offset:         8
        .size:           4
        .value_kind:     by_value
      - .offset:         12
        .size:           2
        .value_kind:     by_value
      - .address_space:  global
        .offset:         16
        .size:           8
        .value_kind:     global_buffer
      - .offset:         24
        .size:           4
        .value_kind:     by_value
      - .offset:         32
        .size:           8
        .value_kind:     by_value
      - .address_space:  global
        .offset:         40
        .size:           8
        .value_kind:     global_buffer
      - .offset:         48
        .size:           4
        .value_kind:     by_value
      - .offset:         56
        .size:           8
        .value_kind:     by_value
      - .offset:         64
        .size:           2
        .value_kind:     by_value
      - .address_space:  global
        .offset:         72
        .size:           8
        .value_kind:     global_buffer
      - .offset:         80
        .size:           4
        .value_kind:     by_value
      - .offset:         88
        .size:           8
        .value_kind:     by_value
      - .address_space:  global
        .offset:         96
        .size:           8
        .value_kind:     global_buffer
      - .offset:         104
        .size:           4
        .value_kind:     by_value
      - .offset:         112
        .size:           8
        .value_kind:     by_value
      - .offset:         120
        .size:           4
        .value_kind:     by_value
      - .offset:         124
        .size:           4
        .value_kind:     by_value
    .group_segment_fixed_size: 4096
    .kernarg_segment_align: 8
    .kernarg_segment_size: 128
    .language:       OpenCL C
    .language_version:
      - 2
      - 0
    .max_flat_workgroup_size: 256
    .name:           _ZN12_GLOBAL__N_120geam_min_plus_kernelIDF16_Dv2_DF16_S1_Li32ELi8ELi128ELi128ELi4ELi4ELi64ELi4ELi64ELc84ELc78ELb1ELb1ELb1EDF16_KPKDF16_KPDF16_EEviiiT16_PT17_ilS9_ilS7_S9_ilPT18_ili26rocblas_geam_ex_operation_
    .private_segment_fixed_size: 0
    .sgpr_count:     42
    .sgpr_spill_count: 0
    .symbol:         _ZN12_GLOBAL__N_120geam_min_plus_kernelIDF16_Dv2_DF16_S1_Li32ELi8ELi128ELi128ELi4ELi4ELi64ELi4ELi64ELc84ELc78ELb1ELb1ELb1EDF16_KPKDF16_KPDF16_EEviiiT16_PT17_ilS9_ilS7_S9_ilPT18_ili26rocblas_geam_ex_operation_.kd
    .uniform_work_group_size: 1
    .uses_dynamic_stack: false
    .vgpr_count:     172
    .vgpr_spill_count: 0
    .wavefront_size: 64
  - .agpr_count:     0
    .args:
      - .offset:         0
        .size:           4
        .value_kind:     by_value
      - .offset:         4
        .size:           4
        .value_kind:     by_value
      - .offset:         8
        .size:           4
        .value_kind:     by_value
      - .offset:         12
        .size:           2
        .value_kind:     by_value
      - .address_space:  global
        .offset:         16
        .size:           8
        .value_kind:     global_buffer
      - .offset:         24
        .size:           4
        .value_kind:     by_value
      - .offset:         32
        .size:           8
        .value_kind:     by_value
      - .address_space:  global
        .offset:         40
        .size:           8
        .value_kind:     global_buffer
      - .offset:         48
        .size:           4
        .value_kind:     by_value
      - .offset:         56
        .size:           8
        .value_kind:     by_value
      - .offset:         64
        .size:           2
        .value_kind:     by_value
      - .address_space:  global
        .offset:         72
        .size:           8
        .value_kind:     global_buffer
      - .offset:         80
        .size:           4
        .value_kind:     by_value
      - .offset:         88
        .size:           8
        .value_kind:     by_value
      - .address_space:  global
        .offset:         96
        .size:           8
        .value_kind:     global_buffer
      - .offset:         104
        .size:           4
        .value_kind:     by_value
      - .offset:         112
        .size:           8
        .value_kind:     by_value
      - .offset:         120
        .size:           4
        .value_kind:     by_value
      - .offset:         124
        .size:           4
        .value_kind:     by_value
    .group_segment_fixed_size: 4096
    .kernarg_segment_align: 8
    .kernarg_segment_size: 128
    .language:       OpenCL C
    .language_version:
      - 2
      - 0
    .max_flat_workgroup_size: 256
    .name:           _ZN12_GLOBAL__N_120geam_min_plus_kernelIDF16_Dv2_DF16_S1_Li32ELi8ELi128ELi128ELi4ELi4ELi64ELi4ELi64ELc84ELc78ELb0ELb1ELb1EDF16_KPKDF16_KPDF16_EEviiiT16_PT17_ilS9_ilS7_S9_ilPT18_ili26rocblas_geam_ex_operation_
    .private_segment_fixed_size: 0
    .sgpr_count:     44
    .sgpr_spill_count: 0
    .symbol:         _ZN12_GLOBAL__N_120geam_min_plus_kernelIDF16_Dv2_DF16_S1_Li32ELi8ELi128ELi128ELi4ELi4ELi64ELi4ELi64ELc84ELc78ELb0ELb1ELb1EDF16_KPKDF16_KPDF16_EEviiiT16_PT17_ilS9_ilS7_S9_ilPT18_ili26rocblas_geam_ex_operation_.kd
    .uniform_work_group_size: 1
    .uses_dynamic_stack: false
    .vgpr_count:     173
    .vgpr_spill_count: 0
    .wavefront_size: 64
  - .agpr_count:     0
    .args:
      - .offset:         0
        .size:           4
        .value_kind:     by_value
      - .offset:         4
        .size:           4
        .value_kind:     by_value
      - .offset:         8
        .size:           4
        .value_kind:     by_value
      - .address_space:  global
        .offset:         16
        .size:           8
        .value_kind:     global_buffer
      - .address_space:  global
        .offset:         24
        .size:           8
        .value_kind:     global_buffer
      - .offset:         32
        .size:           4
        .value_kind:     by_value
      - .offset:         40
        .size:           8
        .value_kind:     by_value
      - .address_space:  global
        .offset:         48
        .size:           8
        .value_kind:     global_buffer
      - .offset:         56
        .size:           4
        .value_kind:     by_value
      - .offset:         64
        .size:           8
        .value_kind:     by_value
      - .address_space:  global
        .offset:         72
        .size:           8
        .value_kind:     global_buffer
      - .address_space:  global
        .offset:         80
        .size:           8
        .value_kind:     global_buffer
      - .offset:         88
        .size:           4
        .value_kind:     by_value
      - .offset:         96
        .size:           8
        .value_kind:     by_value
      - .address_space:  global
        .offset:         104
        .size:           8
        .value_kind:     global_buffer
      - .offset:         112
        .size:           4
        .value_kind:     by_value
      - .offset:         120
        .size:           8
        .value_kind:     by_value
      - .offset:         128
        .size:           4
        .value_kind:     by_value
      - .offset:         132
        .size:           4
        .value_kind:     by_value
    .group_segment_fixed_size: 5120
    .kernarg_segment_align: 8
    .kernarg_segment_size: 136
    .language:       OpenCL C
    .language_version:
      - 2
      - 0
    .max_flat_workgroup_size: 256
    .name:           _ZN12_GLOBAL__N_120geam_min_plus_kernelIDF16_Dv2_DF16_S1_Li8ELi32ELi64ELi256ELi4ELi64ELi4ELi64ELi4ELc78ELc84ELb0ELb0ELb1EPKDF16_KS3_KPDF16_EEviiiT16_PT17_ilS9_ilS7_S9_ilPT18_ili26rocblas_geam_ex_operation_
    .private_segment_fixed_size: 0
    .sgpr_count:     34
    .sgpr_spill_count: 0
    .symbol:         _ZN12_GLOBAL__N_120geam_min_plus_kernelIDF16_Dv2_DF16_S1_Li8ELi32ELi64ELi256ELi4ELi64ELi4ELi64ELi4ELc78ELc84ELb0ELb0ELb1EPKDF16_KS3_KPDF16_EEviiiT16_PT17_ilS9_ilS7_S9_ilPT18_ili26rocblas_geam_ex_operation_.kd
    .uniform_work_group_size: 1
    .uses_dynamic_stack: false
    .vgpr_count:     179
    .vgpr_spill_count: 0
    .wavefront_size: 64
  - .agpr_count:     0
    .args:
      - .offset:         0
        .size:           4
        .value_kind:     by_value
      - .offset:         4
        .size:           4
        .value_kind:     by_value
      - .offset:         8
        .size:           4
        .value_kind:     by_value
      - .offset:         12
        .size:           2
        .value_kind:     by_value
      - .address_space:  global
        .offset:         16
        .size:           8
        .value_kind:     global_buffer
      - .offset:         24
        .size:           4
        .value_kind:     by_value
      - .offset:         32
        .size:           8
        .value_kind:     by_value
      - .address_space:  global
        .offset:         40
        .size:           8
        .value_kind:     global_buffer
      - .offset:         48
        .size:           4
        .value_kind:     by_value
      - .offset:         56
        .size:           8
        .value_kind:     by_value
      - .offset:         64
        .size:           2
        .value_kind:     by_value
      - .address_space:  global
        .offset:         72
        .size:           8
        .value_kind:     global_buffer
      - .offset:         80
        .size:           4
        .value_kind:     by_value
      - .offset:         88
        .size:           8
        .value_kind:     by_value
      - .address_space:  global
        .offset:         96
        .size:           8
        .value_kind:     global_buffer
      - .offset:         104
        .size:           4
        .value_kind:     by_value
      - .offset:         112
        .size:           8
        .value_kind:     by_value
      - .offset:         120
        .size:           4
        .value_kind:     by_value
      - .offset:         124
        .size:           4
        .value_kind:     by_value
    .group_segment_fixed_size: 5120
    .kernarg_segment_align: 8
    .kernarg_segment_size: 128
    .language:       OpenCL C
    .language_version:
      - 2
      - 0
    .max_flat_workgroup_size: 256
    .name:           _ZN12_GLOBAL__N_120geam_min_plus_kernelIDF16_Dv2_DF16_S1_Li8ELi32ELi64ELi256ELi4ELi64ELi4ELi64ELi4ELc78ELc84ELb1ELb0ELb1EDF16_KPKDF16_KPDF16_EEviiiT16_PT17_ilS9_ilS7_S9_ilPT18_ili26rocblas_geam_ex_operation_
    .private_segment_fixed_size: 0
    .sgpr_count:     32
    .sgpr_spill_count: 0
    .symbol:         _ZN12_GLOBAL__N_120geam_min_plus_kernelIDF16_Dv2_DF16_S1_Li8ELi32ELi64ELi256ELi4ELi64ELi4ELi64ELi4ELc78ELc84ELb1ELb0ELb1EDF16_KPKDF16_KPDF16_EEviiiT16_PT17_ilS9_ilS7_S9_ilPT18_ili26rocblas_geam_ex_operation_.kd
    .uniform_work_group_size: 1
    .uses_dynamic_stack: false
    .vgpr_count:     225
    .vgpr_spill_count: 0
    .wavefront_size: 64
  - .agpr_count:     0
    .args:
      - .offset:         0
        .size:           4
        .value_kind:     by_value
      - .offset:         4
        .size:           4
        .value_kind:     by_value
      - .offset:         8
        .size:           4
        .value_kind:     by_value
      - .offset:         12
        .size:           2
        .value_kind:     by_value
      - .address_space:  global
        .offset:         16
        .size:           8
        .value_kind:     global_buffer
      - .offset:         24
        .size:           4
        .value_kind:     by_value
      - .offset:         32
        .size:           8
        .value_kind:     by_value
      - .address_space:  global
        .offset:         40
        .size:           8
        .value_kind:     global_buffer
      - .offset:         48
        .size:           4
        .value_kind:     by_value
      - .offset:         56
        .size:           8
        .value_kind:     by_value
      - .offset:         64
        .size:           2
        .value_kind:     by_value
      - .address_space:  global
        .offset:         72
        .size:           8
        .value_kind:     global_buffer
      - .offset:         80
        .size:           4
        .value_kind:     by_value
      - .offset:         88
        .size:           8
        .value_kind:     by_value
      - .address_space:  global
        .offset:         96
        .size:           8
        .value_kind:     global_buffer
      - .offset:         104
        .size:           4
        .value_kind:     by_value
      - .offset:         112
        .size:           8
        .value_kind:     by_value
      - .offset:         120
        .size:           4
        .value_kind:     by_value
      - .offset:         124
        .size:           4
        .value_kind:     by_value
    .group_segment_fixed_size: 5120
    .kernarg_segment_align: 8
    .kernarg_segment_size: 128
    .language:       OpenCL C
    .language_version:
      - 2
      - 0
    .max_flat_workgroup_size: 256
    .name:           _ZN12_GLOBAL__N_120geam_min_plus_kernelIDF16_Dv2_DF16_S1_Li8ELi32ELi64ELi256ELi4ELi64ELi4ELi64ELi4ELc78ELc84ELb0ELb0ELb1EDF16_KPKDF16_KPDF16_EEviiiT16_PT17_ilS9_ilS7_S9_ilPT18_ili26rocblas_geam_ex_operation_
    .private_segment_fixed_size: 0
    .sgpr_count:     36
    .sgpr_spill_count: 0
    .symbol:         _ZN12_GLOBAL__N_120geam_min_plus_kernelIDF16_Dv2_DF16_S1_Li8ELi32ELi64ELi256ELi4ELi64ELi4ELi64ELi4ELc78ELc84ELb0ELb0ELb1EDF16_KPKDF16_KPDF16_EEviiiT16_PT17_ilS9_ilS7_S9_ilPT18_ili26rocblas_geam_ex_operation_.kd
    .uniform_work_group_size: 1
    .uses_dynamic_stack: false
    .vgpr_count:     176
    .vgpr_spill_count: 0
    .wavefront_size: 64
  - .agpr_count:     0
    .args:
      - .offset:         0
        .size:           4
        .value_kind:     by_value
      - .offset:         4
        .size:           4
        .value_kind:     by_value
      - .offset:         8
        .size:           4
        .value_kind:     by_value
      - .address_space:  global
        .offset:         16
        .size:           8
        .value_kind:     global_buffer
      - .address_space:  global
        .offset:         24
        .size:           8
        .value_kind:     global_buffer
      - .offset:         32
        .size:           4
        .value_kind:     by_value
      - .offset:         40
        .size:           8
        .value_kind:     by_value
      - .address_space:  global
        .offset:         48
        .size:           8
        .value_kind:     global_buffer
      - .offset:         56
        .size:           4
        .value_kind:     by_value
      - .offset:         64
        .size:           8
        .value_kind:     by_value
      - .address_space:  global
        .offset:         72
        .size:           8
        .value_kind:     global_buffer
      - .address_space:  global
        .offset:         80
        .size:           8
        .value_kind:     global_buffer
      - .offset:         88
        .size:           4
        .value_kind:     by_value
      - .offset:         96
        .size:           8
        .value_kind:     by_value
      - .address_space:  global
        .offset:         104
        .size:           8
        .value_kind:     global_buffer
      - .offset:         112
        .size:           4
        .value_kind:     by_value
      - .offset:         120
        .size:           8
        .value_kind:     by_value
      - .offset:         128
        .size:           4
        .value_kind:     by_value
      - .offset:         132
        .size:           4
        .value_kind:     by_value
    .group_segment_fixed_size: 5120
    .kernarg_segment_align: 8
    .kernarg_segment_size: 136
    .language:       OpenCL C
    .language_version:
      - 2
      - 0
    .max_flat_workgroup_size: 256
    .name:           _ZN12_GLOBAL__N_120geam_min_plus_kernelIDF16_Dv2_DF16_S1_Li8ELi32ELi64ELi256ELi4ELi64ELi4ELi64ELi4ELc78ELc84ELb0ELb1ELb1EPKDF16_KS3_KPDF16_EEviiiT16_PT17_ilS9_ilS7_S9_ilPT18_ili26rocblas_geam_ex_operation_
    .private_segment_fixed_size: 0
    .sgpr_count:     48
    .sgpr_spill_count: 0
    .symbol:         _ZN12_GLOBAL__N_120geam_min_plus_kernelIDF16_Dv2_DF16_S1_Li8ELi32ELi64ELi256ELi4ELi64ELi4ELi64ELi4ELc78ELc84ELb0ELb1ELb1EPKDF16_KS3_KPDF16_EEviiiT16_PT17_ilS9_ilS7_S9_ilPT18_ili26rocblas_geam_ex_operation_.kd
    .uniform_work_group_size: 1
    .uses_dynamic_stack: false
    .vgpr_count:     182
    .vgpr_spill_count: 0
    .wavefront_size: 64
  - .agpr_count:     0
    .args:
      - .offset:         0
        .size:           4
        .value_kind:     by_value
      - .offset:         4
        .size:           4
        .value_kind:     by_value
      - .offset:         8
        .size:           4
        .value_kind:     by_value
      - .offset:         12
        .size:           2
        .value_kind:     by_value
      - .address_space:  global
        .offset:         16
        .size:           8
        .value_kind:     global_buffer
      - .offset:         24
        .size:           4
        .value_kind:     by_value
      - .offset:         32
        .size:           8
        .value_kind:     by_value
      - .address_space:  global
        .offset:         40
        .size:           8
        .value_kind:     global_buffer
      - .offset:         48
        .size:           4
        .value_kind:     by_value
      - .offset:         56
        .size:           8
        .value_kind:     by_value
      - .offset:         64
        .size:           2
        .value_kind:     by_value
      - .address_space:  global
        .offset:         72
        .size:           8
        .value_kind:     global_buffer
      - .offset:         80
        .size:           4
        .value_kind:     by_value
      - .offset:         88
        .size:           8
        .value_kind:     by_value
      - .address_space:  global
        .offset:         96
        .size:           8
        .value_kind:     global_buffer
      - .offset:         104
        .size:           4
        .value_kind:     by_value
      - .offset:         112
        .size:           8
        .value_kind:     by_value
      - .offset:         120
        .size:           4
        .value_kind:     by_value
      - .offset:         124
        .size:           4
        .value_kind:     by_value
    .group_segment_fixed_size: 5120
    .kernarg_segment_align: 8
    .kernarg_segment_size: 128
    .language:       OpenCL C
    .language_version:
      - 2
      - 0
    .max_flat_workgroup_size: 256
    .name:           _ZN12_GLOBAL__N_120geam_min_plus_kernelIDF16_Dv2_DF16_S1_Li8ELi32ELi64ELi256ELi4ELi64ELi4ELi64ELi4ELc78ELc84ELb1ELb1ELb1EDF16_KPKDF16_KPDF16_EEviiiT16_PT17_ilS9_ilS7_S9_ilPT18_ili26rocblas_geam_ex_operation_
    .private_segment_fixed_size: 0
    .sgpr_count:     44
    .sgpr_spill_count: 0
    .symbol:         _ZN12_GLOBAL__N_120geam_min_plus_kernelIDF16_Dv2_DF16_S1_Li8ELi32ELi64ELi256ELi4ELi64ELi4ELi64ELi4ELc78ELc84ELb1ELb1ELb1EDF16_KPKDF16_KPDF16_EEviiiT16_PT17_ilS9_ilS7_S9_ilPT18_ili26rocblas_geam_ex_operation_.kd
    .uniform_work_group_size: 1
    .uses_dynamic_stack: false
    .vgpr_count:     151
    .vgpr_spill_count: 0
    .wavefront_size: 64
  - .agpr_count:     0
    .args:
      - .offset:         0
        .size:           4
        .value_kind:     by_value
      - .offset:         4
        .size:           4
        .value_kind:     by_value
      - .offset:         8
        .size:           4
        .value_kind:     by_value
      - .offset:         12
        .size:           2
        .value_kind:     by_value
      - .address_space:  global
        .offset:         16
        .size:           8
        .value_kind:     global_buffer
      - .offset:         24
        .size:           4
        .value_kind:     by_value
      - .offset:         32
        .size:           8
        .value_kind:     by_value
      - .address_space:  global
        .offset:         40
        .size:           8
        .value_kind:     global_buffer
      - .offset:         48
        .size:           4
        .value_kind:     by_value
      - .offset:         56
        .size:           8
        .value_kind:     by_value
      - .offset:         64
        .size:           2
        .value_kind:     by_value
      - .address_space:  global
        .offset:         72
        .size:           8
        .value_kind:     global_buffer
      - .offset:         80
        .size:           4
        .value_kind:     by_value
      - .offset:         88
        .size:           8
        .value_kind:     by_value
      - .address_space:  global
        .offset:         96
        .size:           8
        .value_kind:     global_buffer
      - .offset:         104
        .size:           4
        .value_kind:     by_value
      - .offset:         112
        .size:           8
        .value_kind:     by_value
      - .offset:         120
        .size:           4
        .value_kind:     by_value
      - .offset:         124
        .size:           4
        .value_kind:     by_value
    .group_segment_fixed_size: 5120
    .kernarg_segment_align: 8
    .kernarg_segment_size: 128
    .language:       OpenCL C
    .language_version:
      - 2
      - 0
    .max_flat_workgroup_size: 256
    .name:           _ZN12_GLOBAL__N_120geam_min_plus_kernelIDF16_Dv2_DF16_S1_Li8ELi32ELi64ELi256ELi4ELi64ELi4ELi64ELi4ELc78ELc84ELb0ELb1ELb1EDF16_KPKDF16_KPDF16_EEviiiT16_PT17_ilS9_ilS7_S9_ilPT18_ili26rocblas_geam_ex_operation_
    .private_segment_fixed_size: 0
    .sgpr_count:     48
    .sgpr_spill_count: 0
    .symbol:         _ZN12_GLOBAL__N_120geam_min_plus_kernelIDF16_Dv2_DF16_S1_Li8ELi32ELi64ELi256ELi4ELi64ELi4ELi64ELi4ELc78ELc84ELb0ELb1ELb1EDF16_KPKDF16_KPDF16_EEviiiT16_PT17_ilS9_ilS7_S9_ilPT18_ili26rocblas_geam_ex_operation_.kd
    .uniform_work_group_size: 1
    .uses_dynamic_stack: false
    .vgpr_count:     180
    .vgpr_spill_count: 0
    .wavefront_size: 64
  - .agpr_count:     0
    .args:
      - .offset:         0
        .size:           4
        .value_kind:     by_value
      - .offset:         4
        .size:           4
        .value_kind:     by_value
      - .offset:         8
        .size:           4
        .value_kind:     by_value
      - .address_space:  global
        .offset:         16
        .size:           8
        .value_kind:     global_buffer
      - .address_space:  global
        .offset:         24
        .size:           8
        .value_kind:     global_buffer
      - .offset:         32
        .size:           4
        .value_kind:     by_value
      - .offset:         40
        .size:           8
        .value_kind:     by_value
      - .address_space:  global
        .offset:         48
        .size:           8
        .value_kind:     global_buffer
      - .offset:         56
        .size:           4
        .value_kind:     by_value
      - .offset:         64
        .size:           8
        .value_kind:     by_value
      - .address_space:  global
        .offset:         72
        .size:           8
        .value_kind:     global_buffer
      - .address_space:  global
        .offset:         80
        .size:           8
        .value_kind:     global_buffer
      - .offset:         88
        .size:           4
        .value_kind:     by_value
      - .offset:         96
        .size:           8
        .value_kind:     by_value
      - .address_space:  global
        .offset:         104
        .size:           8
        .value_kind:     global_buffer
      - .offset:         112
        .size:           4
        .value_kind:     by_value
      - .offset:         120
        .size:           8
        .value_kind:     by_value
      - .offset:         128
        .size:           4
        .value_kind:     by_value
      - .offset:         132
        .size:           4
        .value_kind:     by_value
    .group_segment_fixed_size: 5120
    .kernarg_segment_align: 8
    .kernarg_segment_size: 136
    .language:       OpenCL C
    .language_version:
      - 2
      - 0
    .max_flat_workgroup_size: 256
    .name:           _ZN12_GLOBAL__N_120geam_min_plus_kernelIDF16_Dv2_DF16_S1_Li8ELi32ELi64ELi256ELi4ELi4ELi64ELi64ELi4ELc84ELc84ELb0ELb0ELb1EPKDF16_KS3_KPDF16_EEviiiT16_PT17_ilS9_ilS7_S9_ilPT18_ili26rocblas_geam_ex_operation_
    .private_segment_fixed_size: 0
    .sgpr_count:     32
    .sgpr_spill_count: 0
    .symbol:         _ZN12_GLOBAL__N_120geam_min_plus_kernelIDF16_Dv2_DF16_S1_Li8ELi32ELi64ELi256ELi4ELi4ELi64ELi64ELi4ELc84ELc84ELb0ELb0ELb1EPKDF16_KS3_KPDF16_EEviiiT16_PT17_ilS9_ilS7_S9_ilPT18_ili26rocblas_geam_ex_operation_.kd
    .uniform_work_group_size: 1
    .uses_dynamic_stack: false
    .vgpr_count:     145
    .vgpr_spill_count: 0
    .wavefront_size: 64
  - .agpr_count:     0
    .args:
      - .offset:         0
        .size:           4
        .value_kind:     by_value
      - .offset:         4
        .size:           4
        .value_kind:     by_value
      - .offset:         8
        .size:           4
        .value_kind:     by_value
      - .offset:         12
        .size:           2
        .value_kind:     by_value
      - .address_space:  global
        .offset:         16
        .size:           8
        .value_kind:     global_buffer
      - .offset:         24
        .size:           4
        .value_kind:     by_value
      - .offset:         32
        .size:           8
        .value_kind:     by_value
      - .address_space:  global
        .offset:         40
        .size:           8
        .value_kind:     global_buffer
      - .offset:         48
        .size:           4
        .value_kind:     by_value
      - .offset:         56
        .size:           8
        .value_kind:     by_value
      - .offset:         64
        .size:           2
        .value_kind:     by_value
      - .address_space:  global
        .offset:         72
        .size:           8
        .value_kind:     global_buffer
      - .offset:         80
        .size:           4
        .value_kind:     by_value
      - .offset:         88
        .size:           8
        .value_kind:     by_value
      - .address_space:  global
        .offset:         96
        .size:           8
        .value_kind:     global_buffer
      - .offset:         104
        .size:           4
        .value_kind:     by_value
      - .offset:         112
        .size:           8
        .value_kind:     by_value
      - .offset:         120
        .size:           4
        .value_kind:     by_value
      - .offset:         124
        .size:           4
        .value_kind:     by_value
    .group_segment_fixed_size: 5120
    .kernarg_segment_align: 8
    .kernarg_segment_size: 128
    .language:       OpenCL C
    .language_version:
      - 2
      - 0
    .max_flat_workgroup_size: 256
    .name:           _ZN12_GLOBAL__N_120geam_min_plus_kernelIDF16_Dv2_DF16_S1_Li8ELi32ELi64ELi256ELi4ELi4ELi64ELi64ELi4ELc84ELc84ELb1ELb0ELb1EDF16_KPKDF16_KPDF16_EEviiiT16_PT17_ilS9_ilS7_S9_ilPT18_ili26rocblas_geam_ex_operation_
    .private_segment_fixed_size: 0
    .sgpr_count:     28
    .sgpr_spill_count: 0
    .symbol:         _ZN12_GLOBAL__N_120geam_min_plus_kernelIDF16_Dv2_DF16_S1_Li8ELi32ELi64ELi256ELi4ELi4ELi64ELi64ELi4ELc84ELc84ELb1ELb0ELb1EDF16_KPKDF16_KPDF16_EEviiiT16_PT17_ilS9_ilS7_S9_ilPT18_ili26rocblas_geam_ex_operation_.kd
    .uniform_work_group_size: 1
    .uses_dynamic_stack: false
    .vgpr_count:     219
    .vgpr_spill_count: 0
    .wavefront_size: 64
  - .agpr_count:     0
    .args:
      - .offset:         0
        .size:           4
        .value_kind:     by_value
      - .offset:         4
        .size:           4
        .value_kind:     by_value
      - .offset:         8
        .size:           4
        .value_kind:     by_value
      - .offset:         12
        .size:           2
        .value_kind:     by_value
      - .address_space:  global
        .offset:         16
        .size:           8
        .value_kind:     global_buffer
      - .offset:         24
        .size:           4
        .value_kind:     by_value
      - .offset:         32
        .size:           8
        .value_kind:     by_value
      - .address_space:  global
        .offset:         40
        .size:           8
        .value_kind:     global_buffer
      - .offset:         48
        .size:           4
        .value_kind:     by_value
      - .offset:         56
        .size:           8
        .value_kind:     by_value
      - .offset:         64
        .size:           2
        .value_kind:     by_value
      - .address_space:  global
        .offset:         72
        .size:           8
        .value_kind:     global_buffer
      - .offset:         80
        .size:           4
        .value_kind:     by_value
      - .offset:         88
        .size:           8
        .value_kind:     by_value
      - .address_space:  global
        .offset:         96
        .size:           8
        .value_kind:     global_buffer
      - .offset:         104
        .size:           4
        .value_kind:     by_value
      - .offset:         112
        .size:           8
        .value_kind:     by_value
      - .offset:         120
        .size:           4
        .value_kind:     by_value
      - .offset:         124
        .size:           4
        .value_kind:     by_value
    .group_segment_fixed_size: 5120
    .kernarg_segment_align: 8
    .kernarg_segment_size: 128
    .language:       OpenCL C
    .language_version:
      - 2
      - 0
    .max_flat_workgroup_size: 256
    .name:           _ZN12_GLOBAL__N_120geam_min_plus_kernelIDF16_Dv2_DF16_S1_Li8ELi32ELi64ELi256ELi4ELi4ELi64ELi64ELi4ELc84ELc84ELb0ELb0ELb1EDF16_KPKDF16_KPDF16_EEviiiT16_PT17_ilS9_ilS7_S9_ilPT18_ili26rocblas_geam_ex_operation_
    .private_segment_fixed_size: 0
    .sgpr_count:     35
    .sgpr_spill_count: 0
    .symbol:         _ZN12_GLOBAL__N_120geam_min_plus_kernelIDF16_Dv2_DF16_S1_Li8ELi32ELi64ELi256ELi4ELi4ELi64ELi64ELi4ELc84ELc84ELb0ELb0ELb1EDF16_KPKDF16_KPDF16_EEviiiT16_PT17_ilS9_ilS7_S9_ilPT18_ili26rocblas_geam_ex_operation_.kd
    .uniform_work_group_size: 1
    .uses_dynamic_stack: false
    .vgpr_count:     143
    .vgpr_spill_count: 0
    .wavefront_size: 64
  - .agpr_count:     0
    .args:
      - .offset:         0
        .size:           4
        .value_kind:     by_value
      - .offset:         4
        .size:           4
        .value_kind:     by_value
      - .offset:         8
        .size:           4
        .value_kind:     by_value
      - .address_space:  global
        .offset:         16
        .size:           8
        .value_kind:     global_buffer
      - .address_space:  global
        .offset:         24
        .size:           8
        .value_kind:     global_buffer
      - .offset:         32
        .size:           4
        .value_kind:     by_value
      - .offset:         40
        .size:           8
        .value_kind:     by_value
      - .address_space:  global
        .offset:         48
        .size:           8
        .value_kind:     global_buffer
      - .offset:         56
        .size:           4
        .value_kind:     by_value
      - .offset:         64
        .size:           8
        .value_kind:     by_value
      - .address_space:  global
        .offset:         72
        .size:           8
        .value_kind:     global_buffer
      - .address_space:  global
        .offset:         80
        .size:           8
        .value_kind:     global_buffer
      - .offset:         88
        .size:           4
        .value_kind:     by_value
      - .offset:         96
        .size:           8
        .value_kind:     by_value
      - .address_space:  global
        .offset:         104
        .size:           8
        .value_kind:     global_buffer
      - .offset:         112
        .size:           4
        .value_kind:     by_value
      - .offset:         120
        .size:           8
        .value_kind:     by_value
      - .offset:         128
        .size:           4
        .value_kind:     by_value
      - .offset:         132
        .size:           4
        .value_kind:     by_value
    .group_segment_fixed_size: 5120
    .kernarg_segment_align: 8
    .kernarg_segment_size: 136
    .language:       OpenCL C
    .language_version:
      - 2
      - 0
    .max_flat_workgroup_size: 256
    .name:           _ZN12_GLOBAL__N_120geam_min_plus_kernelIDF16_Dv2_DF16_S1_Li8ELi32ELi64ELi256ELi4ELi4ELi64ELi64ELi4ELc84ELc84ELb0ELb1ELb1EPKDF16_KS3_KPDF16_EEviiiT16_PT17_ilS9_ilS7_S9_ilPT18_ili26rocblas_geam_ex_operation_
    .private_segment_fixed_size: 0
    .sgpr_count:     44
    .sgpr_spill_count: 0
    .symbol:         _ZN12_GLOBAL__N_120geam_min_plus_kernelIDF16_Dv2_DF16_S1_Li8ELi32ELi64ELi256ELi4ELi4ELi64ELi64ELi4ELc84ELc84ELb0ELb1ELb1EPKDF16_KS3_KPDF16_EEviiiT16_PT17_ilS9_ilS7_S9_ilPT18_ili26rocblas_geam_ex_operation_.kd
    .uniform_work_group_size: 1
    .uses_dynamic_stack: false
    .vgpr_count:     179
    .vgpr_spill_count: 0
    .wavefront_size: 64
  - .agpr_count:     0
    .args:
      - .offset:         0
        .size:           4
        .value_kind:     by_value
      - .offset:         4
        .size:           4
        .value_kind:     by_value
      - .offset:         8
        .size:           4
        .value_kind:     by_value
      - .offset:         12
        .size:           2
        .value_kind:     by_value
      - .address_space:  global
        .offset:         16
        .size:           8
        .value_kind:     global_buffer
      - .offset:         24
        .size:           4
        .value_kind:     by_value
      - .offset:         32
        .size:           8
        .value_kind:     by_value
      - .address_space:  global
        .offset:         40
        .size:           8
        .value_kind:     global_buffer
      - .offset:         48
        .size:           4
        .value_kind:     by_value
      - .offset:         56
        .size:           8
        .value_kind:     by_value
      - .offset:         64
        .size:           2
        .value_kind:     by_value
      - .address_space:  global
        .offset:         72
        .size:           8
        .value_kind:     global_buffer
      - .offset:         80
        .size:           4
        .value_kind:     by_value
      - .offset:         88
        .size:           8
        .value_kind:     by_value
      - .address_space:  global
        .offset:         96
        .size:           8
        .value_kind:     global_buffer
      - .offset:         104
        .size:           4
        .value_kind:     by_value
      - .offset:         112
        .size:           8
        .value_kind:     by_value
      - .offset:         120
        .size:           4
        .value_kind:     by_value
      - .offset:         124
        .size:           4
        .value_kind:     by_value
    .group_segment_fixed_size: 5120
    .kernarg_segment_align: 8
    .kernarg_segment_size: 128
    .language:       OpenCL C
    .language_version:
      - 2
      - 0
    .max_flat_workgroup_size: 256
    .name:           _ZN12_GLOBAL__N_120geam_min_plus_kernelIDF16_Dv2_DF16_S1_Li8ELi32ELi64ELi256ELi4ELi4ELi64ELi64ELi4ELc84ELc84ELb1ELb1ELb1EDF16_KPKDF16_KPDF16_EEviiiT16_PT17_ilS9_ilS7_S9_ilPT18_ili26rocblas_geam_ex_operation_
    .private_segment_fixed_size: 0
    .sgpr_count:     46
    .sgpr_spill_count: 0
    .symbol:         _ZN12_GLOBAL__N_120geam_min_plus_kernelIDF16_Dv2_DF16_S1_Li8ELi32ELi64ELi256ELi4ELi4ELi64ELi64ELi4ELc84ELc84ELb1ELb1ELb1EDF16_KPKDF16_KPDF16_EEviiiT16_PT17_ilS9_ilS7_S9_ilPT18_ili26rocblas_geam_ex_operation_.kd
    .uniform_work_group_size: 1
    .uses_dynamic_stack: false
    .vgpr_count:     148
    .vgpr_spill_count: 0
    .wavefront_size: 64
  - .agpr_count:     0
    .args:
      - .offset:         0
        .size:           4
        .value_kind:     by_value
      - .offset:         4
        .size:           4
        .value_kind:     by_value
      - .offset:         8
        .size:           4
        .value_kind:     by_value
      - .offset:         12
        .size:           2
        .value_kind:     by_value
      - .address_space:  global
        .offset:         16
        .size:           8
        .value_kind:     global_buffer
      - .offset:         24
        .size:           4
        .value_kind:     by_value
      - .offset:         32
        .size:           8
        .value_kind:     by_value
      - .address_space:  global
        .offset:         40
        .size:           8
        .value_kind:     global_buffer
      - .offset:         48
        .size:           4
        .value_kind:     by_value
      - .offset:         56
        .size:           8
        .value_kind:     by_value
      - .offset:         64
        .size:           2
        .value_kind:     by_value
      - .address_space:  global
        .offset:         72
        .size:           8
        .value_kind:     global_buffer
      - .offset:         80
        .size:           4
        .value_kind:     by_value
      - .offset:         88
        .size:           8
        .value_kind:     by_value
      - .address_space:  global
        .offset:         96
        .size:           8
        .value_kind:     global_buffer
      - .offset:         104
        .size:           4
        .value_kind:     by_value
      - .offset:         112
        .size:           8
        .value_kind:     by_value
      - .offset:         120
        .size:           4
        .value_kind:     by_value
      - .offset:         124
        .size:           4
        .value_kind:     by_value
    .group_segment_fixed_size: 5120
    .kernarg_segment_align: 8
    .kernarg_segment_size: 128
    .language:       OpenCL C
    .language_version:
      - 2
      - 0
    .max_flat_workgroup_size: 256
    .name:           _ZN12_GLOBAL__N_120geam_min_plus_kernelIDF16_Dv2_DF16_S1_Li8ELi32ELi64ELi256ELi4ELi4ELi64ELi64ELi4ELc84ELc84ELb0ELb1ELb1EDF16_KPKDF16_KPDF16_EEviiiT16_PT17_ilS9_ilS7_S9_ilPT18_ili26rocblas_geam_ex_operation_
    .private_segment_fixed_size: 0
    .sgpr_count:     46
    .sgpr_spill_count: 0
    .symbol:         _ZN12_GLOBAL__N_120geam_min_plus_kernelIDF16_Dv2_DF16_S1_Li8ELi32ELi64ELi256ELi4ELi4ELi64ELi64ELi4ELc84ELc84ELb0ELb1ELb1EDF16_KPKDF16_KPDF16_EEviiiT16_PT17_ilS9_ilS7_S9_ilPT18_ili26rocblas_geam_ex_operation_.kd
    .uniform_work_group_size: 1
    .uses_dynamic_stack: false
    .vgpr_count:     152
    .vgpr_spill_count: 0
    .wavefront_size: 64
  - .agpr_count:     0
    .args:
      - .offset:         0
        .size:           4
        .value_kind:     by_value
      - .offset:         4
        .size:           4
        .value_kind:     by_value
      - .offset:         8
        .size:           4
        .value_kind:     by_value
      - .address_space:  global
        .offset:         16
        .size:           8
        .value_kind:     global_buffer
      - .address_space:  global
        .offset:         24
        .size:           8
        .value_kind:     global_buffer
      - .offset:         32
        .size:           4
        .value_kind:     by_value
      - .offset:         40
        .size:           8
        .value_kind:     by_value
      - .address_space:  global
        .offset:         48
        .size:           8
        .value_kind:     global_buffer
      - .offset:         56
        .size:           4
        .value_kind:     by_value
      - .offset:         64
        .size:           8
        .value_kind:     by_value
      - .address_space:  global
        .offset:         72
        .size:           8
        .value_kind:     global_buffer
      - .address_space:  global
        .offset:         80
        .size:           8
        .value_kind:     global_buffer
      - .offset:         88
        .size:           4
        .value_kind:     by_value
      - .offset:         96
        .size:           8
        .value_kind:     by_value
      - .address_space:  global
        .offset:         104
        .size:           8
        .value_kind:     global_buffer
      - .offset:         112
        .size:           4
        .value_kind:     by_value
      - .offset:         120
        .size:           8
        .value_kind:     by_value
      - .offset:         128
        .size:           4
        .value_kind:     by_value
      - .offset:         132
        .size:           4
        .value_kind:     by_value
    .group_segment_fixed_size: 3072
    .kernarg_segment_align: 8
    .kernarg_segment_size: 136
    .language:       OpenCL C
    .language_version:
      - 2
      - 0
    .max_flat_workgroup_size: 256
    .name:           _ZN12_GLOBAL__N_120geam_min_plus_kernelIDF16_Dv2_DF16_S1_Li8ELi32ELi64ELi128ELi4ELi64ELi4ELi4ELi64ELc78ELc78ELb0ELb0ELb0EPKDF16_KS3_KPDF16_EEviiiT16_PT17_ilS9_ilS7_S9_ilPT18_ili26rocblas_geam_ex_operation_
    .private_segment_fixed_size: 0
    .sgpr_count:     32
    .sgpr_spill_count: 0
    .symbol:         _ZN12_GLOBAL__N_120geam_min_plus_kernelIDF16_Dv2_DF16_S1_Li8ELi32ELi64ELi128ELi4ELi64ELi4ELi4ELi64ELc78ELc78ELb0ELb0ELb0EPKDF16_KS3_KPDF16_EEviiiT16_PT17_ilS9_ilS7_S9_ilPT18_ili26rocblas_geam_ex_operation_.kd
    .uniform_work_group_size: 1
    .uses_dynamic_stack: false
    .vgpr_count:     127
    .vgpr_spill_count: 0
    .wavefront_size: 64
  - .agpr_count:     0
    .args:
      - .offset:         0
        .size:           4
        .value_kind:     by_value
      - .offset:         4
        .size:           4
        .value_kind:     by_value
      - .offset:         8
        .size:           4
        .value_kind:     by_value
      - .offset:         12
        .size:           2
        .value_kind:     by_value
      - .address_space:  global
        .offset:         16
        .size:           8
        .value_kind:     global_buffer
      - .offset:         24
        .size:           4
        .value_kind:     by_value
      - .offset:         32
        .size:           8
        .value_kind:     by_value
      - .address_space:  global
        .offset:         40
        .size:           8
        .value_kind:     global_buffer
      - .offset:         48
        .size:           4
        .value_kind:     by_value
      - .offset:         56
        .size:           8
        .value_kind:     by_value
      - .offset:         64
        .size:           2
        .value_kind:     by_value
      - .address_space:  global
        .offset:         72
        .size:           8
        .value_kind:     global_buffer
      - .offset:         80
        .size:           4
        .value_kind:     by_value
      - .offset:         88
        .size:           8
        .value_kind:     by_value
      - .address_space:  global
        .offset:         96
        .size:           8
        .value_kind:     global_buffer
      - .offset:         104
        .size:           4
        .value_kind:     by_value
      - .offset:         112
        .size:           8
        .value_kind:     by_value
      - .offset:         120
        .size:           4
        .value_kind:     by_value
      - .offset:         124
        .size:           4
        .value_kind:     by_value
    .group_segment_fixed_size: 3072
    .kernarg_segment_align: 8
    .kernarg_segment_size: 128
    .language:       OpenCL C
    .language_version:
      - 2
      - 0
    .max_flat_workgroup_size: 256
    .name:           _ZN12_GLOBAL__N_120geam_min_plus_kernelIDF16_Dv2_DF16_S1_Li8ELi32ELi64ELi128ELi4ELi64ELi4ELi4ELi64ELc78ELc78ELb1ELb0ELb0EDF16_KPKDF16_KPDF16_EEviiiT16_PT17_ilS9_ilS7_S9_ilPT18_ili26rocblas_geam_ex_operation_
    .private_segment_fixed_size: 0
    .sgpr_count:     26
    .sgpr_spill_count: 0
    .symbol:         _ZN12_GLOBAL__N_120geam_min_plus_kernelIDF16_Dv2_DF16_S1_Li8ELi32ELi64ELi128ELi4ELi64ELi4ELi4ELi64ELc78ELc78ELb1ELb0ELb0EDF16_KPKDF16_KPDF16_EEviiiT16_PT17_ilS9_ilS7_S9_ilPT18_ili26rocblas_geam_ex_operation_.kd
    .uniform_work_group_size: 1
    .uses_dynamic_stack: false
    .vgpr_count:     128
    .vgpr_spill_count: 0
    .wavefront_size: 64
  - .agpr_count:     0
    .args:
      - .offset:         0
        .size:           4
        .value_kind:     by_value
      - .offset:         4
        .size:           4
        .value_kind:     by_value
      - .offset:         8
        .size:           4
        .value_kind:     by_value
      - .offset:         12
        .size:           2
        .value_kind:     by_value
      - .address_space:  global
        .offset:         16
        .size:           8
        .value_kind:     global_buffer
      - .offset:         24
        .size:           4
        .value_kind:     by_value
      - .offset:         32
        .size:           8
        .value_kind:     by_value
      - .address_space:  global
        .offset:         40
        .size:           8
        .value_kind:     global_buffer
      - .offset:         48
        .size:           4
        .value_kind:     by_value
      - .offset:         56
        .size:           8
        .value_kind:     by_value
      - .offset:         64
        .size:           2
        .value_kind:     by_value
      - .address_space:  global
        .offset:         72
        .size:           8
        .value_kind:     global_buffer
      - .offset:         80
        .size:           4
        .value_kind:     by_value
      - .offset:         88
        .size:           8
        .value_kind:     by_value
      - .address_space:  global
        .offset:         96
        .size:           8
        .value_kind:     global_buffer
      - .offset:         104
        .size:           4
        .value_kind:     by_value
      - .offset:         112
        .size:           8
        .value_kind:     by_value
      - .offset:         120
        .size:           4
        .value_kind:     by_value
      - .offset:         124
        .size:           4
        .value_kind:     by_value
    .group_segment_fixed_size: 3072
    .kernarg_segment_align: 8
    .kernarg_segment_size: 128
    .language:       OpenCL C
    .language_version:
      - 2
      - 0
    .max_flat_workgroup_size: 256
    .name:           _ZN12_GLOBAL__N_120geam_min_plus_kernelIDF16_Dv2_DF16_S1_Li8ELi32ELi64ELi128ELi4ELi64ELi4ELi4ELi64ELc78ELc78ELb0ELb0ELb0EDF16_KPKDF16_KPDF16_EEviiiT16_PT17_ilS9_ilS7_S9_ilPT18_ili26rocblas_geam_ex_operation_
    .private_segment_fixed_size: 0
    .sgpr_count:     32
    .sgpr_spill_count: 0
    .symbol:         _ZN12_GLOBAL__N_120geam_min_plus_kernelIDF16_Dv2_DF16_S1_Li8ELi32ELi64ELi128ELi4ELi64ELi4ELi4ELi64ELc78ELc78ELb0ELb0ELb0EDF16_KPKDF16_KPDF16_EEviiiT16_PT17_ilS9_ilS7_S9_ilPT18_ili26rocblas_geam_ex_operation_.kd
    .uniform_work_group_size: 1
    .uses_dynamic_stack: false
    .vgpr_count:     125
    .vgpr_spill_count: 0
    .wavefront_size: 64
  - .agpr_count:     0
    .args:
      - .offset:         0
        .size:           4
        .value_kind:     by_value
      - .offset:         4
        .size:           4
        .value_kind:     by_value
      - .offset:         8
        .size:           4
        .value_kind:     by_value
      - .address_space:  global
        .offset:         16
        .size:           8
        .value_kind:     global_buffer
      - .address_space:  global
        .offset:         24
        .size:           8
        .value_kind:     global_buffer
      - .offset:         32
        .size:           4
        .value_kind:     by_value
      - .offset:         40
        .size:           8
        .value_kind:     by_value
      - .address_space:  global
        .offset:         48
        .size:           8
        .value_kind:     global_buffer
      - .offset:         56
        .size:           4
        .value_kind:     by_value
      - .offset:         64
        .size:           8
        .value_kind:     by_value
      - .address_space:  global
        .offset:         72
        .size:           8
        .value_kind:     global_buffer
      - .address_space:  global
        .offset:         80
        .size:           8
        .value_kind:     global_buffer
      - .offset:         88
        .size:           4
        .value_kind:     by_value
      - .offset:         96
        .size:           8
        .value_kind:     by_value
      - .address_space:  global
        .offset:         104
        .size:           8
        .value_kind:     global_buffer
      - .offset:         112
        .size:           4
        .value_kind:     by_value
      - .offset:         120
        .size:           8
        .value_kind:     by_value
      - .offset:         128
        .size:           4
        .value_kind:     by_value
      - .offset:         132
        .size:           4
        .value_kind:     by_value
    .group_segment_fixed_size: 3072
    .kernarg_segment_align: 8
    .kernarg_segment_size: 136
    .language:       OpenCL C
    .language_version:
      - 2
      - 0
    .max_flat_workgroup_size: 256
    .name:           _ZN12_GLOBAL__N_120geam_min_plus_kernelIDF16_Dv2_DF16_S1_Li8ELi32ELi64ELi128ELi4ELi64ELi4ELi4ELi64ELc78ELc78ELb0ELb1ELb0EPKDF16_KS3_KPDF16_EEviiiT16_PT17_ilS9_ilS7_S9_ilPT18_ili26rocblas_geam_ex_operation_
    .private_segment_fixed_size: 0
    .sgpr_count:     40
    .sgpr_spill_count: 0
    .symbol:         _ZN12_GLOBAL__N_120geam_min_plus_kernelIDF16_Dv2_DF16_S1_Li8ELi32ELi64ELi128ELi4ELi64ELi4ELi4ELi64ELc78ELc78ELb0ELb1ELb0EPKDF16_KS3_KPDF16_EEviiiT16_PT17_ilS9_ilS7_S9_ilPT18_ili26rocblas_geam_ex_operation_.kd
    .uniform_work_group_size: 1
    .uses_dynamic_stack: false
    .vgpr_count:     126
    .vgpr_spill_count: 0
    .wavefront_size: 64
  - .agpr_count:     0
    .args:
      - .offset:         0
        .size:           4
        .value_kind:     by_value
      - .offset:         4
        .size:           4
        .value_kind:     by_value
      - .offset:         8
        .size:           4
        .value_kind:     by_value
      - .offset:         12
        .size:           2
        .value_kind:     by_value
      - .address_space:  global
        .offset:         16
        .size:           8
        .value_kind:     global_buffer
      - .offset:         24
        .size:           4
        .value_kind:     by_value
      - .offset:         32
        .size:           8
        .value_kind:     by_value
      - .address_space:  global
        .offset:         40
        .size:           8
        .value_kind:     global_buffer
      - .offset:         48
        .size:           4
        .value_kind:     by_value
      - .offset:         56
        .size:           8
        .value_kind:     by_value
      - .offset:         64
        .size:           2
        .value_kind:     by_value
      - .address_space:  global
        .offset:         72
        .size:           8
        .value_kind:     global_buffer
      - .offset:         80
        .size:           4
        .value_kind:     by_value
      - .offset:         88
        .size:           8
        .value_kind:     by_value
      - .address_space:  global
        .offset:         96
        .size:           8
        .value_kind:     global_buffer
      - .offset:         104
        .size:           4
        .value_kind:     by_value
      - .offset:         112
        .size:           8
        .value_kind:     by_value
      - .offset:         120
        .size:           4
        .value_kind:     by_value
      - .offset:         124
        .size:           4
        .value_kind:     by_value
    .group_segment_fixed_size: 3072
    .kernarg_segment_align: 8
    .kernarg_segment_size: 128
    .language:       OpenCL C
    .language_version:
      - 2
      - 0
    .max_flat_workgroup_size: 256
    .name:           _ZN12_GLOBAL__N_120geam_min_plus_kernelIDF16_Dv2_DF16_S1_Li8ELi32ELi64ELi128ELi4ELi64ELi4ELi4ELi64ELc78ELc78ELb1ELb1ELb0EDF16_KPKDF16_KPDF16_EEviiiT16_PT17_ilS9_ilS7_S9_ilPT18_ili26rocblas_geam_ex_operation_
    .private_segment_fixed_size: 0
    .sgpr_count:     42
    .sgpr_spill_count: 0
    .symbol:         _ZN12_GLOBAL__N_120geam_min_plus_kernelIDF16_Dv2_DF16_S1_Li8ELi32ELi64ELi128ELi4ELi64ELi4ELi4ELi64ELc78ELc78ELb1ELb1ELb0EDF16_KPKDF16_KPDF16_EEviiiT16_PT17_ilS9_ilS7_S9_ilPT18_ili26rocblas_geam_ex_operation_.kd
    .uniform_work_group_size: 1
    .uses_dynamic_stack: false
    .vgpr_count:     126
    .vgpr_spill_count: 0
    .wavefront_size: 64
  - .agpr_count:     0
    .args:
      - .offset:         0
        .size:           4
        .value_kind:     by_value
      - .offset:         4
        .size:           4
        .value_kind:     by_value
      - .offset:         8
        .size:           4
        .value_kind:     by_value
      - .offset:         12
        .size:           2
        .value_kind:     by_value
      - .address_space:  global
        .offset:         16
        .size:           8
        .value_kind:     global_buffer
      - .offset:         24
        .size:           4
        .value_kind:     by_value
      - .offset:         32
        .size:           8
        .value_kind:     by_value
      - .address_space:  global
        .offset:         40
        .size:           8
        .value_kind:     global_buffer
      - .offset:         48
        .size:           4
        .value_kind:     by_value
      - .offset:         56
        .size:           8
        .value_kind:     by_value
      - .offset:         64
        .size:           2
        .value_kind:     by_value
      - .address_space:  global
        .offset:         72
        .size:           8
        .value_kind:     global_buffer
      - .offset:         80
        .size:           4
        .value_kind:     by_value
      - .offset:         88
        .size:           8
        .value_kind:     by_value
      - .address_space:  global
        .offset:         96
        .size:           8
        .value_kind:     global_buffer
      - .offset:         104
        .size:           4
        .value_kind:     by_value
      - .offset:         112
        .size:           8
        .value_kind:     by_value
      - .offset:         120
        .size:           4
        .value_kind:     by_value
      - .offset:         124
        .size:           4
        .value_kind:     by_value
    .group_segment_fixed_size: 3072
    .kernarg_segment_align: 8
    .kernarg_segment_size: 128
    .language:       OpenCL C
    .language_version:
      - 2
      - 0
    .max_flat_workgroup_size: 256
    .name:           _ZN12_GLOBAL__N_120geam_min_plus_kernelIDF16_Dv2_DF16_S1_Li8ELi32ELi64ELi128ELi4ELi64ELi4ELi4ELi64ELc78ELc78ELb0ELb1ELb0EDF16_KPKDF16_KPDF16_EEviiiT16_PT17_ilS9_ilS7_S9_ilPT18_ili26rocblas_geam_ex_operation_
    .private_segment_fixed_size: 0
    .sgpr_count:     42
    .sgpr_spill_count: 0
    .symbol:         _ZN12_GLOBAL__N_120geam_min_plus_kernelIDF16_Dv2_DF16_S1_Li8ELi32ELi64ELi128ELi4ELi64ELi4ELi4ELi64ELc78ELc78ELb0ELb1ELb0EDF16_KPKDF16_KPDF16_EEviiiT16_PT17_ilS9_ilS7_S9_ilPT18_ili26rocblas_geam_ex_operation_.kd
    .uniform_work_group_size: 1
    .uses_dynamic_stack: false
    .vgpr_count:     124
    .vgpr_spill_count: 0
    .wavefront_size: 64
  - .agpr_count:     0
    .args:
      - .offset:         0
        .size:           4
        .value_kind:     by_value
      - .offset:         4
        .size:           4
        .value_kind:     by_value
      - .offset:         8
        .size:           4
        .value_kind:     by_value
      - .address_space:  global
        .offset:         16
        .size:           8
        .value_kind:     global_buffer
      - .address_space:  global
        .offset:         24
        .size:           8
        .value_kind:     global_buffer
      - .offset:         32
        .size:           4
        .value_kind:     by_value
      - .offset:         40
        .size:           8
        .value_kind:     by_value
      - .address_space:  global
        .offset:         48
        .size:           8
        .value_kind:     global_buffer
      - .offset:         56
        .size:           4
        .value_kind:     by_value
      - .offset:         64
        .size:           8
        .value_kind:     by_value
      - .address_space:  global
        .offset:         72
        .size:           8
        .value_kind:     global_buffer
      - .address_space:  global
        .offset:         80
        .size:           8
        .value_kind:     global_buffer
      - .offset:         88
        .size:           4
        .value_kind:     by_value
      - .offset:         96
        .size:           8
        .value_kind:     by_value
      - .address_space:  global
        .offset:         104
        .size:           8
        .value_kind:     global_buffer
      - .offset:         112
        .size:           4
        .value_kind:     by_value
      - .offset:         120
        .size:           8
        .value_kind:     by_value
      - .offset:         128
        .size:           4
        .value_kind:     by_value
      - .offset:         132
        .size:           4
        .value_kind:     by_value
    .group_segment_fixed_size: 3072
    .kernarg_segment_align: 8
    .kernarg_segment_size: 136
    .language:       OpenCL C
    .language_version:
      - 2
      - 0
    .max_flat_workgroup_size: 256
    .name:           _ZN12_GLOBAL__N_120geam_min_plus_kernelIDF16_Dv2_DF16_S1_Li8ELi32ELi64ELi128ELi4ELi4ELi64ELi4ELi64ELc84ELc78ELb0ELb0ELb0EPKDF16_KS3_KPDF16_EEviiiT16_PT17_ilS9_ilS7_S9_ilPT18_ili26rocblas_geam_ex_operation_
    .private_segment_fixed_size: 0
    .sgpr_count:     32
    .sgpr_spill_count: 0
    .symbol:         _ZN12_GLOBAL__N_120geam_min_plus_kernelIDF16_Dv2_DF16_S1_Li8ELi32ELi64ELi128ELi4ELi4ELi64ELi4ELi64ELc84ELc78ELb0ELb0ELb0EPKDF16_KS3_KPDF16_EEviiiT16_PT17_ilS9_ilS7_S9_ilPT18_ili26rocblas_geam_ex_operation_.kd
    .uniform_work_group_size: 1
    .uses_dynamic_stack: false
    .vgpr_count:     123
    .vgpr_spill_count: 0
    .wavefront_size: 64
  - .agpr_count:     0
    .args:
      - .offset:         0
        .size:           4
        .value_kind:     by_value
      - .offset:         4
        .size:           4
        .value_kind:     by_value
      - .offset:         8
        .size:           4
        .value_kind:     by_value
      - .offset:         12
        .size:           2
        .value_kind:     by_value
      - .address_space:  global
        .offset:         16
        .size:           8
        .value_kind:     global_buffer
      - .offset:         24
        .size:           4
        .value_kind:     by_value
      - .offset:         32
        .size:           8
        .value_kind:     by_value
      - .address_space:  global
        .offset:         40
        .size:           8
        .value_kind:     global_buffer
      - .offset:         48
        .size:           4
        .value_kind:     by_value
      - .offset:         56
        .size:           8
        .value_kind:     by_value
      - .offset:         64
        .size:           2
        .value_kind:     by_value
      - .address_space:  global
        .offset:         72
        .size:           8
        .value_kind:     global_buffer
      - .offset:         80
        .size:           4
        .value_kind:     by_value
      - .offset:         88
        .size:           8
        .value_kind:     by_value
      - .address_space:  global
        .offset:         96
        .size:           8
        .value_kind:     global_buffer
      - .offset:         104
        .size:           4
        .value_kind:     by_value
      - .offset:         112
        .size:           8
        .value_kind:     by_value
      - .offset:         120
        .size:           4
        .value_kind:     by_value
      - .offset:         124
        .size:           4
        .value_kind:     by_value
    .group_segment_fixed_size: 3072
    .kernarg_segment_align: 8
    .kernarg_segment_size: 128
    .language:       OpenCL C
    .language_version:
      - 2
      - 0
    .max_flat_workgroup_size: 256
    .name:           _ZN12_GLOBAL__N_120geam_min_plus_kernelIDF16_Dv2_DF16_S1_Li8ELi32ELi64ELi128ELi4ELi4ELi64ELi4ELi64ELc84ELc78ELb1ELb0ELb0EDF16_KPKDF16_KPDF16_EEviiiT16_PT17_ilS9_ilS7_S9_ilPT18_ili26rocblas_geam_ex_operation_
    .private_segment_fixed_size: 0
    .sgpr_count:     26
    .sgpr_spill_count: 0
    .symbol:         _ZN12_GLOBAL__N_120geam_min_plus_kernelIDF16_Dv2_DF16_S1_Li8ELi32ELi64ELi128ELi4ELi4ELi64ELi4ELi64ELc84ELc78ELb1ELb0ELb0EDF16_KPKDF16_KPDF16_EEviiiT16_PT17_ilS9_ilS7_S9_ilPT18_ili26rocblas_geam_ex_operation_.kd
    .uniform_work_group_size: 1
    .uses_dynamic_stack: false
    .vgpr_count:     126
    .vgpr_spill_count: 0
    .wavefront_size: 64
  - .agpr_count:     0
    .args:
      - .offset:         0
        .size:           4
        .value_kind:     by_value
      - .offset:         4
        .size:           4
        .value_kind:     by_value
      - .offset:         8
        .size:           4
        .value_kind:     by_value
      - .offset:         12
        .size:           2
        .value_kind:     by_value
      - .address_space:  global
        .offset:         16
        .size:           8
        .value_kind:     global_buffer
      - .offset:         24
        .size:           4
        .value_kind:     by_value
      - .offset:         32
        .size:           8
        .value_kind:     by_value
      - .address_space:  global
        .offset:         40
        .size:           8
        .value_kind:     global_buffer
      - .offset:         48
        .size:           4
        .value_kind:     by_value
      - .offset:         56
        .size:           8
        .value_kind:     by_value
      - .offset:         64
        .size:           2
        .value_kind:     by_value
      - .address_space:  global
        .offset:         72
        .size:           8
        .value_kind:     global_buffer
      - .offset:         80
        .size:           4
        .value_kind:     by_value
      - .offset:         88
        .size:           8
        .value_kind:     by_value
      - .address_space:  global
        .offset:         96
        .size:           8
        .value_kind:     global_buffer
      - .offset:         104
        .size:           4
        .value_kind:     by_value
      - .offset:         112
        .size:           8
        .value_kind:     by_value
      - .offset:         120
        .size:           4
        .value_kind:     by_value
      - .offset:         124
        .size:           4
        .value_kind:     by_value
    .group_segment_fixed_size: 3072
    .kernarg_segment_align: 8
    .kernarg_segment_size: 128
    .language:       OpenCL C
    .language_version:
      - 2
      - 0
    .max_flat_workgroup_size: 256
    .name:           _ZN12_GLOBAL__N_120geam_min_plus_kernelIDF16_Dv2_DF16_S1_Li8ELi32ELi64ELi128ELi4ELi4ELi64ELi4ELi64ELc84ELc78ELb0ELb0ELb0EDF16_KPKDF16_KPDF16_EEviiiT16_PT17_ilS9_ilS7_S9_ilPT18_ili26rocblas_geam_ex_operation_
    .private_segment_fixed_size: 0
    .sgpr_count:     32
    .sgpr_spill_count: 0
    .symbol:         _ZN12_GLOBAL__N_120geam_min_plus_kernelIDF16_Dv2_DF16_S1_Li8ELi32ELi64ELi128ELi4ELi4ELi64ELi4ELi64ELc84ELc78ELb0ELb0ELb0EDF16_KPKDF16_KPDF16_EEviiiT16_PT17_ilS9_ilS7_S9_ilPT18_ili26rocblas_geam_ex_operation_.kd
    .uniform_work_group_size: 1
    .uses_dynamic_stack: false
    .vgpr_count:     121
    .vgpr_spill_count: 0
    .wavefront_size: 64
  - .agpr_count:     0
    .args:
      - .offset:         0
        .size:           4
        .value_kind:     by_value
      - .offset:         4
        .size:           4
        .value_kind:     by_value
      - .offset:         8
        .size:           4
        .value_kind:     by_value
      - .address_space:  global
        .offset:         16
        .size:           8
        .value_kind:     global_buffer
      - .address_space:  global
        .offset:         24
        .size:           8
        .value_kind:     global_buffer
      - .offset:         32
        .size:           4
        .value_kind:     by_value
      - .offset:         40
        .size:           8
        .value_kind:     by_value
      - .address_space:  global
        .offset:         48
        .size:           8
        .value_kind:     global_buffer
      - .offset:         56
        .size:           4
        .value_kind:     by_value
      - .offset:         64
        .size:           8
        .value_kind:     by_value
      - .address_space:  global
        .offset:         72
        .size:           8
        .value_kind:     global_buffer
      - .address_space:  global
        .offset:         80
        .size:           8
        .value_kind:     global_buffer
      - .offset:         88
        .size:           4
        .value_kind:     by_value
      - .offset:         96
        .size:           8
        .value_kind:     by_value
      - .address_space:  global
        .offset:         104
        .size:           8
        .value_kind:     global_buffer
      - .offset:         112
        .size:           4
        .value_kind:     by_value
      - .offset:         120
        .size:           8
        .value_kind:     by_value
      - .offset:         128
        .size:           4
        .value_kind:     by_value
      - .offset:         132
        .size:           4
        .value_kind:     by_value
    .group_segment_fixed_size: 3072
    .kernarg_segment_align: 8
    .kernarg_segment_size: 136
    .language:       OpenCL C
    .language_version:
      - 2
      - 0
    .max_flat_workgroup_size: 256
    .name:           _ZN12_GLOBAL__N_120geam_min_plus_kernelIDF16_Dv2_DF16_S1_Li8ELi32ELi64ELi128ELi4ELi4ELi64ELi4ELi64ELc84ELc78ELb0ELb1ELb0EPKDF16_KS3_KPDF16_EEviiiT16_PT17_ilS9_ilS7_S9_ilPT18_ili26rocblas_geam_ex_operation_
    .private_segment_fixed_size: 0
    .sgpr_count:     42
    .sgpr_spill_count: 0
    .symbol:         _ZN12_GLOBAL__N_120geam_min_plus_kernelIDF16_Dv2_DF16_S1_Li8ELi32ELi64ELi128ELi4ELi4ELi64ELi4ELi64ELc84ELc78ELb0ELb1ELb0EPKDF16_KS3_KPDF16_EEviiiT16_PT17_ilS9_ilS7_S9_ilPT18_ili26rocblas_geam_ex_operation_.kd
    .uniform_work_group_size: 1
    .uses_dynamic_stack: false
    .vgpr_count:     121
    .vgpr_spill_count: 0
    .wavefront_size: 64
  - .agpr_count:     0
    .args:
      - .offset:         0
        .size:           4
        .value_kind:     by_value
      - .offset:         4
        .size:           4
        .value_kind:     by_value
      - .offset:         8
        .size:           4
        .value_kind:     by_value
      - .offset:         12
        .size:           2
        .value_kind:     by_value
      - .address_space:  global
        .offset:         16
        .size:           8
        .value_kind:     global_buffer
      - .offset:         24
        .size:           4
        .value_kind:     by_value
      - .offset:         32
        .size:           8
        .value_kind:     by_value
      - .address_space:  global
        .offset:         40
        .size:           8
        .value_kind:     global_buffer
      - .offset:         48
        .size:           4
        .value_kind:     by_value
      - .offset:         56
        .size:           8
        .value_kind:     by_value
      - .offset:         64
        .size:           2
        .value_kind:     by_value
      - .address_space:  global
        .offset:         72
        .size:           8
        .value_kind:     global_buffer
      - .offset:         80
        .size:           4
        .value_kind:     by_value
      - .offset:         88
        .size:           8
        .value_kind:     by_value
      - .address_space:  global
        .offset:         96
        .size:           8
        .value_kind:     global_buffer
      - .offset:         104
        .size:           4
        .value_kind:     by_value
      - .offset:         112
        .size:           8
        .value_kind:     by_value
      - .offset:         120
        .size:           4
        .value_kind:     by_value
      - .offset:         124
        .size:           4
        .value_kind:     by_value
    .group_segment_fixed_size: 3072
    .kernarg_segment_align: 8
    .kernarg_segment_size: 128
    .language:       OpenCL C
    .language_version:
      - 2
      - 0
    .max_flat_workgroup_size: 256
    .name:           _ZN12_GLOBAL__N_120geam_min_plus_kernelIDF16_Dv2_DF16_S1_Li8ELi32ELi64ELi128ELi4ELi4ELi64ELi4ELi64ELc84ELc78ELb1ELb1ELb0EDF16_KPKDF16_KPDF16_EEviiiT16_PT17_ilS9_ilS7_S9_ilPT18_ili26rocblas_geam_ex_operation_
    .private_segment_fixed_size: 0
    .sgpr_count:     42
    .sgpr_spill_count: 0
    .symbol:         _ZN12_GLOBAL__N_120geam_min_plus_kernelIDF16_Dv2_DF16_S1_Li8ELi32ELi64ELi128ELi4ELi4ELi64ELi4ELi64ELc84ELc78ELb1ELb1ELb0EDF16_KPKDF16_KPDF16_EEviiiT16_PT17_ilS9_ilS7_S9_ilPT18_ili26rocblas_geam_ex_operation_.kd
    .uniform_work_group_size: 1
    .uses_dynamic_stack: false
    .vgpr_count:     121
    .vgpr_spill_count: 0
    .wavefront_size: 64
  - .agpr_count:     0
    .args:
      - .offset:         0
        .size:           4
        .value_kind:     by_value
      - .offset:         4
        .size:           4
        .value_kind:     by_value
      - .offset:         8
        .size:           4
        .value_kind:     by_value
      - .offset:         12
        .size:           2
        .value_kind:     by_value
      - .address_space:  global
        .offset:         16
        .size:           8
        .value_kind:     global_buffer
      - .offset:         24
        .size:           4
        .value_kind:     by_value
      - .offset:         32
        .size:           8
        .value_kind:     by_value
      - .address_space:  global
        .offset:         40
        .size:           8
        .value_kind:     global_buffer
      - .offset:         48
        .size:           4
        .value_kind:     by_value
      - .offset:         56
        .size:           8
        .value_kind:     by_value
      - .offset:         64
        .size:           2
        .value_kind:     by_value
      - .address_space:  global
        .offset:         72
        .size:           8
        .value_kind:     global_buffer
      - .offset:         80
        .size:           4
        .value_kind:     by_value
      - .offset:         88
        .size:           8
        .value_kind:     by_value
      - .address_space:  global
        .offset:         96
        .size:           8
        .value_kind:     global_buffer
      - .offset:         104
        .size:           4
        .value_kind:     by_value
      - .offset:         112
        .size:           8
        .value_kind:     by_value
      - .offset:         120
        .size:           4
        .value_kind:     by_value
      - .offset:         124
        .size:           4
        .value_kind:     by_value
    .group_segment_fixed_size: 3072
    .kernarg_segment_align: 8
    .kernarg_segment_size: 128
    .language:       OpenCL C
    .language_version:
      - 2
      - 0
    .max_flat_workgroup_size: 256
    .name:           _ZN12_GLOBAL__N_120geam_min_plus_kernelIDF16_Dv2_DF16_S1_Li8ELi32ELi64ELi128ELi4ELi4ELi64ELi4ELi64ELc84ELc78ELb0ELb1ELb0EDF16_KPKDF16_KPDF16_EEviiiT16_PT17_ilS9_ilS7_S9_ilPT18_ili26rocblas_geam_ex_operation_
    .private_segment_fixed_size: 0
    .sgpr_count:     44
    .sgpr_spill_count: 0
    .symbol:         _ZN12_GLOBAL__N_120geam_min_plus_kernelIDF16_Dv2_DF16_S1_Li8ELi32ELi64ELi128ELi4ELi4ELi64ELi4ELi64ELc84ELc78ELb0ELb1ELb0EDF16_KPKDF16_KPDF16_EEviiiT16_PT17_ilS9_ilS7_S9_ilPT18_ili26rocblas_geam_ex_operation_.kd
    .uniform_work_group_size: 1
    .uses_dynamic_stack: false
    .vgpr_count:     119
    .vgpr_spill_count: 0
    .wavefront_size: 64
  - .agpr_count:     0
    .args:
      - .offset:         0
        .size:           4
        .value_kind:     by_value
      - .offset:         4
        .size:           4
        .value_kind:     by_value
      - .offset:         8
        .size:           4
        .value_kind:     by_value
      - .address_space:  global
        .offset:         16
        .size:           8
        .value_kind:     global_buffer
      - .address_space:  global
        .offset:         24
        .size:           8
        .value_kind:     global_buffer
      - .offset:         32
        .size:           4
        .value_kind:     by_value
      - .offset:         40
        .size:           8
        .value_kind:     by_value
      - .address_space:  global
        .offset:         48
        .size:           8
        .value_kind:     global_buffer
      - .offset:         56
        .size:           4
        .value_kind:     by_value
      - .offset:         64
        .size:           8
        .value_kind:     by_value
      - .address_space:  global
        .offset:         72
        .size:           8
        .value_kind:     global_buffer
      - .address_space:  global
        .offset:         80
        .size:           8
        .value_kind:     global_buffer
      - .offset:         88
        .size:           4
        .value_kind:     by_value
      - .offset:         96
        .size:           8
        .value_kind:     by_value
      - .address_space:  global
        .offset:         104
        .size:           8
        .value_kind:     global_buffer
      - .offset:         112
        .size:           4
        .value_kind:     by_value
      - .offset:         120
        .size:           8
        .value_kind:     by_value
      - .offset:         128
        .size:           4
        .value_kind:     by_value
      - .offset:         132
        .size:           4
        .value_kind:     by_value
    .group_segment_fixed_size: 3072
    .kernarg_segment_align: 8
    .kernarg_segment_size: 136
    .language:       OpenCL C
    .language_version:
      - 2
      - 0
    .max_flat_workgroup_size: 256
    .name:           _ZN12_GLOBAL__N_120geam_min_plus_kernelIDF16_Dv2_DF16_S1_Li8ELi32ELi64ELi128ELi4ELi64ELi4ELi64ELi4ELc78ELc84ELb0ELb0ELb0EPKDF16_KS3_KPDF16_EEviiiT16_PT17_ilS9_ilS7_S9_ilPT18_ili26rocblas_geam_ex_operation_
    .private_segment_fixed_size: 0
    .sgpr_count:     32
    .sgpr_spill_count: 0
    .symbol:         _ZN12_GLOBAL__N_120geam_min_plus_kernelIDF16_Dv2_DF16_S1_Li8ELi32ELi64ELi128ELi4ELi64ELi4ELi64ELi4ELc78ELc84ELb0ELb0ELb0EPKDF16_KS3_KPDF16_EEviiiT16_PT17_ilS9_ilS7_S9_ilPT18_ili26rocblas_geam_ex_operation_.kd
    .uniform_work_group_size: 1
    .uses_dynamic_stack: false
    .vgpr_count:     127
    .vgpr_spill_count: 0
    .wavefront_size: 64
  - .agpr_count:     0
    .args:
      - .offset:         0
        .size:           4
        .value_kind:     by_value
      - .offset:         4
        .size:           4
        .value_kind:     by_value
      - .offset:         8
        .size:           4
        .value_kind:     by_value
      - .offset:         12
        .size:           2
        .value_kind:     by_value
      - .address_space:  global
        .offset:         16
        .size:           8
        .value_kind:     global_buffer
      - .offset:         24
        .size:           4
        .value_kind:     by_value
      - .offset:         32
        .size:           8
        .value_kind:     by_value
      - .address_space:  global
        .offset:         40
        .size:           8
        .value_kind:     global_buffer
      - .offset:         48
        .size:           4
        .value_kind:     by_value
      - .offset:         56
        .size:           8
        .value_kind:     by_value
      - .offset:         64
        .size:           2
        .value_kind:     by_value
      - .address_space:  global
        .offset:         72
        .size:           8
        .value_kind:     global_buffer
      - .offset:         80
        .size:           4
        .value_kind:     by_value
      - .offset:         88
        .size:           8
        .value_kind:     by_value
      - .address_space:  global
        .offset:         96
        .size:           8
        .value_kind:     global_buffer
      - .offset:         104
        .size:           4
        .value_kind:     by_value
      - .offset:         112
        .size:           8
        .value_kind:     by_value
      - .offset:         120
        .size:           4
        .value_kind:     by_value
      - .offset:         124
        .size:           4
        .value_kind:     by_value
    .group_segment_fixed_size: 3072
    .kernarg_segment_align: 8
    .kernarg_segment_size: 128
    .language:       OpenCL C
    .language_version:
      - 2
      - 0
    .max_flat_workgroup_size: 256
    .name:           _ZN12_GLOBAL__N_120geam_min_plus_kernelIDF16_Dv2_DF16_S1_Li8ELi32ELi64ELi128ELi4ELi64ELi4ELi64ELi4ELc78ELc84ELb1ELb0ELb0EDF16_KPKDF16_KPDF16_EEviiiT16_PT17_ilS9_ilS7_S9_ilPT18_ili26rocblas_geam_ex_operation_
    .private_segment_fixed_size: 0
    .sgpr_count:     28
    .sgpr_spill_count: 0
    .symbol:         _ZN12_GLOBAL__N_120geam_min_plus_kernelIDF16_Dv2_DF16_S1_Li8ELi32ELi64ELi128ELi4ELi64ELi4ELi64ELi4ELc78ELc84ELb1ELb0ELb0EDF16_KPKDF16_KPDF16_EEviiiT16_PT17_ilS9_ilS7_S9_ilPT18_ili26rocblas_geam_ex_operation_.kd
    .uniform_work_group_size: 1
    .uses_dynamic_stack: false
    .vgpr_count:     132
    .vgpr_spill_count: 0
    .wavefront_size: 64
  - .agpr_count:     0
    .args:
      - .offset:         0
        .size:           4
        .value_kind:     by_value
      - .offset:         4
        .size:           4
        .value_kind:     by_value
      - .offset:         8
        .size:           4
        .value_kind:     by_value
      - .offset:         12
        .size:           2
        .value_kind:     by_value
      - .address_space:  global
        .offset:         16
        .size:           8
        .value_kind:     global_buffer
      - .offset:         24
        .size:           4
        .value_kind:     by_value
      - .offset:         32
        .size:           8
        .value_kind:     by_value
      - .address_space:  global
        .offset:         40
        .size:           8
        .value_kind:     global_buffer
      - .offset:         48
        .size:           4
        .value_kind:     by_value
      - .offset:         56
        .size:           8
        .value_kind:     by_value
      - .offset:         64
        .size:           2
        .value_kind:     by_value
      - .address_space:  global
        .offset:         72
        .size:           8
        .value_kind:     global_buffer
      - .offset:         80
        .size:           4
        .value_kind:     by_value
      - .offset:         88
        .size:           8
        .value_kind:     by_value
      - .address_space:  global
        .offset:         96
        .size:           8
        .value_kind:     global_buffer
      - .offset:         104
        .size:           4
        .value_kind:     by_value
      - .offset:         112
        .size:           8
        .value_kind:     by_value
      - .offset:         120
        .size:           4
        .value_kind:     by_value
      - .offset:         124
        .size:           4
        .value_kind:     by_value
    .group_segment_fixed_size: 3072
    .kernarg_segment_align: 8
    .kernarg_segment_size: 128
    .language:       OpenCL C
    .language_version:
      - 2
      - 0
    .max_flat_workgroup_size: 256
    .name:           _ZN12_GLOBAL__N_120geam_min_plus_kernelIDF16_Dv2_DF16_S1_Li8ELi32ELi64ELi128ELi4ELi64ELi4ELi64ELi4ELc78ELc84ELb0ELb0ELb0EDF16_KPKDF16_KPDF16_EEviiiT16_PT17_ilS9_ilS7_S9_ilPT18_ili26rocblas_geam_ex_operation_
    .private_segment_fixed_size: 0
    .sgpr_count:     35
    .sgpr_spill_count: 0
    .symbol:         _ZN12_GLOBAL__N_120geam_min_plus_kernelIDF16_Dv2_DF16_S1_Li8ELi32ELi64ELi128ELi4ELi64ELi4ELi64ELi4ELc78ELc84ELb0ELb0ELb0EDF16_KPKDF16_KPDF16_EEviiiT16_PT17_ilS9_ilS7_S9_ilPT18_ili26rocblas_geam_ex_operation_.kd
    .uniform_work_group_size: 1
    .uses_dynamic_stack: false
    .vgpr_count:     125
    .vgpr_spill_count: 0
    .wavefront_size: 64
  - .agpr_count:     0
    .args:
      - .offset:         0
        .size:           4
        .value_kind:     by_value
      - .offset:         4
        .size:           4
        .value_kind:     by_value
      - .offset:         8
        .size:           4
        .value_kind:     by_value
      - .address_space:  global
        .offset:         16
        .size:           8
        .value_kind:     global_buffer
      - .address_space:  global
        .offset:         24
        .size:           8
        .value_kind:     global_buffer
      - .offset:         32
        .size:           4
        .value_kind:     by_value
      - .offset:         40
        .size:           8
        .value_kind:     by_value
      - .address_space:  global
        .offset:         48
        .size:           8
        .value_kind:     global_buffer
      - .offset:         56
        .size:           4
        .value_kind:     by_value
      - .offset:         64
        .size:           8
        .value_kind:     by_value
      - .address_space:  global
        .offset:         72
        .size:           8
        .value_kind:     global_buffer
      - .address_space:  global
        .offset:         80
        .size:           8
        .value_kind:     global_buffer
      - .offset:         88
        .size:           4
        .value_kind:     by_value
      - .offset:         96
        .size:           8
        .value_kind:     by_value
      - .address_space:  global
        .offset:         104
        .size:           8
        .value_kind:     global_buffer
      - .offset:         112
        .size:           4
        .value_kind:     by_value
      - .offset:         120
        .size:           8
        .value_kind:     by_value
      - .offset:         128
        .size:           4
        .value_kind:     by_value
      - .offset:         132
        .size:           4
        .value_kind:     by_value
    .group_segment_fixed_size: 3072
    .kernarg_segment_align: 8
    .kernarg_segment_size: 136
    .language:       OpenCL C
    .language_version:
      - 2
      - 0
    .max_flat_workgroup_size: 256
    .name:           _ZN12_GLOBAL__N_120geam_min_plus_kernelIDF16_Dv2_DF16_S1_Li8ELi32ELi64ELi128ELi4ELi64ELi4ELi64ELi4ELc78ELc84ELb0ELb1ELb0EPKDF16_KS3_KPDF16_EEviiiT16_PT17_ilS9_ilS7_S9_ilPT18_ili26rocblas_geam_ex_operation_
    .private_segment_fixed_size: 0
    .sgpr_count:     42
    .sgpr_spill_count: 0
    .symbol:         _ZN12_GLOBAL__N_120geam_min_plus_kernelIDF16_Dv2_DF16_S1_Li8ELi32ELi64ELi128ELi4ELi64ELi4ELi64ELi4ELc78ELc84ELb0ELb1ELb0EPKDF16_KS3_KPDF16_EEviiiT16_PT17_ilS9_ilS7_S9_ilPT18_ili26rocblas_geam_ex_operation_.kd
    .uniform_work_group_size: 1
    .uses_dynamic_stack: false
    .vgpr_count:     123
    .vgpr_spill_count: 0
    .wavefront_size: 64
  - .agpr_count:     0
    .args:
      - .offset:         0
        .size:           4
        .value_kind:     by_value
      - .offset:         4
        .size:           4
        .value_kind:     by_value
      - .offset:         8
        .size:           4
        .value_kind:     by_value
      - .offset:         12
        .size:           2
        .value_kind:     by_value
      - .address_space:  global
        .offset:         16
        .size:           8
        .value_kind:     global_buffer
      - .offset:         24
        .size:           4
        .value_kind:     by_value
      - .offset:         32
        .size:           8
        .value_kind:     by_value
      - .address_space:  global
        .offset:         40
        .size:           8
        .value_kind:     global_buffer
      - .offset:         48
        .size:           4
        .value_kind:     by_value
      - .offset:         56
        .size:           8
        .value_kind:     by_value
      - .offset:         64
        .size:           2
        .value_kind:     by_value
      - .address_space:  global
        .offset:         72
        .size:           8
        .value_kind:     global_buffer
      - .offset:         80
        .size:           4
        .value_kind:     by_value
      - .offset:         88
        .size:           8
        .value_kind:     by_value
      - .address_space:  global
        .offset:         96
        .size:           8
        .value_kind:     global_buffer
      - .offset:         104
        .size:           4
        .value_kind:     by_value
      - .offset:         112
        .size:           8
        .value_kind:     by_value
      - .offset:         120
        .size:           4
        .value_kind:     by_value
      - .offset:         124
        .size:           4
        .value_kind:     by_value
    .group_segment_fixed_size: 3072
    .kernarg_segment_align: 8
    .kernarg_segment_size: 128
    .language:       OpenCL C
    .language_version:
      - 2
      - 0
    .max_flat_workgroup_size: 256
    .name:           _ZN12_GLOBAL__N_120geam_min_plus_kernelIDF16_Dv2_DF16_S1_Li8ELi32ELi64ELi128ELi4ELi64ELi4ELi64ELi4ELc78ELc84ELb1ELb1ELb0EDF16_KPKDF16_KPDF16_EEviiiT16_PT17_ilS9_ilS7_S9_ilPT18_ili26rocblas_geam_ex_operation_
    .private_segment_fixed_size: 0
    .sgpr_count:     42
    .sgpr_spill_count: 0
    .symbol:         _ZN12_GLOBAL__N_120geam_min_plus_kernelIDF16_Dv2_DF16_S1_Li8ELi32ELi64ELi128ELi4ELi64ELi4ELi64ELi4ELc78ELc84ELb1ELb1ELb0EDF16_KPKDF16_KPDF16_EEviiiT16_PT17_ilS9_ilS7_S9_ilPT18_ili26rocblas_geam_ex_operation_.kd
    .uniform_work_group_size: 1
    .uses_dynamic_stack: false
    .vgpr_count:     125
    .vgpr_spill_count: 0
    .wavefront_size: 64
  - .agpr_count:     0
    .args:
      - .offset:         0
        .size:           4
        .value_kind:     by_value
      - .offset:         4
        .size:           4
        .value_kind:     by_value
      - .offset:         8
        .size:           4
        .value_kind:     by_value
      - .offset:         12
        .size:           2
        .value_kind:     by_value
      - .address_space:  global
        .offset:         16
        .size:           8
        .value_kind:     global_buffer
      - .offset:         24
        .size:           4
        .value_kind:     by_value
      - .offset:         32
        .size:           8
        .value_kind:     by_value
      - .address_space:  global
        .offset:         40
        .size:           8
        .value_kind:     global_buffer
      - .offset:         48
        .size:           4
        .value_kind:     by_value
      - .offset:         56
        .size:           8
        .value_kind:     by_value
      - .offset:         64
        .size:           2
        .value_kind:     by_value
      - .address_space:  global
        .offset:         72
        .size:           8
        .value_kind:     global_buffer
      - .offset:         80
        .size:           4
        .value_kind:     by_value
      - .offset:         88
        .size:           8
        .value_kind:     by_value
      - .address_space:  global
        .offset:         96
        .size:           8
        .value_kind:     global_buffer
      - .offset:         104
        .size:           4
        .value_kind:     by_value
      - .offset:         112
        .size:           8
        .value_kind:     by_value
      - .offset:         120
        .size:           4
        .value_kind:     by_value
      - .offset:         124
        .size:           4
        .value_kind:     by_value
    .group_segment_fixed_size: 3072
    .kernarg_segment_align: 8
    .kernarg_segment_size: 128
    .language:       OpenCL C
    .language_version:
      - 2
      - 0
    .max_flat_workgroup_size: 256
    .name:           _ZN12_GLOBAL__N_120geam_min_plus_kernelIDF16_Dv2_DF16_S1_Li8ELi32ELi64ELi128ELi4ELi64ELi4ELi64ELi4ELc78ELc84ELb0ELb1ELb0EDF16_KPKDF16_KPDF16_EEviiiT16_PT17_ilS9_ilS7_S9_ilPT18_ili26rocblas_geam_ex_operation_
    .private_segment_fixed_size: 0
    .sgpr_count:     44
    .sgpr_spill_count: 0
    .symbol:         _ZN12_GLOBAL__N_120geam_min_plus_kernelIDF16_Dv2_DF16_S1_Li8ELi32ELi64ELi128ELi4ELi64ELi4ELi64ELi4ELc78ELc84ELb0ELb1ELb0EDF16_KPKDF16_KPDF16_EEviiiT16_PT17_ilS9_ilS7_S9_ilPT18_ili26rocblas_geam_ex_operation_.kd
    .uniform_work_group_size: 1
    .uses_dynamic_stack: false
    .vgpr_count:     121
    .vgpr_spill_count: 0
    .wavefront_size: 64
  - .agpr_count:     0
    .args:
      - .offset:         0
        .size:           4
        .value_kind:     by_value
      - .offset:         4
        .size:           4
        .value_kind:     by_value
      - .offset:         8
        .size:           4
        .value_kind:     by_value
      - .address_space:  global
        .offset:         16
        .size:           8
        .value_kind:     global_buffer
      - .address_space:  global
        .offset:         24
        .size:           8
        .value_kind:     global_buffer
      - .offset:         32
        .size:           4
        .value_kind:     by_value
      - .offset:         40
        .size:           8
        .value_kind:     by_value
      - .address_space:  global
        .offset:         48
        .size:           8
        .value_kind:     global_buffer
      - .offset:         56
        .size:           4
        .value_kind:     by_value
      - .offset:         64
        .size:           8
        .value_kind:     by_value
      - .address_space:  global
        .offset:         72
        .size:           8
        .value_kind:     global_buffer
      - .address_space:  global
        .offset:         80
        .size:           8
        .value_kind:     global_buffer
      - .offset:         88
        .size:           4
        .value_kind:     by_value
      - .offset:         96
        .size:           8
        .value_kind:     by_value
      - .address_space:  global
        .offset:         104
        .size:           8
        .value_kind:     global_buffer
      - .offset:         112
        .size:           4
        .value_kind:     by_value
      - .offset:         120
        .size:           8
        .value_kind:     by_value
      - .offset:         128
        .size:           4
        .value_kind:     by_value
      - .offset:         132
        .size:           4
        .value_kind:     by_value
    .group_segment_fixed_size: 3072
    .kernarg_segment_align: 8
    .kernarg_segment_size: 136
    .language:       OpenCL C
    .language_version:
      - 2
      - 0
    .max_flat_workgroup_size: 256
    .name:           _ZN12_GLOBAL__N_120geam_min_plus_kernelIDF16_Dv2_DF16_S1_Li8ELi32ELi64ELi128ELi4ELi4ELi64ELi64ELi4ELc84ELc84ELb0ELb0ELb0EPKDF16_KS3_KPDF16_EEviiiT16_PT17_ilS9_ilS7_S9_ilPT18_ili26rocblas_geam_ex_operation_
    .private_segment_fixed_size: 0
    .sgpr_count:     32
    .sgpr_spill_count: 0
    .symbol:         _ZN12_GLOBAL__N_120geam_min_plus_kernelIDF16_Dv2_DF16_S1_Li8ELi32ELi64ELi128ELi4ELi4ELi64ELi64ELi4ELc84ELc84ELb0ELb0ELb0EPKDF16_KS3_KPDF16_EEviiiT16_PT17_ilS9_ilS7_S9_ilPT18_ili26rocblas_geam_ex_operation_.kd
    .uniform_work_group_size: 1
    .uses_dynamic_stack: false
    .vgpr_count:     123
    .vgpr_spill_count: 0
    .wavefront_size: 64
  - .agpr_count:     0
    .args:
      - .offset:         0
        .size:           4
        .value_kind:     by_value
      - .offset:         4
        .size:           4
        .value_kind:     by_value
      - .offset:         8
        .size:           4
        .value_kind:     by_value
      - .offset:         12
        .size:           2
        .value_kind:     by_value
      - .address_space:  global
        .offset:         16
        .size:           8
        .value_kind:     global_buffer
      - .offset:         24
        .size:           4
        .value_kind:     by_value
      - .offset:         32
        .size:           8
        .value_kind:     by_value
      - .address_space:  global
        .offset:         40
        .size:           8
        .value_kind:     global_buffer
      - .offset:         48
        .size:           4
        .value_kind:     by_value
      - .offset:         56
        .size:           8
        .value_kind:     by_value
      - .offset:         64
        .size:           2
        .value_kind:     by_value
      - .address_space:  global
        .offset:         72
        .size:           8
        .value_kind:     global_buffer
      - .offset:         80
        .size:           4
        .value_kind:     by_value
      - .offset:         88
        .size:           8
        .value_kind:     by_value
      - .address_space:  global
        .offset:         96
        .size:           8
        .value_kind:     global_buffer
      - .offset:         104
        .size:           4
        .value_kind:     by_value
      - .offset:         112
        .size:           8
        .value_kind:     by_value
      - .offset:         120
        .size:           4
        .value_kind:     by_value
      - .offset:         124
        .size:           4
        .value_kind:     by_value
    .group_segment_fixed_size: 3072
    .kernarg_segment_align: 8
    .kernarg_segment_size: 128
    .language:       OpenCL C
    .language_version:
      - 2
      - 0
    .max_flat_workgroup_size: 256
    .name:           _ZN12_GLOBAL__N_120geam_min_plus_kernelIDF16_Dv2_DF16_S1_Li8ELi32ELi64ELi128ELi4ELi4ELi64ELi64ELi4ELc84ELc84ELb1ELb0ELb0EDF16_KPKDF16_KPDF16_EEviiiT16_PT17_ilS9_ilS7_S9_ilPT18_ili26rocblas_geam_ex_operation_
    .private_segment_fixed_size: 0
    .sgpr_count:     26
    .sgpr_spill_count: 0
    .symbol:         _ZN12_GLOBAL__N_120geam_min_plus_kernelIDF16_Dv2_DF16_S1_Li8ELi32ELi64ELi128ELi4ELi4ELi64ELi64ELi4ELc84ELc84ELb1ELb0ELb0EDF16_KPKDF16_KPDF16_EEviiiT16_PT17_ilS9_ilS7_S9_ilPT18_ili26rocblas_geam_ex_operation_.kd
    .uniform_work_group_size: 1
    .uses_dynamic_stack: false
    .vgpr_count:     119
    .vgpr_spill_count: 0
    .wavefront_size: 64
  - .agpr_count:     0
    .args:
      - .offset:         0
        .size:           4
        .value_kind:     by_value
      - .offset:         4
        .size:           4
        .value_kind:     by_value
      - .offset:         8
        .size:           4
        .value_kind:     by_value
      - .offset:         12
        .size:           2
        .value_kind:     by_value
      - .address_space:  global
        .offset:         16
        .size:           8
        .value_kind:     global_buffer
      - .offset:         24
        .size:           4
        .value_kind:     by_value
      - .offset:         32
        .size:           8
        .value_kind:     by_value
      - .address_space:  global
        .offset:         40
        .size:           8
        .value_kind:     global_buffer
      - .offset:         48
        .size:           4
        .value_kind:     by_value
      - .offset:         56
        .size:           8
        .value_kind:     by_value
      - .offset:         64
        .size:           2
        .value_kind:     by_value
      - .address_space:  global
        .offset:         72
        .size:           8
        .value_kind:     global_buffer
      - .offset:         80
        .size:           4
        .value_kind:     by_value
      - .offset:         88
        .size:           8
        .value_kind:     by_value
      - .address_space:  global
        .offset:         96
        .size:           8
        .value_kind:     global_buffer
      - .offset:         104
        .size:           4
        .value_kind:     by_value
      - .offset:         112
        .size:           8
        .value_kind:     by_value
      - .offset:         120
        .size:           4
        .value_kind:     by_value
      - .offset:         124
        .size:           4
        .value_kind:     by_value
    .group_segment_fixed_size: 3072
    .kernarg_segment_align: 8
    .kernarg_segment_size: 128
    .language:       OpenCL C
    .language_version:
      - 2
      - 0
    .max_flat_workgroup_size: 256
    .name:           _ZN12_GLOBAL__N_120geam_min_plus_kernelIDF16_Dv2_DF16_S1_Li8ELi32ELi64ELi128ELi4ELi4ELi64ELi64ELi4ELc84ELc84ELb0ELb0ELb0EDF16_KPKDF16_KPDF16_EEviiiT16_PT17_ilS9_ilS7_S9_ilPT18_ili26rocblas_geam_ex_operation_
    .private_segment_fixed_size: 0
    .sgpr_count:     32
    .sgpr_spill_count: 0
    .symbol:         _ZN12_GLOBAL__N_120geam_min_plus_kernelIDF16_Dv2_DF16_S1_Li8ELi32ELi64ELi128ELi4ELi4ELi64ELi64ELi4ELc84ELc84ELb0ELb0ELb0EDF16_KPKDF16_KPDF16_EEviiiT16_PT17_ilS9_ilS7_S9_ilPT18_ili26rocblas_geam_ex_operation_.kd
    .uniform_work_group_size: 1
    .uses_dynamic_stack: false
    .vgpr_count:     121
    .vgpr_spill_count: 0
    .wavefront_size: 64
  - .agpr_count:     0
    .args:
      - .offset:         0
        .size:           4
        .value_kind:     by_value
      - .offset:         4
        .size:           4
        .value_kind:     by_value
      - .offset:         8
        .size:           4
        .value_kind:     by_value
      - .address_space:  global
        .offset:         16
        .size:           8
        .value_kind:     global_buffer
      - .address_space:  global
        .offset:         24
        .size:           8
        .value_kind:     global_buffer
      - .offset:         32
        .size:           4
        .value_kind:     by_value
      - .offset:         40
        .size:           8
        .value_kind:     by_value
      - .address_space:  global
        .offset:         48
        .size:           8
        .value_kind:     global_buffer
      - .offset:         56
        .size:           4
        .value_kind:     by_value
      - .offset:         64
        .size:           8
        .value_kind:     by_value
      - .address_space:  global
        .offset:         72
        .size:           8
        .value_kind:     global_buffer
      - .address_space:  global
        .offset:         80
        .size:           8
        .value_kind:     global_buffer
      - .offset:         88
        .size:           4
        .value_kind:     by_value
      - .offset:         96
        .size:           8
        .value_kind:     by_value
      - .address_space:  global
        .offset:         104
        .size:           8
        .value_kind:     global_buffer
      - .offset:         112
        .size:           4
        .value_kind:     by_value
      - .offset:         120
        .size:           8
        .value_kind:     by_value
      - .offset:         128
        .size:           4
        .value_kind:     by_value
      - .offset:         132
        .size:           4
        .value_kind:     by_value
    .group_segment_fixed_size: 3072
    .kernarg_segment_align: 8
    .kernarg_segment_size: 136
    .language:       OpenCL C
    .language_version:
      - 2
      - 0
    .max_flat_workgroup_size: 256
    .name:           _ZN12_GLOBAL__N_120geam_min_plus_kernelIDF16_Dv2_DF16_S1_Li8ELi32ELi64ELi128ELi4ELi4ELi64ELi64ELi4ELc84ELc84ELb0ELb1ELb0EPKDF16_KS3_KPDF16_EEviiiT16_PT17_ilS9_ilS7_S9_ilPT18_ili26rocblas_geam_ex_operation_
    .private_segment_fixed_size: 0
    .sgpr_count:     44
    .sgpr_spill_count: 0
    .symbol:         _ZN12_GLOBAL__N_120geam_min_plus_kernelIDF16_Dv2_DF16_S1_Li8ELi32ELi64ELi128ELi4ELi4ELi64ELi64ELi4ELc84ELc84ELb0ELb1ELb0EPKDF16_KS3_KPDF16_EEviiiT16_PT17_ilS9_ilS7_S9_ilPT18_ili26rocblas_geam_ex_operation_.kd
    .uniform_work_group_size: 1
    .uses_dynamic_stack: false
    .vgpr_count:     120
    .vgpr_spill_count: 0
    .wavefront_size: 64
  - .agpr_count:     0
    .args:
      - .offset:         0
        .size:           4
        .value_kind:     by_value
      - .offset:         4
        .size:           4
        .value_kind:     by_value
      - .offset:         8
        .size:           4
        .value_kind:     by_value
      - .offset:         12
        .size:           2
        .value_kind:     by_value
      - .address_space:  global
        .offset:         16
        .size:           8
        .value_kind:     global_buffer
      - .offset:         24
        .size:           4
        .value_kind:     by_value
      - .offset:         32
        .size:           8
        .value_kind:     by_value
      - .address_space:  global
        .offset:         40
        .size:           8
        .value_kind:     global_buffer
      - .offset:         48
        .size:           4
        .value_kind:     by_value
      - .offset:         56
        .size:           8
        .value_kind:     by_value
      - .offset:         64
        .size:           2
        .value_kind:     by_value
      - .address_space:  global
        .offset:         72
        .size:           8
        .value_kind:     global_buffer
      - .offset:         80
        .size:           4
        .value_kind:     by_value
      - .offset:         88
        .size:           8
        .value_kind:     by_value
      - .address_space:  global
        .offset:         96
        .size:           8
        .value_kind:     global_buffer
      - .offset:         104
        .size:           4
        .value_kind:     by_value
      - .offset:         112
        .size:           8
        .value_kind:     by_value
      - .offset:         120
        .size:           4
        .value_kind:     by_value
      - .offset:         124
        .size:           4
        .value_kind:     by_value
    .group_segment_fixed_size: 3072
    .kernarg_segment_align: 8
    .kernarg_segment_size: 128
    .language:       OpenCL C
    .language_version:
      - 2
      - 0
    .max_flat_workgroup_size: 256
    .name:           _ZN12_GLOBAL__N_120geam_min_plus_kernelIDF16_Dv2_DF16_S1_Li8ELi32ELi64ELi128ELi4ELi4ELi64ELi64ELi4ELc84ELc84ELb1ELb1ELb0EDF16_KPKDF16_KPDF16_EEviiiT16_PT17_ilS9_ilS7_S9_ilPT18_ili26rocblas_geam_ex_operation_
    .private_segment_fixed_size: 0
    .sgpr_count:     42
    .sgpr_spill_count: 0
    .symbol:         _ZN12_GLOBAL__N_120geam_min_plus_kernelIDF16_Dv2_DF16_S1_Li8ELi32ELi64ELi128ELi4ELi4ELi64ELi64ELi4ELc84ELc84ELb1ELb1ELb0EDF16_KPKDF16_KPDF16_EEviiiT16_PT17_ilS9_ilS7_S9_ilPT18_ili26rocblas_geam_ex_operation_.kd
    .uniform_work_group_size: 1
    .uses_dynamic_stack: false
    .vgpr_count:     122
    .vgpr_spill_count: 0
    .wavefront_size: 64
  - .agpr_count:     0
    .args:
      - .offset:         0
        .size:           4
        .value_kind:     by_value
      - .offset:         4
        .size:           4
        .value_kind:     by_value
      - .offset:         8
        .size:           4
        .value_kind:     by_value
      - .offset:         12
        .size:           2
        .value_kind:     by_value
      - .address_space:  global
        .offset:         16
        .size:           8
        .value_kind:     global_buffer
      - .offset:         24
        .size:           4
        .value_kind:     by_value
      - .offset:         32
        .size:           8
        .value_kind:     by_value
      - .address_space:  global
        .offset:         40
        .size:           8
        .value_kind:     global_buffer
      - .offset:         48
        .size:           4
        .value_kind:     by_value
      - .offset:         56
        .size:           8
        .value_kind:     by_value
      - .offset:         64
        .size:           2
        .value_kind:     by_value
      - .address_space:  global
        .offset:         72
        .size:           8
        .value_kind:     global_buffer
      - .offset:         80
        .size:           4
        .value_kind:     by_value
      - .offset:         88
        .size:           8
        .value_kind:     by_value
      - .address_space:  global
        .offset:         96
        .size:           8
        .value_kind:     global_buffer
      - .offset:         104
        .size:           4
        .value_kind:     by_value
      - .offset:         112
        .size:           8
        .value_kind:     by_value
      - .offset:         120
        .size:           4
        .value_kind:     by_value
      - .offset:         124
        .size:           4
        .value_kind:     by_value
    .group_segment_fixed_size: 3072
    .kernarg_segment_align: 8
    .kernarg_segment_size: 128
    .language:       OpenCL C
    .language_version:
      - 2
      - 0
    .max_flat_workgroup_size: 256
    .name:           _ZN12_GLOBAL__N_120geam_min_plus_kernelIDF16_Dv2_DF16_S1_Li8ELi32ELi64ELi128ELi4ELi4ELi64ELi64ELi4ELc84ELc84ELb0ELb1ELb0EDF16_KPKDF16_KPDF16_EEviiiT16_PT17_ilS9_ilS7_S9_ilPT18_ili26rocblas_geam_ex_operation_
    .private_segment_fixed_size: 0
    .sgpr_count:     44
    .sgpr_spill_count: 0
    .symbol:         _ZN12_GLOBAL__N_120geam_min_plus_kernelIDF16_Dv2_DF16_S1_Li8ELi32ELi64ELi128ELi4ELi4ELi64ELi64ELi4ELc84ELc84ELb0ELb1ELb0EDF16_KPKDF16_KPDF16_EEviiiT16_PT17_ilS9_ilS7_S9_ilPT18_ili26rocblas_geam_ex_operation_.kd
    .uniform_work_group_size: 1
    .uses_dynamic_stack: false
    .vgpr_count:     118
    .vgpr_spill_count: 0
    .wavefront_size: 64
  - .agpr_count:     0
    .args:
      - .offset:         0
        .size:           4
        .value_kind:     by_value
      - .offset:         4
        .size:           4
        .value_kind:     by_value
      - .offset:         8
        .size:           2
        .value_kind:     by_value
      - .address_space:  global
        .offset:         16
        .size:           8
        .value_kind:     global_buffer
      - .offset:         24
        .size:           8
        .value_kind:     by_value
      - .offset:         32
        .size:           4
        .value_kind:     by_value
      - .offset:         40
        .size:           8
        .value_kind:     by_value
      - .address_space:  global
        .offset:         48
        .size:           8
        .value_kind:     global_buffer
      - .offset:         56
        .size:           8
        .value_kind:     by_value
      - .offset:         64
        .size:           4
        .value_kind:     by_value
      - .offset:         72
        .size:           8
        .value_kind:     by_value
    .group_segment_fixed_size: 0
    .kernarg_segment_align: 8
    .kernarg_segment_size: 80
    .language:       OpenCL C
    .language_version:
      - 2
      - 0
    .max_flat_workgroup_size: 1024
    .name:           _ZN12_GLOBAL__N_120geam_ex_scale_kernelILi32ELi32EDF16_DF16_PKDF16_PDF16_EEviiT2_T3_lilT4_lil
    .private_segment_fixed_size: 0
    .sgpr_count:     30
    .sgpr_spill_count: 0
    .symbol:         _ZN12_GLOBAL__N_120geam_ex_scale_kernelILi32ELi32EDF16_DF16_PKDF16_PDF16_EEviiT2_T3_lilT4_lil.kd
    .uniform_work_group_size: 1
    .uses_dynamic_stack: false
    .vgpr_count:     10
    .vgpr_spill_count: 0
    .wavefront_size: 64
  - .agpr_count:     0
    .args:
      - .offset:         0
        .size:           4
        .value_kind:     by_value
      - .offset:         4
        .size:           4
        .value_kind:     by_value
      - .address_space:  global
        .offset:         8
        .size:           8
        .value_kind:     global_buffer
      - .address_space:  global
        .offset:         16
        .size:           8
        .value_kind:     global_buffer
      - .offset:         24
        .size:           8
        .value_kind:     by_value
      - .offset:         32
        .size:           4
        .value_kind:     by_value
      - .offset:         40
        .size:           8
        .value_kind:     by_value
      - .address_space:  global
        .offset:         48
        .size:           8
        .value_kind:     global_buffer
      - .offset:         56
        .size:           8
        .value_kind:     by_value
      - .offset:         64
        .size:           4
        .value_kind:     by_value
      - .offset:         72
        .size:           8
        .value_kind:     by_value
    .group_segment_fixed_size: 0
    .kernarg_segment_align: 8
    .kernarg_segment_size: 80
    .language:       OpenCL C
    .language_version:
      - 2
      - 0
    .max_flat_workgroup_size: 1024
    .name:           _ZN12_GLOBAL__N_120geam_ex_scale_kernelILi32ELi32EDF16_PKDF16_S2_PDF16_EEviiT2_T3_lilT4_lil
    .private_segment_fixed_size: 0
    .sgpr_count:     25
    .sgpr_spill_count: 0
    .symbol:         _ZN12_GLOBAL__N_120geam_ex_scale_kernelILi32ELi32EDF16_PKDF16_S2_PDF16_EEviiT2_T3_lilT4_lil.kd
    .uniform_work_group_size: 1
    .uses_dynamic_stack: false
    .vgpr_count:     10
    .vgpr_spill_count: 0
    .wavefront_size: 64
  - .agpr_count:     0
    .args:
      - .offset:         0
        .size:           4
        .value_kind:     by_value
      - .offset:         4
        .size:           4
        .value_kind:     by_value
      - .offset:         8
        .size:           2
        .value_kind:     by_value
      - .address_space:  global
        .offset:         16
        .size:           8
        .value_kind:     global_buffer
      - .offset:         24
        .size:           8
        .value_kind:     by_value
      - .offset:         32
        .size:           4
        .value_kind:     by_value
      - .offset:         40
        .size:           8
        .value_kind:     by_value
      - .address_space:  global
        .offset:         48
        .size:           8
        .value_kind:     global_buffer
      - .offset:         56
        .size:           8
        .value_kind:     by_value
      - .offset:         64
        .size:           4
        .value_kind:     by_value
      - .offset:         72
        .size:           8
        .value_kind:     by_value
    .group_segment_fixed_size: 0
    .kernarg_segment_align: 8
    .kernarg_segment_size: 80
    .language:       OpenCL C
    .language_version:
      - 2
      - 0
    .max_flat_workgroup_size: 1024
    .name:           _ZN12_GLOBAL__N_120geam_ex_round_kernelILi32ELi32EDF16_DF16_PKDF16_PDF16_EEviiT2_T3_lilT4_lil
    .private_segment_fixed_size: 0
    .sgpr_count:     30
    .sgpr_spill_count: 0
    .symbol:         _ZN12_GLOBAL__N_120geam_ex_round_kernelILi32ELi32EDF16_DF16_PKDF16_PDF16_EEviiT2_T3_lilT4_lil.kd
    .uniform_work_group_size: 1
    .uses_dynamic_stack: false
    .vgpr_count:     10
    .vgpr_spill_count: 0
    .wavefront_size: 64
  - .agpr_count:     0
    .args:
      - .offset:         0
        .size:           4
        .value_kind:     by_value
      - .offset:         4
        .size:           4
        .value_kind:     by_value
      - .offset:         8
        .size:           4
        .value_kind:     by_value
      - .address_space:  global
        .offset:         16
        .size:           8
        .value_kind:     global_buffer
      - .address_space:  global
        .offset:         24
        .size:           8
        .value_kind:     global_buffer
      - .offset:         32
        .size:           4
        .value_kind:     by_value
      - .offset:         40
        .size:           8
        .value_kind:     by_value
      - .address_space:  global
        .offset:         48
        .size:           8
        .value_kind:     global_buffer
      - .offset:         56
        .size:           4
        .value_kind:     by_value
      - .offset:         64
        .size:           8
        .value_kind:     by_value
      - .address_space:  global
        .offset:         72
        .size:           8
        .value_kind:     global_buffer
      - .address_space:  global
        .offset:         80
        .size:           8
        .value_kind:     global_buffer
      - .offset:         88
        .size:           4
        .value_kind:     by_value
      - .offset:         96
        .size:           8
        .value_kind:     by_value
      - .address_space:  global
        .offset:         104
        .size:           8
        .value_kind:     global_buffer
      - .offset:         112
        .size:           4
        .value_kind:     by_value
      - .offset:         120
        .size:           8
        .value_kind:     by_value
      - .offset:         128
        .size:           4
        .value_kind:     by_value
      - .offset:         132
        .size:           4
        .value_kind:     by_value
    .group_segment_fixed_size: 5120
    .kernarg_segment_align: 8
    .kernarg_segment_size: 136
    .language:       OpenCL C
    .language_version:
      - 2
      - 0
    .max_flat_workgroup_size: 256
    .name:           _ZN12_GLOBAL__N_120geam_min_plus_kernelIDF16_Dv2_DF16_S1_Li32ELi8ELi256ELi64ELi4ELi64ELi4ELi4ELi64ELc78ELc78ELb0ELb0ELb1EPKDF16_S2_DF16_EEviiiT16_PT17_ilS6_ilS4_S6_ilPT18_ili26rocblas_geam_ex_operation_
    .private_segment_fixed_size: 0
    .sgpr_count:     34
    .sgpr_spill_count: 0
    .symbol:         _ZN12_GLOBAL__N_120geam_min_plus_kernelIDF16_Dv2_DF16_S1_Li32ELi8ELi256ELi64ELi4ELi64ELi4ELi4ELi64ELc78ELc78ELb0ELb0ELb1EPKDF16_S2_DF16_EEviiiT16_PT17_ilS6_ilS4_S6_ilPT18_ili26rocblas_geam_ex_operation_.kd
    .uniform_work_group_size: 1
    .uses_dynamic_stack: false
    .vgpr_count:     141
    .vgpr_spill_count: 0
    .wavefront_size: 64
  - .agpr_count:     0
    .args:
      - .offset:         0
        .size:           4
        .value_kind:     by_value
      - .offset:         4
        .size:           4
        .value_kind:     by_value
      - .offset:         8
        .size:           4
        .value_kind:     by_value
      - .offset:         12
        .size:           2
        .value_kind:     by_value
      - .address_space:  global
        .offset:         16
        .size:           8
        .value_kind:     global_buffer
      - .offset:         24
        .size:           4
        .value_kind:     by_value
      - .offset:         32
        .size:           8
        .value_kind:     by_value
      - .address_space:  global
        .offset:         40
        .size:           8
        .value_kind:     global_buffer
      - .offset:         48
        .size:           4
        .value_kind:     by_value
      - .offset:         56
        .size:           8
        .value_kind:     by_value
      - .offset:         64
        .size:           2
        .value_kind:     by_value
      - .address_space:  global
        .offset:         72
        .size:           8
        .value_kind:     global_buffer
      - .offset:         80
        .size:           4
        .value_kind:     by_value
      - .offset:         88
        .size:           8
        .value_kind:     by_value
      - .address_space:  global
        .offset:         96
        .size:           8
        .value_kind:     global_buffer
      - .offset:         104
        .size:           4
        .value_kind:     by_value
      - .offset:         112
        .size:           8
        .value_kind:     by_value
      - .offset:         120
        .size:           4
        .value_kind:     by_value
      - .offset:         124
        .size:           4
        .value_kind:     by_value
    .group_segment_fixed_size: 5120
    .kernarg_segment_align: 8
    .kernarg_segment_size: 128
    .language:       OpenCL C
    .language_version:
      - 2
      - 0
    .max_flat_workgroup_size: 256
    .name:           _ZN12_GLOBAL__N_120geam_min_plus_kernelIDF16_Dv2_DF16_S1_Li32ELi8ELi256ELi64ELi4ELi64ELi4ELi4ELi64ELc78ELc78ELb1ELb0ELb1EDF16_KDF16_DF16_EEviiiT16_PT17_ilS5_ilS3_S5_ilPT18_ili26rocblas_geam_ex_operation_
    .private_segment_fixed_size: 0
    .sgpr_count:     29
    .sgpr_spill_count: 0
    .symbol:         _ZN12_GLOBAL__N_120geam_min_plus_kernelIDF16_Dv2_DF16_S1_Li32ELi8ELi256ELi64ELi4ELi64ELi4ELi4ELi64ELc78ELc78ELb1ELb0ELb1EDF16_KDF16_DF16_EEviiiT16_PT17_ilS5_ilS3_S5_ilPT18_ili26rocblas_geam_ex_operation_.kd
    .uniform_work_group_size: 1
    .uses_dynamic_stack: false
    .vgpr_count:     219
    .vgpr_spill_count: 0
    .wavefront_size: 64
  - .agpr_count:     0
    .args:
      - .offset:         0
        .size:           4
        .value_kind:     by_value
      - .offset:         4
        .size:           4
        .value_kind:     by_value
      - .offset:         8
        .size:           4
        .value_kind:     by_value
      - .offset:         12
        .size:           2
        .value_kind:     by_value
      - .address_space:  global
        .offset:         16
        .size:           8
        .value_kind:     global_buffer
      - .offset:         24
        .size:           4
        .value_kind:     by_value
      - .offset:         32
        .size:           8
        .value_kind:     by_value
      - .address_space:  global
        .offset:         40
        .size:           8
        .value_kind:     global_buffer
      - .offset:         48
        .size:           4
        .value_kind:     by_value
      - .offset:         56
        .size:           8
        .value_kind:     by_value
      - .offset:         64
        .size:           2
        .value_kind:     by_value
      - .address_space:  global
        .offset:         72
        .size:           8
        .value_kind:     global_buffer
      - .offset:         80
        .size:           4
        .value_kind:     by_value
      - .offset:         88
        .size:           8
        .value_kind:     by_value
      - .address_space:  global
        .offset:         96
        .size:           8
        .value_kind:     global_buffer
      - .offset:         104
        .size:           4
        .value_kind:     by_value
      - .offset:         112
        .size:           8
        .value_kind:     by_value
      - .offset:         120
        .size:           4
        .value_kind:     by_value
      - .offset:         124
        .size:           4
        .value_kind:     by_value
    .group_segment_fixed_size: 5120
    .kernarg_segment_align: 8
    .kernarg_segment_size: 128
    .language:       OpenCL C
    .language_version:
      - 2
      - 0
    .max_flat_workgroup_size: 256
    .name:           _ZN12_GLOBAL__N_120geam_min_plus_kernelIDF16_Dv2_DF16_S1_Li32ELi8ELi256ELi64ELi4ELi64ELi4ELi4ELi64ELc78ELc78ELb0ELb0ELb1EDF16_KDF16_DF16_EEviiiT16_PT17_ilS5_ilS3_S5_ilPT18_ili26rocblas_geam_ex_operation_
    .private_segment_fixed_size: 0
    .sgpr_count:     36
    .sgpr_spill_count: 0
    .symbol:         _ZN12_GLOBAL__N_120geam_min_plus_kernelIDF16_Dv2_DF16_S1_Li32ELi8ELi256ELi64ELi4ELi64ELi4ELi4ELi64ELc78ELc78ELb0ELb0ELb1EDF16_KDF16_DF16_EEviiiT16_PT17_ilS5_ilS3_S5_ilPT18_ili26rocblas_geam_ex_operation_.kd
    .uniform_work_group_size: 1
    .uses_dynamic_stack: false
    .vgpr_count:     139
    .vgpr_spill_count: 0
    .wavefront_size: 64
  - .agpr_count:     0
    .args:
      - .offset:         0
        .size:           4
        .value_kind:     by_value
      - .offset:         4
        .size:           4
        .value_kind:     by_value
      - .offset:         8
        .size:           4
        .value_kind:     by_value
      - .address_space:  global
        .offset:         16
        .size:           8
        .value_kind:     global_buffer
      - .address_space:  global
        .offset:         24
        .size:           8
        .value_kind:     global_buffer
      - .offset:         32
        .size:           4
        .value_kind:     by_value
      - .offset:         40
        .size:           8
        .value_kind:     by_value
      - .address_space:  global
        .offset:         48
        .size:           8
        .value_kind:     global_buffer
      - .offset:         56
        .size:           4
        .value_kind:     by_value
      - .offset:         64
        .size:           8
        .value_kind:     by_value
      - .address_space:  global
        .offset:         72
        .size:           8
        .value_kind:     global_buffer
      - .address_space:  global
        .offset:         80
        .size:           8
        .value_kind:     global_buffer
      - .offset:         88
        .size:           4
        .value_kind:     by_value
      - .offset:         96
        .size:           8
        .value_kind:     by_value
      - .address_space:  global
        .offset:         104
        .size:           8
        .value_kind:     global_buffer
      - .offset:         112
        .size:           4
        .value_kind:     by_value
      - .offset:         120
        .size:           8
        .value_kind:     by_value
      - .offset:         128
        .size:           4
        .value_kind:     by_value
      - .offset:         132
        .size:           4
        .value_kind:     by_value
    .group_segment_fixed_size: 5120
    .kernarg_segment_align: 8
    .kernarg_segment_size: 136
    .language:       OpenCL C
    .language_version:
      - 2
      - 0
    .max_flat_workgroup_size: 256
    .name:           _ZN12_GLOBAL__N_120geam_min_plus_kernelIDF16_Dv2_DF16_S1_Li32ELi8ELi256ELi64ELi4ELi64ELi4ELi4ELi64ELc78ELc78ELb0ELb1ELb1EPKDF16_S2_DF16_EEviiiT16_PT17_ilS6_ilS4_S6_ilPT18_ili26rocblas_geam_ex_operation_
    .private_segment_fixed_size: 0
    .sgpr_count:     46
    .sgpr_spill_count: 0
    .symbol:         _ZN12_GLOBAL__N_120geam_min_plus_kernelIDF16_Dv2_DF16_S1_Li32ELi8ELi256ELi64ELi4ELi64ELi4ELi4ELi64ELc78ELc78ELb0ELb1ELb1EPKDF16_S2_DF16_EEviiiT16_PT17_ilS6_ilS4_S6_ilPT18_ili26rocblas_geam_ex_operation_.kd
    .uniform_work_group_size: 1
    .uses_dynamic_stack: false
    .vgpr_count:     179
    .vgpr_spill_count: 0
    .wavefront_size: 64
  - .agpr_count:     0
    .args:
      - .offset:         0
        .size:           4
        .value_kind:     by_value
      - .offset:         4
        .size:           4
        .value_kind:     by_value
      - .offset:         8
        .size:           4
        .value_kind:     by_value
      - .offset:         12
        .size:           2
        .value_kind:     by_value
      - .address_space:  global
        .offset:         16
        .size:           8
        .value_kind:     global_buffer
      - .offset:         24
        .size:           4
        .value_kind:     by_value
      - .offset:         32
        .size:           8
        .value_kind:     by_value
      - .address_space:  global
        .offset:         40
        .size:           8
        .value_kind:     global_buffer
      - .offset:         48
        .size:           4
        .value_kind:     by_value
      - .offset:         56
        .size:           8
        .value_kind:     by_value
      - .offset:         64
        .size:           2
        .value_kind:     by_value
      - .address_space:  global
        .offset:         72
        .size:           8
        .value_kind:     global_buffer
      - .offset:         80
        .size:           4
        .value_kind:     by_value
      - .offset:         88
        .size:           8
        .value_kind:     by_value
      - .address_space:  global
        .offset:         96
        .size:           8
        .value_kind:     global_buffer
      - .offset:         104
        .size:           4
        .value_kind:     by_value
      - .offset:         112
        .size:           8
        .value_kind:     by_value
      - .offset:         120
        .size:           4
        .value_kind:     by_value
      - .offset:         124
        .size:           4
        .value_kind:     by_value
    .group_segment_fixed_size: 5120
    .kernarg_segment_align: 8
    .kernarg_segment_size: 128
    .language:       OpenCL C
    .language_version:
      - 2
      - 0
    .max_flat_workgroup_size: 256
    .name:           _ZN12_GLOBAL__N_120geam_min_plus_kernelIDF16_Dv2_DF16_S1_Li32ELi8ELi256ELi64ELi4ELi64ELi4ELi4ELi64ELc78ELc78ELb1ELb1ELb1EDF16_KDF16_DF16_EEviiiT16_PT17_ilS5_ilS3_S5_ilPT18_ili26rocblas_geam_ex_operation_
    .private_segment_fixed_size: 0
    .sgpr_count:     44
    .sgpr_spill_count: 0
    .symbol:         _ZN12_GLOBAL__N_120geam_min_plus_kernelIDF16_Dv2_DF16_S1_Li32ELi8ELi256ELi64ELi4ELi64ELi4ELi4ELi64ELc78ELc78ELb1ELb1ELb1EDF16_KDF16_DF16_EEviiiT16_PT17_ilS5_ilS3_S5_ilPT18_ili26rocblas_geam_ex_operation_.kd
    .uniform_work_group_size: 1
    .uses_dynamic_stack: false
    .vgpr_count:     144
    .vgpr_spill_count: 0
    .wavefront_size: 64
  - .agpr_count:     0
    .args:
      - .offset:         0
        .size:           4
        .value_kind:     by_value
      - .offset:         4
        .size:           4
        .value_kind:     by_value
      - .offset:         8
        .size:           4
        .value_kind:     by_value
      - .offset:         12
        .size:           2
        .value_kind:     by_value
      - .address_space:  global
        .offset:         16
        .size:           8
        .value_kind:     global_buffer
      - .offset:         24
        .size:           4
        .value_kind:     by_value
      - .offset:         32
        .size:           8
        .value_kind:     by_value
      - .address_space:  global
        .offset:         40
        .size:           8
        .value_kind:     global_buffer
      - .offset:         48
        .size:           4
        .value_kind:     by_value
      - .offset:         56
        .size:           8
        .value_kind:     by_value
      - .offset:         64
        .size:           2
        .value_kind:     by_value
      - .address_space:  global
        .offset:         72
        .size:           8
        .value_kind:     global_buffer
      - .offset:         80
        .size:           4
        .value_kind:     by_value
      - .offset:         88
        .size:           8
        .value_kind:     by_value
      - .address_space:  global
        .offset:         96
        .size:           8
        .value_kind:     global_buffer
      - .offset:         104
        .size:           4
        .value_kind:     by_value
      - .offset:         112
        .size:           8
        .value_kind:     by_value
      - .offset:         120
        .size:           4
        .value_kind:     by_value
      - .offset:         124
        .size:           4
        .value_kind:     by_value
    .group_segment_fixed_size: 5120
    .kernarg_segment_align: 8
    .kernarg_segment_size: 128
    .language:       OpenCL C
    .language_version:
      - 2
      - 0
    .max_flat_workgroup_size: 256
    .name:           _ZN12_GLOBAL__N_120geam_min_plus_kernelIDF16_Dv2_DF16_S1_Li32ELi8ELi256ELi64ELi4ELi64ELi4ELi4ELi64ELc78ELc78ELb0ELb1ELb1EDF16_KDF16_DF16_EEviiiT16_PT17_ilS5_ilS3_S5_ilPT18_ili26rocblas_geam_ex_operation_
    .private_segment_fixed_size: 0
    .sgpr_count:     48
    .sgpr_spill_count: 0
    .symbol:         _ZN12_GLOBAL__N_120geam_min_plus_kernelIDF16_Dv2_DF16_S1_Li32ELi8ELi256ELi64ELi4ELi64ELi4ELi4ELi64ELc78ELc78ELb0ELb1ELb1EDF16_KDF16_DF16_EEviiiT16_PT17_ilS5_ilS3_S5_ilPT18_ili26rocblas_geam_ex_operation_.kd
    .uniform_work_group_size: 1
    .uses_dynamic_stack: false
    .vgpr_count:     153
    .vgpr_spill_count: 0
    .wavefront_size: 64
  - .agpr_count:     0
    .args:
      - .offset:         0
        .size:           4
        .value_kind:     by_value
      - .offset:         4
        .size:           4
        .value_kind:     by_value
      - .offset:         8
        .size:           4
        .value_kind:     by_value
      - .address_space:  global
        .offset:         16
        .size:           8
        .value_kind:     global_buffer
      - .address_space:  global
        .offset:         24
        .size:           8
        .value_kind:     global_buffer
      - .offset:         32
        .size:           4
        .value_kind:     by_value
      - .offset:         40
        .size:           8
        .value_kind:     by_value
      - .address_space:  global
        .offset:         48
        .size:           8
        .value_kind:     global_buffer
      - .offset:         56
        .size:           4
        .value_kind:     by_value
      - .offset:         64
        .size:           8
        .value_kind:     by_value
      - .address_space:  global
        .offset:         72
        .size:           8
        .value_kind:     global_buffer
      - .address_space:  global
        .offset:         80
        .size:           8
        .value_kind:     global_buffer
      - .offset:         88
        .size:           4
        .value_kind:     by_value
      - .offset:         96
        .size:           8
        .value_kind:     by_value
      - .address_space:  global
        .offset:         104
        .size:           8
        .value_kind:     global_buffer
      - .offset:         112
        .size:           4
        .value_kind:     by_value
      - .offset:         120
        .size:           8
        .value_kind:     by_value
      - .offset:         128
        .size:           4
        .value_kind:     by_value
      - .offset:         132
        .size:           4
        .value_kind:     by_value
    .group_segment_fixed_size: 4096
    .kernarg_segment_align: 8
    .kernarg_segment_size: 136
    .language:       OpenCL C
    .language_version:
      - 2
      - 0
    .max_flat_workgroup_size: 256
    .name:           _ZN12_GLOBAL__N_120geam_min_plus_kernelIDF16_Dv2_DF16_S1_Li32ELi8ELi128ELi128ELi4ELi4ELi64ELi4ELi64ELc84ELc78ELb0ELb0ELb1EPKDF16_S2_DF16_EEviiiT16_PT17_ilS6_ilS4_S6_ilPT18_ili26rocblas_geam_ex_operation_
    .private_segment_fixed_size: 0
    .sgpr_count:     32
    .sgpr_spill_count: 0
    .symbol:         _ZN12_GLOBAL__N_120geam_min_plus_kernelIDF16_Dv2_DF16_S1_Li32ELi8ELi128ELi128ELi4ELi4ELi64ELi4ELi64ELc84ELc78ELb0ELb0ELb1EPKDF16_S2_DF16_EEviiiT16_PT17_ilS6_ilS4_S6_ilPT18_ili26rocblas_geam_ex_operation_.kd
    .uniform_work_group_size: 1
    .uses_dynamic_stack: false
    .vgpr_count:     173
    .vgpr_spill_count: 0
    .wavefront_size: 64
  - .agpr_count:     0
    .args:
      - .offset:         0
        .size:           4
        .value_kind:     by_value
      - .offset:         4
        .size:           4
        .value_kind:     by_value
      - .offset:         8
        .size:           4
        .value_kind:     by_value
      - .offset:         12
        .size:           2
        .value_kind:     by_value
      - .address_space:  global
        .offset:         16
        .size:           8
        .value_kind:     global_buffer
      - .offset:         24
        .size:           4
        .value_kind:     by_value
      - .offset:         32
        .size:           8
        .value_kind:     by_value
      - .address_space:  global
        .offset:         40
        .size:           8
        .value_kind:     global_buffer
      - .offset:         48
        .size:           4
        .value_kind:     by_value
      - .offset:         56
        .size:           8
        .value_kind:     by_value
      - .offset:         64
        .size:           2
        .value_kind:     by_value
      - .address_space:  global
        .offset:         72
        .size:           8
        .value_kind:     global_buffer
      - .offset:         80
        .size:           4
        .value_kind:     by_value
      - .offset:         88
        .size:           8
        .value_kind:     by_value
      - .address_space:  global
        .offset:         96
        .size:           8
        .value_kind:     global_buffer
      - .offset:         104
        .size:           4
        .value_kind:     by_value
      - .offset:         112
        .size:           8
        .value_kind:     by_value
      - .offset:         120
        .size:           4
        .value_kind:     by_value
      - .offset:         124
        .size:           4
        .value_kind:     by_value
    .group_segment_fixed_size: 4096
    .kernarg_segment_align: 8
    .kernarg_segment_size: 128
    .language:       OpenCL C
    .language_version:
      - 2
      - 0
    .max_flat_workgroup_size: 256
    .name:           _ZN12_GLOBAL__N_120geam_min_plus_kernelIDF16_Dv2_DF16_S1_Li32ELi8ELi128ELi128ELi4ELi4ELi64ELi4ELi64ELc84ELc78ELb1ELb0ELb1EDF16_KDF16_DF16_EEviiiT16_PT17_ilS5_ilS3_S5_ilPT18_ili26rocblas_geam_ex_operation_
    .private_segment_fixed_size: 0
    .sgpr_count:     29
    .sgpr_spill_count: 0
    .symbol:         _ZN12_GLOBAL__N_120geam_min_plus_kernelIDF16_Dv2_DF16_S1_Li32ELi8ELi128ELi128ELi4ELi4ELi64ELi4ELi64ELc84ELc78ELb1ELb0ELb1EDF16_KDF16_DF16_EEviiiT16_PT17_ilS5_ilS3_S5_ilPT18_ili26rocblas_geam_ex_operation_.kd
    .uniform_work_group_size: 1
    .uses_dynamic_stack: false
    .vgpr_count:     226
    .vgpr_spill_count: 0
    .wavefront_size: 64
  - .agpr_count:     0
    .args:
      - .offset:         0
        .size:           4
        .value_kind:     by_value
      - .offset:         4
        .size:           4
        .value_kind:     by_value
      - .offset:         8
        .size:           4
        .value_kind:     by_value
      - .offset:         12
        .size:           2
        .value_kind:     by_value
      - .address_space:  global
        .offset:         16
        .size:           8
        .value_kind:     global_buffer
      - .offset:         24
        .size:           4
        .value_kind:     by_value
      - .offset:         32
        .size:           8
        .value_kind:     by_value
      - .address_space:  global
        .offset:         40
        .size:           8
        .value_kind:     global_buffer
      - .offset:         48
        .size:           4
        .value_kind:     by_value
      - .offset:         56
        .size:           8
        .value_kind:     by_value
      - .offset:         64
        .size:           2
        .value_kind:     by_value
      - .address_space:  global
        .offset:         72
        .size:           8
        .value_kind:     global_buffer
      - .offset:         80
        .size:           4
        .value_kind:     by_value
      - .offset:         88
        .size:           8
        .value_kind:     by_value
      - .address_space:  global
        .offset:         96
        .size:           8
        .value_kind:     global_buffer
      - .offset:         104
        .size:           4
        .value_kind:     by_value
      - .offset:         112
        .size:           8
        .value_kind:     by_value
      - .offset:         120
        .size:           4
        .value_kind:     by_value
      - .offset:         124
        .size:           4
        .value_kind:     by_value
    .group_segment_fixed_size: 4096
    .kernarg_segment_align: 8
    .kernarg_segment_size: 128
    .language:       OpenCL C
    .language_version:
      - 2
      - 0
    .max_flat_workgroup_size: 256
    .name:           _ZN12_GLOBAL__N_120geam_min_plus_kernelIDF16_Dv2_DF16_S1_Li32ELi8ELi128ELi128ELi4ELi4ELi64ELi4ELi64ELc84ELc78ELb0ELb0ELb1EDF16_KDF16_DF16_EEviiiT16_PT17_ilS5_ilS3_S5_ilPT18_ili26rocblas_geam_ex_operation_
    .private_segment_fixed_size: 0
    .sgpr_count:     35
    .sgpr_spill_count: 0
    .symbol:         _ZN12_GLOBAL__N_120geam_min_plus_kernelIDF16_Dv2_DF16_S1_Li32ELi8ELi128ELi128ELi4ELi4ELi64ELi4ELi64ELc84ELc78ELb0ELb0ELb1EDF16_KDF16_DF16_EEviiiT16_PT17_ilS5_ilS3_S5_ilPT18_ili26rocblas_geam_ex_operation_.kd
    .uniform_work_group_size: 1
    .uses_dynamic_stack: false
    .vgpr_count:     171
    .vgpr_spill_count: 0
    .wavefront_size: 64
  - .agpr_count:     0
    .args:
      - .offset:         0
        .size:           4
        .value_kind:     by_value
      - .offset:         4
        .size:           4
        .value_kind:     by_value
      - .offset:         8
        .size:           4
        .value_kind:     by_value
      - .address_space:  global
        .offset:         16
        .size:           8
        .value_kind:     global_buffer
      - .address_space:  global
        .offset:         24
        .size:           8
        .value_kind:     global_buffer
      - .offset:         32
        .size:           4
        .value_kind:     by_value
      - .offset:         40
        .size:           8
        .value_kind:     by_value
      - .address_space:  global
        .offset:         48
        .size:           8
        .value_kind:     global_buffer
      - .offset:         56
        .size:           4
        .value_kind:     by_value
      - .offset:         64
        .size:           8
        .value_kind:     by_value
      - .address_space:  global
        .offset:         72
        .size:           8
        .value_kind:     global_buffer
      - .address_space:  global
        .offset:         80
        .size:           8
        .value_kind:     global_buffer
      - .offset:         88
        .size:           4
        .value_kind:     by_value
      - .offset:         96
        .size:           8
        .value_kind:     by_value
      - .address_space:  global
        .offset:         104
        .size:           8
        .value_kind:     global_buffer
      - .offset:         112
        .size:           4
        .value_kind:     by_value
      - .offset:         120
        .size:           8
        .value_kind:     by_value
      - .offset:         128
        .size:           4
        .value_kind:     by_value
      - .offset:         132
        .size:           4
        .value_kind:     by_value
    .group_segment_fixed_size: 4096
    .kernarg_segment_align: 8
    .kernarg_segment_size: 136
    .language:       OpenCL C
    .language_version:
      - 2
      - 0
    .max_flat_workgroup_size: 256
    .name:           _ZN12_GLOBAL__N_120geam_min_plus_kernelIDF16_Dv2_DF16_S1_Li32ELi8ELi128ELi128ELi4ELi4ELi64ELi4ELi64ELc84ELc78ELb0ELb1ELb1EPKDF16_S2_DF16_EEviiiT16_PT17_ilS6_ilS4_S6_ilPT18_ili26rocblas_geam_ex_operation_
    .private_segment_fixed_size: 0
    .sgpr_count:     44
    .sgpr_spill_count: 0
    .symbol:         _ZN12_GLOBAL__N_120geam_min_plus_kernelIDF16_Dv2_DF16_S1_Li32ELi8ELi128ELi128ELi4ELi4ELi64ELi4ELi64ELc84ELc78ELb0ELb1ELb1EPKDF16_S2_DF16_EEviiiT16_PT17_ilS6_ilS4_S6_ilPT18_ili26rocblas_geam_ex_operation_.kd
    .uniform_work_group_size: 1
    .uses_dynamic_stack: false
    .vgpr_count:     175
    .vgpr_spill_count: 0
    .wavefront_size: 64
  - .agpr_count:     0
    .args:
      - .offset:         0
        .size:           4
        .value_kind:     by_value
      - .offset:         4
        .size:           4
        .value_kind:     by_value
      - .offset:         8
        .size:           4
        .value_kind:     by_value
      - .offset:         12
        .size:           2
        .value_kind:     by_value
      - .address_space:  global
        .offset:         16
        .size:           8
        .value_kind:     global_buffer
      - .offset:         24
        .size:           4
        .value_kind:     by_value
      - .offset:         32
        .size:           8
        .value_kind:     by_value
      - .address_space:  global
        .offset:         40
        .size:           8
        .value_kind:     global_buffer
      - .offset:         48
        .size:           4
        .value_kind:     by_value
      - .offset:         56
        .size:           8
        .value_kind:     by_value
      - .offset:         64
        .size:           2
        .value_kind:     by_value
      - .address_space:  global
        .offset:         72
        .size:           8
        .value_kind:     global_buffer
      - .offset:         80
        .size:           4
        .value_kind:     by_value
      - .offset:         88
        .size:           8
        .value_kind:     by_value
      - .address_space:  global
        .offset:         96
        .size:           8
        .value_kind:     global_buffer
      - .offset:         104
        .size:           4
        .value_kind:     by_value
      - .offset:         112
        .size:           8
        .value_kind:     by_value
      - .offset:         120
        .size:           4
        .value_kind:     by_value
      - .offset:         124
        .size:           4
        .value_kind:     by_value
    .group_segment_fixed_size: 4096
    .kernarg_segment_align: 8
    .kernarg_segment_size: 128
    .language:       OpenCL C
    .language_version:
      - 2
      - 0
    .max_flat_workgroup_size: 256
    .name:           _ZN12_GLOBAL__N_120geam_min_plus_kernelIDF16_Dv2_DF16_S1_Li32ELi8ELi128ELi128ELi4ELi4ELi64ELi4ELi64ELc84ELc78ELb1ELb1ELb1EDF16_KDF16_DF16_EEviiiT16_PT17_ilS5_ilS3_S5_ilPT18_ili26rocblas_geam_ex_operation_
    .private_segment_fixed_size: 0
    .sgpr_count:     42
    .sgpr_spill_count: 0
    .symbol:         _ZN12_GLOBAL__N_120geam_min_plus_kernelIDF16_Dv2_DF16_S1_Li32ELi8ELi128ELi128ELi4ELi4ELi64ELi4ELi64ELc84ELc78ELb1ELb1ELb1EDF16_KDF16_DF16_EEviiiT16_PT17_ilS5_ilS3_S5_ilPT18_ili26rocblas_geam_ex_operation_.kd
    .uniform_work_group_size: 1
    .uses_dynamic_stack: false
    .vgpr_count:     172
    .vgpr_spill_count: 0
    .wavefront_size: 64
  - .agpr_count:     0
    .args:
      - .offset:         0
        .size:           4
        .value_kind:     by_value
      - .offset:         4
        .size:           4
        .value_kind:     by_value
      - .offset:         8
        .size:           4
        .value_kind:     by_value
      - .offset:         12
        .size:           2
        .value_kind:     by_value
      - .address_space:  global
        .offset:         16
        .size:           8
        .value_kind:     global_buffer
      - .offset:         24
        .size:           4
        .value_kind:     by_value
      - .offset:         32
        .size:           8
        .value_kind:     by_value
      - .address_space:  global
        .offset:         40
        .size:           8
        .value_kind:     global_buffer
      - .offset:         48
        .size:           4
        .value_kind:     by_value
      - .offset:         56
        .size:           8
        .value_kind:     by_value
      - .offset:         64
        .size:           2
        .value_kind:     by_value
      - .address_space:  global
        .offset:         72
        .size:           8
        .value_kind:     global_buffer
      - .offset:         80
        .size:           4
        .value_kind:     by_value
      - .offset:         88
        .size:           8
        .value_kind:     by_value
      - .address_space:  global
        .offset:         96
        .size:           8
        .value_kind:     global_buffer
      - .offset:         104
        .size:           4
        .value_kind:     by_value
      - .offset:         112
        .size:           8
        .value_kind:     by_value
      - .offset:         120
        .size:           4
        .value_kind:     by_value
      - .offset:         124
        .size:           4
        .value_kind:     by_value
    .group_segment_fixed_size: 4096
    .kernarg_segment_align: 8
    .kernarg_segment_size: 128
    .language:       OpenCL C
    .language_version:
      - 2
      - 0
    .max_flat_workgroup_size: 256
    .name:           _ZN12_GLOBAL__N_120geam_min_plus_kernelIDF16_Dv2_DF16_S1_Li32ELi8ELi128ELi128ELi4ELi4ELi64ELi4ELi64ELc84ELc78ELb0ELb1ELb1EDF16_KDF16_DF16_EEviiiT16_PT17_ilS5_ilS3_S5_ilPT18_ili26rocblas_geam_ex_operation_
    .private_segment_fixed_size: 0
    .sgpr_count:     46
    .sgpr_spill_count: 0
    .symbol:         _ZN12_GLOBAL__N_120geam_min_plus_kernelIDF16_Dv2_DF16_S1_Li32ELi8ELi128ELi128ELi4ELi4ELi64ELi4ELi64ELc84ELc78ELb0ELb1ELb1EDF16_KDF16_DF16_EEviiiT16_PT17_ilS5_ilS3_S5_ilPT18_ili26rocblas_geam_ex_operation_.kd
    .uniform_work_group_size: 1
    .uses_dynamic_stack: false
    .vgpr_count:     173
    .vgpr_spill_count: 0
    .wavefront_size: 64
  - .agpr_count:     0
    .args:
      - .offset:         0
        .size:           4
        .value_kind:     by_value
      - .offset:         4
        .size:           4
        .value_kind:     by_value
      - .offset:         8
        .size:           4
        .value_kind:     by_value
      - .address_space:  global
        .offset:         16
        .size:           8
        .value_kind:     global_buffer
      - .address_space:  global
        .offset:         24
        .size:           8
        .value_kind:     global_buffer
      - .offset:         32
        .size:           4
        .value_kind:     by_value
      - .offset:         40
        .size:           8
        .value_kind:     by_value
      - .address_space:  global
        .offset:         48
        .size:           8
        .value_kind:     global_buffer
      - .offset:         56
        .size:           4
        .value_kind:     by_value
      - .offset:         64
        .size:           8
        .value_kind:     by_value
      - .address_space:  global
        .offset:         72
        .size:           8
        .value_kind:     global_buffer
      - .address_space:  global
        .offset:         80
        .size:           8
        .value_kind:     global_buffer
      - .offset:         88
        .size:           4
        .value_kind:     by_value
      - .offset:         96
        .size:           8
        .value_kind:     by_value
      - .address_space:  global
        .offset:         104
        .size:           8
        .value_kind:     global_buffer
      - .offset:         112
        .size:           4
        .value_kind:     by_value
      - .offset:         120
        .size:           8
        .value_kind:     by_value
      - .offset:         128
        .size:           4
        .value_kind:     by_value
      - .offset:         132
        .size:           4
        .value_kind:     by_value
    .group_segment_fixed_size: 5120
    .kernarg_segment_align: 8
    .kernarg_segment_size: 136
    .language:       OpenCL C
    .language_version:
      - 2
      - 0
    .max_flat_workgroup_size: 256
    .name:           _ZN12_GLOBAL__N_120geam_min_plus_kernelIDF16_Dv2_DF16_S1_Li8ELi32ELi64ELi256ELi4ELi64ELi4ELi64ELi4ELc78ELc84ELb0ELb0ELb1EPKDF16_S2_DF16_EEviiiT16_PT17_ilS6_ilS4_S6_ilPT18_ili26rocblas_geam_ex_operation_
    .private_segment_fixed_size: 0
    .sgpr_count:     35
    .sgpr_spill_count: 0
    .symbol:         _ZN12_GLOBAL__N_120geam_min_plus_kernelIDF16_Dv2_DF16_S1_Li8ELi32ELi64ELi256ELi4ELi64ELi4ELi64ELi4ELc78ELc84ELb0ELb0ELb1EPKDF16_S2_DF16_EEviiiT16_PT17_ilS6_ilS4_S6_ilPT18_ili26rocblas_geam_ex_operation_.kd
    .uniform_work_group_size: 1
    .uses_dynamic_stack: false
    .vgpr_count:     175
    .vgpr_spill_count: 0
    .wavefront_size: 64
  - .agpr_count:     0
    .args:
      - .offset:         0
        .size:           4
        .value_kind:     by_value
      - .offset:         4
        .size:           4
        .value_kind:     by_value
      - .offset:         8
        .size:           4
        .value_kind:     by_value
      - .offset:         12
        .size:           2
        .value_kind:     by_value
      - .address_space:  global
        .offset:         16
        .size:           8
        .value_kind:     global_buffer
      - .offset:         24
        .size:           4
        .value_kind:     by_value
      - .offset:         32
        .size:           8
        .value_kind:     by_value
      - .address_space:  global
        .offset:         40
        .size:           8
        .value_kind:     global_buffer
      - .offset:         48
        .size:           4
        .value_kind:     by_value
      - .offset:         56
        .size:           8
        .value_kind:     by_value
      - .offset:         64
        .size:           2
        .value_kind:     by_value
      - .address_space:  global
        .offset:         72
        .size:           8
        .value_kind:     global_buffer
      - .offset:         80
        .size:           4
        .value_kind:     by_value
      - .offset:         88
        .size:           8
        .value_kind:     by_value
      - .address_space:  global
        .offset:         96
        .size:           8
        .value_kind:     global_buffer
      - .offset:         104
        .size:           4
        .value_kind:     by_value
      - .offset:         112
        .size:           8
        .value_kind:     by_value
      - .offset:         120
        .size:           4
        .value_kind:     by_value
      - .offset:         124
        .size:           4
        .value_kind:     by_value
    .group_segment_fixed_size: 5120
    .kernarg_segment_align: 8
    .kernarg_segment_size: 128
    .language:       OpenCL C
    .language_version:
      - 2
      - 0
    .max_flat_workgroup_size: 256
    .name:           _ZN12_GLOBAL__N_120geam_min_plus_kernelIDF16_Dv2_DF16_S1_Li8ELi32ELi64ELi256ELi4ELi64ELi4ELi64ELi4ELc78ELc84ELb1ELb0ELb1EDF16_KDF16_DF16_EEviiiT16_PT17_ilS5_ilS3_S5_ilPT18_ili26rocblas_geam_ex_operation_
    .private_segment_fixed_size: 0
    .sgpr_count:     31
    .sgpr_spill_count: 0
    .symbol:         _ZN12_GLOBAL__N_120geam_min_plus_kernelIDF16_Dv2_DF16_S1_Li8ELi32ELi64ELi256ELi4ELi64ELi4ELi64ELi4ELc78ELc84ELb1ELb0ELb1EDF16_KDF16_DF16_EEviiiT16_PT17_ilS5_ilS3_S5_ilPT18_ili26rocblas_geam_ex_operation_.kd
    .uniform_work_group_size: 1
    .uses_dynamic_stack: false
    .vgpr_count:     225
    .vgpr_spill_count: 0
    .wavefront_size: 64
  - .agpr_count:     0
    .args:
      - .offset:         0
        .size:           4
        .value_kind:     by_value
      - .offset:         4
        .size:           4
        .value_kind:     by_value
      - .offset:         8
        .size:           4
        .value_kind:     by_value
      - .offset:         12
        .size:           2
        .value_kind:     by_value
      - .address_space:  global
        .offset:         16
        .size:           8
        .value_kind:     global_buffer
      - .offset:         24
        .size:           4
        .value_kind:     by_value
      - .offset:         32
        .size:           8
        .value_kind:     by_value
      - .address_space:  global
        .offset:         40
        .size:           8
        .value_kind:     global_buffer
      - .offset:         48
        .size:           4
        .value_kind:     by_value
      - .offset:         56
        .size:           8
        .value_kind:     by_value
      - .offset:         64
        .size:           2
        .value_kind:     by_value
      - .address_space:  global
        .offset:         72
        .size:           8
        .value_kind:     global_buffer
      - .offset:         80
        .size:           4
        .value_kind:     by_value
      - .offset:         88
        .size:           8
        .value_kind:     by_value
      - .address_space:  global
        .offset:         96
        .size:           8
        .value_kind:     global_buffer
      - .offset:         104
        .size:           4
        .value_kind:     by_value
      - .offset:         112
        .size:           8
        .value_kind:     by_value
      - .offset:         120
        .size:           4
        .value_kind:     by_value
      - .offset:         124
        .size:           4
        .value_kind:     by_value
    .group_segment_fixed_size: 5120
    .kernarg_segment_align: 8
    .kernarg_segment_size: 128
    .language:       OpenCL C
    .language_version:
      - 2
      - 0
    .max_flat_workgroup_size: 256
    .name:           _ZN12_GLOBAL__N_120geam_min_plus_kernelIDF16_Dv2_DF16_S1_Li8ELi32ELi64ELi256ELi4ELi64ELi4ELi64ELi4ELc78ELc84ELb0ELb0ELb1EDF16_KDF16_DF16_EEviiiT16_PT17_ilS5_ilS3_S5_ilPT18_ili26rocblas_geam_ex_operation_
    .private_segment_fixed_size: 0
    .sgpr_count:     38
    .sgpr_spill_count: 0
    .symbol:         _ZN12_GLOBAL__N_120geam_min_plus_kernelIDF16_Dv2_DF16_S1_Li8ELi32ELi64ELi256ELi4ELi64ELi4ELi64ELi4ELc78ELc84ELb0ELb0ELb1EDF16_KDF16_DF16_EEviiiT16_PT17_ilS5_ilS3_S5_ilPT18_ili26rocblas_geam_ex_operation_.kd
    .uniform_work_group_size: 1
    .uses_dynamic_stack: false
    .vgpr_count:     175
    .vgpr_spill_count: 0
    .wavefront_size: 64
  - .agpr_count:     0
    .args:
      - .offset:         0
        .size:           4
        .value_kind:     by_value
      - .offset:         4
        .size:           4
        .value_kind:     by_value
      - .offset:         8
        .size:           4
        .value_kind:     by_value
      - .address_space:  global
        .offset:         16
        .size:           8
        .value_kind:     global_buffer
      - .address_space:  global
        .offset:         24
        .size:           8
        .value_kind:     global_buffer
      - .offset:         32
        .size:           4
        .value_kind:     by_value
      - .offset:         40
        .size:           8
        .value_kind:     by_value
      - .address_space:  global
        .offset:         48
        .size:           8
        .value_kind:     global_buffer
      - .offset:         56
        .size:           4
        .value_kind:     by_value
      - .offset:         64
        .size:           8
        .value_kind:     by_value
      - .address_space:  global
        .offset:         72
        .size:           8
        .value_kind:     global_buffer
      - .address_space:  global
        .offset:         80
        .size:           8
        .value_kind:     global_buffer
      - .offset:         88
        .size:           4
        .value_kind:     by_value
      - .offset:         96
        .size:           8
        .value_kind:     by_value
      - .address_space:  global
        .offset:         104
        .size:           8
        .value_kind:     global_buffer
      - .offset:         112
        .size:           4
        .value_kind:     by_value
      - .offset:         120
        .size:           8
        .value_kind:     by_value
      - .offset:         128
        .size:           4
        .value_kind:     by_value
      - .offset:         132
        .size:           4
        .value_kind:     by_value
    .group_segment_fixed_size: 5120
    .kernarg_segment_align: 8
    .kernarg_segment_size: 136
    .language:       OpenCL C
    .language_version:
      - 2
      - 0
    .max_flat_workgroup_size: 256
    .name:           _ZN12_GLOBAL__N_120geam_min_plus_kernelIDF16_Dv2_DF16_S1_Li8ELi32ELi64ELi256ELi4ELi64ELi4ELi64ELi4ELc78ELc84ELb0ELb1ELb1EPKDF16_S2_DF16_EEviiiT16_PT17_ilS6_ilS4_S6_ilPT18_ili26rocblas_geam_ex_operation_
    .private_segment_fixed_size: 0
    .sgpr_count:     48
    .sgpr_spill_count: 0
    .symbol:         _ZN12_GLOBAL__N_120geam_min_plus_kernelIDF16_Dv2_DF16_S1_Li8ELi32ELi64ELi256ELi4ELi64ELi4ELi64ELi4ELc78ELc84ELb0ELb1ELb1EPKDF16_S2_DF16_EEviiiT16_PT17_ilS6_ilS4_S6_ilPT18_ili26rocblas_geam_ex_operation_.kd
    .uniform_work_group_size: 1
    .uses_dynamic_stack: false
    .vgpr_count:     182
    .vgpr_spill_count: 0
    .wavefront_size: 64
  - .agpr_count:     0
    .args:
      - .offset:         0
        .size:           4
        .value_kind:     by_value
      - .offset:         4
        .size:           4
        .value_kind:     by_value
      - .offset:         8
        .size:           4
        .value_kind:     by_value
      - .offset:         12
        .size:           2
        .value_kind:     by_value
      - .address_space:  global
        .offset:         16
        .size:           8
        .value_kind:     global_buffer
      - .offset:         24
        .size:           4
        .value_kind:     by_value
      - .offset:         32
        .size:           8
        .value_kind:     by_value
      - .address_space:  global
        .offset:         40
        .size:           8
        .value_kind:     global_buffer
      - .offset:         48
        .size:           4
        .value_kind:     by_value
      - .offset:         56
        .size:           8
        .value_kind:     by_value
      - .offset:         64
        .size:           2
        .value_kind:     by_value
      - .address_space:  global
        .offset:         72
        .size:           8
        .value_kind:     global_buffer
      - .offset:         80
        .size:           4
        .value_kind:     by_value
      - .offset:         88
        .size:           8
        .value_kind:     by_value
      - .address_space:  global
        .offset:         96
        .size:           8
        .value_kind:     global_buffer
      - .offset:         104
        .size:           4
        .value_kind:     by_value
      - .offset:         112
        .size:           8
        .value_kind:     by_value
      - .offset:         120
        .size:           4
        .value_kind:     by_value
      - .offset:         124
        .size:           4
        .value_kind:     by_value
    .group_segment_fixed_size: 5120
    .kernarg_segment_align: 8
    .kernarg_segment_size: 128
    .language:       OpenCL C
    .language_version:
      - 2
      - 0
    .max_flat_workgroup_size: 256
    .name:           _ZN12_GLOBAL__N_120geam_min_plus_kernelIDF16_Dv2_DF16_S1_Li8ELi32ELi64ELi256ELi4ELi64ELi4ELi64ELi4ELc78ELc84ELb1ELb1ELb1EDF16_KDF16_DF16_EEviiiT16_PT17_ilS5_ilS3_S5_ilPT18_ili26rocblas_geam_ex_operation_
    .private_segment_fixed_size: 0
    .sgpr_count:     46
    .sgpr_spill_count: 0
    .symbol:         _ZN12_GLOBAL__N_120geam_min_plus_kernelIDF16_Dv2_DF16_S1_Li8ELi32ELi64ELi256ELi4ELi64ELi4ELi64ELi4ELc78ELc84ELb1ELb1ELb1EDF16_KDF16_DF16_EEviiiT16_PT17_ilS5_ilS3_S5_ilPT18_ili26rocblas_geam_ex_operation_.kd
    .uniform_work_group_size: 1
    .uses_dynamic_stack: false
    .vgpr_count:     147
    .vgpr_spill_count: 0
    .wavefront_size: 64
  - .agpr_count:     0
    .args:
      - .offset:         0
        .size:           4
        .value_kind:     by_value
      - .offset:         4
        .size:           4
        .value_kind:     by_value
      - .offset:         8
        .size:           4
        .value_kind:     by_value
      - .offset:         12
        .size:           2
        .value_kind:     by_value
      - .address_space:  global
        .offset:         16
        .size:           8
        .value_kind:     global_buffer
      - .offset:         24
        .size:           4
        .value_kind:     by_value
      - .offset:         32
        .size:           8
        .value_kind:     by_value
      - .address_space:  global
        .offset:         40
        .size:           8
        .value_kind:     global_buffer
      - .offset:         48
        .size:           4
        .value_kind:     by_value
      - .offset:         56
        .size:           8
        .value_kind:     by_value
      - .offset:         64
        .size:           2
        .value_kind:     by_value
      - .address_space:  global
        .offset:         72
        .size:           8
        .value_kind:     global_buffer
      - .offset:         80
        .size:           4
        .value_kind:     by_value
      - .offset:         88
        .size:           8
        .value_kind:     by_value
      - .address_space:  global
        .offset:         96
        .size:           8
        .value_kind:     global_buffer
      - .offset:         104
        .size:           4
        .value_kind:     by_value
      - .offset:         112
        .size:           8
        .value_kind:     by_value
      - .offset:         120
        .size:           4
        .value_kind:     by_value
      - .offset:         124
        .size:           4
        .value_kind:     by_value
    .group_segment_fixed_size: 5120
    .kernarg_segment_align: 8
    .kernarg_segment_size: 128
    .language:       OpenCL C
    .language_version:
      - 2
      - 0
    .max_flat_workgroup_size: 256
    .name:           _ZN12_GLOBAL__N_120geam_min_plus_kernelIDF16_Dv2_DF16_S1_Li8ELi32ELi64ELi256ELi4ELi64ELi4ELi64ELi4ELc78ELc84ELb0ELb1ELb1EDF16_KDF16_DF16_EEviiiT16_PT17_ilS5_ilS3_S5_ilPT18_ili26rocblas_geam_ex_operation_
    .private_segment_fixed_size: 0
    .sgpr_count:     50
    .sgpr_spill_count: 0
    .symbol:         _ZN12_GLOBAL__N_120geam_min_plus_kernelIDF16_Dv2_DF16_S1_Li8ELi32ELi64ELi256ELi4ELi64ELi4ELi64ELi4ELc78ELc84ELb0ELb1ELb1EDF16_KDF16_DF16_EEviiiT16_PT17_ilS5_ilS3_S5_ilPT18_ili26rocblas_geam_ex_operation_.kd
    .uniform_work_group_size: 1
    .uses_dynamic_stack: false
    .vgpr_count:     180
    .vgpr_spill_count: 0
    .wavefront_size: 64
  - .agpr_count:     0
    .args:
      - .offset:         0
        .size:           4
        .value_kind:     by_value
      - .offset:         4
        .size:           4
        .value_kind:     by_value
      - .offset:         8
        .size:           4
        .value_kind:     by_value
      - .address_space:  global
        .offset:         16
        .size:           8
        .value_kind:     global_buffer
      - .address_space:  global
        .offset:         24
        .size:           8
        .value_kind:     global_buffer
      - .offset:         32
        .size:           4
        .value_kind:     by_value
      - .offset:         40
        .size:           8
        .value_kind:     by_value
      - .address_space:  global
        .offset:         48
        .size:           8
        .value_kind:     global_buffer
      - .offset:         56
        .size:           4
        .value_kind:     by_value
      - .offset:         64
        .size:           8
        .value_kind:     by_value
      - .address_space:  global
        .offset:         72
        .size:           8
        .value_kind:     global_buffer
      - .address_space:  global
        .offset:         80
        .size:           8
        .value_kind:     global_buffer
      - .offset:         88
        .size:           4
        .value_kind:     by_value
      - .offset:         96
        .size:           8
        .value_kind:     by_value
      - .address_space:  global
        .offset:         104
        .size:           8
        .value_kind:     global_buffer
      - .offset:         112
        .size:           4
        .value_kind:     by_value
      - .offset:         120
        .size:           8
        .value_kind:     by_value
      - .offset:         128
        .size:           4
        .value_kind:     by_value
      - .offset:         132
        .size:           4
        .value_kind:     by_value
    .group_segment_fixed_size: 5120
    .kernarg_segment_align: 8
    .kernarg_segment_size: 136
    .language:       OpenCL C
    .language_version:
      - 2
      - 0
    .max_flat_workgroup_size: 256
    .name:           _ZN12_GLOBAL__N_120geam_min_plus_kernelIDF16_Dv2_DF16_S1_Li8ELi32ELi64ELi256ELi4ELi4ELi64ELi64ELi4ELc84ELc84ELb0ELb0ELb1EPKDF16_S2_DF16_EEviiiT16_PT17_ilS6_ilS4_S6_ilPT18_ili26rocblas_geam_ex_operation_
    .private_segment_fixed_size: 0
    .sgpr_count:     32
    .sgpr_spill_count: 0
    .symbol:         _ZN12_GLOBAL__N_120geam_min_plus_kernelIDF16_Dv2_DF16_S1_Li8ELi32ELi64ELi256ELi4ELi4ELi64ELi64ELi4ELc84ELc84ELb0ELb0ELb1EPKDF16_S2_DF16_EEviiiT16_PT17_ilS6_ilS4_S6_ilPT18_ili26rocblas_geam_ex_operation_.kd
    .uniform_work_group_size: 1
    .uses_dynamic_stack: false
    .vgpr_count:     143
    .vgpr_spill_count: 0
    .wavefront_size: 64
  - .agpr_count:     0
    .args:
      - .offset:         0
        .size:           4
        .value_kind:     by_value
      - .offset:         4
        .size:           4
        .value_kind:     by_value
      - .offset:         8
        .size:           4
        .value_kind:     by_value
      - .offset:         12
        .size:           2
        .value_kind:     by_value
      - .address_space:  global
        .offset:         16
        .size:           8
        .value_kind:     global_buffer
      - .offset:         24
        .size:           4
        .value_kind:     by_value
      - .offset:         32
        .size:           8
        .value_kind:     by_value
      - .address_space:  global
        .offset:         40
        .size:           8
        .value_kind:     global_buffer
      - .offset:         48
        .size:           4
        .value_kind:     by_value
      - .offset:         56
        .size:           8
        .value_kind:     by_value
      - .offset:         64
        .size:           2
        .value_kind:     by_value
      - .address_space:  global
        .offset:         72
        .size:           8
        .value_kind:     global_buffer
      - .offset:         80
        .size:           4
        .value_kind:     by_value
      - .offset:         88
        .size:           8
        .value_kind:     by_value
      - .address_space:  global
        .offset:         96
        .size:           8
        .value_kind:     global_buffer
      - .offset:         104
        .size:           4
        .value_kind:     by_value
      - .offset:         112
        .size:           8
        .value_kind:     by_value
      - .offset:         120
        .size:           4
        .value_kind:     by_value
      - .offset:         124
        .size:           4
        .value_kind:     by_value
    .group_segment_fixed_size: 5120
    .kernarg_segment_align: 8
    .kernarg_segment_size: 128
    .language:       OpenCL C
    .language_version:
      - 2
      - 0
    .max_flat_workgroup_size: 256
    .name:           _ZN12_GLOBAL__N_120geam_min_plus_kernelIDF16_Dv2_DF16_S1_Li8ELi32ELi64ELi256ELi4ELi4ELi64ELi64ELi4ELc84ELc84ELb1ELb0ELb1EDF16_KDF16_DF16_EEviiiT16_PT17_ilS5_ilS3_S5_ilPT18_ili26rocblas_geam_ex_operation_
    .private_segment_fixed_size: 0
    .sgpr_count:     29
    .sgpr_spill_count: 0
    .symbol:         _ZN12_GLOBAL__N_120geam_min_plus_kernelIDF16_Dv2_DF16_S1_Li8ELi32ELi64ELi256ELi4ELi4ELi64ELi64ELi4ELc84ELc84ELb1ELb0ELb1EDF16_KDF16_DF16_EEviiiT16_PT17_ilS5_ilS3_S5_ilPT18_ili26rocblas_geam_ex_operation_.kd
    .uniform_work_group_size: 1
    .uses_dynamic_stack: false
    .vgpr_count:     219
    .vgpr_spill_count: 0
    .wavefront_size: 64
  - .agpr_count:     0
    .args:
      - .offset:         0
        .size:           4
        .value_kind:     by_value
      - .offset:         4
        .size:           4
        .value_kind:     by_value
      - .offset:         8
        .size:           4
        .value_kind:     by_value
      - .offset:         12
        .size:           2
        .value_kind:     by_value
      - .address_space:  global
        .offset:         16
        .size:           8
        .value_kind:     global_buffer
      - .offset:         24
        .size:           4
        .value_kind:     by_value
      - .offset:         32
        .size:           8
        .value_kind:     by_value
      - .address_space:  global
        .offset:         40
        .size:           8
        .value_kind:     global_buffer
      - .offset:         48
        .size:           4
        .value_kind:     by_value
      - .offset:         56
        .size:           8
        .value_kind:     by_value
      - .offset:         64
        .size:           2
        .value_kind:     by_value
      - .address_space:  global
        .offset:         72
        .size:           8
        .value_kind:     global_buffer
      - .offset:         80
        .size:           4
        .value_kind:     by_value
      - .offset:         88
        .size:           8
        .value_kind:     by_value
      - .address_space:  global
        .offset:         96
        .size:           8
        .value_kind:     global_buffer
      - .offset:         104
        .size:           4
        .value_kind:     by_value
      - .offset:         112
        .size:           8
        .value_kind:     by_value
      - .offset:         120
        .size:           4
        .value_kind:     by_value
      - .offset:         124
        .size:           4
        .value_kind:     by_value
    .group_segment_fixed_size: 5120
    .kernarg_segment_align: 8
    .kernarg_segment_size: 128
    .language:       OpenCL C
    .language_version:
      - 2
      - 0
    .max_flat_workgroup_size: 256
    .name:           _ZN12_GLOBAL__N_120geam_min_plus_kernelIDF16_Dv2_DF16_S1_Li8ELi32ELi64ELi256ELi4ELi4ELi64ELi64ELi4ELc84ELc84ELb0ELb0ELb1EDF16_KDF16_DF16_EEviiiT16_PT17_ilS5_ilS3_S5_ilPT18_ili26rocblas_geam_ex_operation_
    .private_segment_fixed_size: 0
    .sgpr_count:     36
    .sgpr_spill_count: 0
    .symbol:         _ZN12_GLOBAL__N_120geam_min_plus_kernelIDF16_Dv2_DF16_S1_Li8ELi32ELi64ELi256ELi4ELi4ELi64ELi64ELi4ELc84ELc84ELb0ELb0ELb1EDF16_KDF16_DF16_EEviiiT16_PT17_ilS5_ilS3_S5_ilPT18_ili26rocblas_geam_ex_operation_.kd
    .uniform_work_group_size: 1
    .uses_dynamic_stack: false
    .vgpr_count:     141
    .vgpr_spill_count: 0
    .wavefront_size: 64
  - .agpr_count:     0
    .args:
      - .offset:         0
        .size:           4
        .value_kind:     by_value
      - .offset:         4
        .size:           4
        .value_kind:     by_value
      - .offset:         8
        .size:           4
        .value_kind:     by_value
      - .address_space:  global
        .offset:         16
        .size:           8
        .value_kind:     global_buffer
      - .address_space:  global
        .offset:         24
        .size:           8
        .value_kind:     global_buffer
      - .offset:         32
        .size:           4
        .value_kind:     by_value
      - .offset:         40
        .size:           8
        .value_kind:     by_value
      - .address_space:  global
        .offset:         48
        .size:           8
        .value_kind:     global_buffer
      - .offset:         56
        .size:           4
        .value_kind:     by_value
      - .offset:         64
        .size:           8
        .value_kind:     by_value
      - .address_space:  global
        .offset:         72
        .size:           8
        .value_kind:     global_buffer
      - .address_space:  global
        .offset:         80
        .size:           8
        .value_kind:     global_buffer
      - .offset:         88
        .size:           4
        .value_kind:     by_value
      - .offset:         96
        .size:           8
        .value_kind:     by_value
      - .address_space:  global
        .offset:         104
        .size:           8
        .value_kind:     global_buffer
      - .offset:         112
        .size:           4
        .value_kind:     by_value
      - .offset:         120
        .size:           8
        .value_kind:     by_value
      - .offset:         128
        .size:           4
        .value_kind:     by_value
      - .offset:         132
        .size:           4
        .value_kind:     by_value
    .group_segment_fixed_size: 5120
    .kernarg_segment_align: 8
    .kernarg_segment_size: 136
    .language:       OpenCL C
    .language_version:
      - 2
      - 0
    .max_flat_workgroup_size: 256
    .name:           _ZN12_GLOBAL__N_120geam_min_plus_kernelIDF16_Dv2_DF16_S1_Li8ELi32ELi64ELi256ELi4ELi4ELi64ELi64ELi4ELc84ELc84ELb0ELb1ELb1EPKDF16_S2_DF16_EEviiiT16_PT17_ilS6_ilS4_S6_ilPT18_ili26rocblas_geam_ex_operation_
    .private_segment_fixed_size: 0
    .sgpr_count:     46
    .sgpr_spill_count: 0
    .symbol:         _ZN12_GLOBAL__N_120geam_min_plus_kernelIDF16_Dv2_DF16_S1_Li8ELi32ELi64ELi256ELi4ELi4ELi64ELi64ELi4ELc84ELc84ELb0ELb1ELb1EPKDF16_S2_DF16_EEviiiT16_PT17_ilS6_ilS4_S6_ilPT18_ili26rocblas_geam_ex_operation_.kd
    .uniform_work_group_size: 1
    .uses_dynamic_stack: false
    .vgpr_count:     179
    .vgpr_spill_count: 0
    .wavefront_size: 64
  - .agpr_count:     0
    .args:
      - .offset:         0
        .size:           4
        .value_kind:     by_value
      - .offset:         4
        .size:           4
        .value_kind:     by_value
      - .offset:         8
        .size:           4
        .value_kind:     by_value
      - .offset:         12
        .size:           2
        .value_kind:     by_value
      - .address_space:  global
        .offset:         16
        .size:           8
        .value_kind:     global_buffer
      - .offset:         24
        .size:           4
        .value_kind:     by_value
      - .offset:         32
        .size:           8
        .value_kind:     by_value
      - .address_space:  global
        .offset:         40
        .size:           8
        .value_kind:     global_buffer
      - .offset:         48
        .size:           4
        .value_kind:     by_value
      - .offset:         56
        .size:           8
        .value_kind:     by_value
      - .offset:         64
        .size:           2
        .value_kind:     by_value
      - .address_space:  global
        .offset:         72
        .size:           8
        .value_kind:     global_buffer
      - .offset:         80
        .size:           4
        .value_kind:     by_value
      - .offset:         88
        .size:           8
        .value_kind:     by_value
      - .address_space:  global
        .offset:         96
        .size:           8
        .value_kind:     global_buffer
      - .offset:         104
        .size:           4
        .value_kind:     by_value
      - .offset:         112
        .size:           8
        .value_kind:     by_value
      - .offset:         120
        .size:           4
        .value_kind:     by_value
      - .offset:         124
        .size:           4
        .value_kind:     by_value
    .group_segment_fixed_size: 5120
    .kernarg_segment_align: 8
    .kernarg_segment_size: 128
    .language:       OpenCL C
    .language_version:
      - 2
      - 0
    .max_flat_workgroup_size: 256
    .name:           _ZN12_GLOBAL__N_120geam_min_plus_kernelIDF16_Dv2_DF16_S1_Li8ELi32ELi64ELi256ELi4ELi4ELi64ELi64ELi4ELc84ELc84ELb1ELb1ELb1EDF16_KDF16_DF16_EEviiiT16_PT17_ilS5_ilS3_S5_ilPT18_ili26rocblas_geam_ex_operation_
    .private_segment_fixed_size: 0
    .sgpr_count:     46
    .sgpr_spill_count: 0
    .symbol:         _ZN12_GLOBAL__N_120geam_min_plus_kernelIDF16_Dv2_DF16_S1_Li8ELi32ELi64ELi256ELi4ELi4ELi64ELi64ELi4ELc84ELc84ELb1ELb1ELb1EDF16_KDF16_DF16_EEviiiT16_PT17_ilS5_ilS3_S5_ilPT18_ili26rocblas_geam_ex_operation_.kd
    .uniform_work_group_size: 1
    .uses_dynamic_stack: false
    .vgpr_count:     148
    .vgpr_spill_count: 0
    .wavefront_size: 64
  - .agpr_count:     0
    .args:
      - .offset:         0
        .size:           4
        .value_kind:     by_value
      - .offset:         4
        .size:           4
        .value_kind:     by_value
      - .offset:         8
        .size:           4
        .value_kind:     by_value
      - .offset:         12
        .size:           2
        .value_kind:     by_value
      - .address_space:  global
        .offset:         16
        .size:           8
        .value_kind:     global_buffer
      - .offset:         24
        .size:           4
        .value_kind:     by_value
      - .offset:         32
        .size:           8
        .value_kind:     by_value
      - .address_space:  global
        .offset:         40
        .size:           8
        .value_kind:     global_buffer
      - .offset:         48
        .size:           4
        .value_kind:     by_value
      - .offset:         56
        .size:           8
        .value_kind:     by_value
      - .offset:         64
        .size:           2
        .value_kind:     by_value
      - .address_space:  global
        .offset:         72
        .size:           8
        .value_kind:     global_buffer
      - .offset:         80
        .size:           4
        .value_kind:     by_value
      - .offset:         88
        .size:           8
        .value_kind:     by_value
      - .address_space:  global
        .offset:         96
        .size:           8
        .value_kind:     global_buffer
      - .offset:         104
        .size:           4
        .value_kind:     by_value
      - .offset:         112
        .size:           8
        .value_kind:     by_value
      - .offset:         120
        .size:           4
        .value_kind:     by_value
      - .offset:         124
        .size:           4
        .value_kind:     by_value
    .group_segment_fixed_size: 5120
    .kernarg_segment_align: 8
    .kernarg_segment_size: 128
    .language:       OpenCL C
    .language_version:
      - 2
      - 0
    .max_flat_workgroup_size: 256
    .name:           _ZN12_GLOBAL__N_120geam_min_plus_kernelIDF16_Dv2_DF16_S1_Li8ELi32ELi64ELi256ELi4ELi4ELi64ELi64ELi4ELc84ELc84ELb0ELb1ELb1EDF16_KDF16_DF16_EEviiiT16_PT17_ilS5_ilS3_S5_ilPT18_ili26rocblas_geam_ex_operation_
    .private_segment_fixed_size: 0
    .sgpr_count:     48
    .sgpr_spill_count: 0
    .symbol:         _ZN12_GLOBAL__N_120geam_min_plus_kernelIDF16_Dv2_DF16_S1_Li8ELi32ELi64ELi256ELi4ELi4ELi64ELi64ELi4ELc84ELc84ELb0ELb1ELb1EDF16_KDF16_DF16_EEviiiT16_PT17_ilS5_ilS3_S5_ilPT18_ili26rocblas_geam_ex_operation_.kd
    .uniform_work_group_size: 1
    .uses_dynamic_stack: false
    .vgpr_count:     152
    .vgpr_spill_count: 0
    .wavefront_size: 64
  - .agpr_count:     0
    .args:
      - .offset:         0
        .size:           4
        .value_kind:     by_value
      - .offset:         4
        .size:           4
        .value_kind:     by_value
      - .offset:         8
        .size:           4
        .value_kind:     by_value
      - .address_space:  global
        .offset:         16
        .size:           8
        .value_kind:     global_buffer
      - .address_space:  global
        .offset:         24
        .size:           8
        .value_kind:     global_buffer
      - .offset:         32
        .size:           4
        .value_kind:     by_value
      - .offset:         40
        .size:           8
        .value_kind:     by_value
      - .address_space:  global
        .offset:         48
        .size:           8
        .value_kind:     global_buffer
      - .offset:         56
        .size:           4
        .value_kind:     by_value
      - .offset:         64
        .size:           8
        .value_kind:     by_value
      - .address_space:  global
        .offset:         72
        .size:           8
        .value_kind:     global_buffer
      - .address_space:  global
        .offset:         80
        .size:           8
        .value_kind:     global_buffer
      - .offset:         88
        .size:           4
        .value_kind:     by_value
      - .offset:         96
        .size:           8
        .value_kind:     by_value
      - .address_space:  global
        .offset:         104
        .size:           8
        .value_kind:     global_buffer
      - .offset:         112
        .size:           4
        .value_kind:     by_value
      - .offset:         120
        .size:           8
        .value_kind:     by_value
      - .offset:         128
        .size:           4
        .value_kind:     by_value
      - .offset:         132
        .size:           4
        .value_kind:     by_value
    .group_segment_fixed_size: 3072
    .kernarg_segment_align: 8
    .kernarg_segment_size: 136
    .language:       OpenCL C
    .language_version:
      - 2
      - 0
    .max_flat_workgroup_size: 256
    .name:           _ZN12_GLOBAL__N_120geam_min_plus_kernelIDF16_Dv2_DF16_S1_Li8ELi32ELi64ELi128ELi4ELi64ELi4ELi4ELi64ELc78ELc78ELb0ELb0ELb0EPKDF16_S2_DF16_EEviiiT16_PT17_ilS6_ilS4_S6_ilPT18_ili26rocblas_geam_ex_operation_
    .private_segment_fixed_size: 0
    .sgpr_count:     32
    .sgpr_spill_count: 0
    .symbol:         _ZN12_GLOBAL__N_120geam_min_plus_kernelIDF16_Dv2_DF16_S1_Li8ELi32ELi64ELi128ELi4ELi64ELi4ELi4ELi64ELc78ELc78ELb0ELb0ELb0EPKDF16_S2_DF16_EEviiiT16_PT17_ilS6_ilS4_S6_ilPT18_ili26rocblas_geam_ex_operation_.kd
    .uniform_work_group_size: 1
    .uses_dynamic_stack: false
    .vgpr_count:     127
    .vgpr_spill_count: 0
    .wavefront_size: 64
  - .agpr_count:     0
    .args:
      - .offset:         0
        .size:           4
        .value_kind:     by_value
      - .offset:         4
        .size:           4
        .value_kind:     by_value
      - .offset:         8
        .size:           4
        .value_kind:     by_value
      - .offset:         12
        .size:           2
        .value_kind:     by_value
      - .address_space:  global
        .offset:         16
        .size:           8
        .value_kind:     global_buffer
      - .offset:         24
        .size:           4
        .value_kind:     by_value
      - .offset:         32
        .size:           8
        .value_kind:     by_value
      - .address_space:  global
        .offset:         40
        .size:           8
        .value_kind:     global_buffer
      - .offset:         48
        .size:           4
        .value_kind:     by_value
      - .offset:         56
        .size:           8
        .value_kind:     by_value
      - .offset:         64
        .size:           2
        .value_kind:     by_value
      - .address_space:  global
        .offset:         72
        .size:           8
        .value_kind:     global_buffer
      - .offset:         80
        .size:           4
        .value_kind:     by_value
      - .offset:         88
        .size:           8
        .value_kind:     by_value
      - .address_space:  global
        .offset:         96
        .size:           8
        .value_kind:     global_buffer
      - .offset:         104
        .size:           4
        .value_kind:     by_value
      - .offset:         112
        .size:           8
        .value_kind:     by_value
      - .offset:         120
        .size:           4
        .value_kind:     by_value
      - .offset:         124
        .size:           4
        .value_kind:     by_value
    .group_segment_fixed_size: 3072
    .kernarg_segment_align: 8
    .kernarg_segment_size: 128
    .language:       OpenCL C
    .language_version:
      - 2
      - 0
    .max_flat_workgroup_size: 256
    .name:           _ZN12_GLOBAL__N_120geam_min_plus_kernelIDF16_Dv2_DF16_S1_Li8ELi32ELi64ELi128ELi4ELi64ELi4ELi4ELi64ELc78ELc78ELb1ELb0ELb0EDF16_KDF16_DF16_EEviiiT16_PT17_ilS5_ilS3_S5_ilPT18_ili26rocblas_geam_ex_operation_
    .private_segment_fixed_size: 0
    .sgpr_count:     27
    .sgpr_spill_count: 0
    .symbol:         _ZN12_GLOBAL__N_120geam_min_plus_kernelIDF16_Dv2_DF16_S1_Li8ELi32ELi64ELi128ELi4ELi64ELi4ELi4ELi64ELc78ELc78ELb1ELb0ELb0EDF16_KDF16_DF16_EEviiiT16_PT17_ilS5_ilS3_S5_ilPT18_ili26rocblas_geam_ex_operation_.kd
    .uniform_work_group_size: 1
    .uses_dynamic_stack: false
    .vgpr_count:     90
    .vgpr_spill_count: 0
    .wavefront_size: 64
  - .agpr_count:     0
    .args:
      - .offset:         0
        .size:           4
        .value_kind:     by_value
      - .offset:         4
        .size:           4
        .value_kind:     by_value
      - .offset:         8
        .size:           4
        .value_kind:     by_value
      - .offset:         12
        .size:           2
        .value_kind:     by_value
      - .address_space:  global
        .offset:         16
        .size:           8
        .value_kind:     global_buffer
      - .offset:         24
        .size:           4
        .value_kind:     by_value
      - .offset:         32
        .size:           8
        .value_kind:     by_value
      - .address_space:  global
        .offset:         40
        .size:           8
        .value_kind:     global_buffer
      - .offset:         48
        .size:           4
        .value_kind:     by_value
      - .offset:         56
        .size:           8
        .value_kind:     by_value
      - .offset:         64
        .size:           2
        .value_kind:     by_value
      - .address_space:  global
        .offset:         72
        .size:           8
        .value_kind:     global_buffer
      - .offset:         80
        .size:           4
        .value_kind:     by_value
      - .offset:         88
        .size:           8
        .value_kind:     by_value
      - .address_space:  global
        .offset:         96
        .size:           8
        .value_kind:     global_buffer
      - .offset:         104
        .size:           4
        .value_kind:     by_value
      - .offset:         112
        .size:           8
        .value_kind:     by_value
      - .offset:         120
        .size:           4
        .value_kind:     by_value
      - .offset:         124
        .size:           4
        .value_kind:     by_value
    .group_segment_fixed_size: 3072
    .kernarg_segment_align: 8
    .kernarg_segment_size: 128
    .language:       OpenCL C
    .language_version:
      - 2
      - 0
    .max_flat_workgroup_size: 256
    .name:           _ZN12_GLOBAL__N_120geam_min_plus_kernelIDF16_Dv2_DF16_S1_Li8ELi32ELi64ELi128ELi4ELi64ELi4ELi4ELi64ELc78ELc78ELb0ELb0ELb0EDF16_KDF16_DF16_EEviiiT16_PT17_ilS5_ilS3_S5_ilPT18_ili26rocblas_geam_ex_operation_
    .private_segment_fixed_size: 0
    .sgpr_count:     33
    .sgpr_spill_count: 0
    .symbol:         _ZN12_GLOBAL__N_120geam_min_plus_kernelIDF16_Dv2_DF16_S1_Li8ELi32ELi64ELi128ELi4ELi64ELi4ELi4ELi64ELc78ELc78ELb0ELb0ELb0EDF16_KDF16_DF16_EEviiiT16_PT17_ilS5_ilS3_S5_ilPT18_ili26rocblas_geam_ex_operation_.kd
    .uniform_work_group_size: 1
    .uses_dynamic_stack: false
    .vgpr_count:     125
    .vgpr_spill_count: 0
    .wavefront_size: 64
  - .agpr_count:     0
    .args:
      - .offset:         0
        .size:           4
        .value_kind:     by_value
      - .offset:         4
        .size:           4
        .value_kind:     by_value
      - .offset:         8
        .size:           4
        .value_kind:     by_value
      - .address_space:  global
        .offset:         16
        .size:           8
        .value_kind:     global_buffer
      - .address_space:  global
        .offset:         24
        .size:           8
        .value_kind:     global_buffer
      - .offset:         32
        .size:           4
        .value_kind:     by_value
      - .offset:         40
        .size:           8
        .value_kind:     by_value
      - .address_space:  global
        .offset:         48
        .size:           8
        .value_kind:     global_buffer
      - .offset:         56
        .size:           4
        .value_kind:     by_value
      - .offset:         64
        .size:           8
        .value_kind:     by_value
      - .address_space:  global
        .offset:         72
        .size:           8
        .value_kind:     global_buffer
      - .address_space:  global
        .offset:         80
        .size:           8
        .value_kind:     global_buffer
      - .offset:         88
        .size:           4
        .value_kind:     by_value
      - .offset:         96
        .size:           8
        .value_kind:     by_value
      - .address_space:  global
        .offset:         104
        .size:           8
        .value_kind:     global_buffer
      - .offset:         112
        .size:           4
        .value_kind:     by_value
      - .offset:         120
        .size:           8
        .value_kind:     by_value
      - .offset:         128
        .size:           4
        .value_kind:     by_value
      - .offset:         132
        .size:           4
        .value_kind:     by_value
    .group_segment_fixed_size: 3072
    .kernarg_segment_align: 8
    .kernarg_segment_size: 136
    .language:       OpenCL C
    .language_version:
      - 2
      - 0
    .max_flat_workgroup_size: 256
    .name:           _ZN12_GLOBAL__N_120geam_min_plus_kernelIDF16_Dv2_DF16_S1_Li8ELi32ELi64ELi128ELi4ELi64ELi4ELi4ELi64ELc78ELc78ELb0ELb1ELb0EPKDF16_S2_DF16_EEviiiT16_PT17_ilS6_ilS4_S6_ilPT18_ili26rocblas_geam_ex_operation_
    .private_segment_fixed_size: 0
    .sgpr_count:     44
    .sgpr_spill_count: 0
    .symbol:         _ZN12_GLOBAL__N_120geam_min_plus_kernelIDF16_Dv2_DF16_S1_Li8ELi32ELi64ELi128ELi4ELi64ELi4ELi4ELi64ELc78ELc78ELb0ELb1ELb0EPKDF16_S2_DF16_EEviiiT16_PT17_ilS6_ilS4_S6_ilPT18_ili26rocblas_geam_ex_operation_.kd
    .uniform_work_group_size: 1
    .uses_dynamic_stack: false
    .vgpr_count:     126
    .vgpr_spill_count: 0
    .wavefront_size: 64
  - .agpr_count:     0
    .args:
      - .offset:         0
        .size:           4
        .value_kind:     by_value
      - .offset:         4
        .size:           4
        .value_kind:     by_value
      - .offset:         8
        .size:           4
        .value_kind:     by_value
      - .offset:         12
        .size:           2
        .value_kind:     by_value
      - .address_space:  global
        .offset:         16
        .size:           8
        .value_kind:     global_buffer
      - .offset:         24
        .size:           4
        .value_kind:     by_value
      - .offset:         32
        .size:           8
        .value_kind:     by_value
      - .address_space:  global
        .offset:         40
        .size:           8
        .value_kind:     global_buffer
      - .offset:         48
        .size:           4
        .value_kind:     by_value
      - .offset:         56
        .size:           8
        .value_kind:     by_value
      - .offset:         64
        .size:           2
        .value_kind:     by_value
      - .address_space:  global
        .offset:         72
        .size:           8
        .value_kind:     global_buffer
      - .offset:         80
        .size:           4
        .value_kind:     by_value
      - .offset:         88
        .size:           8
        .value_kind:     by_value
      - .address_space:  global
        .offset:         96
        .size:           8
        .value_kind:     global_buffer
      - .offset:         104
        .size:           4
        .value_kind:     by_value
      - .offset:         112
        .size:           8
        .value_kind:     by_value
      - .offset:         120
        .size:           4
        .value_kind:     by_value
      - .offset:         124
        .size:           4
        .value_kind:     by_value
    .group_segment_fixed_size: 3072
    .kernarg_segment_align: 8
    .kernarg_segment_size: 128
    .language:       OpenCL C
    .language_version:
      - 2
      - 0
    .max_flat_workgroup_size: 256
    .name:           _ZN12_GLOBAL__N_120geam_min_plus_kernelIDF16_Dv2_DF16_S1_Li8ELi32ELi64ELi128ELi4ELi64ELi4ELi4ELi64ELc78ELc78ELb1ELb1ELb0EDF16_KDF16_DF16_EEviiiT16_PT17_ilS5_ilS3_S5_ilPT18_ili26rocblas_geam_ex_operation_
    .private_segment_fixed_size: 0
    .sgpr_count:     42
    .sgpr_spill_count: 0
    .symbol:         _ZN12_GLOBAL__N_120geam_min_plus_kernelIDF16_Dv2_DF16_S1_Li8ELi32ELi64ELi128ELi4ELi64ELi4ELi4ELi64ELc78ELc78ELb1ELb1ELb0EDF16_KDF16_DF16_EEviiiT16_PT17_ilS5_ilS3_S5_ilPT18_ili26rocblas_geam_ex_operation_.kd
    .uniform_work_group_size: 1
    .uses_dynamic_stack: false
    .vgpr_count:     126
    .vgpr_spill_count: 0
    .wavefront_size: 64
  - .agpr_count:     0
    .args:
      - .offset:         0
        .size:           4
        .value_kind:     by_value
      - .offset:         4
        .size:           4
        .value_kind:     by_value
      - .offset:         8
        .size:           4
        .value_kind:     by_value
      - .offset:         12
        .size:           2
        .value_kind:     by_value
      - .address_space:  global
        .offset:         16
        .size:           8
        .value_kind:     global_buffer
      - .offset:         24
        .size:           4
        .value_kind:     by_value
      - .offset:         32
        .size:           8
        .value_kind:     by_value
      - .address_space:  global
        .offset:         40
        .size:           8
        .value_kind:     global_buffer
      - .offset:         48
        .size:           4
        .value_kind:     by_value
      - .offset:         56
        .size:           8
        .value_kind:     by_value
      - .offset:         64
        .size:           2
        .value_kind:     by_value
      - .address_space:  global
        .offset:         72
        .size:           8
        .value_kind:     global_buffer
      - .offset:         80
        .size:           4
        .value_kind:     by_value
      - .offset:         88
        .size:           8
        .value_kind:     by_value
      - .address_space:  global
        .offset:         96
        .size:           8
        .value_kind:     global_buffer
      - .offset:         104
        .size:           4
        .value_kind:     by_value
      - .offset:         112
        .size:           8
        .value_kind:     by_value
      - .offset:         120
        .size:           4
        .value_kind:     by_value
      - .offset:         124
        .size:           4
        .value_kind:     by_value
    .group_segment_fixed_size: 3072
    .kernarg_segment_align: 8
    .kernarg_segment_size: 128
    .language:       OpenCL C
    .language_version:
      - 2
      - 0
    .max_flat_workgroup_size: 256
    .name:           _ZN12_GLOBAL__N_120geam_min_plus_kernelIDF16_Dv2_DF16_S1_Li8ELi32ELi64ELi128ELi4ELi64ELi4ELi4ELi64ELc78ELc78ELb0ELb1ELb0EDF16_KDF16_DF16_EEviiiT16_PT17_ilS5_ilS3_S5_ilPT18_ili26rocblas_geam_ex_operation_
    .private_segment_fixed_size: 0
    .sgpr_count:     44
    .sgpr_spill_count: 0
    .symbol:         _ZN12_GLOBAL__N_120geam_min_plus_kernelIDF16_Dv2_DF16_S1_Li8ELi32ELi64ELi128ELi4ELi64ELi4ELi4ELi64ELc78ELc78ELb0ELb1ELb0EDF16_KDF16_DF16_EEviiiT16_PT17_ilS5_ilS3_S5_ilPT18_ili26rocblas_geam_ex_operation_.kd
    .uniform_work_group_size: 1
    .uses_dynamic_stack: false
    .vgpr_count:     124
    .vgpr_spill_count: 0
    .wavefront_size: 64
  - .agpr_count:     0
    .args:
      - .offset:         0
        .size:           4
        .value_kind:     by_value
      - .offset:         4
        .size:           4
        .value_kind:     by_value
      - .offset:         8
        .size:           4
        .value_kind:     by_value
      - .address_space:  global
        .offset:         16
        .size:           8
        .value_kind:     global_buffer
      - .address_space:  global
        .offset:         24
        .size:           8
        .value_kind:     global_buffer
      - .offset:         32
        .size:           4
        .value_kind:     by_value
      - .offset:         40
        .size:           8
        .value_kind:     by_value
      - .address_space:  global
        .offset:         48
        .size:           8
        .value_kind:     global_buffer
      - .offset:         56
        .size:           4
        .value_kind:     by_value
      - .offset:         64
        .size:           8
        .value_kind:     by_value
      - .address_space:  global
        .offset:         72
        .size:           8
        .value_kind:     global_buffer
      - .address_space:  global
        .offset:         80
        .size:           8
        .value_kind:     global_buffer
      - .offset:         88
        .size:           4
        .value_kind:     by_value
      - .offset:         96
        .size:           8
        .value_kind:     by_value
      - .address_space:  global
        .offset:         104
        .size:           8
        .value_kind:     global_buffer
      - .offset:         112
        .size:           4
        .value_kind:     by_value
      - .offset:         120
        .size:           8
        .value_kind:     by_value
      - .offset:         128
        .size:           4
        .value_kind:     by_value
      - .offset:         132
        .size:           4
        .value_kind:     by_value
    .group_segment_fixed_size: 3072
    .kernarg_segment_align: 8
    .kernarg_segment_size: 136
    .language:       OpenCL C
    .language_version:
      - 2
      - 0
    .max_flat_workgroup_size: 256
    .name:           _ZN12_GLOBAL__N_120geam_min_plus_kernelIDF16_Dv2_DF16_S1_Li8ELi32ELi64ELi128ELi4ELi4ELi64ELi4ELi64ELc84ELc78ELb0ELb0ELb0EPKDF16_S2_DF16_EEviiiT16_PT17_ilS6_ilS4_S6_ilPT18_ili26rocblas_geam_ex_operation_
    .private_segment_fixed_size: 0
    .sgpr_count:     32
    .sgpr_spill_count: 0
    .symbol:         _ZN12_GLOBAL__N_120geam_min_plus_kernelIDF16_Dv2_DF16_S1_Li8ELi32ELi64ELi128ELi4ELi4ELi64ELi4ELi64ELc84ELc78ELb0ELb0ELb0EPKDF16_S2_DF16_EEviiiT16_PT17_ilS6_ilS4_S6_ilPT18_ili26rocblas_geam_ex_operation_.kd
    .uniform_work_group_size: 1
    .uses_dynamic_stack: false
    .vgpr_count:     123
    .vgpr_spill_count: 0
    .wavefront_size: 64
  - .agpr_count:     0
    .args:
      - .offset:         0
        .size:           4
        .value_kind:     by_value
      - .offset:         4
        .size:           4
        .value_kind:     by_value
      - .offset:         8
        .size:           4
        .value_kind:     by_value
      - .offset:         12
        .size:           2
        .value_kind:     by_value
      - .address_space:  global
        .offset:         16
        .size:           8
        .value_kind:     global_buffer
      - .offset:         24
        .size:           4
        .value_kind:     by_value
      - .offset:         32
        .size:           8
        .value_kind:     by_value
      - .address_space:  global
        .offset:         40
        .size:           8
        .value_kind:     global_buffer
      - .offset:         48
        .size:           4
        .value_kind:     by_value
      - .offset:         56
        .size:           8
        .value_kind:     by_value
      - .offset:         64
        .size:           2
        .value_kind:     by_value
      - .address_space:  global
        .offset:         72
        .size:           8
        .value_kind:     global_buffer
      - .offset:         80
        .size:           4
        .value_kind:     by_value
      - .offset:         88
        .size:           8
        .value_kind:     by_value
      - .address_space:  global
        .offset:         96
        .size:           8
        .value_kind:     global_buffer
      - .offset:         104
        .size:           4
        .value_kind:     by_value
      - .offset:         112
        .size:           8
        .value_kind:     by_value
      - .offset:         120
        .size:           4
        .value_kind:     by_value
      - .offset:         124
        .size:           4
        .value_kind:     by_value
    .group_segment_fixed_size: 3072
    .kernarg_segment_align: 8
    .kernarg_segment_size: 128
    .language:       OpenCL C
    .language_version:
      - 2
      - 0
    .max_flat_workgroup_size: 256
    .name:           _ZN12_GLOBAL__N_120geam_min_plus_kernelIDF16_Dv2_DF16_S1_Li8ELi32ELi64ELi128ELi4ELi4ELi64ELi4ELi64ELc84ELc78ELb1ELb0ELb0EDF16_KDF16_DF16_EEviiiT16_PT17_ilS5_ilS3_S5_ilPT18_ili26rocblas_geam_ex_operation_
    .private_segment_fixed_size: 0
    .sgpr_count:     27
    .sgpr_spill_count: 0
    .symbol:         _ZN12_GLOBAL__N_120geam_min_plus_kernelIDF16_Dv2_DF16_S1_Li8ELi32ELi64ELi128ELi4ELi4ELi64ELi4ELi64ELc84ELc78ELb1ELb0ELb0EDF16_KDF16_DF16_EEviiiT16_PT17_ilS5_ilS3_S5_ilPT18_ili26rocblas_geam_ex_operation_.kd
    .uniform_work_group_size: 1
    .uses_dynamic_stack: false
    .vgpr_count:     90
    .vgpr_spill_count: 0
    .wavefront_size: 64
  - .agpr_count:     0
    .args:
      - .offset:         0
        .size:           4
        .value_kind:     by_value
      - .offset:         4
        .size:           4
        .value_kind:     by_value
      - .offset:         8
        .size:           4
        .value_kind:     by_value
      - .offset:         12
        .size:           2
        .value_kind:     by_value
      - .address_space:  global
        .offset:         16
        .size:           8
        .value_kind:     global_buffer
      - .offset:         24
        .size:           4
        .value_kind:     by_value
      - .offset:         32
        .size:           8
        .value_kind:     by_value
      - .address_space:  global
        .offset:         40
        .size:           8
        .value_kind:     global_buffer
      - .offset:         48
        .size:           4
        .value_kind:     by_value
      - .offset:         56
        .size:           8
        .value_kind:     by_value
      - .offset:         64
        .size:           2
        .value_kind:     by_value
      - .address_space:  global
        .offset:         72
        .size:           8
        .value_kind:     global_buffer
      - .offset:         80
        .size:           4
        .value_kind:     by_value
      - .offset:         88
        .size:           8
        .value_kind:     by_value
      - .address_space:  global
        .offset:         96
        .size:           8
        .value_kind:     global_buffer
      - .offset:         104
        .size:           4
        .value_kind:     by_value
      - .offset:         112
        .size:           8
        .value_kind:     by_value
      - .offset:         120
        .size:           4
        .value_kind:     by_value
      - .offset:         124
        .size:           4
        .value_kind:     by_value
    .group_segment_fixed_size: 3072
    .kernarg_segment_align: 8
    .kernarg_segment_size: 128
    .language:       OpenCL C
    .language_version:
      - 2
      - 0
    .max_flat_workgroup_size: 256
    .name:           _ZN12_GLOBAL__N_120geam_min_plus_kernelIDF16_Dv2_DF16_S1_Li8ELi32ELi64ELi128ELi4ELi4ELi64ELi4ELi64ELc84ELc78ELb0ELb0ELb0EDF16_KDF16_DF16_EEviiiT16_PT17_ilS5_ilS3_S5_ilPT18_ili26rocblas_geam_ex_operation_
    .private_segment_fixed_size: 0
    .sgpr_count:     32
    .sgpr_spill_count: 0
    .symbol:         _ZN12_GLOBAL__N_120geam_min_plus_kernelIDF16_Dv2_DF16_S1_Li8ELi32ELi64ELi128ELi4ELi4ELi64ELi4ELi64ELc84ELc78ELb0ELb0ELb0EDF16_KDF16_DF16_EEviiiT16_PT17_ilS5_ilS3_S5_ilPT18_ili26rocblas_geam_ex_operation_.kd
    .uniform_work_group_size: 1
    .uses_dynamic_stack: false
    .vgpr_count:     121
    .vgpr_spill_count: 0
    .wavefront_size: 64
  - .agpr_count:     0
    .args:
      - .offset:         0
        .size:           4
        .value_kind:     by_value
      - .offset:         4
        .size:           4
        .value_kind:     by_value
      - .offset:         8
        .size:           4
        .value_kind:     by_value
      - .address_space:  global
        .offset:         16
        .size:           8
        .value_kind:     global_buffer
      - .address_space:  global
        .offset:         24
        .size:           8
        .value_kind:     global_buffer
      - .offset:         32
        .size:           4
        .value_kind:     by_value
      - .offset:         40
        .size:           8
        .value_kind:     by_value
      - .address_space:  global
        .offset:         48
        .size:           8
        .value_kind:     global_buffer
      - .offset:         56
        .size:           4
        .value_kind:     by_value
      - .offset:         64
        .size:           8
        .value_kind:     by_value
      - .address_space:  global
        .offset:         72
        .size:           8
        .value_kind:     global_buffer
      - .address_space:  global
        .offset:         80
        .size:           8
        .value_kind:     global_buffer
      - .offset:         88
        .size:           4
        .value_kind:     by_value
      - .offset:         96
        .size:           8
        .value_kind:     by_value
      - .address_space:  global
        .offset:         104
        .size:           8
        .value_kind:     global_buffer
      - .offset:         112
        .size:           4
        .value_kind:     by_value
      - .offset:         120
        .size:           8
        .value_kind:     by_value
      - .offset:         128
        .size:           4
        .value_kind:     by_value
      - .offset:         132
        .size:           4
        .value_kind:     by_value
    .group_segment_fixed_size: 3072
    .kernarg_segment_align: 8
    .kernarg_segment_size: 136
    .language:       OpenCL C
    .language_version:
      - 2
      - 0
    .max_flat_workgroup_size: 256
    .name:           _ZN12_GLOBAL__N_120geam_min_plus_kernelIDF16_Dv2_DF16_S1_Li8ELi32ELi64ELi128ELi4ELi4ELi64ELi4ELi64ELc84ELc78ELb0ELb1ELb0EPKDF16_S2_DF16_EEviiiT16_PT17_ilS6_ilS4_S6_ilPT18_ili26rocblas_geam_ex_operation_
    .private_segment_fixed_size: 0
    .sgpr_count:     42
    .sgpr_spill_count: 0
    .symbol:         _ZN12_GLOBAL__N_120geam_min_plus_kernelIDF16_Dv2_DF16_S1_Li8ELi32ELi64ELi128ELi4ELi4ELi64ELi4ELi64ELc84ELc78ELb0ELb1ELb0EPKDF16_S2_DF16_EEviiiT16_PT17_ilS6_ilS4_S6_ilPT18_ili26rocblas_geam_ex_operation_.kd
    .uniform_work_group_size: 1
    .uses_dynamic_stack: false
    .vgpr_count:     121
    .vgpr_spill_count: 0
    .wavefront_size: 64
  - .agpr_count:     0
    .args:
      - .offset:         0
        .size:           4
        .value_kind:     by_value
      - .offset:         4
        .size:           4
        .value_kind:     by_value
      - .offset:         8
        .size:           4
        .value_kind:     by_value
      - .offset:         12
        .size:           2
        .value_kind:     by_value
      - .address_space:  global
        .offset:         16
        .size:           8
        .value_kind:     global_buffer
      - .offset:         24
        .size:           4
        .value_kind:     by_value
      - .offset:         32
        .size:           8
        .value_kind:     by_value
      - .address_space:  global
        .offset:         40
        .size:           8
        .value_kind:     global_buffer
      - .offset:         48
        .size:           4
        .value_kind:     by_value
      - .offset:         56
        .size:           8
        .value_kind:     by_value
      - .offset:         64
        .size:           2
        .value_kind:     by_value
      - .address_space:  global
        .offset:         72
        .size:           8
        .value_kind:     global_buffer
      - .offset:         80
        .size:           4
        .value_kind:     by_value
      - .offset:         88
        .size:           8
        .value_kind:     by_value
      - .address_space:  global
        .offset:         96
        .size:           8
        .value_kind:     global_buffer
      - .offset:         104
        .size:           4
        .value_kind:     by_value
      - .offset:         112
        .size:           8
        .value_kind:     by_value
      - .offset:         120
        .size:           4
        .value_kind:     by_value
      - .offset:         124
        .size:           4
        .value_kind:     by_value
    .group_segment_fixed_size: 3072
    .kernarg_segment_align: 8
    .kernarg_segment_size: 128
    .language:       OpenCL C
    .language_version:
      - 2
      - 0
    .max_flat_workgroup_size: 256
    .name:           _ZN12_GLOBAL__N_120geam_min_plus_kernelIDF16_Dv2_DF16_S1_Li8ELi32ELi64ELi128ELi4ELi4ELi64ELi4ELi64ELc84ELc78ELb1ELb1ELb0EDF16_KDF16_DF16_EEviiiT16_PT17_ilS5_ilS3_S5_ilPT18_ili26rocblas_geam_ex_operation_
    .private_segment_fixed_size: 0
    .sgpr_count:     42
    .sgpr_spill_count: 0
    .symbol:         _ZN12_GLOBAL__N_120geam_min_plus_kernelIDF16_Dv2_DF16_S1_Li8ELi32ELi64ELi128ELi4ELi4ELi64ELi4ELi64ELc84ELc78ELb1ELb1ELb0EDF16_KDF16_DF16_EEviiiT16_PT17_ilS5_ilS3_S5_ilPT18_ili26rocblas_geam_ex_operation_.kd
    .uniform_work_group_size: 1
    .uses_dynamic_stack: false
    .vgpr_count:     121
    .vgpr_spill_count: 0
    .wavefront_size: 64
  - .agpr_count:     0
    .args:
      - .offset:         0
        .size:           4
        .value_kind:     by_value
      - .offset:         4
        .size:           4
        .value_kind:     by_value
      - .offset:         8
        .size:           4
        .value_kind:     by_value
      - .offset:         12
        .size:           2
        .value_kind:     by_value
      - .address_space:  global
        .offset:         16
        .size:           8
        .value_kind:     global_buffer
      - .offset:         24
        .size:           4
        .value_kind:     by_value
      - .offset:         32
        .size:           8
        .value_kind:     by_value
      - .address_space:  global
        .offset:         40
        .size:           8
        .value_kind:     global_buffer
      - .offset:         48
        .size:           4
        .value_kind:     by_value
      - .offset:         56
        .size:           8
        .value_kind:     by_value
      - .offset:         64
        .size:           2
        .value_kind:     by_value
      - .address_space:  global
        .offset:         72
        .size:           8
        .value_kind:     global_buffer
      - .offset:         80
        .size:           4
        .value_kind:     by_value
      - .offset:         88
        .size:           8
        .value_kind:     by_value
      - .address_space:  global
        .offset:         96
        .size:           8
        .value_kind:     global_buffer
      - .offset:         104
        .size:           4
        .value_kind:     by_value
      - .offset:         112
        .size:           8
        .value_kind:     by_value
      - .offset:         120
        .size:           4
        .value_kind:     by_value
      - .offset:         124
        .size:           4
        .value_kind:     by_value
    .group_segment_fixed_size: 3072
    .kernarg_segment_align: 8
    .kernarg_segment_size: 128
    .language:       OpenCL C
    .language_version:
      - 2
      - 0
    .max_flat_workgroup_size: 256
    .name:           _ZN12_GLOBAL__N_120geam_min_plus_kernelIDF16_Dv2_DF16_S1_Li8ELi32ELi64ELi128ELi4ELi4ELi64ELi4ELi64ELc84ELc78ELb0ELb1ELb0EDF16_KDF16_DF16_EEviiiT16_PT17_ilS5_ilS3_S5_ilPT18_ili26rocblas_geam_ex_operation_
    .private_segment_fixed_size: 0
    .sgpr_count:     44
    .sgpr_spill_count: 0
    .symbol:         _ZN12_GLOBAL__N_120geam_min_plus_kernelIDF16_Dv2_DF16_S1_Li8ELi32ELi64ELi128ELi4ELi4ELi64ELi4ELi64ELc84ELc78ELb0ELb1ELb0EDF16_KDF16_DF16_EEviiiT16_PT17_ilS5_ilS3_S5_ilPT18_ili26rocblas_geam_ex_operation_.kd
    .uniform_work_group_size: 1
    .uses_dynamic_stack: false
    .vgpr_count:     119
    .vgpr_spill_count: 0
    .wavefront_size: 64
  - .agpr_count:     0
    .args:
      - .offset:         0
        .size:           4
        .value_kind:     by_value
      - .offset:         4
        .size:           4
        .value_kind:     by_value
      - .offset:         8
        .size:           4
        .value_kind:     by_value
      - .address_space:  global
        .offset:         16
        .size:           8
        .value_kind:     global_buffer
      - .address_space:  global
        .offset:         24
        .size:           8
        .value_kind:     global_buffer
      - .offset:         32
        .size:           4
        .value_kind:     by_value
      - .offset:         40
        .size:           8
        .value_kind:     by_value
      - .address_space:  global
        .offset:         48
        .size:           8
        .value_kind:     global_buffer
      - .offset:         56
        .size:           4
        .value_kind:     by_value
      - .offset:         64
        .size:           8
        .value_kind:     by_value
      - .address_space:  global
        .offset:         72
        .size:           8
        .value_kind:     global_buffer
      - .address_space:  global
        .offset:         80
        .size:           8
        .value_kind:     global_buffer
      - .offset:         88
        .size:           4
        .value_kind:     by_value
      - .offset:         96
        .size:           8
        .value_kind:     by_value
      - .address_space:  global
        .offset:         104
        .size:           8
        .value_kind:     global_buffer
      - .offset:         112
        .size:           4
        .value_kind:     by_value
      - .offset:         120
        .size:           8
        .value_kind:     by_value
      - .offset:         128
        .size:           4
        .value_kind:     by_value
      - .offset:         132
        .size:           4
        .value_kind:     by_value
    .group_segment_fixed_size: 3072
    .kernarg_segment_align: 8
    .kernarg_segment_size: 136
    .language:       OpenCL C
    .language_version:
      - 2
      - 0
    .max_flat_workgroup_size: 256
    .name:           _ZN12_GLOBAL__N_120geam_min_plus_kernelIDF16_Dv2_DF16_S1_Li8ELi32ELi64ELi128ELi4ELi64ELi4ELi64ELi4ELc78ELc84ELb0ELb0ELb0EPKDF16_S2_DF16_EEviiiT16_PT17_ilS6_ilS4_S6_ilPT18_ili26rocblas_geam_ex_operation_
    .private_segment_fixed_size: 0
    .sgpr_count:     32
    .sgpr_spill_count: 0
    .symbol:         _ZN12_GLOBAL__N_120geam_min_plus_kernelIDF16_Dv2_DF16_S1_Li8ELi32ELi64ELi128ELi4ELi64ELi4ELi64ELi4ELc78ELc84ELb0ELb0ELb0EPKDF16_S2_DF16_EEviiiT16_PT17_ilS6_ilS4_S6_ilPT18_ili26rocblas_geam_ex_operation_.kd
    .uniform_work_group_size: 1
    .uses_dynamic_stack: false
    .vgpr_count:     127
    .vgpr_spill_count: 0
    .wavefront_size: 64
  - .agpr_count:     0
    .args:
      - .offset:         0
        .size:           4
        .value_kind:     by_value
      - .offset:         4
        .size:           4
        .value_kind:     by_value
      - .offset:         8
        .size:           4
        .value_kind:     by_value
      - .offset:         12
        .size:           2
        .value_kind:     by_value
      - .address_space:  global
        .offset:         16
        .size:           8
        .value_kind:     global_buffer
      - .offset:         24
        .size:           4
        .value_kind:     by_value
      - .offset:         32
        .size:           8
        .value_kind:     by_value
      - .address_space:  global
        .offset:         40
        .size:           8
        .value_kind:     global_buffer
      - .offset:         48
        .size:           4
        .value_kind:     by_value
      - .offset:         56
        .size:           8
        .value_kind:     by_value
      - .offset:         64
        .size:           2
        .value_kind:     by_value
      - .address_space:  global
        .offset:         72
        .size:           8
        .value_kind:     global_buffer
      - .offset:         80
        .size:           4
        .value_kind:     by_value
      - .offset:         88
        .size:           8
        .value_kind:     by_value
      - .address_space:  global
        .offset:         96
        .size:           8
        .value_kind:     global_buffer
      - .offset:         104
        .size:           4
        .value_kind:     by_value
      - .offset:         112
        .size:           8
        .value_kind:     by_value
      - .offset:         120
        .size:           4
        .value_kind:     by_value
      - .offset:         124
        .size:           4
        .value_kind:     by_value
    .group_segment_fixed_size: 3072
    .kernarg_segment_align: 8
    .kernarg_segment_size: 128
    .language:       OpenCL C
    .language_version:
      - 2
      - 0
    .max_flat_workgroup_size: 256
    .name:           _ZN12_GLOBAL__N_120geam_min_plus_kernelIDF16_Dv2_DF16_S1_Li8ELi32ELi64ELi128ELi4ELi64ELi4ELi64ELi4ELc78ELc84ELb1ELb0ELb0EDF16_KDF16_DF16_EEviiiT16_PT17_ilS5_ilS3_S5_ilPT18_ili26rocblas_geam_ex_operation_
    .private_segment_fixed_size: 0
    .sgpr_count:     29
    .sgpr_spill_count: 0
    .symbol:         _ZN12_GLOBAL__N_120geam_min_plus_kernelIDF16_Dv2_DF16_S1_Li8ELi32ELi64ELi128ELi4ELi64ELi4ELi64ELi4ELc78ELc84ELb1ELb0ELb0EDF16_KDF16_DF16_EEviiiT16_PT17_ilS5_ilS3_S5_ilPT18_ili26rocblas_geam_ex_operation_.kd
    .uniform_work_group_size: 1
    .uses_dynamic_stack: false
    .vgpr_count:     132
    .vgpr_spill_count: 0
    .wavefront_size: 64
  - .agpr_count:     0
    .args:
      - .offset:         0
        .size:           4
        .value_kind:     by_value
      - .offset:         4
        .size:           4
        .value_kind:     by_value
      - .offset:         8
        .size:           4
        .value_kind:     by_value
      - .offset:         12
        .size:           2
        .value_kind:     by_value
      - .address_space:  global
        .offset:         16
        .size:           8
        .value_kind:     global_buffer
      - .offset:         24
        .size:           4
        .value_kind:     by_value
      - .offset:         32
        .size:           8
        .value_kind:     by_value
      - .address_space:  global
        .offset:         40
        .size:           8
        .value_kind:     global_buffer
      - .offset:         48
        .size:           4
        .value_kind:     by_value
      - .offset:         56
        .size:           8
        .value_kind:     by_value
      - .offset:         64
        .size:           2
        .value_kind:     by_value
      - .address_space:  global
        .offset:         72
        .size:           8
        .value_kind:     global_buffer
      - .offset:         80
        .size:           4
        .value_kind:     by_value
      - .offset:         88
        .size:           8
        .value_kind:     by_value
      - .address_space:  global
        .offset:         96
        .size:           8
        .value_kind:     global_buffer
      - .offset:         104
        .size:           4
        .value_kind:     by_value
      - .offset:         112
        .size:           8
        .value_kind:     by_value
      - .offset:         120
        .size:           4
        .value_kind:     by_value
      - .offset:         124
        .size:           4
        .value_kind:     by_value
    .group_segment_fixed_size: 3072
    .kernarg_segment_align: 8
    .kernarg_segment_size: 128
    .language:       OpenCL C
    .language_version:
      - 2
      - 0
    .max_flat_workgroup_size: 256
    .name:           _ZN12_GLOBAL__N_120geam_min_plus_kernelIDF16_Dv2_DF16_S1_Li8ELi32ELi64ELi128ELi4ELi64ELi4ELi64ELi4ELc78ELc84ELb0ELb0ELb0EDF16_KDF16_DF16_EEviiiT16_PT17_ilS5_ilS3_S5_ilPT18_ili26rocblas_geam_ex_operation_
    .private_segment_fixed_size: 0
    .sgpr_count:     35
    .sgpr_spill_count: 0
    .symbol:         _ZN12_GLOBAL__N_120geam_min_plus_kernelIDF16_Dv2_DF16_S1_Li8ELi32ELi64ELi128ELi4ELi64ELi4ELi64ELi4ELc78ELc84ELb0ELb0ELb0EDF16_KDF16_DF16_EEviiiT16_PT17_ilS5_ilS3_S5_ilPT18_ili26rocblas_geam_ex_operation_.kd
    .uniform_work_group_size: 1
    .uses_dynamic_stack: false
    .vgpr_count:     125
    .vgpr_spill_count: 0
    .wavefront_size: 64
  - .agpr_count:     0
    .args:
      - .offset:         0
        .size:           4
        .value_kind:     by_value
      - .offset:         4
        .size:           4
        .value_kind:     by_value
      - .offset:         8
        .size:           4
        .value_kind:     by_value
      - .address_space:  global
        .offset:         16
        .size:           8
        .value_kind:     global_buffer
      - .address_space:  global
        .offset:         24
        .size:           8
        .value_kind:     global_buffer
      - .offset:         32
        .size:           4
        .value_kind:     by_value
      - .offset:         40
        .size:           8
        .value_kind:     by_value
      - .address_space:  global
        .offset:         48
        .size:           8
        .value_kind:     global_buffer
      - .offset:         56
        .size:           4
        .value_kind:     by_value
      - .offset:         64
        .size:           8
        .value_kind:     by_value
      - .address_space:  global
        .offset:         72
        .size:           8
        .value_kind:     global_buffer
      - .address_space:  global
        .offset:         80
        .size:           8
        .value_kind:     global_buffer
      - .offset:         88
        .size:           4
        .value_kind:     by_value
      - .offset:         96
        .size:           8
        .value_kind:     by_value
      - .address_space:  global
        .offset:         104
        .size:           8
        .value_kind:     global_buffer
      - .offset:         112
        .size:           4
        .value_kind:     by_value
      - .offset:         120
        .size:           8
        .value_kind:     by_value
      - .offset:         128
        .size:           4
        .value_kind:     by_value
      - .offset:         132
        .size:           4
        .value_kind:     by_value
    .group_segment_fixed_size: 3072
    .kernarg_segment_align: 8
    .kernarg_segment_size: 136
    .language:       OpenCL C
    .language_version:
      - 2
      - 0
    .max_flat_workgroup_size: 256
    .name:           _ZN12_GLOBAL__N_120geam_min_plus_kernelIDF16_Dv2_DF16_S1_Li8ELi32ELi64ELi128ELi4ELi64ELi4ELi64ELi4ELc78ELc84ELb0ELb1ELb0EPKDF16_S2_DF16_EEviiiT16_PT17_ilS6_ilS4_S6_ilPT18_ili26rocblas_geam_ex_operation_
    .private_segment_fixed_size: 0
    .sgpr_count:     44
    .sgpr_spill_count: 0
    .symbol:         _ZN12_GLOBAL__N_120geam_min_plus_kernelIDF16_Dv2_DF16_S1_Li8ELi32ELi64ELi128ELi4ELi64ELi4ELi64ELi4ELc78ELc84ELb0ELb1ELb0EPKDF16_S2_DF16_EEviiiT16_PT17_ilS6_ilS4_S6_ilPT18_ili26rocblas_geam_ex_operation_.kd
    .uniform_work_group_size: 1
    .uses_dynamic_stack: false
    .vgpr_count:     123
    .vgpr_spill_count: 0
    .wavefront_size: 64
  - .agpr_count:     0
    .args:
      - .offset:         0
        .size:           4
        .value_kind:     by_value
      - .offset:         4
        .size:           4
        .value_kind:     by_value
      - .offset:         8
        .size:           4
        .value_kind:     by_value
      - .offset:         12
        .size:           2
        .value_kind:     by_value
      - .address_space:  global
        .offset:         16
        .size:           8
        .value_kind:     global_buffer
      - .offset:         24
        .size:           4
        .value_kind:     by_value
      - .offset:         32
        .size:           8
        .value_kind:     by_value
      - .address_space:  global
        .offset:         40
        .size:           8
        .value_kind:     global_buffer
      - .offset:         48
        .size:           4
        .value_kind:     by_value
      - .offset:         56
        .size:           8
        .value_kind:     by_value
      - .offset:         64
        .size:           2
        .value_kind:     by_value
      - .address_space:  global
        .offset:         72
        .size:           8
        .value_kind:     global_buffer
      - .offset:         80
        .size:           4
        .value_kind:     by_value
      - .offset:         88
        .size:           8
        .value_kind:     by_value
      - .address_space:  global
        .offset:         96
        .size:           8
        .value_kind:     global_buffer
      - .offset:         104
        .size:           4
        .value_kind:     by_value
      - .offset:         112
        .size:           8
        .value_kind:     by_value
      - .offset:         120
        .size:           4
        .value_kind:     by_value
      - .offset:         124
        .size:           4
        .value_kind:     by_value
    .group_segment_fixed_size: 3072
    .kernarg_segment_align: 8
    .kernarg_segment_size: 128
    .language:       OpenCL C
    .language_version:
      - 2
      - 0
    .max_flat_workgroup_size: 256
    .name:           _ZN12_GLOBAL__N_120geam_min_plus_kernelIDF16_Dv2_DF16_S1_Li8ELi32ELi64ELi128ELi4ELi64ELi4ELi64ELi4ELc78ELc84ELb1ELb1ELb0EDF16_KDF16_DF16_EEviiiT16_PT17_ilS5_ilS3_S5_ilPT18_ili26rocblas_geam_ex_operation_
    .private_segment_fixed_size: 0
    .sgpr_count:     42
    .sgpr_spill_count: 0
    .symbol:         _ZN12_GLOBAL__N_120geam_min_plus_kernelIDF16_Dv2_DF16_S1_Li8ELi32ELi64ELi128ELi4ELi64ELi4ELi64ELi4ELc78ELc84ELb1ELb1ELb0EDF16_KDF16_DF16_EEviiiT16_PT17_ilS5_ilS3_S5_ilPT18_ili26rocblas_geam_ex_operation_.kd
    .uniform_work_group_size: 1
    .uses_dynamic_stack: false
    .vgpr_count:     125
    .vgpr_spill_count: 0
    .wavefront_size: 64
  - .agpr_count:     0
    .args:
      - .offset:         0
        .size:           4
        .value_kind:     by_value
      - .offset:         4
        .size:           4
        .value_kind:     by_value
      - .offset:         8
        .size:           4
        .value_kind:     by_value
      - .offset:         12
        .size:           2
        .value_kind:     by_value
      - .address_space:  global
        .offset:         16
        .size:           8
        .value_kind:     global_buffer
      - .offset:         24
        .size:           4
        .value_kind:     by_value
      - .offset:         32
        .size:           8
        .value_kind:     by_value
      - .address_space:  global
        .offset:         40
        .size:           8
        .value_kind:     global_buffer
      - .offset:         48
        .size:           4
        .value_kind:     by_value
      - .offset:         56
        .size:           8
        .value_kind:     by_value
      - .offset:         64
        .size:           2
        .value_kind:     by_value
      - .address_space:  global
        .offset:         72
        .size:           8
        .value_kind:     global_buffer
      - .offset:         80
        .size:           4
        .value_kind:     by_value
      - .offset:         88
        .size:           8
        .value_kind:     by_value
      - .address_space:  global
        .offset:         96
        .size:           8
        .value_kind:     global_buffer
      - .offset:         104
        .size:           4
        .value_kind:     by_value
      - .offset:         112
        .size:           8
        .value_kind:     by_value
      - .offset:         120
        .size:           4
        .value_kind:     by_value
      - .offset:         124
        .size:           4
        .value_kind:     by_value
    .group_segment_fixed_size: 3072
    .kernarg_segment_align: 8
    .kernarg_segment_size: 128
    .language:       OpenCL C
    .language_version:
      - 2
      - 0
    .max_flat_workgroup_size: 256
    .name:           _ZN12_GLOBAL__N_120geam_min_plus_kernelIDF16_Dv2_DF16_S1_Li8ELi32ELi64ELi128ELi4ELi64ELi4ELi64ELi4ELc78ELc84ELb0ELb1ELb0EDF16_KDF16_DF16_EEviiiT16_PT17_ilS5_ilS3_S5_ilPT18_ili26rocblas_geam_ex_operation_
    .private_segment_fixed_size: 0
    .sgpr_count:     46
    .sgpr_spill_count: 0
    .symbol:         _ZN12_GLOBAL__N_120geam_min_plus_kernelIDF16_Dv2_DF16_S1_Li8ELi32ELi64ELi128ELi4ELi64ELi4ELi64ELi4ELc78ELc84ELb0ELb1ELb0EDF16_KDF16_DF16_EEviiiT16_PT17_ilS5_ilS3_S5_ilPT18_ili26rocblas_geam_ex_operation_.kd
    .uniform_work_group_size: 1
    .uses_dynamic_stack: false
    .vgpr_count:     121
    .vgpr_spill_count: 0
    .wavefront_size: 64
  - .agpr_count:     0
    .args:
      - .offset:         0
        .size:           4
        .value_kind:     by_value
      - .offset:         4
        .size:           4
        .value_kind:     by_value
      - .offset:         8
        .size:           4
        .value_kind:     by_value
      - .address_space:  global
        .offset:         16
        .size:           8
        .value_kind:     global_buffer
      - .address_space:  global
        .offset:         24
        .size:           8
        .value_kind:     global_buffer
      - .offset:         32
        .size:           4
        .value_kind:     by_value
      - .offset:         40
        .size:           8
        .value_kind:     by_value
      - .address_space:  global
        .offset:         48
        .size:           8
        .value_kind:     global_buffer
      - .offset:         56
        .size:           4
        .value_kind:     by_value
      - .offset:         64
        .size:           8
        .value_kind:     by_value
      - .address_space:  global
        .offset:         72
        .size:           8
        .value_kind:     global_buffer
      - .address_space:  global
        .offset:         80
        .size:           8
        .value_kind:     global_buffer
      - .offset:         88
        .size:           4
        .value_kind:     by_value
      - .offset:         96
        .size:           8
        .value_kind:     by_value
      - .address_space:  global
        .offset:         104
        .size:           8
        .value_kind:     global_buffer
      - .offset:         112
        .size:           4
        .value_kind:     by_value
      - .offset:         120
        .size:           8
        .value_kind:     by_value
      - .offset:         128
        .size:           4
        .value_kind:     by_value
      - .offset:         132
        .size:           4
        .value_kind:     by_value
    .group_segment_fixed_size: 3072
    .kernarg_segment_align: 8
    .kernarg_segment_size: 136
    .language:       OpenCL C
    .language_version:
      - 2
      - 0
    .max_flat_workgroup_size: 256
    .name:           _ZN12_GLOBAL__N_120geam_min_plus_kernelIDF16_Dv2_DF16_S1_Li8ELi32ELi64ELi128ELi4ELi4ELi64ELi64ELi4ELc84ELc84ELb0ELb0ELb0EPKDF16_S2_DF16_EEviiiT16_PT17_ilS6_ilS4_S6_ilPT18_ili26rocblas_geam_ex_operation_
    .private_segment_fixed_size: 0
    .sgpr_count:     32
    .sgpr_spill_count: 0
    .symbol:         _ZN12_GLOBAL__N_120geam_min_plus_kernelIDF16_Dv2_DF16_S1_Li8ELi32ELi64ELi128ELi4ELi4ELi64ELi64ELi4ELc84ELc84ELb0ELb0ELb0EPKDF16_S2_DF16_EEviiiT16_PT17_ilS6_ilS4_S6_ilPT18_ili26rocblas_geam_ex_operation_.kd
    .uniform_work_group_size: 1
    .uses_dynamic_stack: false
    .vgpr_count:     123
    .vgpr_spill_count: 0
    .wavefront_size: 64
  - .agpr_count:     0
    .args:
      - .offset:         0
        .size:           4
        .value_kind:     by_value
      - .offset:         4
        .size:           4
        .value_kind:     by_value
      - .offset:         8
        .size:           4
        .value_kind:     by_value
      - .offset:         12
        .size:           2
        .value_kind:     by_value
      - .address_space:  global
        .offset:         16
        .size:           8
        .value_kind:     global_buffer
      - .offset:         24
        .size:           4
        .value_kind:     by_value
      - .offset:         32
        .size:           8
        .value_kind:     by_value
      - .address_space:  global
        .offset:         40
        .size:           8
        .value_kind:     global_buffer
      - .offset:         48
        .size:           4
        .value_kind:     by_value
      - .offset:         56
        .size:           8
        .value_kind:     by_value
      - .offset:         64
        .size:           2
        .value_kind:     by_value
      - .address_space:  global
        .offset:         72
        .size:           8
        .value_kind:     global_buffer
      - .offset:         80
        .size:           4
        .value_kind:     by_value
      - .offset:         88
        .size:           8
        .value_kind:     by_value
      - .address_space:  global
        .offset:         96
        .size:           8
        .value_kind:     global_buffer
      - .offset:         104
        .size:           4
        .value_kind:     by_value
      - .offset:         112
        .size:           8
        .value_kind:     by_value
      - .offset:         120
        .size:           4
        .value_kind:     by_value
      - .offset:         124
        .size:           4
        .value_kind:     by_value
    .group_segment_fixed_size: 3072
    .kernarg_segment_align: 8
    .kernarg_segment_size: 128
    .language:       OpenCL C
    .language_version:
      - 2
      - 0
    .max_flat_workgroup_size: 256
    .name:           _ZN12_GLOBAL__N_120geam_min_plus_kernelIDF16_Dv2_DF16_S1_Li8ELi32ELi64ELi128ELi4ELi4ELi64ELi64ELi4ELc84ELc84ELb1ELb0ELb0EDF16_KDF16_DF16_EEviiiT16_PT17_ilS5_ilS3_S5_ilPT18_ili26rocblas_geam_ex_operation_
    .private_segment_fixed_size: 0
    .sgpr_count:     27
    .sgpr_spill_count: 0
    .symbol:         _ZN12_GLOBAL__N_120geam_min_plus_kernelIDF16_Dv2_DF16_S1_Li8ELi32ELi64ELi128ELi4ELi4ELi64ELi64ELi4ELc84ELc84ELb1ELb0ELb0EDF16_KDF16_DF16_EEviiiT16_PT17_ilS5_ilS3_S5_ilPT18_ili26rocblas_geam_ex_operation_.kd
    .uniform_work_group_size: 1
    .uses_dynamic_stack: false
    .vgpr_count:     119
    .vgpr_spill_count: 0
    .wavefront_size: 64
  - .agpr_count:     0
    .args:
      - .offset:         0
        .size:           4
        .value_kind:     by_value
      - .offset:         4
        .size:           4
        .value_kind:     by_value
      - .offset:         8
        .size:           4
        .value_kind:     by_value
      - .offset:         12
        .size:           2
        .value_kind:     by_value
      - .address_space:  global
        .offset:         16
        .size:           8
        .value_kind:     global_buffer
      - .offset:         24
        .size:           4
        .value_kind:     by_value
      - .offset:         32
        .size:           8
        .value_kind:     by_value
      - .address_space:  global
        .offset:         40
        .size:           8
        .value_kind:     global_buffer
      - .offset:         48
        .size:           4
        .value_kind:     by_value
      - .offset:         56
        .size:           8
        .value_kind:     by_value
      - .offset:         64
        .size:           2
        .value_kind:     by_value
      - .address_space:  global
        .offset:         72
        .size:           8
        .value_kind:     global_buffer
      - .offset:         80
        .size:           4
        .value_kind:     by_value
      - .offset:         88
        .size:           8
        .value_kind:     by_value
      - .address_space:  global
        .offset:         96
        .size:           8
        .value_kind:     global_buffer
      - .offset:         104
        .size:           4
        .value_kind:     by_value
      - .offset:         112
        .size:           8
        .value_kind:     by_value
      - .offset:         120
        .size:           4
        .value_kind:     by_value
      - .offset:         124
        .size:           4
        .value_kind:     by_value
    .group_segment_fixed_size: 3072
    .kernarg_segment_align: 8
    .kernarg_segment_size: 128
    .language:       OpenCL C
    .language_version:
      - 2
      - 0
    .max_flat_workgroup_size: 256
    .name:           _ZN12_GLOBAL__N_120geam_min_plus_kernelIDF16_Dv2_DF16_S1_Li8ELi32ELi64ELi128ELi4ELi4ELi64ELi64ELi4ELc84ELc84ELb0ELb0ELb0EDF16_KDF16_DF16_EEviiiT16_PT17_ilS5_ilS3_S5_ilPT18_ili26rocblas_geam_ex_operation_
    .private_segment_fixed_size: 0
    .sgpr_count:     33
    .sgpr_spill_count: 0
    .symbol:         _ZN12_GLOBAL__N_120geam_min_plus_kernelIDF16_Dv2_DF16_S1_Li8ELi32ELi64ELi128ELi4ELi4ELi64ELi64ELi4ELc84ELc84ELb0ELb0ELb0EDF16_KDF16_DF16_EEviiiT16_PT17_ilS5_ilS3_S5_ilPT18_ili26rocblas_geam_ex_operation_.kd
    .uniform_work_group_size: 1
    .uses_dynamic_stack: false
    .vgpr_count:     121
    .vgpr_spill_count: 0
    .wavefront_size: 64
  - .agpr_count:     0
    .args:
      - .offset:         0
        .size:           4
        .value_kind:     by_value
      - .offset:         4
        .size:           4
        .value_kind:     by_value
      - .offset:         8
        .size:           4
        .value_kind:     by_value
      - .address_space:  global
        .offset:         16
        .size:           8
        .value_kind:     global_buffer
      - .address_space:  global
        .offset:         24
        .size:           8
        .value_kind:     global_buffer
      - .offset:         32
        .size:           4
        .value_kind:     by_value
      - .offset:         40
        .size:           8
        .value_kind:     by_value
      - .address_space:  global
        .offset:         48
        .size:           8
        .value_kind:     global_buffer
      - .offset:         56
        .size:           4
        .value_kind:     by_value
      - .offset:         64
        .size:           8
        .value_kind:     by_value
      - .address_space:  global
        .offset:         72
        .size:           8
        .value_kind:     global_buffer
      - .address_space:  global
        .offset:         80
        .size:           8
        .value_kind:     global_buffer
      - .offset:         88
        .size:           4
        .value_kind:     by_value
      - .offset:         96
        .size:           8
        .value_kind:     by_value
      - .address_space:  global
        .offset:         104
        .size:           8
        .value_kind:     global_buffer
      - .offset:         112
        .size:           4
        .value_kind:     by_value
      - .offset:         120
        .size:           8
        .value_kind:     by_value
      - .offset:         128
        .size:           4
        .value_kind:     by_value
      - .offset:         132
        .size:           4
        .value_kind:     by_value
    .group_segment_fixed_size: 3072
    .kernarg_segment_align: 8
    .kernarg_segment_size: 136
    .language:       OpenCL C
    .language_version:
      - 2
      - 0
    .max_flat_workgroup_size: 256
    .name:           _ZN12_GLOBAL__N_120geam_min_plus_kernelIDF16_Dv2_DF16_S1_Li8ELi32ELi64ELi128ELi4ELi4ELi64ELi64ELi4ELc84ELc84ELb0ELb1ELb0EPKDF16_S2_DF16_EEviiiT16_PT17_ilS6_ilS4_S6_ilPT18_ili26rocblas_geam_ex_operation_
    .private_segment_fixed_size: 0
    .sgpr_count:     44
    .sgpr_spill_count: 0
    .symbol:         _ZN12_GLOBAL__N_120geam_min_plus_kernelIDF16_Dv2_DF16_S1_Li8ELi32ELi64ELi128ELi4ELi4ELi64ELi64ELi4ELc84ELc84ELb0ELb1ELb0EPKDF16_S2_DF16_EEviiiT16_PT17_ilS6_ilS4_S6_ilPT18_ili26rocblas_geam_ex_operation_.kd
    .uniform_work_group_size: 1
    .uses_dynamic_stack: false
    .vgpr_count:     120
    .vgpr_spill_count: 0
    .wavefront_size: 64
  - .agpr_count:     0
    .args:
      - .offset:         0
        .size:           4
        .value_kind:     by_value
      - .offset:         4
        .size:           4
        .value_kind:     by_value
      - .offset:         8
        .size:           4
        .value_kind:     by_value
      - .offset:         12
        .size:           2
        .value_kind:     by_value
      - .address_space:  global
        .offset:         16
        .size:           8
        .value_kind:     global_buffer
      - .offset:         24
        .size:           4
        .value_kind:     by_value
      - .offset:         32
        .size:           8
        .value_kind:     by_value
      - .address_space:  global
        .offset:         40
        .size:           8
        .value_kind:     global_buffer
      - .offset:         48
        .size:           4
        .value_kind:     by_value
      - .offset:         56
        .size:           8
        .value_kind:     by_value
      - .offset:         64
        .size:           2
        .value_kind:     by_value
      - .address_space:  global
        .offset:         72
        .size:           8
        .value_kind:     global_buffer
      - .offset:         80
        .size:           4
        .value_kind:     by_value
      - .offset:         88
        .size:           8
        .value_kind:     by_value
      - .address_space:  global
        .offset:         96
        .size:           8
        .value_kind:     global_buffer
      - .offset:         104
        .size:           4
        .value_kind:     by_value
      - .offset:         112
        .size:           8
        .value_kind:     by_value
      - .offset:         120
        .size:           4
        .value_kind:     by_value
      - .offset:         124
        .size:           4
        .value_kind:     by_value
    .group_segment_fixed_size: 3072
    .kernarg_segment_align: 8
    .kernarg_segment_size: 128
    .language:       OpenCL C
    .language_version:
      - 2
      - 0
    .max_flat_workgroup_size: 256
    .name:           _ZN12_GLOBAL__N_120geam_min_plus_kernelIDF16_Dv2_DF16_S1_Li8ELi32ELi64ELi128ELi4ELi4ELi64ELi64ELi4ELc84ELc84ELb1ELb1ELb0EDF16_KDF16_DF16_EEviiiT16_PT17_ilS5_ilS3_S5_ilPT18_ili26rocblas_geam_ex_operation_
    .private_segment_fixed_size: 0
    .sgpr_count:     42
    .sgpr_spill_count: 0
    .symbol:         _ZN12_GLOBAL__N_120geam_min_plus_kernelIDF16_Dv2_DF16_S1_Li8ELi32ELi64ELi128ELi4ELi4ELi64ELi64ELi4ELc84ELc84ELb1ELb1ELb0EDF16_KDF16_DF16_EEviiiT16_PT17_ilS5_ilS3_S5_ilPT18_ili26rocblas_geam_ex_operation_.kd
    .uniform_work_group_size: 1
    .uses_dynamic_stack: false
    .vgpr_count:     122
    .vgpr_spill_count: 0
    .wavefront_size: 64
  - .agpr_count:     0
    .args:
      - .offset:         0
        .size:           4
        .value_kind:     by_value
      - .offset:         4
        .size:           4
        .value_kind:     by_value
      - .offset:         8
        .size:           4
        .value_kind:     by_value
      - .offset:         12
        .size:           2
        .value_kind:     by_value
      - .address_space:  global
        .offset:         16
        .size:           8
        .value_kind:     global_buffer
      - .offset:         24
        .size:           4
        .value_kind:     by_value
      - .offset:         32
        .size:           8
        .value_kind:     by_value
      - .address_space:  global
        .offset:         40
        .size:           8
        .value_kind:     global_buffer
      - .offset:         48
        .size:           4
        .value_kind:     by_value
      - .offset:         56
        .size:           8
        .value_kind:     by_value
      - .offset:         64
        .size:           2
        .value_kind:     by_value
      - .address_space:  global
        .offset:         72
        .size:           8
        .value_kind:     global_buffer
      - .offset:         80
        .size:           4
        .value_kind:     by_value
      - .offset:         88
        .size:           8
        .value_kind:     by_value
      - .address_space:  global
        .offset:         96
        .size:           8
        .value_kind:     global_buffer
      - .offset:         104
        .size:           4
        .value_kind:     by_value
      - .offset:         112
        .size:           8
        .value_kind:     by_value
      - .offset:         120
        .size:           4
        .value_kind:     by_value
      - .offset:         124
        .size:           4
        .value_kind:     by_value
    .group_segment_fixed_size: 3072
    .kernarg_segment_align: 8
    .kernarg_segment_size: 128
    .language:       OpenCL C
    .language_version:
      - 2
      - 0
    .max_flat_workgroup_size: 256
    .name:           _ZN12_GLOBAL__N_120geam_min_plus_kernelIDF16_Dv2_DF16_S1_Li8ELi32ELi64ELi128ELi4ELi4ELi64ELi64ELi4ELc84ELc84ELb0ELb1ELb0EDF16_KDF16_DF16_EEviiiT16_PT17_ilS5_ilS3_S5_ilPT18_ili26rocblas_geam_ex_operation_
    .private_segment_fixed_size: 0
    .sgpr_count:     44
    .sgpr_spill_count: 0
    .symbol:         _ZN12_GLOBAL__N_120geam_min_plus_kernelIDF16_Dv2_DF16_S1_Li8ELi32ELi64ELi128ELi4ELi4ELi64ELi64ELi4ELc84ELc84ELb0ELb1ELb0EDF16_KDF16_DF16_EEviiiT16_PT17_ilS5_ilS3_S5_ilPT18_ili26rocblas_geam_ex_operation_.kd
    .uniform_work_group_size: 1
    .uses_dynamic_stack: false
    .vgpr_count:     118
    .vgpr_spill_count: 0
    .wavefront_size: 64
amdhsa.target:   amdgcn-amd-amdhsa--gfx950
amdhsa.version:
  - 1
  - 2
...

	.end_amdgpu_metadata
